;; amdgpu-corpus repo=ROCm/rocBLAS kind=compiled arch=gfx1030 opt=O3
	.amdgcn_target "amdgcn-amd-amdhsa--gfx1030"
	.amdhsa_code_object_version 6
	.section	.text._ZL34rocblas_gemvn_sm_mn_batched_kernelILi32ELi24EfPKffEviiT2_lPKT1_lilS5_lilS2_lPT3_lili,"axG",@progbits,_ZL34rocblas_gemvn_sm_mn_batched_kernelILi32ELi24EfPKffEviiT2_lPKT1_lilS5_lilS2_lPT3_lili,comdat
	.globl	_ZL34rocblas_gemvn_sm_mn_batched_kernelILi32ELi24EfPKffEviiT2_lPKT1_lilS5_lilS2_lPT3_lili ; -- Begin function _ZL34rocblas_gemvn_sm_mn_batched_kernelILi32ELi24EfPKffEviiT2_lPKT1_lilS5_lilS2_lPT3_lili
	.p2align	8
	.type	_ZL34rocblas_gemvn_sm_mn_batched_kernelILi32ELi24EfPKffEviiT2_lPKT1_lilS5_lilS2_lPT3_lili,@function
_ZL34rocblas_gemvn_sm_mn_batched_kernelILi32ELi24EfPKffEviiT2_lPKT1_lilS5_lilS2_lPT3_lili: ; @_ZL34rocblas_gemvn_sm_mn_batched_kernelILi32ELi24EfPKffEviiT2_lPKT1_lilS5_lilS2_lPT3_lili
; %bb.0:
	s_endpgm
	.section	.rodata,"a",@progbits
	.p2align	6, 0x0
	.amdhsa_kernel _ZL34rocblas_gemvn_sm_mn_batched_kernelILi32ELi24EfPKffEviiT2_lPKT1_lilS5_lilS2_lPT3_lili
		.amdhsa_group_segment_fixed_size 0
		.amdhsa_private_segment_fixed_size 0
		.amdhsa_kernarg_size 140
		.amdhsa_user_sgpr_count 6
		.amdhsa_user_sgpr_private_segment_buffer 1
		.amdhsa_user_sgpr_dispatch_ptr 0
		.amdhsa_user_sgpr_queue_ptr 0
		.amdhsa_user_sgpr_kernarg_segment_ptr 1
		.amdhsa_user_sgpr_dispatch_id 0
		.amdhsa_user_sgpr_flat_scratch_init 0
		.amdhsa_user_sgpr_private_segment_size 0
		.amdhsa_wavefront_size32 1
		.amdhsa_uses_dynamic_stack 0
		.amdhsa_system_sgpr_private_segment_wavefront_offset 0
		.amdhsa_system_sgpr_workgroup_id_x 1
		.amdhsa_system_sgpr_workgroup_id_y 0
		.amdhsa_system_sgpr_workgroup_id_z 0
		.amdhsa_system_sgpr_workgroup_info 0
		.amdhsa_system_vgpr_workitem_id 0
		.amdhsa_next_free_vgpr 1
		.amdhsa_next_free_sgpr 1
		.amdhsa_reserve_vcc 0
		.amdhsa_reserve_flat_scratch 0
		.amdhsa_float_round_mode_32 0
		.amdhsa_float_round_mode_16_64 0
		.amdhsa_float_denorm_mode_32 3
		.amdhsa_float_denorm_mode_16_64 3
		.amdhsa_dx10_clamp 1
		.amdhsa_ieee_mode 1
		.amdhsa_fp16_overflow 0
		.amdhsa_workgroup_processor_mode 1
		.amdhsa_memory_ordered 1
		.amdhsa_forward_progress 1
		.amdhsa_shared_vgpr_count 0
		.amdhsa_exception_fp_ieee_invalid_op 0
		.amdhsa_exception_fp_denorm_src 0
		.amdhsa_exception_fp_ieee_div_zero 0
		.amdhsa_exception_fp_ieee_overflow 0
		.amdhsa_exception_fp_ieee_underflow 0
		.amdhsa_exception_fp_ieee_inexact 0
		.amdhsa_exception_int_div_zero 0
	.end_amdhsa_kernel
	.section	.text._ZL34rocblas_gemvn_sm_mn_batched_kernelILi32ELi24EfPKffEviiT2_lPKT1_lilS5_lilS2_lPT3_lili,"axG",@progbits,_ZL34rocblas_gemvn_sm_mn_batched_kernelILi32ELi24EfPKffEviiT2_lPKT1_lilS5_lilS2_lPT3_lili,comdat
.Lfunc_end0:
	.size	_ZL34rocblas_gemvn_sm_mn_batched_kernelILi32ELi24EfPKffEviiT2_lPKT1_lilS5_lilS2_lPT3_lili, .Lfunc_end0-_ZL34rocblas_gemvn_sm_mn_batched_kernelILi32ELi24EfPKffEviiT2_lPKT1_lilS5_lilS2_lPT3_lili
                                        ; -- End function
	.set _ZL34rocblas_gemvn_sm_mn_batched_kernelILi32ELi24EfPKffEviiT2_lPKT1_lilS5_lilS2_lPT3_lili.num_vgpr, 0
	.set _ZL34rocblas_gemvn_sm_mn_batched_kernelILi32ELi24EfPKffEviiT2_lPKT1_lilS5_lilS2_lPT3_lili.num_agpr, 0
	.set _ZL34rocblas_gemvn_sm_mn_batched_kernelILi32ELi24EfPKffEviiT2_lPKT1_lilS5_lilS2_lPT3_lili.numbered_sgpr, 0
	.set _ZL34rocblas_gemvn_sm_mn_batched_kernelILi32ELi24EfPKffEviiT2_lPKT1_lilS5_lilS2_lPT3_lili.num_named_barrier, 0
	.set _ZL34rocblas_gemvn_sm_mn_batched_kernelILi32ELi24EfPKffEviiT2_lPKT1_lilS5_lilS2_lPT3_lili.private_seg_size, 0
	.set _ZL34rocblas_gemvn_sm_mn_batched_kernelILi32ELi24EfPKffEviiT2_lPKT1_lilS5_lilS2_lPT3_lili.uses_vcc, 0
	.set _ZL34rocblas_gemvn_sm_mn_batched_kernelILi32ELi24EfPKffEviiT2_lPKT1_lilS5_lilS2_lPT3_lili.uses_flat_scratch, 0
	.set _ZL34rocblas_gemvn_sm_mn_batched_kernelILi32ELi24EfPKffEviiT2_lPKT1_lilS5_lilS2_lPT3_lili.has_dyn_sized_stack, 0
	.set _ZL34rocblas_gemvn_sm_mn_batched_kernelILi32ELi24EfPKffEviiT2_lPKT1_lilS5_lilS2_lPT3_lili.has_recursion, 0
	.set _ZL34rocblas_gemvn_sm_mn_batched_kernelILi32ELi24EfPKffEviiT2_lPKT1_lilS5_lilS2_lPT3_lili.has_indirect_call, 0
	.section	.AMDGPU.csdata,"",@progbits
; Kernel info:
; codeLenInByte = 4
; TotalNumSgprs: 0
; NumVgprs: 0
; ScratchSize: 0
; MemoryBound: 0
; FloatMode: 240
; IeeeMode: 1
; LDSByteSize: 0 bytes/workgroup (compile time only)
; SGPRBlocks: 0
; VGPRBlocks: 0
; NumSGPRsForWavesPerEU: 1
; NumVGPRsForWavesPerEU: 1
; Occupancy: 16
; WaveLimiterHint : 0
; COMPUTE_PGM_RSRC2:SCRATCH_EN: 0
; COMPUTE_PGM_RSRC2:USER_SGPR: 6
; COMPUTE_PGM_RSRC2:TRAP_HANDLER: 0
; COMPUTE_PGM_RSRC2:TGID_X_EN: 1
; COMPUTE_PGM_RSRC2:TGID_Y_EN: 0
; COMPUTE_PGM_RSRC2:TGID_Z_EN: 0
; COMPUTE_PGM_RSRC2:TIDIG_COMP_CNT: 0
	.section	.text._ZL34rocblas_gemvn_sm_mn_batched_kernelILi32ELi24EfffEviiT2_lPKT1_lilS3_lilS0_lPT3_lili,"axG",@progbits,_ZL34rocblas_gemvn_sm_mn_batched_kernelILi32ELi24EfffEviiT2_lPKT1_lilS3_lilS0_lPT3_lili,comdat
	.globl	_ZL34rocblas_gemvn_sm_mn_batched_kernelILi32ELi24EfffEviiT2_lPKT1_lilS3_lilS0_lPT3_lili ; -- Begin function _ZL34rocblas_gemvn_sm_mn_batched_kernelILi32ELi24EfffEviiT2_lPKT1_lilS3_lilS0_lPT3_lili
	.p2align	8
	.type	_ZL34rocblas_gemvn_sm_mn_batched_kernelILi32ELi24EfffEviiT2_lPKT1_lilS3_lilS0_lPT3_lili,@function
_ZL34rocblas_gemvn_sm_mn_batched_kernelILi32ELi24EfffEviiT2_lPKT1_lilS3_lilS0_lPT3_lili: ; @_ZL34rocblas_gemvn_sm_mn_batched_kernelILi32ELi24EfffEviiT2_lPKT1_lilS3_lilS0_lPT3_lili
; %bb.0:
	s_endpgm
	.section	.rodata,"a",@progbits
	.p2align	6, 0x0
	.amdhsa_kernel _ZL34rocblas_gemvn_sm_mn_batched_kernelILi32ELi24EfffEviiT2_lPKT1_lilS3_lilS0_lPT3_lili
		.amdhsa_group_segment_fixed_size 0
		.amdhsa_private_segment_fixed_size 0
		.amdhsa_kernarg_size 140
		.amdhsa_user_sgpr_count 6
		.amdhsa_user_sgpr_private_segment_buffer 1
		.amdhsa_user_sgpr_dispatch_ptr 0
		.amdhsa_user_sgpr_queue_ptr 0
		.amdhsa_user_sgpr_kernarg_segment_ptr 1
		.amdhsa_user_sgpr_dispatch_id 0
		.amdhsa_user_sgpr_flat_scratch_init 0
		.amdhsa_user_sgpr_private_segment_size 0
		.amdhsa_wavefront_size32 1
		.amdhsa_uses_dynamic_stack 0
		.amdhsa_system_sgpr_private_segment_wavefront_offset 0
		.amdhsa_system_sgpr_workgroup_id_x 1
		.amdhsa_system_sgpr_workgroup_id_y 0
		.amdhsa_system_sgpr_workgroup_id_z 0
		.amdhsa_system_sgpr_workgroup_info 0
		.amdhsa_system_vgpr_workitem_id 0
		.amdhsa_next_free_vgpr 1
		.amdhsa_next_free_sgpr 1
		.amdhsa_reserve_vcc 0
		.amdhsa_reserve_flat_scratch 0
		.amdhsa_float_round_mode_32 0
		.amdhsa_float_round_mode_16_64 0
		.amdhsa_float_denorm_mode_32 3
		.amdhsa_float_denorm_mode_16_64 3
		.amdhsa_dx10_clamp 1
		.amdhsa_ieee_mode 1
		.amdhsa_fp16_overflow 0
		.amdhsa_workgroup_processor_mode 1
		.amdhsa_memory_ordered 1
		.amdhsa_forward_progress 1
		.amdhsa_shared_vgpr_count 0
		.amdhsa_exception_fp_ieee_invalid_op 0
		.amdhsa_exception_fp_denorm_src 0
		.amdhsa_exception_fp_ieee_div_zero 0
		.amdhsa_exception_fp_ieee_overflow 0
		.amdhsa_exception_fp_ieee_underflow 0
		.amdhsa_exception_fp_ieee_inexact 0
		.amdhsa_exception_int_div_zero 0
	.end_amdhsa_kernel
	.section	.text._ZL34rocblas_gemvn_sm_mn_batched_kernelILi32ELi24EfffEviiT2_lPKT1_lilS3_lilS0_lPT3_lili,"axG",@progbits,_ZL34rocblas_gemvn_sm_mn_batched_kernelILi32ELi24EfffEviiT2_lPKT1_lilS3_lilS0_lPT3_lili,comdat
.Lfunc_end1:
	.size	_ZL34rocblas_gemvn_sm_mn_batched_kernelILi32ELi24EfffEviiT2_lPKT1_lilS3_lilS0_lPT3_lili, .Lfunc_end1-_ZL34rocblas_gemvn_sm_mn_batched_kernelILi32ELi24EfffEviiT2_lPKT1_lilS3_lilS0_lPT3_lili
                                        ; -- End function
	.set _ZL34rocblas_gemvn_sm_mn_batched_kernelILi32ELi24EfffEviiT2_lPKT1_lilS3_lilS0_lPT3_lili.num_vgpr, 0
	.set _ZL34rocblas_gemvn_sm_mn_batched_kernelILi32ELi24EfffEviiT2_lPKT1_lilS3_lilS0_lPT3_lili.num_agpr, 0
	.set _ZL34rocblas_gemvn_sm_mn_batched_kernelILi32ELi24EfffEviiT2_lPKT1_lilS3_lilS0_lPT3_lili.numbered_sgpr, 0
	.set _ZL34rocblas_gemvn_sm_mn_batched_kernelILi32ELi24EfffEviiT2_lPKT1_lilS3_lilS0_lPT3_lili.num_named_barrier, 0
	.set _ZL34rocblas_gemvn_sm_mn_batched_kernelILi32ELi24EfffEviiT2_lPKT1_lilS3_lilS0_lPT3_lili.private_seg_size, 0
	.set _ZL34rocblas_gemvn_sm_mn_batched_kernelILi32ELi24EfffEviiT2_lPKT1_lilS3_lilS0_lPT3_lili.uses_vcc, 0
	.set _ZL34rocblas_gemvn_sm_mn_batched_kernelILi32ELi24EfffEviiT2_lPKT1_lilS3_lilS0_lPT3_lili.uses_flat_scratch, 0
	.set _ZL34rocblas_gemvn_sm_mn_batched_kernelILi32ELi24EfffEviiT2_lPKT1_lilS3_lilS0_lPT3_lili.has_dyn_sized_stack, 0
	.set _ZL34rocblas_gemvn_sm_mn_batched_kernelILi32ELi24EfffEviiT2_lPKT1_lilS3_lilS0_lPT3_lili.has_recursion, 0
	.set _ZL34rocblas_gemvn_sm_mn_batched_kernelILi32ELi24EfffEviiT2_lPKT1_lilS3_lilS0_lPT3_lili.has_indirect_call, 0
	.section	.AMDGPU.csdata,"",@progbits
; Kernel info:
; codeLenInByte = 4
; TotalNumSgprs: 0
; NumVgprs: 0
; ScratchSize: 0
; MemoryBound: 0
; FloatMode: 240
; IeeeMode: 1
; LDSByteSize: 0 bytes/workgroup (compile time only)
; SGPRBlocks: 0
; VGPRBlocks: 0
; NumSGPRsForWavesPerEU: 1
; NumVGPRsForWavesPerEU: 1
; Occupancy: 16
; WaveLimiterHint : 0
; COMPUTE_PGM_RSRC2:SCRATCH_EN: 0
; COMPUTE_PGM_RSRC2:USER_SGPR: 6
; COMPUTE_PGM_RSRC2:TRAP_HANDLER: 0
; COMPUTE_PGM_RSRC2:TGID_X_EN: 1
; COMPUTE_PGM_RSRC2:TGID_Y_EN: 0
; COMPUTE_PGM_RSRC2:TGID_Z_EN: 0
; COMPUTE_PGM_RSRC2:TIDIG_COMP_CNT: 0
	.section	.text._ZL20rocblas_gemvn_kernelILi64ELi4EifPKffEviiT3_lPKT2_lT1_lS5_lS6_lS2_lPT4_lS6_li,"axG",@progbits,_ZL20rocblas_gemvn_kernelILi64ELi4EifPKffEviiT3_lPKT2_lT1_lS5_lS6_lS2_lPT4_lS6_li,comdat
	.globl	_ZL20rocblas_gemvn_kernelILi64ELi4EifPKffEviiT3_lPKT2_lT1_lS5_lS6_lS2_lPT4_lS6_li ; -- Begin function _ZL20rocblas_gemvn_kernelILi64ELi4EifPKffEviiT3_lPKT2_lT1_lS5_lS6_lS2_lPT4_lS6_li
	.p2align	8
	.type	_ZL20rocblas_gemvn_kernelILi64ELi4EifPKffEviiT3_lPKT2_lT1_lS5_lS6_lS2_lPT4_lS6_li,@function
_ZL20rocblas_gemvn_kernelILi64ELi4EifPKffEviiT3_lPKT2_lT1_lS5_lS6_lS2_lPT4_lS6_li: ; @_ZL20rocblas_gemvn_kernelILi64ELi4EifPKffEviiT3_lPKT2_lT1_lS5_lS6_lS2_lPT4_lS6_li
; %bb.0:
	s_load_dwordx2 s[0:1], s[4:5], 0x9c
	s_waitcnt lgkmcnt(0)
	s_lshr_b32 s2, s0, 16
	s_and_b32 s0, s0, 0xffff
	s_and_b32 s1, s1, 0xffff
	s_mul_i32 s0, s2, s0
	s_mul_i32 s0, s0, s1
	s_cmpk_lg_i32 s0, 0x100
	s_cbranch_scc1 .LBB2_50
; %bb.1:
	s_clause 0x1
	s_load_dwordx8 s[16:23], s[4:5], 0x8
	s_load_dwordx8 s[8:15], s[4:5], 0x50
	s_waitcnt lgkmcnt(0)
	s_mul_i32 s1, s19, s7
	s_mul_hi_u32 s2, s18, s7
	s_mul_i32 s0, s18, s7
	s_add_i32 s1, s2, s1
	s_mul_i32 s2, s13, s7
	s_lshl_b64 s[0:1], s[0:1], 2
	s_mul_hi_u32 s3, s12, s7
	s_add_u32 s0, s16, s0
	s_addc_u32 s1, s17, s1
	s_add_i32 s3, s3, s2
	s_mul_i32 s2, s12, s7
	s_mov_b32 s18, 0
	s_lshl_b64 s[2:3], s[2:3], 2
	s_add_u32 s2, s10, s2
	s_addc_u32 s3, s11, s3
	s_load_dword s17, s[0:1], 0x0
	s_load_dword s16, s[2:3], 0x0
	s_waitcnt lgkmcnt(0)
	v_cmp_eq_f32_e64 s0, s17, 0
	v_cmp_eq_f32_e64 s1, s16, 1.0
	s_and_b32 s0, s0, s1
	s_and_b32 vcc_lo, exec_lo, s0
	s_cbranch_vccnz .LBB2_50
; %bb.2:
	s_clause 0x3
	s_load_dwordx2 s[0:1], s[4:5], 0x80
	s_load_dwordx2 s[2:3], s[4:5], 0x70
	s_load_dword s19, s[4:5], 0x78
	s_load_dwordx2 s[10:11], s[4:5], 0x0
	v_lshlrev_b32_e32 v13, 6, v1
	v_cmp_neq_f32_e64 s24, s17, 0
	v_add_nc_u32_e32 v14, v13, v0
	s_waitcnt lgkmcnt(0)
	s_mul_i32 s1, s1, s7
	s_mul_hi_u32 s12, s0, s7
	s_mul_i32 s0, s0, s7
	s_add_i32 s1, s12, s1
	s_lshl_b64 s[0:1], s[0:1], 2
	s_add_u32 s12, s14, s0
	s_addc_u32 s13, s15, s1
	s_lshl_b64 s[0:1], s[2:3], 2
	s_add_u32 s12, s12, s0
	v_cmp_gt_u32_e64 s0, 0x100, v14
	s_addc_u32 s13, s13, s1
	s_and_b32 vcc_lo, exec_lo, s24
	s_cbranch_vccnz .LBB2_9
; %bb.3:
	s_mov_b32 s1, 0
                                        ; implicit-def: $vgpr3
                                        ; implicit-def: $vgpr4_vgpr5
	s_and_saveexec_b32 s2, s0
	s_cbranch_execz .LBB2_10
; %bb.4:
	v_lshl_or_b32 v2, s6, 8, v14
	v_mov_b32_e32 v3, 0
	s_ashr_i32 s15, s10, 31
	s_mov_b32 s14, s10
	s_mov_b32 s3, 0
	s_mov_b32 s0, exec_lo
                                        ; implicit-def: $vgpr4_vgpr5
	v_cmpx_gt_i64_e64 s[14:15], v[2:3]
	s_cbranch_execz .LBB2_8
; %bb.5:
	v_mad_u64_u32 v[4:5], null, s19, v2, 0
	s_ashr_i32 s3, s19, 31
	v_mad_u64_u32 v[5:6], null, s3, v2, v[5:6]
	v_cmp_eq_f32_e64 s3, s16, 0
	s_and_b32 vcc_lo, exec_lo, s3
	s_cbranch_vccnz .LBB2_7
; %bb.6:
	v_lshlrev_b64 v[2:3], 2, v[4:5]
	v_add_co_u32 v2, vcc_lo, s12, v2
	v_add_co_ci_u32_e64 v3, null, s13, v3, vcc_lo
	global_load_dword v2, v[2:3], off
	s_waitcnt vmcnt(0)
	v_mul_f32_e32 v3, s16, v2
.LBB2_7:
	s_mov_b32 s3, exec_lo
.LBB2_8:
	s_or_b32 exec_lo, exec_lo, s0
	s_and_b32 s18, s3, exec_lo
	s_or_b32 exec_lo, exec_lo, s2
	s_and_b32 vcc_lo, exec_lo, s1
	s_cbranch_vccnz .LBB2_11
	s_branch .LBB2_48
.LBB2_9:
                                        ; implicit-def: $vgpr3
                                        ; implicit-def: $vgpr4_vgpr5
	s_cbranch_execnz .LBB2_11
	s_branch .LBB2_48
.LBB2_10:
	s_or_b32 exec_lo, exec_lo, s2
	s_and_b32 vcc_lo, exec_lo, s1
	s_cbranch_vccz .LBB2_48
.LBB2_11:
	s_clause 0x3
	s_load_dwordx4 s[0:3], s[4:5], 0x30
	s_load_dword s14, s[4:5], 0x28
	s_load_dwordx2 s[24:25], s[4:5], 0x40
	s_load_dword s4, s[4:5], 0x48
	s_mul_i32 s9, s9, s7
	v_lshlrev_b32_e32 v20, 2, v1
	v_mov_b32_e32 v15, 0
	v_mov_b32_e32 v16, 0
	;; [unrolled: 1-line block ×4, first 2 shown]
	s_waitcnt lgkmcnt(0)
	s_mul_i32 s1, s1, s7
	s_mul_hi_u32 s15, s0, s7
	s_mul_i32 s0, s0, s7
	s_add_i32 s1, s15, s1
	s_mul_hi_u32 s15, s8, s7
	s_lshl_b64 s[0:1], s[0:1], 2
	s_add_u32 s26, s20, s0
	s_addc_u32 s21, s21, s1
	s_lshl_b64 s[0:1], s[22:23], 2
	s_mul_i32 s20, s8, s7
	s_add_u32 s7, s26, s0
	s_addc_u32 s8, s21, s1
	s_add_i32 s21, s15, s9
	s_lshl_b64 s[0:1], s[20:21], 2
	s_mov_b32 s20, exec_lo
	s_add_u32 s2, s2, s0
	s_addc_u32 s3, s3, s1
	s_lshl_b64 s[0:1], s[24:25], 2
	s_add_u32 s9, s2, s0
	s_addc_u32 s15, s3, s1
	s_ashr_i32 s0, s11, 31
	s_lshl_b32 s5, s6, 8
	s_lshr_b32 s0, s0, 28
	v_or_b32_e32 v19, s5, v0
	s_add_i32 s0, s11, s0
	s_and_b32 s6, s0, -16
	v_cmpx_gt_i32_e64 s6, v20
	s_cbranch_execz .LBB2_23
; %bb.12:
	v_add_nc_u32_e32 v5, 0xc0, v19
	v_mul_lo_u32 v3, s14, v20
	v_add_nc_u32_e32 v2, 64, v19
	v_add_nc_u32_e32 v6, 2, v20
	;; [unrolled: 1-line block ×3, first 2 shown]
	v_cmp_gt_i32_e64 s2, s10, v5
	v_mul_lo_u32 v5, v1, s14
	v_add_nc_u32_e32 v7, 3, v20
	v_mul_lo_u32 v8, v1, s4
	v_cmp_gt_i32_e64 s0, s10, v2
	v_add3_u32 v21, v3, s14, v0
	v_mad_u64_u32 v[2:3], null, s14, v6, v[0:1]
	v_cmp_gt_i32_e64 s1, s10, v4
	v_mad_u64_u32 v[3:4], null, s14, v7, v[0:1]
	v_lshl_add_u32 v22, v5, 2, v0
	v_mad_u64_u32 v[4:5], null, s4, v20, s[4:5]
	v_mul_lo_u32 v23, s4, v6
	v_mul_lo_u32 v24, s4, v7
	v_lshlrev_b32_e32 v25, 2, v8
	v_mov_b32_e32 v15, 0
	v_mov_b32_e32 v16, 0
	;; [unrolled: 1-line block ×4, first 2 shown]
	s_lshl_b32 s21, s14, 4
	s_lshl_b32 s23, s4, 4
	s_mov_b32 s22, 0
	s_mov_b32 s24, 0
	v_cmp_gt_i32_e32 vcc_lo, s10, v19
	s_branch .LBB2_17
.LBB2_13:                               ;   in Loop: Header=BB2_17 Depth=1
	s_or_b32 exec_lo, exec_lo, s27
	s_waitcnt vmcnt(3)
	v_fmac_f32_e32 v17, v29, v41
	s_waitcnt vmcnt(2)
	v_fmac_f32_e32 v17, v28, v40
	;; [unrolled: 2-line block ×4, first 2 shown]
.LBB2_14:                               ;   in Loop: Header=BB2_17 Depth=1
	s_or_b32 exec_lo, exec_lo, s26
	s_waitcnt vmcnt(3)
	v_fmac_f32_e32 v16, v29, v37
	s_waitcnt vmcnt(2)
	v_fmac_f32_e32 v16, v28, v36
	;; [unrolled: 2-line block ×4, first 2 shown]
.LBB2_15:                               ;   in Loop: Header=BB2_17 Depth=1
	s_or_b32 exec_lo, exec_lo, s3
	s_waitcnt vmcnt(3)
	v_fmac_f32_e32 v15, v29, v33
	s_waitcnt vmcnt(2)
	v_fmac_f32_e32 v15, v28, v31
	;; [unrolled: 2-line block ×4, first 2 shown]
.LBB2_16:                               ;   in Loop: Header=BB2_17 Depth=1
	s_or_b32 exec_lo, exec_lo, s25
	v_add_nc_u32_e32 v20, 16, v20
	v_add_nc_u32_e32 v21, s21, v21
	;; [unrolled: 1-line block ×5, first 2 shown]
	v_cmp_le_i32_e64 s3, s6, v20
	s_add_i32 s24, s24, s23
	s_or_b32 s22, s3, s22
	s_andn2_b32 exec_lo, exec_lo, s22
	s_cbranch_execz .LBB2_22
.LBB2_17:                               ; =>This Inner Loop Header: Depth=1
	s_and_saveexec_b32 s25, vcc_lo
	s_cbranch_execz .LBB2_16
; %bb.18:                               ;   in Loop: Header=BB2_17 Depth=1
	v_add_nc_u32_e32 v5, s24, v25
	v_add_nc_u32_e32 v7, s24, v4
	;; [unrolled: 1-line block ×5, first 2 shown]
	v_ashrrev_i32_e32 v6, 31, v5
	v_ashrrev_i32_e32 v8, 31, v7
	;; [unrolled: 1-line block ×5, first 2 shown]
	v_lshlrev_b64 v[5:6], 2, v[5:6]
	v_lshlrev_b64 v[7:8], 2, v[7:8]
	;; [unrolled: 1-line block ×3, first 2 shown]
	v_add_co_u32 v28, s3, s9, v5
	v_add_co_ci_u32_e64 v29, null, s15, v6, s3
	v_add_co_u32 v30, s3, s9, v7
	v_add_nc_u32_e32 v7, s5, v21
	v_add_co_ci_u32_e64 v31, null, s15, v8, s3
	v_lshlrev_b64 v[5:6], 2, v[11:12]
	v_add_co_u32 v32, s3, s9, v9
	v_add_nc_u32_e32 v11, s5, v2
	v_add_co_ci_u32_e64 v33, null, s15, v10, s3
	v_lshlrev_b64 v[9:10], 2, v[26:27]
	v_add_nc_u32_e32 v26, s5, v3
	v_ashrrev_i32_e32 v8, 31, v7
	v_ashrrev_i32_e32 v12, 31, v11
	v_add_co_u32 v34, s3, s9, v5
	v_ashrrev_i32_e32 v27, 31, v26
	v_add_co_ci_u32_e64 v35, null, s15, v6, s3
	v_lshlrev_b64 v[7:8], 2, v[7:8]
	v_add_co_u32 v5, s3, s7, v9
	v_add_co_ci_u32_e64 v6, null, s8, v10, s3
	v_lshlrev_b64 v[9:10], 2, v[11:12]
	v_lshlrev_b64 v[26:27], 2, v[26:27]
	v_add_co_u32 v7, s3, s7, v7
	v_add_co_ci_u32_e64 v8, null, s8, v8, s3
	v_add_co_u32 v11, s3, s7, v9
	v_add_co_ci_u32_e64 v12, null, s8, v10, s3
	;; [unrolled: 2-line block ×3, first 2 shown]
	s_clause 0x3
	global_load_dword v29, v[28:29], off
	global_load_dword v28, v[30:31], off
	;; [unrolled: 1-line block ×4, first 2 shown]
	s_clause 0x3
	global_load_dword v33, v[5:6], off
	global_load_dword v31, v[7:8], off
	;; [unrolled: 1-line block ×4, first 2 shown]
	s_and_saveexec_b32 s3, s0
	s_cbranch_execz .LBB2_15
; %bb.19:                               ;   in Loop: Header=BB2_17 Depth=1
	s_clause 0x3
	global_load_dword v37, v[5:6], off offset:256
	global_load_dword v36, v[7:8], off offset:256
	global_load_dword v35, v[11:12], off offset:256
	global_load_dword v34, v[9:10], off offset:256
	s_and_saveexec_b32 s26, s1
	s_cbranch_execz .LBB2_14
; %bb.20:                               ;   in Loop: Header=BB2_17 Depth=1
	s_clause 0x3
	global_load_dword v41, v[5:6], off offset:512
	global_load_dword v40, v[7:8], off offset:512
	global_load_dword v39, v[11:12], off offset:512
	global_load_dword v38, v[9:10], off offset:512
	;; [unrolled: 8-line block ×3, first 2 shown]
	s_waitcnt vmcnt(3)
	v_fmac_f32_e32 v18, v29, v5
	s_waitcnt vmcnt(2)
	v_fmac_f32_e32 v18, v28, v6
	s_waitcnt vmcnt(1)
	v_fmac_f32_e32 v18, v27, v7
	s_waitcnt vmcnt(0)
	v_fmac_f32_e32 v18, v26, v8
	s_branch .LBB2_13
.LBB2_22:
	s_or_b32 exec_lo, exec_lo, s22
.LBB2_23:
	s_or_b32 exec_lo, exec_lo, s20
	s_sub_i32 s0, s11, s6
	s_cmp_lt_i32 s0, 1
	s_cbranch_scc1 .LBB2_41
; %bb.24:
	v_cmp_gt_i32_e32 vcc_lo, s11, v20
	v_mov_b32_e32 v12, 0
	v_or_b32_e32 v2, 1, v20
	v_mov_b32_e32 v21, 0
	v_mov_b32_e32 v11, 0
	;; [unrolled: 1-line block ×3, first 2 shown]
	s_and_saveexec_b32 s1, vcc_lo
	s_cbranch_execz .LBB2_32
; %bb.25:
	v_mul_lo_u32 v3, v20, s4
	v_mov_b32_e32 v11, 0
	v_mov_b32_e32 v21, 0
	;; [unrolled: 1-line block ×3, first 2 shown]
	s_mov_b32 s2, exec_lo
	v_ashrrev_i32_e32 v4, 31, v3
	v_lshlrev_b64 v[3:4], 2, v[3:4]
	v_add_co_u32 v3, s0, s9, v3
	v_add_co_ci_u32_e64 v4, null, s15, v4, s0
	global_load_dword v10, v[3:4], off
	v_cmpx_gt_i32_e64 s11, v2
	s_cbranch_execz .LBB2_31
; %bb.26:
	v_mul_lo_u32 v3, v2, s4
	v_mov_b32_e32 v21, 0
	v_mov_b32_e32 v12, 0
	s_mov_b32 s3, exec_lo
	v_ashrrev_i32_e32 v4, 31, v3
	v_lshlrev_b64 v[3:4], 2, v[3:4]
	v_add_co_u32 v3, s0, s9, v3
	v_add_co_ci_u32_e64 v4, null, s15, v4, s0
	global_load_dword v11, v[3:4], off
	v_or_b32_e32 v3, 2, v20
	v_cmpx_gt_i32_e64 s11, v3
	s_cbranch_execz .LBB2_30
; %bb.27:
	v_mul_lo_u32 v3, v3, s4
	v_mov_b32_e32 v12, 0
	s_mov_b32 s6, exec_lo
	v_ashrrev_i32_e32 v4, 31, v3
	v_lshlrev_b64 v[3:4], 2, v[3:4]
	v_add_co_u32 v3, s0, s9, v3
	v_add_co_ci_u32_e64 v4, null, s15, v4, s0
	global_load_dword v21, v[3:4], off
	v_or_b32_e32 v3, 3, v20
	v_cmpx_gt_i32_e64 s11, v3
	s_cbranch_execz .LBB2_29
; %bb.28:
	v_mul_lo_u32 v3, v3, s4
	v_ashrrev_i32_e32 v4, 31, v3
	v_lshlrev_b64 v[3:4], 2, v[3:4]
	v_add_co_u32 v3, s0, s9, v3
	v_add_co_ci_u32_e64 v4, null, s15, v4, s0
	global_load_dword v12, v[3:4], off
.LBB2_29:
	s_or_b32 exec_lo, exec_lo, s6
.LBB2_30:
	s_or_b32 exec_lo, exec_lo, s3
.LBB2_31:
	s_or_b32 exec_lo, exec_lo, s2
.LBB2_32:
	s_or_b32 exec_lo, exec_lo, s1
	s_mov_b32 s1, exec_lo
	v_cmpx_gt_i32_e64 s10, v19
	s_cbranch_execz .LBB2_40
; %bb.33:
	v_mul_lo_u32 v3, v20, s14
	v_or_b32_e32 v4, 2, v20
	v_mul_lo_u32 v5, v2, s14
	v_or_b32_e32 v6, 3, v20
	s_mov_b32 s0, exec_lo
	v_mul_lo_u32 v7, v4, s14
	v_mul_lo_u32 v8, v6, s14
	v_cndmask_b32_e32 v3, 0, v3, vcc_lo
	v_cmp_gt_i32_e32 vcc_lo, s11, v2
	v_add_nc_u32_e32 v2, v3, v19
	v_cndmask_b32_e32 v5, 0, v5, vcc_lo
	v_cmp_gt_i32_e32 vcc_lo, s11, v4
	v_ashrrev_i32_e32 v3, 31, v2
	v_add_nc_u32_e32 v4, v5, v19
	v_cndmask_b32_e32 v7, 0, v7, vcc_lo
	v_cmp_gt_i32_e32 vcc_lo, s11, v6
	v_lshlrev_b64 v[2:3], 2, v[2:3]
	v_ashrrev_i32_e32 v5, 31, v4
	v_add_nc_u32_e32 v6, v7, v19
	v_cndmask_b32_e32 v8, 0, v8, vcc_lo
	v_lshlrev_b64 v[4:5], 2, v[4:5]
	v_ashrrev_i32_e32 v7, 31, v6
	v_add_nc_u32_e32 v8, v8, v19
	v_lshlrev_b64 v[22:23], 2, v[6:7]
	v_add_co_u32 v6, vcc_lo, s7, v2
	v_add_co_ci_u32_e64 v7, null, s8, v3, vcc_lo
	v_ashrrev_i32_e32 v9, 31, v8
	v_add_co_u32 v2, vcc_lo, s7, v4
	v_add_co_ci_u32_e64 v3, null, s8, v5, vcc_lo
	global_load_dword v24, v[6:7], off
	v_add_co_u32 v4, vcc_lo, s7, v22
	v_add_co_ci_u32_e64 v5, null, s8, v23, vcc_lo
	v_lshlrev_b64 v[8:9], 2, v[8:9]
	s_clause 0x1
	global_load_dword v22, v[2:3], off
	global_load_dword v23, v[4:5], off
	v_add_co_u32 v8, vcc_lo, s7, v8
	v_add_co_ci_u32_e64 v9, null, s8, v9, vcc_lo
	global_load_dword v20, v[8:9], off
	s_waitcnt vmcnt(3)
	v_fmac_f32_e32 v15, v10, v24
	s_waitcnt vmcnt(2)
	v_fmac_f32_e32 v15, v11, v22
	v_add_nc_u32_e32 v22, 64, v19
	s_waitcnt vmcnt(1)
	v_fmac_f32_e32 v15, v21, v23
	v_cmpx_gt_i32_e64 s10, v22
	s_cbranch_execz .LBB2_39
; %bb.34:
	s_clause 0x3
	global_load_dword v23, v[6:7], off offset:256
	global_load_dword v24, v[2:3], off offset:256
	;; [unrolled: 1-line block ×4, first 2 shown]
	s_mov_b32 s2, exec_lo
	s_waitcnt vmcnt(3)
	v_fmac_f32_e32 v16, v10, v23
	v_add_nc_u32_e32 v23, 0x80, v19
	s_waitcnt vmcnt(2)
	v_fmac_f32_e32 v16, v11, v24
	s_waitcnt vmcnt(1)
	v_fmac_f32_e32 v16, v21, v25
	v_cmpx_gt_i32_e64 s10, v23
	s_cbranch_execz .LBB2_38
; %bb.35:
	s_clause 0x3
	global_load_dword v24, v[6:7], off offset:512
	global_load_dword v25, v[2:3], off offset:512
	;; [unrolled: 1-line block ×4, first 2 shown]
	v_add_nc_u32_e32 v19, 0xc0, v19
	s_mov_b32 s3, exec_lo
	s_waitcnt vmcnt(3)
	v_fmac_f32_e32 v17, v10, v24
	s_waitcnt vmcnt(2)
	v_fmac_f32_e32 v17, v11, v25
	s_waitcnt vmcnt(1)
	v_fmac_f32_e32 v17, v21, v26
	v_cmpx_gt_i32_e64 s10, v19
	s_cbranch_execz .LBB2_37
; %bb.36:
	s_clause 0x3
	global_load_dword v6, v[6:7], off offset:768
	global_load_dword v2, v[2:3], off offset:768
	;; [unrolled: 1-line block ×4, first 2 shown]
	s_waitcnt vmcnt(3)
	v_fmac_f32_e32 v18, v10, v6
	s_waitcnt vmcnt(2)
	v_fmac_f32_e32 v18, v11, v2
	;; [unrolled: 2-line block ×4, first 2 shown]
.LBB2_37:
	s_or_b32 exec_lo, exec_lo, s3
	s_waitcnt vmcnt(0)
	v_fmac_f32_e32 v17, v12, v23
.LBB2_38:
	s_or_b32 exec_lo, exec_lo, s2
	s_waitcnt vmcnt(0)
	v_fmac_f32_e32 v16, v12, v22
.LBB2_39:
	s_or_b32 exec_lo, exec_lo, s0
	s_waitcnt vmcnt(0)
	v_fmac_f32_e32 v15, v12, v20
.LBB2_40:
	s_or_b32 exec_lo, exec_lo, s1
.LBB2_41:
	v_lshlrev_b32_e32 v0, 2, v0
	s_mov_b32 s0, exec_lo
                                        ; implicit-def: $vgpr3
                                        ; implicit-def: $vgpr4_vgpr5
	v_lshl_or_b32 v1, v1, 10, v0
	ds_write2st64_b32 v1, v15, v16 offset1:1
	ds_write2st64_b32 v1, v17, v18 offset0:2 offset1:3
	s_waitcnt vmcnt(0) lgkmcnt(0)
	s_barrier
	buffer_gl0_inv
	v_cmpx_gt_u32_e32 0x100, v14
	s_cbranch_execz .LBB2_47
; %bb.42:
	v_lshl_add_u32 v4, v13, 2, v0
	s_mov_b32 s2, s18
	s_mov_b32 s1, exec_lo
	ds_read2st64_b32 v[0:1], v4 offset1:4
	ds_read2st64_b32 v[2:3], v4 offset0:8 offset1:12
	s_waitcnt lgkmcnt(1)
	v_add_f32_e32 v0, v0, v1
	v_or_b32_e32 v1, s5, v14
	s_waitcnt lgkmcnt(0)
	v_add_f32_e32 v0, v2, v0
	v_add_f32_e32 v0, v3, v0
                                        ; implicit-def: $vgpr3
	ds_write_b32 v4, v0
                                        ; implicit-def: $vgpr4_vgpr5
	v_cmpx_gt_i32_e64 s10, v1
	s_cbranch_execz .LBB2_46
; %bb.43:
	v_mul_lo_u32 v4, s19, v1
	v_cmp_eq_f32_e64 s2, s16, 0
	v_mul_f32_e32 v3, s17, v0
	s_and_b32 vcc_lo, exec_lo, s2
	v_ashrrev_i32_e32 v5, 31, v4
	s_cbranch_vccnz .LBB2_45
; %bb.44:
	v_lshlrev_b64 v[0:1], 2, v[4:5]
	v_add_co_u32 v0, vcc_lo, s12, v0
	v_add_co_ci_u32_e64 v1, null, s13, v1, vcc_lo
	global_load_dword v0, v[0:1], off
	s_waitcnt vmcnt(0)
	v_fmac_f32_e32 v3, s16, v0
.LBB2_45:
	s_or_b32 s2, s18, exec_lo
.LBB2_46:
	s_or_b32 exec_lo, exec_lo, s1
	s_andn2_b32 s1, s18, exec_lo
	s_and_b32 s2, s2, exec_lo
	s_or_b32 s18, s1, s2
.LBB2_47:
	s_or_b32 exec_lo, exec_lo, s0
.LBB2_48:
	s_and_saveexec_b32 s0, s18
	s_cbranch_execz .LBB2_50
; %bb.49:
	v_lshlrev_b64 v[0:1], 2, v[4:5]
	v_add_co_u32 v0, vcc_lo, s12, v0
	v_add_co_ci_u32_e64 v1, null, s13, v1, vcc_lo
	global_store_dword v[0:1], v3, off
.LBB2_50:
	s_endpgm
	.section	.rodata,"a",@progbits
	.p2align	6, 0x0
	.amdhsa_kernel _ZL20rocblas_gemvn_kernelILi64ELi4EifPKffEviiT3_lPKT2_lT1_lS5_lS6_lS2_lPT4_lS6_li
		.amdhsa_group_segment_fixed_size 4096
		.amdhsa_private_segment_fixed_size 0
		.amdhsa_kernarg_size 400
		.amdhsa_user_sgpr_count 6
		.amdhsa_user_sgpr_private_segment_buffer 1
		.amdhsa_user_sgpr_dispatch_ptr 0
		.amdhsa_user_sgpr_queue_ptr 0
		.amdhsa_user_sgpr_kernarg_segment_ptr 1
		.amdhsa_user_sgpr_dispatch_id 0
		.amdhsa_user_sgpr_flat_scratch_init 0
		.amdhsa_user_sgpr_private_segment_size 0
		.amdhsa_wavefront_size32 1
		.amdhsa_uses_dynamic_stack 0
		.amdhsa_system_sgpr_private_segment_wavefront_offset 0
		.amdhsa_system_sgpr_workgroup_id_x 1
		.amdhsa_system_sgpr_workgroup_id_y 0
		.amdhsa_system_sgpr_workgroup_id_z 1
		.amdhsa_system_sgpr_workgroup_info 0
		.amdhsa_system_vgpr_workitem_id 1
		.amdhsa_next_free_vgpr 42
		.amdhsa_next_free_sgpr 28
		.amdhsa_reserve_vcc 1
		.amdhsa_reserve_flat_scratch 0
		.amdhsa_float_round_mode_32 0
		.amdhsa_float_round_mode_16_64 0
		.amdhsa_float_denorm_mode_32 3
		.amdhsa_float_denorm_mode_16_64 3
		.amdhsa_dx10_clamp 1
		.amdhsa_ieee_mode 1
		.amdhsa_fp16_overflow 0
		.amdhsa_workgroup_processor_mode 1
		.amdhsa_memory_ordered 1
		.amdhsa_forward_progress 1
		.amdhsa_shared_vgpr_count 0
		.amdhsa_exception_fp_ieee_invalid_op 0
		.amdhsa_exception_fp_denorm_src 0
		.amdhsa_exception_fp_ieee_div_zero 0
		.amdhsa_exception_fp_ieee_overflow 0
		.amdhsa_exception_fp_ieee_underflow 0
		.amdhsa_exception_fp_ieee_inexact 0
		.amdhsa_exception_int_div_zero 0
	.end_amdhsa_kernel
	.section	.text._ZL20rocblas_gemvn_kernelILi64ELi4EifPKffEviiT3_lPKT2_lT1_lS5_lS6_lS2_lPT4_lS6_li,"axG",@progbits,_ZL20rocblas_gemvn_kernelILi64ELi4EifPKffEviiT3_lPKT2_lT1_lS5_lS6_lS2_lPT4_lS6_li,comdat
.Lfunc_end2:
	.size	_ZL20rocblas_gemvn_kernelILi64ELi4EifPKffEviiT3_lPKT2_lT1_lS5_lS6_lS2_lPT4_lS6_li, .Lfunc_end2-_ZL20rocblas_gemvn_kernelILi64ELi4EifPKffEviiT3_lPKT2_lT1_lS5_lS6_lS2_lPT4_lS6_li
                                        ; -- End function
	.set _ZL20rocblas_gemvn_kernelILi64ELi4EifPKffEviiT3_lPKT2_lT1_lS5_lS6_lS2_lPT4_lS6_li.num_vgpr, 42
	.set _ZL20rocblas_gemvn_kernelILi64ELi4EifPKffEviiT3_lPKT2_lT1_lS5_lS6_lS2_lPT4_lS6_li.num_agpr, 0
	.set _ZL20rocblas_gemvn_kernelILi64ELi4EifPKffEviiT3_lPKT2_lT1_lS5_lS6_lS2_lPT4_lS6_li.numbered_sgpr, 28
	.set _ZL20rocblas_gemvn_kernelILi64ELi4EifPKffEviiT3_lPKT2_lT1_lS5_lS6_lS2_lPT4_lS6_li.num_named_barrier, 0
	.set _ZL20rocblas_gemvn_kernelILi64ELi4EifPKffEviiT3_lPKT2_lT1_lS5_lS6_lS2_lPT4_lS6_li.private_seg_size, 0
	.set _ZL20rocblas_gemvn_kernelILi64ELi4EifPKffEviiT3_lPKT2_lT1_lS5_lS6_lS2_lPT4_lS6_li.uses_vcc, 1
	.set _ZL20rocblas_gemvn_kernelILi64ELi4EifPKffEviiT3_lPKT2_lT1_lS5_lS6_lS2_lPT4_lS6_li.uses_flat_scratch, 0
	.set _ZL20rocblas_gemvn_kernelILi64ELi4EifPKffEviiT3_lPKT2_lT1_lS5_lS6_lS2_lPT4_lS6_li.has_dyn_sized_stack, 0
	.set _ZL20rocblas_gemvn_kernelILi64ELi4EifPKffEviiT3_lPKT2_lT1_lS5_lS6_lS2_lPT4_lS6_li.has_recursion, 0
	.set _ZL20rocblas_gemvn_kernelILi64ELi4EifPKffEviiT3_lPKT2_lT1_lS5_lS6_lS2_lPT4_lS6_li.has_indirect_call, 0
	.section	.AMDGPU.csdata,"",@progbits
; Kernel info:
; codeLenInByte = 2656
; TotalNumSgprs: 30
; NumVgprs: 42
; ScratchSize: 0
; MemoryBound: 0
; FloatMode: 240
; IeeeMode: 1
; LDSByteSize: 4096 bytes/workgroup (compile time only)
; SGPRBlocks: 0
; VGPRBlocks: 5
; NumSGPRsForWavesPerEU: 30
; NumVGPRsForWavesPerEU: 42
; Occupancy: 16
; WaveLimiterHint : 1
; COMPUTE_PGM_RSRC2:SCRATCH_EN: 0
; COMPUTE_PGM_RSRC2:USER_SGPR: 6
; COMPUTE_PGM_RSRC2:TRAP_HANDLER: 0
; COMPUTE_PGM_RSRC2:TGID_X_EN: 1
; COMPUTE_PGM_RSRC2:TGID_Y_EN: 0
; COMPUTE_PGM_RSRC2:TGID_Z_EN: 1
; COMPUTE_PGM_RSRC2:TIDIG_COMP_CNT: 1
	.section	.text._ZL20rocblas_gemvn_kernelILi64ELi4ElfPKffEviiT3_lPKT2_lT1_lS5_lS6_lS2_lPT4_lS6_li,"axG",@progbits,_ZL20rocblas_gemvn_kernelILi64ELi4ElfPKffEviiT3_lPKT2_lT1_lS5_lS6_lS2_lPT4_lS6_li,comdat
	.globl	_ZL20rocblas_gemvn_kernelILi64ELi4ElfPKffEviiT3_lPKT2_lT1_lS5_lS6_lS2_lPT4_lS6_li ; -- Begin function _ZL20rocblas_gemvn_kernelILi64ELi4ElfPKffEviiT3_lPKT2_lT1_lS5_lS6_lS2_lPT4_lS6_li
	.p2align	8
	.type	_ZL20rocblas_gemvn_kernelILi64ELi4ElfPKffEviiT3_lPKT2_lT1_lS5_lS6_lS2_lPT4_lS6_li,@function
_ZL20rocblas_gemvn_kernelILi64ELi4ElfPKffEviiT3_lPKT2_lT1_lS5_lS6_lS2_lPT4_lS6_li: ; @_ZL20rocblas_gemvn_kernelILi64ELi4ElfPKffEviiT3_lPKT2_lT1_lS5_lS6_lS2_lPT4_lS6_li
; %bb.0:
	s_load_dwordx2 s[0:1], s[4:5], 0x9c
	s_waitcnt lgkmcnt(0)
	s_lshr_b32 s2, s0, 16
	s_and_b32 s0, s0, 0xffff
	s_and_b32 s1, s1, 0xffff
	s_mul_i32 s0, s2, s0
	s_mul_i32 s0, s0, s1
	s_cmpk_lg_i32 s0, 0x100
	s_cbranch_scc1 .LBB3_50
; %bb.1:
	s_clause 0x1
	s_load_dwordx16 s[36:51], s[4:5], 0x8
	s_load_dwordx16 s[8:23], s[4:5], 0x48
	s_mov_b32 s26, 0
	s_waitcnt lgkmcnt(0)
	s_mul_i32 s1, s39, s7
	s_mul_hi_u32 s2, s38, s7
	s_mul_i32 s0, s38, s7
	s_add_i32 s1, s2, s1
	s_mul_i32 s2, s15, s7
	s_lshl_b64 s[0:1], s[0:1], 2
	s_mul_hi_u32 s3, s14, s7
	s_add_u32 s0, s36, s0
	s_addc_u32 s1, s37, s1
	s_add_i32 s3, s3, s2
	s_mul_i32 s2, s14, s7
	s_lshl_b64 s[2:3], s[2:3], 2
	s_add_u32 s2, s12, s2
	s_addc_u32 s3, s13, s3
	s_load_dword s25, s[0:1], 0x0
	s_load_dword s24, s[2:3], 0x0
	s_waitcnt lgkmcnt(0)
	v_cmp_eq_f32_e64 s0, s25, 0
	v_cmp_eq_f32_e64 s1, s24, 1.0
	s_and_b32 s0, s0, s1
	s_and_b32 vcc_lo, exec_lo, s0
	s_cbranch_vccnz .LBB3_50
; %bb.2:
	s_load_dwordx2 s[12:13], s[4:5], 0x0
	v_lshlrev_b32_e32 v14, 6, v1
	s_mul_i32 s0, s23, s7
	s_mul_hi_u32 s1, s22, s7
	v_cmp_neq_f32_e64 s4, s25, 0
	s_add_i32 s1, s1, s0
	s_mul_i32 s0, s22, s7
	v_add_nc_u32_e32 v13, v14, v0
	s_lshl_b64 s[0:1], s[0:1], 2
	s_add_u32 s2, s16, s0
	s_addc_u32 s3, s17, s1
	s_lshl_b64 s[0:1], s[18:19], 2
	s_add_u32 s5, s2, s0
	v_cmp_gt_u32_e64 s0, 0x100, v13
	s_addc_u32 s22, s3, s1
	s_and_b32 vcc_lo, exec_lo, s4
	s_cbranch_vccnz .LBB3_9
; %bb.3:
	s_mov_b32 s1, 0
                                        ; implicit-def: $vgpr3
                                        ; implicit-def: $vgpr4_vgpr5
	s_and_saveexec_b32 s2, s0
	s_cbranch_execz .LBB3_10
; %bb.4:
	v_lshl_or_b32 v2, s6, 8, v13
	v_mov_b32_e32 v3, 0
	s_waitcnt lgkmcnt(0)
	s_ashr_i32 s15, s12, 31
	s_mov_b32 s14, s12
	s_mov_b32 s3, 0
	s_mov_b32 s0, exec_lo
                                        ; implicit-def: $vgpr4_vgpr5
	v_cmpx_gt_i64_e64 s[14:15], v[2:3]
	s_cbranch_execz .LBB3_8
; %bb.5:
	v_mad_u64_u32 v[4:5], null, s20, v2, 0
	v_cmp_eq_f32_e64 s3, s24, 0
	s_and_b32 vcc_lo, exec_lo, s3
	v_mad_u64_u32 v[5:6], null, s21, v2, v[5:6]
	s_cbranch_vccnz .LBB3_7
; %bb.6:
	v_lshlrev_b64 v[2:3], 2, v[4:5]
	v_add_co_u32 v2, vcc_lo, s5, v2
	v_add_co_ci_u32_e64 v3, null, s22, v3, vcc_lo
	global_load_dword v2, v[2:3], off
	s_waitcnt vmcnt(0)
	v_mul_f32_e32 v3, s24, v2
.LBB3_7:
	s_mov_b32 s3, exec_lo
.LBB3_8:
	s_or_b32 exec_lo, exec_lo, s0
	s_and_b32 s26, s3, exec_lo
	s_or_b32 exec_lo, exec_lo, s2
	s_and_b32 vcc_lo, exec_lo, s1
	s_cbranch_vccnz .LBB3_11
	s_branch .LBB3_48
.LBB3_9:
                                        ; implicit-def: $vgpr3
                                        ; implicit-def: $vgpr4_vgpr5
	s_cbranch_execnz .LBB3_11
	s_branch .LBB3_48
.LBB3_10:
	s_or_b32 exec_lo, exec_lo, s2
	s_and_b32 vcc_lo, exec_lo, s1
	s_cbranch_vccz .LBB3_48
.LBB3_11:
	s_mul_i32 s0, s47, s7
	s_mul_hi_u32 s1, s46, s7
	s_lshl_b32 s23, s6, 8
	s_add_i32 s15, s1, s0
	s_waitcnt lgkmcnt(0)
	s_ashr_i32 s1, s13, 31
	v_lshlrev_b32_e32 v16, 2, v1
	s_lshr_b32 s1, s1, 28
	v_or_b32_e32 v2, s23, v0
	v_mov_b32_e32 v15, 0
	v_mov_b32_e32 v17, 0
	;; [unrolled: 1-line block ×4, first 2 shown]
	s_mul_i32 s0, s11, s7
	s_mul_hi_u32 s2, s10, s7
	s_add_i32 s1, s13, s1
	s_mul_i32 s14, s46, s7
	s_and_b32 s27, s1, -16
	s_add_i32 s11, s2, s0
	s_mul_i32 s10, s10, s7
	s_mov_b32 s28, exec_lo
	v_cmpx_gt_i32_e64 s27, v16
	s_cbranch_execz .LBB3_23
; %bb.12:
	v_lshlrev_b32_e32 v15, 2, v1
	v_mad_u64_u32 v[4:5], null, s8, v1, 0
	v_add_nc_u32_e32 v11, 64, v2
	v_add_nc_u32_e32 v12, 0x80, v2
	v_or_b32_e32 v17, 3, v15
	s_lshl_b64 s[0:1], s[10:11], 2
	s_lshl_b64 s[6:7], s[50:51], 2
	s_add_u32 s4, s48, s0
	s_addc_u32 s29, s49, s1
	v_mad_u64_u32 v[6:7], null, s44, v17, 0
	v_cmp_gt_i32_e64 s0, s12, v11
	v_cmp_gt_i32_e64 s1, s12, v12
	v_add_nc_u32_e32 v18, 0xc0, v2
	v_or_b32_e32 v19, 2, v15
	s_lshl_b64 s[18:19], s[42:43], 2
	s_lshl_b64 s[16:17], s[8:9], 6
	v_mad_u64_u32 v[8:9], null, s9, v1, v[5:6]
	v_mad_u64_u32 v[9:10], null, s8, v17, 0
	v_cmp_gt_i32_e64 s2, s12, v18
	s_lshl_b64 s[30:31], s[14:15], 2
	v_mad_u64_u32 v[28:29], null, s8, v19, 0
	v_mov_b32_e32 v5, v8
	v_mad_u64_u32 v[7:8], null, s45, v17, v[7:8]
	v_mad_u64_u32 v[30:31], null, s8, v15, s[8:9]
	v_lshlrev_b64 v[11:12], 4, v[4:5]
	v_mov_b32_e32 v5, v10
	v_mov_b32_e32 v8, v29
	v_mad_u64_u32 v[32:33], null, s44, v15, s[44:45]
	v_lshlrev_b64 v[6:7], 2, v[6:7]
	v_add_co_u32 v20, s3, s4, v11
	v_add_co_ci_u32_e64 v21, null, s29, v12, s3
	v_mad_u64_u32 v[11:12], null, s44, v1, 0
	v_mad_u64_u32 v[17:18], null, s9, v17, v[5:6]
	s_add_u32 s3, s40, s18
	s_addc_u32 s18, s41, s19
	s_add_u32 s19, s3, s30
	s_addc_u32 s18, s18, s31
	v_mov_b32_e32 v5, v12
	v_add_co_u32 v22, s3, s19, v6
	v_mov_b32_e32 v10, v17
	v_mad_u64_u32 v[17:18], null, s44, v19, 0
	v_mad_u64_u32 v[24:25], null, s45, v1, v[5:6]
	v_add_co_ci_u32_e64 v23, null, s18, v7, s3
	v_lshlrev_b64 v[6:7], 2, v[9:10]
	v_ashrrev_i32_e32 v3, 31, v2
	v_mov_b32_e32 v5, v18
	v_cmp_gt_i32_e32 vcc_lo, s12, v2
	v_mov_b32_e32 v12, v24
	v_add_co_u32 v24, s3, s4, v6
	v_mad_u64_u32 v[9:10], null, s45, v19, v[5:6]
	v_add_co_ci_u32_e64 v25, null, s29, v7, s3
	v_lshlrev_b64 v[6:7], 4, v[11:12]
	v_mov_b32_e32 v5, v31
	v_lshlrev_b64 v[3:4], 2, v[2:3]
	v_mad_u64_u32 v[26:27], null, s9, v19, v[8:9]
	v_mov_b32_e32 v18, v9
	v_mad_u64_u32 v[8:9], null, s9, v15, v[5:6]
	v_mov_b32_e32 v5, v33
	v_mov_b32_e32 v19, 0
	;; [unrolled: 1-line block ×3, first 2 shown]
	v_add_co_u32 v26, s3, s19, v6
	v_add_co_ci_u32_e64 v27, null, s18, v7, s3
	v_lshlrev_b64 v[6:7], 2, v[17:18]
	v_mov_b32_e32 v31, v8
	v_mov_b32_e32 v17, 0
	;; [unrolled: 1-line block ×3, first 2 shown]
	v_mad_u64_u32 v[9:10], null, s45, v15, v[5:6]
	v_lshlrev_b64 v[10:11], 2, v[28:29]
	v_add_co_u32 v28, s3, s19, v6
	v_lshlrev_b64 v[5:6], 2, v[30:31]
	v_add_co_ci_u32_e64 v29, null, s18, v7, s3
	v_mov_b32_e32 v33, v9
	v_add_co_u32 v30, s3, s4, v10
	v_add_co_ci_u32_e64 v31, null, s29, v11, s3
	v_lshlrev_b64 v[7:8], 2, v[32:33]
	v_add_co_u32 v32, s3, s4, v5
	v_add_co_ci_u32_e64 v33, null, s29, v6, s3
	v_mov_b32_e32 v15, 0
	v_add_co_u32 v34, s3, s19, v7
	v_add_co_ci_u32_e64 v35, null, s18, v8, s3
	s_lshl_b64 s[18:19], s[44:45], 6
	s_mov_b32 s29, 0
	s_branch .LBB3_17
.LBB3_13:                               ;   in Loop: Header=BB3_17 Depth=1
	s_or_b32 exec_lo, exec_lo, s31
	s_waitcnt vmcnt(3)
	v_fmac_f32_e32 v18, v37, v51
	s_waitcnt vmcnt(2)
	v_fmac_f32_e32 v18, v36, v50
	;; [unrolled: 2-line block ×4, first 2 shown]
.LBB3_14:                               ;   in Loop: Header=BB3_17 Depth=1
	s_or_b32 exec_lo, exec_lo, s30
	s_waitcnt vmcnt(3)
	v_fmac_f32_e32 v17, v37, v47
	s_waitcnt vmcnt(2)
	v_fmac_f32_e32 v17, v36, v46
	;; [unrolled: 2-line block ×4, first 2 shown]
.LBB3_15:                               ;   in Loop: Header=BB3_17 Depth=1
	s_or_b32 exec_lo, exec_lo, s3
	s_waitcnt vmcnt(3)
	v_fmac_f32_e32 v15, v37, v43
	s_waitcnt vmcnt(2)
	v_fmac_f32_e32 v15, v36, v41
	;; [unrolled: 2-line block ×4, first 2 shown]
.LBB3_16:                               ;   in Loop: Header=BB3_17 Depth=1
	s_or_b32 exec_lo, exec_lo, s4
	v_add_co_u32 v20, s3, v20, s16
	v_add_co_ci_u32_e64 v21, null, s17, v21, s3
	v_add_co_u32 v22, s3, v22, s18
	v_add_co_ci_u32_e64 v23, null, s19, v23, s3
	;; [unrolled: 2-line block ×4, first 2 shown]
	v_add_co_u32 v28, s3, v28, s18
	v_add_nc_u32_e32 v16, 16, v16
	v_add_co_ci_u32_e64 v29, null, s19, v29, s3
	v_add_co_u32 v30, s3, v30, s16
	v_add_co_ci_u32_e64 v31, null, s17, v31, s3
	v_add_co_u32 v32, s3, v32, s16
	v_add_co_ci_u32_e64 v33, null, s17, v33, s3
	v_cmp_le_i32_e64 s3, s27, v16
	v_add_co_u32 v34, s4, v34, s18
	v_add_co_ci_u32_e64 v35, null, s19, v35, s4
	s_or_b32 s29, s3, s29
	s_andn2_b32 exec_lo, exec_lo, s29
	s_cbranch_execz .LBB3_22
.LBB3_17:                               ; =>This Inner Loop Header: Depth=1
	s_and_saveexec_b32 s4, vcc_lo
	s_cbranch_execz .LBB3_16
; %bb.18:                               ;   in Loop: Header=BB3_17 Depth=1
	v_add_co_u32 v5, s3, v20, s6
	v_add_co_ci_u32_e64 v6, null, s7, v21, s3
	v_add_co_u32 v7, s3, v32, s6
	v_add_co_ci_u32_e64 v8, null, s7, v33, s3
	;; [unrolled: 2-line block ×3, first 2 shown]
	v_add_co_u32 v39, s3, v24, s6
	global_load_dword v37, v[5:6], off
	global_load_dword v36, v[7:8], off
	;; [unrolled: 1-line block ×3, first 2 shown]
	v_add_co_ci_u32_e64 v40, null, s7, v25, s3
	v_add_co_u32 v5, s3, v26, v3
	v_add_co_ci_u32_e64 v6, null, v27, v4, s3
	v_add_co_u32 v7, s3, v34, v3
	;; [unrolled: 2-line block ×4, first 2 shown]
	v_add_co_ci_u32_e64 v12, null, v23, v4, s3
	global_load_dword v39, v[39:40], off
	global_load_dword v43, v[5:6], off
	;; [unrolled: 1-line block ×5, first 2 shown]
	s_and_saveexec_b32 s3, s0
	s_cbranch_execz .LBB3_15
; %bb.19:                               ;   in Loop: Header=BB3_17 Depth=1
	global_load_dword v47, v[5:6], off offset:256
	global_load_dword v46, v[7:8], off offset:256
	global_load_dword v45, v[9:10], off offset:256
	global_load_dword v44, v[11:12], off offset:256
	s_and_saveexec_b32 s30, s1
	s_cbranch_execz .LBB3_14
; %bb.20:                               ;   in Loop: Header=BB3_17 Depth=1
	global_load_dword v51, v[5:6], off offset:512
	global_load_dword v50, v[7:8], off offset:512
	global_load_dword v49, v[9:10], off offset:512
	global_load_dword v48, v[11:12], off offset:512
	s_and_saveexec_b32 s31, s2
	s_cbranch_execz .LBB3_13
; %bb.21:                               ;   in Loop: Header=BB3_17 Depth=1
	global_load_dword v5, v[5:6], off offset:768
	global_load_dword v6, v[7:8], off offset:768
	global_load_dword v7, v[9:10], off offset:768
	global_load_dword v8, v[11:12], off offset:768
	s_waitcnt vmcnt(3)
	v_fmac_f32_e32 v19, v37, v5
	s_waitcnt vmcnt(2)
	v_fmac_f32_e32 v19, v36, v6
	;; [unrolled: 2-line block ×4, first 2 shown]
	s_branch .LBB3_13
.LBB3_22:
	s_or_b32 exec_lo, exec_lo, s29
.LBB3_23:
	s_or_b32 exec_lo, exec_lo, s28
	s_sub_i32 s0, s13, s27
	s_cmp_lt_i32 s0, 1
	s_cbranch_scc1 .LBB3_41
; %bb.24:
	v_cmp_gt_i32_e32 vcc_lo, s13, v16
	v_mov_b32_e32 v20, 0
	v_or_b32_e32 v4, 1, v16
	v_mov_b32_e32 v21, 0
	v_mov_b32_e32 v12, 0
	;; [unrolled: 1-line block ×3, first 2 shown]
	s_and_saveexec_b32 s1, vcc_lo
	s_cbranch_execz .LBB3_32
; %bb.25:
	v_mad_u64_u32 v[5:6], null, s8, v16, 0
	s_lshl_b64 s[2:3], s[10:11], 2
	v_mov_b32_e32 v12, 0
	s_add_u32 s0, s48, s2
	s_addc_u32 s2, s49, s3
	s_lshl_b64 s[6:7], s[50:51], 2
	v_mov_b32_e32 v21, 0
	v_mov_b32_e32 v3, v6
	s_add_u32 s3, s0, s6
	s_addc_u32 s4, s2, s7
	v_mov_b32_e32 v20, 0
	s_mov_b32 s2, exec_lo
	v_mad_u64_u32 v[6:7], null, s9, v16, v[3:4]
	v_lshlrev_b64 v[5:6], 2, v[5:6]
	v_add_co_u32 v5, s0, s3, v5
	v_add_co_ci_u32_e64 v6, null, s4, v6, s0
	global_load_dword v11, v[5:6], off
	v_cmpx_gt_i32_e64 s13, v4
	s_cbranch_execz .LBB3_31
; %bb.26:
	v_mad_u64_u32 v[5:6], null, s8, v4, 0
	v_mov_b32_e32 v21, 0
	v_mov_b32_e32 v20, 0
	s_mov_b32 s6, exec_lo
	v_mov_b32_e32 v3, v6
	v_mad_u64_u32 v[6:7], null, s9, v4, v[3:4]
	v_or_b32_e32 v3, 2, v16
	v_lshlrev_b64 v[5:6], 2, v[5:6]
	v_add_co_u32 v5, s0, s3, v5
	v_add_co_ci_u32_e64 v6, null, s4, v6, s0
	global_load_dword v12, v[5:6], off
	v_cmpx_gt_i32_e64 s13, v3
	s_cbranch_execz .LBB3_30
; %bb.27:
	v_mad_u64_u32 v[5:6], null, s8, v3, 0
	v_mov_b32_e32 v20, 0
	s_mov_b32 s7, exec_lo
	v_mad_u64_u32 v[6:7], null, s9, v3, v[6:7]
	v_or_b32_e32 v3, 3, v16
	v_lshlrev_b64 v[5:6], 2, v[5:6]
	v_add_co_u32 v5, s0, s3, v5
	v_add_co_ci_u32_e64 v6, null, s4, v6, s0
	global_load_dword v21, v[5:6], off
	v_cmpx_gt_i32_e64 s13, v3
	s_cbranch_execz .LBB3_29
; %bb.28:
	v_mad_u64_u32 v[5:6], null, s8, v3, 0
	v_mad_u64_u32 v[6:7], null, s9, v3, v[6:7]
	v_lshlrev_b64 v[5:6], 2, v[5:6]
	v_add_co_u32 v5, s0, s3, v5
	v_add_co_ci_u32_e64 v6, null, s4, v6, s0
	global_load_dword v20, v[5:6], off
.LBB3_29:
	s_or_b32 exec_lo, exec_lo, s7
.LBB3_30:
	s_or_b32 exec_lo, exec_lo, s6
.LBB3_31:
	s_or_b32 exec_lo, exec_lo, s2
.LBB3_32:
	s_or_b32 exec_lo, exec_lo, s1
	s_mov_b32 s1, exec_lo
	v_cmpx_gt_i32_e64 s12, v2
	s_cbranch_execz .LBB3_40
; %bb.33:
	v_mad_u64_u32 v[5:6], null, s44, v16, 0
	v_mad_u64_u32 v[7:8], null, s44, v4, 0
	v_ashrrev_i32_e32 v3, 31, v2
	v_or_b32_e32 v29, 2, v16
	s_lshl_b64 s[2:3], s[14:15], 2
	s_add_u32 s0, s40, s2
	v_lshlrev_b64 v[22:23], 2, v[2:3]
	v_mad_u64_u32 v[9:10], null, s45, v16, v[6:7]
	v_mov_b32_e32 v3, v8
	v_cndmask_b32_e32 v5, 0, v5, vcc_lo
	v_or_b32_e32 v16, 3, v16
	v_mad_u64_u32 v[24:25], null, s44, v29, 0
	v_mad_u64_u32 v[26:27], null, s45, v4, v[3:4]
	v_cndmask_b32_e32 v6, 0, v9, vcc_lo
	v_cmp_gt_i32_e32 vcc_lo, s13, v4
	s_addc_u32 s4, s41, s3
	s_lshl_b64 s[2:3], s[42:43], 2
	v_mad_u64_u32 v[8:9], null, s44, v16, 0
	v_lshlrev_b64 v[5:6], 2, v[5:6]
	v_cndmask_b32_e32 v27, 0, v7, vcc_lo
	v_cndmask_b32_e32 v28, 0, v26, vcc_lo
	s_add_u32 s2, s0, s2
	v_mov_b32_e32 v7, v25
	s_addc_u32 s3, s4, s3
	v_add_co_u32 v3, s0, s2, v5
	v_add_co_ci_u32_e64 v4, null, s3, v6, s0
	v_lshlrev_b64 v[5:6], 2, v[27:28]
	v_mad_u64_u32 v[25:26], null, s45, v29, v[7:8]
	v_add_co_u32 v3, vcc_lo, v3, v22
	v_add_co_ci_u32_e64 v4, null, v4, v23, vcc_lo
	v_cmp_gt_i32_e32 vcc_lo, s13, v29
	v_mov_b32_e32 v7, v9
	v_add_co_u32 v5, s0, s2, v5
	v_add_co_ci_u32_e64 v6, null, s3, v6, s0
	v_cndmask_b32_e32 v9, 0, v24, vcc_lo
	v_cndmask_b32_e32 v10, 0, v25, vcc_lo
	v_mad_u64_u32 v[24:25], null, s45, v16, v[7:8]
	v_add_co_u32 v5, vcc_lo, v5, v22
	v_add_co_ci_u32_e64 v6, null, v6, v23, vcc_lo
	v_cmp_gt_i32_e32 vcc_lo, s13, v16
	v_lshlrev_b64 v[9:10], 2, v[9:10]
	s_clause 0x1
	global_load_dword v25, v[3:4], off
	global_load_dword v26, v[5:6], off
	s_mov_b32 s0, exec_lo
	v_cndmask_b32_e32 v7, 0, v8, vcc_lo
	v_cndmask_b32_e32 v8, 0, v24, vcc_lo
	v_add_co_u32 v16, vcc_lo, s2, v9
	v_add_co_ci_u32_e64 v24, null, s3, v10, vcc_lo
	v_lshlrev_b64 v[9:10], 2, v[7:8]
	v_add_co_u32 v7, vcc_lo, v16, v22
	v_add_co_ci_u32_e64 v8, null, v24, v23, vcc_lo
	v_add_co_u32 v9, vcc_lo, s2, v9
	v_add_co_ci_u32_e64 v10, null, s3, v10, vcc_lo
	global_load_dword v24, v[7:8], off
	v_add_co_u32 v9, vcc_lo, v9, v22
	v_add_co_ci_u32_e64 v10, null, v10, v23, vcc_lo
	v_add_nc_u32_e32 v22, 64, v2
	global_load_dword v16, v[9:10], off
	s_waitcnt vmcnt(3)
	v_fmac_f32_e32 v15, v11, v25
	s_waitcnt vmcnt(2)
	v_fmac_f32_e32 v15, v12, v26
	;; [unrolled: 2-line block ×3, first 2 shown]
	v_cmpx_gt_i32_e64 s12, v22
	s_cbranch_execz .LBB3_39
; %bb.34:
	s_clause 0x3
	global_load_dword v23, v[3:4], off offset:256
	global_load_dword v24, v[5:6], off offset:256
	;; [unrolled: 1-line block ×4, first 2 shown]
	s_mov_b32 s2, exec_lo
	s_waitcnt vmcnt(3)
	v_fmac_f32_e32 v17, v11, v23
	v_add_nc_u32_e32 v23, 0x80, v2
	s_waitcnt vmcnt(2)
	v_fmac_f32_e32 v17, v12, v24
	s_waitcnt vmcnt(1)
	v_fmac_f32_e32 v17, v21, v25
	v_cmpx_gt_i32_e64 s12, v23
	s_cbranch_execz .LBB3_38
; %bb.35:
	s_clause 0x3
	global_load_dword v24, v[3:4], off offset:512
	global_load_dword v25, v[5:6], off offset:512
	;; [unrolled: 1-line block ×4, first 2 shown]
	v_add_nc_u32_e32 v2, 0xc0, v2
	s_mov_b32 s3, exec_lo
	s_waitcnt vmcnt(3)
	v_fmac_f32_e32 v18, v11, v24
	s_waitcnt vmcnt(2)
	v_fmac_f32_e32 v18, v12, v25
	s_waitcnt vmcnt(1)
	v_fmac_f32_e32 v18, v21, v26
	v_cmpx_gt_i32_e64 s12, v2
	s_cbranch_execz .LBB3_37
; %bb.36:
	s_clause 0x3
	global_load_dword v2, v[3:4], off offset:768
	global_load_dword v3, v[5:6], off offset:768
	;; [unrolled: 1-line block ×4, first 2 shown]
	s_waitcnt vmcnt(3)
	v_fmac_f32_e32 v19, v11, v2
	s_waitcnt vmcnt(2)
	v_fmac_f32_e32 v19, v12, v3
	;; [unrolled: 2-line block ×4, first 2 shown]
.LBB3_37:
	s_or_b32 exec_lo, exec_lo, s3
	s_waitcnt vmcnt(0)
	v_fmac_f32_e32 v18, v20, v23
.LBB3_38:
	s_or_b32 exec_lo, exec_lo, s2
	s_waitcnt vmcnt(0)
	v_fmac_f32_e32 v17, v20, v22
.LBB3_39:
	s_or_b32 exec_lo, exec_lo, s0
	s_waitcnt vmcnt(0)
	v_fmac_f32_e32 v15, v20, v16
.LBB3_40:
	s_or_b32 exec_lo, exec_lo, s1
.LBB3_41:
	v_lshlrev_b32_e32 v0, 2, v0
	s_mov_b32 s0, exec_lo
                                        ; implicit-def: $vgpr3
                                        ; implicit-def: $vgpr4_vgpr5
	v_lshl_or_b32 v1, v1, 10, v0
	ds_write2st64_b32 v1, v15, v17 offset1:1
	ds_write2st64_b32 v1, v18, v19 offset0:2 offset1:3
	s_waitcnt vmcnt(0) lgkmcnt(0)
	s_barrier
	buffer_gl0_inv
	v_cmpx_gt_u32_e32 0x100, v13
	s_cbranch_execz .LBB3_47
; %bb.42:
	v_lshl_add_u32 v4, v14, 2, v0
	s_mov_b32 s2, s26
	s_mov_b32 s1, exec_lo
	ds_read2st64_b32 v[0:1], v4 offset1:4
	ds_read2st64_b32 v[2:3], v4 offset0:8 offset1:12
	s_waitcnt lgkmcnt(1)
	v_add_f32_e32 v0, v0, v1
	v_or_b32_e32 v1, s23, v13
	s_waitcnt lgkmcnt(0)
	v_add_f32_e32 v0, v2, v0
	v_add_f32_e32 v0, v3, v0
                                        ; implicit-def: $vgpr3
	ds_write_b32 v4, v0
                                        ; implicit-def: $vgpr4_vgpr5
	v_cmpx_gt_i32_e64 s12, v1
	s_cbranch_execz .LBB3_46
; %bb.43:
	v_ashrrev_i32_e32 v2, 31, v1
	v_mul_lo_u32 v6, s21, v1
	v_mad_u64_u32 v[4:5], null, s20, v1, 0
	v_cmp_eq_f32_e64 s2, s24, 0
	v_mul_lo_u32 v1, s20, v2
	v_mul_f32_e32 v3, s25, v0
	s_and_b32 vcc_lo, exec_lo, s2
	v_add3_u32 v5, v5, v1, v6
	s_cbranch_vccnz .LBB3_45
; %bb.44:
	v_lshlrev_b64 v[0:1], 2, v[4:5]
	v_add_co_u32 v0, vcc_lo, s5, v0
	v_add_co_ci_u32_e64 v1, null, s22, v1, vcc_lo
	global_load_dword v0, v[0:1], off
	s_waitcnt vmcnt(0)
	v_fmac_f32_e32 v3, s24, v0
.LBB3_45:
	s_or_b32 s2, s26, exec_lo
.LBB3_46:
	s_or_b32 exec_lo, exec_lo, s1
	s_andn2_b32 s1, s26, exec_lo
	s_and_b32 s2, s2, exec_lo
	s_or_b32 s26, s1, s2
.LBB3_47:
	s_or_b32 exec_lo, exec_lo, s0
.LBB3_48:
	s_and_saveexec_b32 s0, s26
	s_cbranch_execz .LBB3_50
; %bb.49:
	v_lshlrev_b64 v[0:1], 2, v[4:5]
	v_add_co_u32 v0, vcc_lo, s5, v0
	v_add_co_ci_u32_e64 v1, null, s22, v1, vcc_lo
	global_store_dword v[0:1], v3, off
.LBB3_50:
	s_endpgm
	.section	.rodata,"a",@progbits
	.p2align	6, 0x0
	.amdhsa_kernel _ZL20rocblas_gemvn_kernelILi64ELi4ElfPKffEviiT3_lPKT2_lT1_lS5_lS6_lS2_lPT4_lS6_li
		.amdhsa_group_segment_fixed_size 4096
		.amdhsa_private_segment_fixed_size 0
		.amdhsa_kernarg_size 400
		.amdhsa_user_sgpr_count 6
		.amdhsa_user_sgpr_private_segment_buffer 1
		.amdhsa_user_sgpr_dispatch_ptr 0
		.amdhsa_user_sgpr_queue_ptr 0
		.amdhsa_user_sgpr_kernarg_segment_ptr 1
		.amdhsa_user_sgpr_dispatch_id 0
		.amdhsa_user_sgpr_flat_scratch_init 0
		.amdhsa_user_sgpr_private_segment_size 0
		.amdhsa_wavefront_size32 1
		.amdhsa_uses_dynamic_stack 0
		.amdhsa_system_sgpr_private_segment_wavefront_offset 0
		.amdhsa_system_sgpr_workgroup_id_x 1
		.amdhsa_system_sgpr_workgroup_id_y 0
		.amdhsa_system_sgpr_workgroup_id_z 1
		.amdhsa_system_sgpr_workgroup_info 0
		.amdhsa_system_vgpr_workitem_id 1
		.amdhsa_next_free_vgpr 52
		.amdhsa_next_free_sgpr 52
		.amdhsa_reserve_vcc 1
		.amdhsa_reserve_flat_scratch 0
		.amdhsa_float_round_mode_32 0
		.amdhsa_float_round_mode_16_64 0
		.amdhsa_float_denorm_mode_32 3
		.amdhsa_float_denorm_mode_16_64 3
		.amdhsa_dx10_clamp 1
		.amdhsa_ieee_mode 1
		.amdhsa_fp16_overflow 0
		.amdhsa_workgroup_processor_mode 1
		.amdhsa_memory_ordered 1
		.amdhsa_forward_progress 1
		.amdhsa_shared_vgpr_count 0
		.amdhsa_exception_fp_ieee_invalid_op 0
		.amdhsa_exception_fp_denorm_src 0
		.amdhsa_exception_fp_ieee_div_zero 0
		.amdhsa_exception_fp_ieee_overflow 0
		.amdhsa_exception_fp_ieee_underflow 0
		.amdhsa_exception_fp_ieee_inexact 0
		.amdhsa_exception_int_div_zero 0
	.end_amdhsa_kernel
	.section	.text._ZL20rocblas_gemvn_kernelILi64ELi4ElfPKffEviiT3_lPKT2_lT1_lS5_lS6_lS2_lPT4_lS6_li,"axG",@progbits,_ZL20rocblas_gemvn_kernelILi64ELi4ElfPKffEviiT3_lPKT2_lT1_lS5_lS6_lS2_lPT4_lS6_li,comdat
.Lfunc_end3:
	.size	_ZL20rocblas_gemvn_kernelILi64ELi4ElfPKffEviiT3_lPKT2_lT1_lS5_lS6_lS2_lPT4_lS6_li, .Lfunc_end3-_ZL20rocblas_gemvn_kernelILi64ELi4ElfPKffEviiT3_lPKT2_lT1_lS5_lS6_lS2_lPT4_lS6_li
                                        ; -- End function
	.set _ZL20rocblas_gemvn_kernelILi64ELi4ElfPKffEviiT3_lPKT2_lT1_lS5_lS6_lS2_lPT4_lS6_li.num_vgpr, 52
	.set _ZL20rocblas_gemvn_kernelILi64ELi4ElfPKffEviiT3_lPKT2_lT1_lS5_lS6_lS2_lPT4_lS6_li.num_agpr, 0
	.set _ZL20rocblas_gemvn_kernelILi64ELi4ElfPKffEviiT3_lPKT2_lT1_lS5_lS6_lS2_lPT4_lS6_li.numbered_sgpr, 52
	.set _ZL20rocblas_gemvn_kernelILi64ELi4ElfPKffEviiT3_lPKT2_lT1_lS5_lS6_lS2_lPT4_lS6_li.num_named_barrier, 0
	.set _ZL20rocblas_gemvn_kernelILi64ELi4ElfPKffEviiT3_lPKT2_lT1_lS5_lS6_lS2_lPT4_lS6_li.private_seg_size, 0
	.set _ZL20rocblas_gemvn_kernelILi64ELi4ElfPKffEviiT3_lPKT2_lT1_lS5_lS6_lS2_lPT4_lS6_li.uses_vcc, 1
	.set _ZL20rocblas_gemvn_kernelILi64ELi4ElfPKffEviiT3_lPKT2_lT1_lS5_lS6_lS2_lPT4_lS6_li.uses_flat_scratch, 0
	.set _ZL20rocblas_gemvn_kernelILi64ELi4ElfPKffEviiT3_lPKT2_lT1_lS5_lS6_lS2_lPT4_lS6_li.has_dyn_sized_stack, 0
	.set _ZL20rocblas_gemvn_kernelILi64ELi4ElfPKffEviiT3_lPKT2_lT1_lS5_lS6_lS2_lPT4_lS6_li.has_recursion, 0
	.set _ZL20rocblas_gemvn_kernelILi64ELi4ElfPKffEviiT3_lPKT2_lT1_lS5_lS6_lS2_lPT4_lS6_li.has_indirect_call, 0
	.section	.AMDGPU.csdata,"",@progbits
; Kernel info:
; codeLenInByte = 3040
; TotalNumSgprs: 54
; NumVgprs: 52
; ScratchSize: 0
; MemoryBound: 0
; FloatMode: 240
; IeeeMode: 1
; LDSByteSize: 4096 bytes/workgroup (compile time only)
; SGPRBlocks: 0
; VGPRBlocks: 6
; NumSGPRsForWavesPerEU: 54
; NumVGPRsForWavesPerEU: 52
; Occupancy: 16
; WaveLimiterHint : 0
; COMPUTE_PGM_RSRC2:SCRATCH_EN: 0
; COMPUTE_PGM_RSRC2:USER_SGPR: 6
; COMPUTE_PGM_RSRC2:TRAP_HANDLER: 0
; COMPUTE_PGM_RSRC2:TGID_X_EN: 1
; COMPUTE_PGM_RSRC2:TGID_Y_EN: 0
; COMPUTE_PGM_RSRC2:TGID_Z_EN: 1
; COMPUTE_PGM_RSRC2:TIDIG_COMP_CNT: 1
	.section	.text._ZL20rocblas_gemvn_kernelILi64ELi4EifffEviiT3_lPKT2_lT1_lS3_lS4_lS0_lPT4_lS4_li,"axG",@progbits,_ZL20rocblas_gemvn_kernelILi64ELi4EifffEviiT3_lPKT2_lT1_lS3_lS4_lS0_lPT4_lS4_li,comdat
	.globl	_ZL20rocblas_gemvn_kernelILi64ELi4EifffEviiT3_lPKT2_lT1_lS3_lS4_lS0_lPT4_lS4_li ; -- Begin function _ZL20rocblas_gemvn_kernelILi64ELi4EifffEviiT3_lPKT2_lT1_lS3_lS4_lS0_lPT4_lS4_li
	.p2align	8
	.type	_ZL20rocblas_gemvn_kernelILi64ELi4EifffEviiT3_lPKT2_lT1_lS3_lS4_lS0_lPT4_lS4_li,@function
_ZL20rocblas_gemvn_kernelILi64ELi4EifffEviiT3_lPKT2_lT1_lS3_lS4_lS0_lPT4_lS4_li: ; @_ZL20rocblas_gemvn_kernelILi64ELi4EifffEviiT3_lPKT2_lT1_lS3_lS4_lS0_lPT4_lS4_li
; %bb.0:
	s_load_dwordx2 s[0:1], s[4:5], 0x9c
	s_waitcnt lgkmcnt(0)
	s_lshr_b32 s2, s0, 16
	s_and_b32 s0, s0, 0xffff
	s_and_b32 s1, s1, 0xffff
	s_mul_i32 s0, s2, s0
	s_mul_i32 s0, s0, s1
	s_cmpk_lg_i32 s0, 0x100
	s_cbranch_scc1 .LBB4_50
; %bb.1:
	s_clause 0x1
	s_load_dwordx4 s[8:11], s[4:5], 0x0
	s_load_dword s13, s[4:5], 0x58
	s_mov_b32 s14, 0
	s_waitcnt lgkmcnt(0)
	v_cmp_eq_f32_e64 s0, s10, 0
	v_cmp_eq_f32_e64 s1, s13, 1.0
	s_and_b32 s0, s0, s1
	s_and_b32 vcc_lo, exec_lo, s0
	s_cbranch_vccnz .LBB4_50
; %bb.2:
	s_clause 0x2
	s_load_dwordx2 s[16:17], s[4:5], 0x80
	s_load_dwordx4 s[0:3], s[4:5], 0x68
	s_load_dword s15, s[4:5], 0x78
	v_lshlrev_b32_e32 v13, 6, v1
	v_cmp_neq_f32_e64 s18, s10, 0
	v_add_nc_u32_e32 v14, v13, v0
	s_waitcnt lgkmcnt(0)
	s_mul_i32 s11, s17, s7
	s_mul_hi_u32 s12, s16, s7
	s_mul_i32 s16, s16, s7
	s_add_i32 s17, s12, s11
	s_lshl_b64 s[16:17], s[16:17], 2
	s_add_u32 s11, s0, s16
	s_addc_u32 s12, s1, s17
	s_lshl_b64 s[0:1], s[2:3], 2
	s_add_u32 s11, s11, s0
	v_cmp_gt_u32_e64 s0, 0x100, v14
	s_addc_u32 s12, s12, s1
	s_and_b32 vcc_lo, exec_lo, s18
	s_cbranch_vccnz .LBB4_9
; %bb.3:
	s_mov_b32 s1, 0
                                        ; implicit-def: $vgpr3
                                        ; implicit-def: $vgpr4_vgpr5
	s_and_saveexec_b32 s2, s0
	s_cbranch_execz .LBB4_10
; %bb.4:
	v_lshl_or_b32 v2, s6, 8, v14
	v_mov_b32_e32 v3, 0
	s_ashr_i32 s17, s8, 31
	s_mov_b32 s16, s8
	s_mov_b32 s3, 0
	s_mov_b32 s0, exec_lo
                                        ; implicit-def: $vgpr4_vgpr5
	v_cmpx_gt_i64_e64 s[16:17], v[2:3]
	s_cbranch_execz .LBB4_8
; %bb.5:
	v_mad_u64_u32 v[4:5], null, s15, v2, 0
	s_ashr_i32 s3, s15, 31
	v_mad_u64_u32 v[5:6], null, s3, v2, v[5:6]
	v_cmp_eq_f32_e64 s3, s13, 0
	s_and_b32 vcc_lo, exec_lo, s3
	s_cbranch_vccnz .LBB4_7
; %bb.6:
	v_lshlrev_b64 v[2:3], 2, v[4:5]
	v_add_co_u32 v2, vcc_lo, s11, v2
	v_add_co_ci_u32_e64 v3, null, s12, v3, vcc_lo
	global_load_dword v2, v[2:3], off
	s_waitcnt vmcnt(0)
	v_mul_f32_e32 v3, s13, v2
.LBB4_7:
	s_mov_b32 s3, exec_lo
.LBB4_8:
	s_or_b32 exec_lo, exec_lo, s0
	s_and_b32 s14, s3, exec_lo
	s_or_b32 exec_lo, exec_lo, s2
	s_and_b32 vcc_lo, exec_lo, s1
	s_cbranch_vccnz .LBB4_11
	s_branch .LBB4_48
.LBB4_9:
                                        ; implicit-def: $vgpr3
                                        ; implicit-def: $vgpr4_vgpr5
	s_cbranch_execnz .LBB4_11
	s_branch .LBB4_48
.LBB4_10:
	s_or_b32 exec_lo, exec_lo, s2
	s_and_b32 vcc_lo, exec_lo, s1
	s_cbranch_vccz .LBB4_48
.LBB4_11:
	s_clause 0x5
	s_load_dwordx4 s[0:3], s[4:5], 0x30
	s_load_dwordx2 s[18:19], s[4:5], 0x50
	s_load_dwordx4 s[20:23], s[4:5], 0x18
	s_load_dword s17, s[4:5], 0x28
	s_load_dwordx2 s[24:25], s[4:5], 0x40
	s_load_dword s4, s[4:5], 0x48
	v_lshlrev_b32_e32 v20, 2, v1
	v_mov_b32_e32 v15, 0
	v_mov_b32_e32 v16, 0
	;; [unrolled: 1-line block ×4, first 2 shown]
	s_waitcnt lgkmcnt(0)
	s_mul_i32 s1, s1, s7
	s_mul_hi_u32 s16, s0, s7
	s_mul_i32 s0, s0, s7
	s_add_i32 s1, s16, s1
	s_mul_i32 s19, s19, s7
	s_lshl_b64 s[0:1], s[0:1], 2
	s_mul_hi_u32 s26, s18, s7
	s_add_u32 s16, s20, s0
	s_addc_u32 s20, s21, s1
	s_lshl_b64 s[0:1], s[22:23], 2
	s_mul_i32 s18, s18, s7
	s_add_u32 s7, s16, s0
	s_addc_u32 s16, s20, s1
	s_add_i32 s19, s26, s19
	s_mov_b32 s20, exec_lo
	s_lshl_b64 s[0:1], s[18:19], 2
	s_add_u32 s2, s2, s0
	s_addc_u32 s3, s3, s1
	s_lshl_b64 s[0:1], s[24:25], 2
	s_add_u32 s18, s2, s0
	s_addc_u32 s19, s3, s1
	s_ashr_i32 s0, s9, 31
	s_lshl_b32 s5, s6, 8
	s_lshr_b32 s0, s0, 28
	v_or_b32_e32 v19, s5, v0
	s_add_i32 s0, s9, s0
	s_and_b32 s6, s0, -16
	v_cmpx_gt_i32_e64 s6, v20
	s_cbranch_execz .LBB4_23
; %bb.12:
	v_add_nc_u32_e32 v5, 0xc0, v19
	v_mul_lo_u32 v3, s17, v20
	v_add_nc_u32_e32 v2, 64, v19
	v_add_nc_u32_e32 v6, 2, v20
	v_add_nc_u32_e32 v4, 0x80, v19
	v_cmp_gt_i32_e64 s2, s8, v5
	v_mul_lo_u32 v5, v1, s17
	v_add_nc_u32_e32 v7, 3, v20
	v_mul_lo_u32 v8, v1, s4
	v_cmp_gt_i32_e64 s0, s8, v2
	v_add3_u32 v21, v3, s17, v0
	v_mad_u64_u32 v[2:3], null, s17, v6, v[0:1]
	v_cmp_gt_i32_e64 s1, s8, v4
	v_mad_u64_u32 v[3:4], null, s17, v7, v[0:1]
	v_lshl_add_u32 v22, v5, 2, v0
	v_mad_u64_u32 v[4:5], null, s4, v20, s[4:5]
	v_mul_lo_u32 v23, s4, v6
	v_mul_lo_u32 v24, s4, v7
	v_lshlrev_b32_e32 v25, 2, v8
	v_mov_b32_e32 v15, 0
	v_mov_b32_e32 v16, 0
	v_mov_b32_e32 v17, 0
	v_mov_b32_e32 v18, 0
	s_lshl_b32 s21, s17, 4
	s_lshl_b32 s23, s4, 4
	s_mov_b32 s22, 0
	s_mov_b32 s24, 0
	v_cmp_gt_i32_e32 vcc_lo, s8, v19
	s_branch .LBB4_17
.LBB4_13:                               ;   in Loop: Header=BB4_17 Depth=1
	s_or_b32 exec_lo, exec_lo, s27
	s_waitcnt vmcnt(3)
	v_fmac_f32_e32 v17, v29, v41
	s_waitcnt vmcnt(2)
	v_fmac_f32_e32 v17, v28, v40
	;; [unrolled: 2-line block ×4, first 2 shown]
.LBB4_14:                               ;   in Loop: Header=BB4_17 Depth=1
	s_or_b32 exec_lo, exec_lo, s26
	s_waitcnt vmcnt(3)
	v_fmac_f32_e32 v16, v29, v37
	s_waitcnt vmcnt(2)
	v_fmac_f32_e32 v16, v28, v36
	;; [unrolled: 2-line block ×4, first 2 shown]
.LBB4_15:                               ;   in Loop: Header=BB4_17 Depth=1
	s_or_b32 exec_lo, exec_lo, s3
	s_waitcnt vmcnt(3)
	v_fmac_f32_e32 v15, v29, v33
	s_waitcnt vmcnt(2)
	v_fmac_f32_e32 v15, v28, v31
	;; [unrolled: 2-line block ×4, first 2 shown]
.LBB4_16:                               ;   in Loop: Header=BB4_17 Depth=1
	s_or_b32 exec_lo, exec_lo, s25
	v_add_nc_u32_e32 v20, 16, v20
	v_add_nc_u32_e32 v21, s21, v21
	;; [unrolled: 1-line block ×5, first 2 shown]
	v_cmp_le_i32_e64 s3, s6, v20
	s_add_i32 s24, s24, s23
	s_or_b32 s22, s3, s22
	s_andn2_b32 exec_lo, exec_lo, s22
	s_cbranch_execz .LBB4_22
.LBB4_17:                               ; =>This Inner Loop Header: Depth=1
	s_and_saveexec_b32 s25, vcc_lo
	s_cbranch_execz .LBB4_16
; %bb.18:                               ;   in Loop: Header=BB4_17 Depth=1
	v_add_nc_u32_e32 v5, s24, v25
	v_add_nc_u32_e32 v7, s24, v4
	;; [unrolled: 1-line block ×5, first 2 shown]
	v_ashrrev_i32_e32 v6, 31, v5
	v_ashrrev_i32_e32 v8, 31, v7
	;; [unrolled: 1-line block ×5, first 2 shown]
	v_lshlrev_b64 v[5:6], 2, v[5:6]
	v_lshlrev_b64 v[7:8], 2, v[7:8]
	v_lshlrev_b64 v[9:10], 2, v[9:10]
	v_add_co_u32 v28, s3, s18, v5
	v_add_co_ci_u32_e64 v29, null, s19, v6, s3
	v_add_co_u32 v30, s3, s18, v7
	v_add_nc_u32_e32 v7, s5, v21
	v_add_co_ci_u32_e64 v31, null, s19, v8, s3
	v_lshlrev_b64 v[5:6], 2, v[11:12]
	v_add_co_u32 v32, s3, s18, v9
	v_add_nc_u32_e32 v11, s5, v2
	v_add_co_ci_u32_e64 v33, null, s19, v10, s3
	v_lshlrev_b64 v[9:10], 2, v[26:27]
	v_add_nc_u32_e32 v26, s5, v3
	v_ashrrev_i32_e32 v8, 31, v7
	v_ashrrev_i32_e32 v12, 31, v11
	v_add_co_u32 v34, s3, s18, v5
	v_ashrrev_i32_e32 v27, 31, v26
	v_add_co_ci_u32_e64 v35, null, s19, v6, s3
	v_lshlrev_b64 v[7:8], 2, v[7:8]
	v_add_co_u32 v5, s3, s7, v9
	v_add_co_ci_u32_e64 v6, null, s16, v10, s3
	v_lshlrev_b64 v[9:10], 2, v[11:12]
	v_lshlrev_b64 v[26:27], 2, v[26:27]
	v_add_co_u32 v7, s3, s7, v7
	v_add_co_ci_u32_e64 v8, null, s16, v8, s3
	v_add_co_u32 v11, s3, s7, v9
	v_add_co_ci_u32_e64 v12, null, s16, v10, s3
	;; [unrolled: 2-line block ×3, first 2 shown]
	s_clause 0x3
	global_load_dword v29, v[28:29], off
	global_load_dword v28, v[30:31], off
	;; [unrolled: 1-line block ×4, first 2 shown]
	s_clause 0x3
	global_load_dword v33, v[5:6], off
	global_load_dword v31, v[7:8], off
	;; [unrolled: 1-line block ×4, first 2 shown]
	s_and_saveexec_b32 s3, s0
	s_cbranch_execz .LBB4_15
; %bb.19:                               ;   in Loop: Header=BB4_17 Depth=1
	s_clause 0x3
	global_load_dword v37, v[5:6], off offset:256
	global_load_dword v36, v[7:8], off offset:256
	global_load_dword v35, v[11:12], off offset:256
	global_load_dword v34, v[9:10], off offset:256
	s_and_saveexec_b32 s26, s1
	s_cbranch_execz .LBB4_14
; %bb.20:                               ;   in Loop: Header=BB4_17 Depth=1
	s_clause 0x3
	global_load_dword v41, v[5:6], off offset:512
	global_load_dword v40, v[7:8], off offset:512
	global_load_dword v39, v[11:12], off offset:512
	global_load_dword v38, v[9:10], off offset:512
	;; [unrolled: 8-line block ×3, first 2 shown]
	s_waitcnt vmcnt(3)
	v_fmac_f32_e32 v18, v29, v5
	s_waitcnt vmcnt(2)
	v_fmac_f32_e32 v18, v28, v6
	s_waitcnt vmcnt(1)
	v_fmac_f32_e32 v18, v27, v7
	s_waitcnt vmcnt(0)
	v_fmac_f32_e32 v18, v26, v8
	s_branch .LBB4_13
.LBB4_22:
	s_or_b32 exec_lo, exec_lo, s22
.LBB4_23:
	s_or_b32 exec_lo, exec_lo, s20
	s_sub_i32 s0, s9, s6
	s_cmp_lt_i32 s0, 1
	s_cbranch_scc1 .LBB4_41
; %bb.24:
	v_cmp_gt_i32_e32 vcc_lo, s9, v20
	v_mov_b32_e32 v12, 0
	v_or_b32_e32 v2, 1, v20
	v_mov_b32_e32 v21, 0
	v_mov_b32_e32 v11, 0
	;; [unrolled: 1-line block ×3, first 2 shown]
	s_and_saveexec_b32 s1, vcc_lo
	s_cbranch_execz .LBB4_32
; %bb.25:
	v_mul_lo_u32 v3, v20, s4
	v_mov_b32_e32 v11, 0
	v_mov_b32_e32 v21, 0
	;; [unrolled: 1-line block ×3, first 2 shown]
	s_mov_b32 s2, exec_lo
	v_ashrrev_i32_e32 v4, 31, v3
	v_lshlrev_b64 v[3:4], 2, v[3:4]
	v_add_co_u32 v3, s0, s18, v3
	v_add_co_ci_u32_e64 v4, null, s19, v4, s0
	global_load_dword v10, v[3:4], off
	v_cmpx_gt_i32_e64 s9, v2
	s_cbranch_execz .LBB4_31
; %bb.26:
	v_mul_lo_u32 v3, v2, s4
	v_mov_b32_e32 v21, 0
	v_mov_b32_e32 v12, 0
	s_mov_b32 s3, exec_lo
	v_ashrrev_i32_e32 v4, 31, v3
	v_lshlrev_b64 v[3:4], 2, v[3:4]
	v_add_co_u32 v3, s0, s18, v3
	v_add_co_ci_u32_e64 v4, null, s19, v4, s0
	global_load_dword v11, v[3:4], off
	v_or_b32_e32 v3, 2, v20
	v_cmpx_gt_i32_e64 s9, v3
	s_cbranch_execz .LBB4_30
; %bb.27:
	v_mul_lo_u32 v3, v3, s4
	v_mov_b32_e32 v12, 0
	s_mov_b32 s6, exec_lo
	v_ashrrev_i32_e32 v4, 31, v3
	v_lshlrev_b64 v[3:4], 2, v[3:4]
	v_add_co_u32 v3, s0, s18, v3
	v_add_co_ci_u32_e64 v4, null, s19, v4, s0
	global_load_dword v21, v[3:4], off
	v_or_b32_e32 v3, 3, v20
	v_cmpx_gt_i32_e64 s9, v3
	s_cbranch_execz .LBB4_29
; %bb.28:
	v_mul_lo_u32 v3, v3, s4
	v_ashrrev_i32_e32 v4, 31, v3
	v_lshlrev_b64 v[3:4], 2, v[3:4]
	v_add_co_u32 v3, s0, s18, v3
	v_add_co_ci_u32_e64 v4, null, s19, v4, s0
	global_load_dword v12, v[3:4], off
.LBB4_29:
	s_or_b32 exec_lo, exec_lo, s6
.LBB4_30:
	s_or_b32 exec_lo, exec_lo, s3
.LBB4_31:
	s_or_b32 exec_lo, exec_lo, s2
.LBB4_32:
	s_or_b32 exec_lo, exec_lo, s1
	s_mov_b32 s1, exec_lo
	v_cmpx_gt_i32_e64 s8, v19
	s_cbranch_execz .LBB4_40
; %bb.33:
	v_mul_lo_u32 v3, v20, s17
	v_or_b32_e32 v4, 2, v20
	v_mul_lo_u32 v5, v2, s17
	v_or_b32_e32 v6, 3, v20
	s_mov_b32 s0, exec_lo
	v_mul_lo_u32 v7, v4, s17
	v_mul_lo_u32 v8, v6, s17
	v_cndmask_b32_e32 v3, 0, v3, vcc_lo
	v_cmp_gt_i32_e32 vcc_lo, s9, v2
	v_add_nc_u32_e32 v2, v3, v19
	v_cndmask_b32_e32 v5, 0, v5, vcc_lo
	v_cmp_gt_i32_e32 vcc_lo, s9, v4
	v_ashrrev_i32_e32 v3, 31, v2
	v_add_nc_u32_e32 v4, v5, v19
	v_cndmask_b32_e32 v7, 0, v7, vcc_lo
	v_cmp_gt_i32_e32 vcc_lo, s9, v6
	v_lshlrev_b64 v[2:3], 2, v[2:3]
	v_ashrrev_i32_e32 v5, 31, v4
	v_add_nc_u32_e32 v6, v7, v19
	v_cndmask_b32_e32 v8, 0, v8, vcc_lo
	v_lshlrev_b64 v[4:5], 2, v[4:5]
	v_ashrrev_i32_e32 v7, 31, v6
	v_add_nc_u32_e32 v8, v8, v19
	v_lshlrev_b64 v[22:23], 2, v[6:7]
	v_add_co_u32 v6, vcc_lo, s7, v2
	v_add_co_ci_u32_e64 v7, null, s16, v3, vcc_lo
	v_ashrrev_i32_e32 v9, 31, v8
	v_add_co_u32 v2, vcc_lo, s7, v4
	v_add_co_ci_u32_e64 v3, null, s16, v5, vcc_lo
	global_load_dword v24, v[6:7], off
	v_add_co_u32 v4, vcc_lo, s7, v22
	v_add_co_ci_u32_e64 v5, null, s16, v23, vcc_lo
	v_lshlrev_b64 v[8:9], 2, v[8:9]
	s_clause 0x1
	global_load_dword v22, v[2:3], off
	global_load_dword v23, v[4:5], off
	v_add_co_u32 v8, vcc_lo, s7, v8
	v_add_co_ci_u32_e64 v9, null, s16, v9, vcc_lo
	global_load_dword v20, v[8:9], off
	s_waitcnt vmcnt(3)
	v_fmac_f32_e32 v15, v10, v24
	s_waitcnt vmcnt(2)
	v_fmac_f32_e32 v15, v11, v22
	v_add_nc_u32_e32 v22, 64, v19
	s_waitcnt vmcnt(1)
	v_fmac_f32_e32 v15, v21, v23
	v_cmpx_gt_i32_e64 s8, v22
	s_cbranch_execz .LBB4_39
; %bb.34:
	s_clause 0x3
	global_load_dword v23, v[6:7], off offset:256
	global_load_dword v24, v[2:3], off offset:256
	;; [unrolled: 1-line block ×4, first 2 shown]
	s_mov_b32 s2, exec_lo
	s_waitcnt vmcnt(3)
	v_fmac_f32_e32 v16, v10, v23
	v_add_nc_u32_e32 v23, 0x80, v19
	s_waitcnt vmcnt(2)
	v_fmac_f32_e32 v16, v11, v24
	s_waitcnt vmcnt(1)
	v_fmac_f32_e32 v16, v21, v25
	v_cmpx_gt_i32_e64 s8, v23
	s_cbranch_execz .LBB4_38
; %bb.35:
	s_clause 0x3
	global_load_dword v24, v[6:7], off offset:512
	global_load_dword v25, v[2:3], off offset:512
	;; [unrolled: 1-line block ×4, first 2 shown]
	v_add_nc_u32_e32 v19, 0xc0, v19
	s_mov_b32 s3, exec_lo
	s_waitcnt vmcnt(3)
	v_fmac_f32_e32 v17, v10, v24
	s_waitcnt vmcnt(2)
	v_fmac_f32_e32 v17, v11, v25
	;; [unrolled: 2-line block ×3, first 2 shown]
	v_cmpx_gt_i32_e64 s8, v19
	s_cbranch_execz .LBB4_37
; %bb.36:
	s_clause 0x3
	global_load_dword v6, v[6:7], off offset:768
	global_load_dword v2, v[2:3], off offset:768
	global_load_dword v3, v[4:5], off offset:768
	global_load_dword v4, v[8:9], off offset:768
	s_waitcnt vmcnt(3)
	v_fmac_f32_e32 v18, v10, v6
	s_waitcnt vmcnt(2)
	v_fmac_f32_e32 v18, v11, v2
	;; [unrolled: 2-line block ×4, first 2 shown]
.LBB4_37:
	s_or_b32 exec_lo, exec_lo, s3
	s_waitcnt vmcnt(0)
	v_fmac_f32_e32 v17, v12, v23
.LBB4_38:
	s_or_b32 exec_lo, exec_lo, s2
	s_waitcnt vmcnt(0)
	v_fmac_f32_e32 v16, v12, v22
.LBB4_39:
	s_or_b32 exec_lo, exec_lo, s0
	s_waitcnt vmcnt(0)
	v_fmac_f32_e32 v15, v12, v20
.LBB4_40:
	s_or_b32 exec_lo, exec_lo, s1
.LBB4_41:
	v_lshlrev_b32_e32 v0, 2, v0
	s_mov_b32 s0, exec_lo
                                        ; implicit-def: $vgpr3
                                        ; implicit-def: $vgpr4_vgpr5
	v_lshl_or_b32 v1, v1, 10, v0
	ds_write2st64_b32 v1, v15, v16 offset1:1
	ds_write2st64_b32 v1, v17, v18 offset0:2 offset1:3
	s_waitcnt vmcnt(0) lgkmcnt(0)
	s_barrier
	buffer_gl0_inv
	v_cmpx_gt_u32_e32 0x100, v14
	s_cbranch_execz .LBB4_47
; %bb.42:
	v_lshl_add_u32 v4, v13, 2, v0
	s_mov_b32 s2, s14
	s_mov_b32 s1, exec_lo
	ds_read2st64_b32 v[0:1], v4 offset1:4
	ds_read2st64_b32 v[2:3], v4 offset0:8 offset1:12
	s_waitcnt lgkmcnt(1)
	v_add_f32_e32 v0, v0, v1
	v_or_b32_e32 v1, s5, v14
	s_waitcnt lgkmcnt(0)
	v_add_f32_e32 v0, v2, v0
	v_add_f32_e32 v0, v3, v0
                                        ; implicit-def: $vgpr3
	ds_write_b32 v4, v0
                                        ; implicit-def: $vgpr4_vgpr5
	v_cmpx_gt_i32_e64 s8, v1
	s_cbranch_execz .LBB4_46
; %bb.43:
	v_mul_lo_u32 v4, s15, v1
	v_cmp_eq_f32_e64 s2, s13, 0
	v_mul_f32_e32 v3, s10, v0
	s_and_b32 vcc_lo, exec_lo, s2
	v_ashrrev_i32_e32 v5, 31, v4
	s_cbranch_vccnz .LBB4_45
; %bb.44:
	v_lshlrev_b64 v[0:1], 2, v[4:5]
	v_add_co_u32 v0, vcc_lo, s11, v0
	v_add_co_ci_u32_e64 v1, null, s12, v1, vcc_lo
	global_load_dword v0, v[0:1], off
	s_waitcnt vmcnt(0)
	v_fmac_f32_e32 v3, s13, v0
.LBB4_45:
	s_or_b32 s2, s14, exec_lo
.LBB4_46:
	s_or_b32 exec_lo, exec_lo, s1
	s_andn2_b32 s1, s14, exec_lo
	s_and_b32 s2, s2, exec_lo
	s_or_b32 s14, s1, s2
.LBB4_47:
	s_or_b32 exec_lo, exec_lo, s0
.LBB4_48:
	s_and_saveexec_b32 s0, s14
	s_cbranch_execz .LBB4_50
; %bb.49:
	v_lshlrev_b64 v[0:1], 2, v[4:5]
	v_add_co_u32 v0, vcc_lo, s11, v0
	v_add_co_ci_u32_e64 v1, null, s12, v1, vcc_lo
	global_store_dword v[0:1], v3, off
.LBB4_50:
	s_endpgm
	.section	.rodata,"a",@progbits
	.p2align	6, 0x0
	.amdhsa_kernel _ZL20rocblas_gemvn_kernelILi64ELi4EifffEviiT3_lPKT2_lT1_lS3_lS4_lS0_lPT4_lS4_li
		.amdhsa_group_segment_fixed_size 4096
		.amdhsa_private_segment_fixed_size 0
		.amdhsa_kernarg_size 400
		.amdhsa_user_sgpr_count 6
		.amdhsa_user_sgpr_private_segment_buffer 1
		.amdhsa_user_sgpr_dispatch_ptr 0
		.amdhsa_user_sgpr_queue_ptr 0
		.amdhsa_user_sgpr_kernarg_segment_ptr 1
		.amdhsa_user_sgpr_dispatch_id 0
		.amdhsa_user_sgpr_flat_scratch_init 0
		.amdhsa_user_sgpr_private_segment_size 0
		.amdhsa_wavefront_size32 1
		.amdhsa_uses_dynamic_stack 0
		.amdhsa_system_sgpr_private_segment_wavefront_offset 0
		.amdhsa_system_sgpr_workgroup_id_x 1
		.amdhsa_system_sgpr_workgroup_id_y 0
		.amdhsa_system_sgpr_workgroup_id_z 1
		.amdhsa_system_sgpr_workgroup_info 0
		.amdhsa_system_vgpr_workitem_id 1
		.amdhsa_next_free_vgpr 42
		.amdhsa_next_free_sgpr 28
		.amdhsa_reserve_vcc 1
		.amdhsa_reserve_flat_scratch 0
		.amdhsa_float_round_mode_32 0
		.amdhsa_float_round_mode_16_64 0
		.amdhsa_float_denorm_mode_32 3
		.amdhsa_float_denorm_mode_16_64 3
		.amdhsa_dx10_clamp 1
		.amdhsa_ieee_mode 1
		.amdhsa_fp16_overflow 0
		.amdhsa_workgroup_processor_mode 1
		.amdhsa_memory_ordered 1
		.amdhsa_forward_progress 1
		.amdhsa_shared_vgpr_count 0
		.amdhsa_exception_fp_ieee_invalid_op 0
		.amdhsa_exception_fp_denorm_src 0
		.amdhsa_exception_fp_ieee_div_zero 0
		.amdhsa_exception_fp_ieee_overflow 0
		.amdhsa_exception_fp_ieee_underflow 0
		.amdhsa_exception_fp_ieee_inexact 0
		.amdhsa_exception_int_div_zero 0
	.end_amdhsa_kernel
	.section	.text._ZL20rocblas_gemvn_kernelILi64ELi4EifffEviiT3_lPKT2_lT1_lS3_lS4_lS0_lPT4_lS4_li,"axG",@progbits,_ZL20rocblas_gemvn_kernelILi64ELi4EifffEviiT3_lPKT2_lT1_lS3_lS4_lS0_lPT4_lS4_li,comdat
.Lfunc_end4:
	.size	_ZL20rocblas_gemvn_kernelILi64ELi4EifffEviiT3_lPKT2_lT1_lS3_lS4_lS0_lPT4_lS4_li, .Lfunc_end4-_ZL20rocblas_gemvn_kernelILi64ELi4EifffEviiT3_lPKT2_lT1_lS3_lS4_lS0_lPT4_lS4_li
                                        ; -- End function
	.set _ZL20rocblas_gemvn_kernelILi64ELi4EifffEviiT3_lPKT2_lT1_lS3_lS4_lS0_lPT4_lS4_li.num_vgpr, 42
	.set _ZL20rocblas_gemvn_kernelILi64ELi4EifffEviiT3_lPKT2_lT1_lS3_lS4_lS0_lPT4_lS4_li.num_agpr, 0
	.set _ZL20rocblas_gemvn_kernelILi64ELi4EifffEviiT3_lPKT2_lT1_lS3_lS4_lS0_lPT4_lS4_li.numbered_sgpr, 28
	.set _ZL20rocblas_gemvn_kernelILi64ELi4EifffEviiT3_lPKT2_lT1_lS3_lS4_lS0_lPT4_lS4_li.num_named_barrier, 0
	.set _ZL20rocblas_gemvn_kernelILi64ELi4EifffEviiT3_lPKT2_lT1_lS3_lS4_lS0_lPT4_lS4_li.private_seg_size, 0
	.set _ZL20rocblas_gemvn_kernelILi64ELi4EifffEviiT3_lPKT2_lT1_lS3_lS4_lS0_lPT4_lS4_li.uses_vcc, 1
	.set _ZL20rocblas_gemvn_kernelILi64ELi4EifffEviiT3_lPKT2_lT1_lS3_lS4_lS0_lPT4_lS4_li.uses_flat_scratch, 0
	.set _ZL20rocblas_gemvn_kernelILi64ELi4EifffEviiT3_lPKT2_lT1_lS3_lS4_lS0_lPT4_lS4_li.has_dyn_sized_stack, 0
	.set _ZL20rocblas_gemvn_kernelILi64ELi4EifffEviiT3_lPKT2_lT1_lS3_lS4_lS0_lPT4_lS4_li.has_recursion, 0
	.set _ZL20rocblas_gemvn_kernelILi64ELi4EifffEviiT3_lPKT2_lT1_lS3_lS4_lS0_lPT4_lS4_li.has_indirect_call, 0
	.section	.AMDGPU.csdata,"",@progbits
; Kernel info:
; codeLenInByte = 2588
; TotalNumSgprs: 30
; NumVgprs: 42
; ScratchSize: 0
; MemoryBound: 0
; FloatMode: 240
; IeeeMode: 1
; LDSByteSize: 4096 bytes/workgroup (compile time only)
; SGPRBlocks: 0
; VGPRBlocks: 5
; NumSGPRsForWavesPerEU: 30
; NumVGPRsForWavesPerEU: 42
; Occupancy: 16
; WaveLimiterHint : 1
; COMPUTE_PGM_RSRC2:SCRATCH_EN: 0
; COMPUTE_PGM_RSRC2:USER_SGPR: 6
; COMPUTE_PGM_RSRC2:TRAP_HANDLER: 0
; COMPUTE_PGM_RSRC2:TGID_X_EN: 1
; COMPUTE_PGM_RSRC2:TGID_Y_EN: 0
; COMPUTE_PGM_RSRC2:TGID_Z_EN: 1
; COMPUTE_PGM_RSRC2:TIDIG_COMP_CNT: 1
	.section	.text._ZL20rocblas_gemvn_kernelILi64ELi4ElfffEviiT3_lPKT2_lT1_lS3_lS4_lS0_lPT4_lS4_li,"axG",@progbits,_ZL20rocblas_gemvn_kernelILi64ELi4ElfffEviiT3_lPKT2_lT1_lS3_lS4_lS0_lPT4_lS4_li,comdat
	.globl	_ZL20rocblas_gemvn_kernelILi64ELi4ElfffEviiT3_lPKT2_lT1_lS3_lS4_lS0_lPT4_lS4_li ; -- Begin function _ZL20rocblas_gemvn_kernelILi64ELi4ElfffEviiT3_lPKT2_lT1_lS3_lS4_lS0_lPT4_lS4_li
	.p2align	8
	.type	_ZL20rocblas_gemvn_kernelILi64ELi4ElfffEviiT3_lPKT2_lT1_lS3_lS4_lS0_lPT4_lS4_li,@function
_ZL20rocblas_gemvn_kernelILi64ELi4ElfffEviiT3_lPKT2_lT1_lS3_lS4_lS0_lPT4_lS4_li: ; @_ZL20rocblas_gemvn_kernelILi64ELi4ElfffEviiT3_lPKT2_lT1_lS3_lS4_lS0_lPT4_lS4_li
; %bb.0:
	s_load_dwordx2 s[0:1], s[4:5], 0x9c
	s_waitcnt lgkmcnt(0)
	s_lshr_b32 s2, s0, 16
	s_and_b32 s0, s0, 0xffff
	s_and_b32 s1, s1, 0xffff
	s_mul_i32 s0, s2, s0
	s_mul_i32 s0, s0, s1
	s_cmpk_lg_i32 s0, 0x100
	s_cbranch_scc1 .LBB5_50
; %bb.1:
	s_clause 0x1
	s_load_dwordx4 s[28:31], s[4:5], 0x0
	s_load_dword s36, s[4:5], 0x58
	s_mov_b32 s37, 0
	s_waitcnt lgkmcnt(0)
	v_cmp_eq_f32_e64 s0, s30, 0
	v_cmp_eq_f32_e64 s1, s36, 1.0
	s_and_b32 s0, s0, s1
	s_and_b32 vcc_lo, exec_lo, s0
	s_cbranch_vccnz .LBB5_50
; %bb.2:
	s_load_dwordx8 s[20:27], s[4:5], 0x68
	v_lshlrev_b32_e32 v13, 6, v1
	v_add_nc_u32_e32 v14, v13, v0
	s_waitcnt lgkmcnt(0)
	s_mul_i32 s1, s27, s7
	s_mul_hi_u32 s2, s26, s7
	s_mul_i32 s0, s26, s7
	s_add_i32 s1, s2, s1
	v_cmp_neq_f32_e64 s2, s30, 0
	s_lshl_b64 s[0:1], s[0:1], 2
	s_add_u32 s3, s20, s0
	s_addc_u32 s8, s21, s1
	s_lshl_b64 s[0:1], s[22:23], 2
	s_add_u32 s31, s3, s0
	v_cmp_gt_u32_e64 s0, 0x100, v14
	s_addc_u32 s33, s8, s1
	s_and_b32 vcc_lo, exec_lo, s2
	s_cbranch_vccnz .LBB5_9
; %bb.3:
	s_mov_b32 s1, 0
                                        ; implicit-def: $vgpr3
                                        ; implicit-def: $vgpr4_vgpr5
	s_and_saveexec_b32 s2, s0
	s_cbranch_execz .LBB5_10
; %bb.4:
	v_lshl_or_b32 v2, s6, 8, v14
	v_mov_b32_e32 v3, 0
	s_ashr_i32 s9, s28, 31
	s_mov_b32 s8, s28
	s_mov_b32 s3, 0
	s_mov_b32 s0, exec_lo
                                        ; implicit-def: $vgpr4_vgpr5
	v_cmpx_gt_i64_e64 s[8:9], v[2:3]
	s_cbranch_execz .LBB5_8
; %bb.5:
	v_mad_u64_u32 v[4:5], null, s24, v2, 0
	v_cmp_eq_f32_e64 s3, s36, 0
	s_and_b32 vcc_lo, exec_lo, s3
	v_mad_u64_u32 v[5:6], null, s25, v2, v[5:6]
	s_cbranch_vccnz .LBB5_7
; %bb.6:
	v_lshlrev_b64 v[2:3], 2, v[4:5]
	v_add_co_u32 v2, vcc_lo, s31, v2
	v_add_co_ci_u32_e64 v3, null, s33, v3, vcc_lo
	global_load_dword v2, v[2:3], off
	s_waitcnt vmcnt(0)
	v_mul_f32_e32 v3, s36, v2
.LBB5_7:
	s_mov_b32 s3, exec_lo
.LBB5_8:
	s_or_b32 exec_lo, exec_lo, s0
	s_and_b32 s37, s3, exec_lo
	s_or_b32 exec_lo, exec_lo, s2
	s_and_b32 vcc_lo, exec_lo, s1
	s_cbranch_vccnz .LBB5_11
	s_branch .LBB5_48
.LBB5_9:
                                        ; implicit-def: $vgpr3
                                        ; implicit-def: $vgpr4_vgpr5
	s_cbranch_execnz .LBB5_11
	s_branch .LBB5_48
.LBB5_10:
	s_or_b32 exec_lo, exec_lo, s2
	s_and_b32 vcc_lo, exec_lo, s1
	s_cbranch_vccz .LBB5_48
.LBB5_11:
	s_load_dwordx16 s[8:23], s[4:5], 0x18
	s_ashr_i32 s0, s29, 31
	s_lshl_b32 s5, s6, 8
	s_lshr_b32 s0, s0, 28
	v_lshlrev_b32_e32 v17, 2, v1
	s_add_i32 s0, s29, s0
	v_mov_b32_e32 v15, 0
	v_mov_b32_e32 v16, 0
	;; [unrolled: 1-line block ×4, first 2 shown]
	v_or_b32_e32 v2, s5, v0
	s_and_b32 s38, s0, -16
	s_mov_b32 s39, exec_lo
	s_waitcnt lgkmcnt(0)
	s_mul_i32 s0, s15, s7
	s_mul_hi_u32 s1, s14, s7
	s_mul_i32 s2, s23, s7
	s_mul_hi_u32 s3, s22, s7
	s_mul_i32 s14, s14, s7
	s_add_i32 s15, s1, s0
	s_add_i32 s23, s3, s2
	s_mul_i32 s22, s22, s7
	v_cmpx_gt_i32_e64 s38, v17
	s_cbranch_execz .LBB5_23
; %bb.12:
	v_lshlrev_b32_e32 v30, 2, v1
	v_mad_u64_u32 v[4:5], null, s20, v1, 0
	v_add_nc_u32_e32 v11, 64, v2
	v_add_nc_u32_e32 v12, 0x80, v2
	v_or_b32_e32 v15, 3, v30
	s_lshl_b64 s[0:1], s[22:23], 2
	s_lshl_b64 s[6:7], s[18:19], 2
	s_add_u32 s4, s16, s0
	s_addc_u32 s42, s17, s1
	v_mad_u64_u32 v[6:7], null, s12, v15, 0
	v_cmp_gt_i32_e64 s0, s28, v11
	v_cmp_gt_i32_e64 s1, s28, v12
	v_add_nc_u32_e32 v16, 0xc0, v2
	v_or_b32_e32 v24, 2, v30
	s_lshl_b64 s[34:35], s[10:11], 2
	s_lshl_b64 s[26:27], s[20:21], 6
	v_mad_u64_u32 v[8:9], null, s21, v1, v[5:6]
	v_mad_u64_u32 v[9:10], null, s20, v15, 0
	v_cmp_gt_i32_e64 s2, s28, v16
	s_lshl_b64 s[40:41], s[14:15], 2
	v_mad_u64_u32 v[28:29], null, s20, v24, 0
	v_mov_b32_e32 v5, v8
	v_mad_u64_u32 v[7:8], null, s13, v15, v[7:8]
	v_mad_u64_u32 v[32:33], null, s12, v30, s[12:13]
	v_lshlrev_b64 v[11:12], 4, v[4:5]
	v_mov_b32_e32 v5, v10
	v_mov_b32_e32 v8, v29
	v_ashrrev_i32_e32 v3, 31, v2
	v_lshlrev_b64 v[6:7], 2, v[6:7]
	v_cmp_gt_i32_e32 vcc_lo, s28, v2
	v_add_co_u32 v20, s3, s4, v11
	v_add_co_ci_u32_e64 v21, null, s42, v12, s3
	v_mad_u64_u32 v[15:16], null, s21, v15, v[5:6]
	v_mad_u64_u32 v[11:12], null, s12, v1, 0
	s_add_u32 s3, s8, s34
	s_addc_u32 s34, s9, s35
	s_add_u32 s35, s3, s40
	s_addc_u32 s34, s34, s41
	v_mov_b32_e32 v10, v15
	v_mad_u64_u32 v[15:16], null, s12, v24, 0
	v_mov_b32_e32 v5, v12
	v_add_co_u32 v22, s3, s35, v6
	v_add_co_ci_u32_e64 v23, null, s34, v7, s3
	v_mad_u64_u32 v[18:19], null, s13, v1, v[5:6]
	v_lshlrev_b64 v[6:7], 2, v[9:10]
	v_mov_b32_e32 v5, v16
	v_lshlrev_b64 v[3:4], 2, v[2:3]
	s_mov_b32 s40, 0
	v_mad_u64_u32 v[9:10], null, s13, v24, v[5:6]
	v_mov_b32_e32 v12, v18
	v_mad_u64_u32 v[18:19], null, s20, v30, s[20:21]
	v_mad_u64_u32 v[26:27], null, s21, v24, v[8:9]
	v_add_co_u32 v24, s3, s4, v6
	v_add_co_ci_u32_e64 v25, null, s42, v7, s3
	v_lshlrev_b64 v[6:7], 4, v[11:12]
	v_mov_b32_e32 v5, v19
	v_mov_b32_e32 v16, v9
	;; [unrolled: 1-line block ×3, first 2 shown]
	v_add_co_u32 v26, s3, s35, v6
	v_mad_u64_u32 v[8:9], null, s21, v30, v[5:6]
	v_add_co_ci_u32_e64 v27, null, s34, v7, s3
	v_lshlrev_b64 v[6:7], 2, v[15:16]
	v_mov_b32_e32 v5, v33
	v_mov_b32_e32 v15, 0
	;; [unrolled: 1-line block ×4, first 2 shown]
	v_mad_u64_u32 v[9:10], null, s13, v30, v[5:6]
	v_lshlrev_b64 v[10:11], 2, v[28:29]
	v_add_co_u32 v28, s3, s35, v6
	v_lshlrev_b64 v[5:6], 2, v[18:19]
	v_add_co_ci_u32_e64 v29, null, s34, v7, s3
	v_mov_b32_e32 v33, v9
	v_add_co_u32 v30, s3, s4, v10
	v_add_co_ci_u32_e64 v31, null, s42, v11, s3
	v_lshlrev_b64 v[7:8], 2, v[32:33]
	v_add_co_u32 v32, s3, s4, v5
	v_add_co_ci_u32_e64 v33, null, s42, v6, s3
	v_mov_b32_e32 v18, 0
	v_add_co_u32 v34, s3, s35, v7
	v_add_co_ci_u32_e64 v35, null, s34, v8, s3
	v_mov_b32_e32 v19, 0
	s_lshl_b64 s[34:35], s[12:13], 6
	s_branch .LBB5_17
.LBB5_13:                               ;   in Loop: Header=BB5_17 Depth=1
	s_or_b32 exec_lo, exec_lo, s42
	s_waitcnt vmcnt(3)
	v_fmac_f32_e32 v18, v37, v51
	s_waitcnt vmcnt(2)
	v_fmac_f32_e32 v18, v36, v50
	;; [unrolled: 2-line block ×4, first 2 shown]
.LBB5_14:                               ;   in Loop: Header=BB5_17 Depth=1
	s_or_b32 exec_lo, exec_lo, s41
	s_waitcnt vmcnt(3)
	v_fmac_f32_e32 v16, v37, v47
	s_waitcnt vmcnt(2)
	v_fmac_f32_e32 v16, v36, v46
	;; [unrolled: 2-line block ×4, first 2 shown]
.LBB5_15:                               ;   in Loop: Header=BB5_17 Depth=1
	s_or_b32 exec_lo, exec_lo, s3
	s_waitcnt vmcnt(3)
	v_fmac_f32_e32 v15, v37, v43
	s_waitcnt vmcnt(2)
	v_fmac_f32_e32 v15, v36, v41
	s_waitcnt vmcnt(1)
	v_fmac_f32_e32 v15, v38, v40
	s_waitcnt vmcnt(0)
	v_fmac_f32_e32 v15, v39, v42
.LBB5_16:                               ;   in Loop: Header=BB5_17 Depth=1
	s_or_b32 exec_lo, exec_lo, s4
	v_add_co_u32 v20, s3, v20, s26
	v_add_co_ci_u32_e64 v21, null, s27, v21, s3
	v_add_co_u32 v22, s3, v22, s34
	v_add_co_ci_u32_e64 v23, null, s35, v23, s3
	;; [unrolled: 2-line block ×4, first 2 shown]
	v_add_co_u32 v28, s3, v28, s34
	v_add_nc_u32_e32 v17, 16, v17
	v_add_co_ci_u32_e64 v29, null, s35, v29, s3
	v_add_co_u32 v30, s3, v30, s26
	v_add_co_ci_u32_e64 v31, null, s27, v31, s3
	v_add_co_u32 v32, s3, v32, s26
	v_add_co_ci_u32_e64 v33, null, s27, v33, s3
	v_cmp_le_i32_e64 s3, s38, v17
	v_add_co_u32 v34, s4, v34, s34
	v_add_co_ci_u32_e64 v35, null, s35, v35, s4
	s_or_b32 s40, s3, s40
	s_andn2_b32 exec_lo, exec_lo, s40
	s_cbranch_execz .LBB5_22
.LBB5_17:                               ; =>This Inner Loop Header: Depth=1
	s_and_saveexec_b32 s4, vcc_lo
	s_cbranch_execz .LBB5_16
; %bb.18:                               ;   in Loop: Header=BB5_17 Depth=1
	v_add_co_u32 v5, s3, v20, s6
	v_add_co_ci_u32_e64 v6, null, s7, v21, s3
	v_add_co_u32 v7, s3, v32, s6
	v_add_co_ci_u32_e64 v8, null, s7, v33, s3
	;; [unrolled: 2-line block ×3, first 2 shown]
	v_add_co_u32 v39, s3, v24, s6
	global_load_dword v37, v[5:6], off
	global_load_dword v36, v[7:8], off
	;; [unrolled: 1-line block ×3, first 2 shown]
	v_add_co_ci_u32_e64 v40, null, s7, v25, s3
	v_add_co_u32 v5, s3, v26, v3
	v_add_co_ci_u32_e64 v6, null, v27, v4, s3
	v_add_co_u32 v7, s3, v34, v3
	;; [unrolled: 2-line block ×4, first 2 shown]
	v_add_co_ci_u32_e64 v12, null, v23, v4, s3
	global_load_dword v39, v[39:40], off
	global_load_dword v43, v[5:6], off
	;; [unrolled: 1-line block ×5, first 2 shown]
	s_and_saveexec_b32 s3, s0
	s_cbranch_execz .LBB5_15
; %bb.19:                               ;   in Loop: Header=BB5_17 Depth=1
	global_load_dword v47, v[5:6], off offset:256
	global_load_dword v46, v[7:8], off offset:256
	global_load_dword v45, v[9:10], off offset:256
	global_load_dword v44, v[11:12], off offset:256
	s_and_saveexec_b32 s41, s1
	s_cbranch_execz .LBB5_14
; %bb.20:                               ;   in Loop: Header=BB5_17 Depth=1
	global_load_dword v51, v[5:6], off offset:512
	global_load_dword v50, v[7:8], off offset:512
	global_load_dword v49, v[9:10], off offset:512
	global_load_dword v48, v[11:12], off offset:512
	;; [unrolled: 7-line block ×3, first 2 shown]
	s_waitcnt vmcnt(3)
	v_fmac_f32_e32 v19, v37, v5
	s_waitcnt vmcnt(2)
	v_fmac_f32_e32 v19, v36, v6
	;; [unrolled: 2-line block ×4, first 2 shown]
	s_branch .LBB5_13
.LBB5_22:
	s_or_b32 exec_lo, exec_lo, s40
.LBB5_23:
	s_or_b32 exec_lo, exec_lo, s39
	s_sub_i32 s0, s29, s38
	s_cmp_lt_i32 s0, 1
	s_cbranch_scc1 .LBB5_41
; %bb.24:
	v_cmp_gt_i32_e32 vcc_lo, s29, v17
	v_mov_b32_e32 v20, 0
	v_or_b32_e32 v4, 1, v17
	v_mov_b32_e32 v21, 0
	v_mov_b32_e32 v12, 0
	v_mov_b32_e32 v11, 0
	s_and_saveexec_b32 s1, vcc_lo
	s_cbranch_execz .LBB5_32
; %bb.25:
	v_mad_u64_u32 v[5:6], null, s20, v17, 0
	s_lshl_b64 s[2:3], s[22:23], 2
	v_mov_b32_e32 v12, 0
	s_add_u32 s0, s16, s2
	s_addc_u32 s2, s17, s3
	s_lshl_b64 s[6:7], s[18:19], 2
	v_mov_b32_e32 v21, 0
	v_mov_b32_e32 v3, v6
	s_add_u32 s3, s0, s6
	s_addc_u32 s4, s2, s7
	v_mov_b32_e32 v20, 0
	s_mov_b32 s2, exec_lo
	v_mad_u64_u32 v[6:7], null, s21, v17, v[3:4]
	v_lshlrev_b64 v[5:6], 2, v[5:6]
	v_add_co_u32 v5, s0, s3, v5
	v_add_co_ci_u32_e64 v6, null, s4, v6, s0
	global_load_dword v11, v[5:6], off
	v_cmpx_gt_i32_e64 s29, v4
	s_cbranch_execz .LBB5_31
; %bb.26:
	v_mad_u64_u32 v[5:6], null, s20, v4, 0
	v_mov_b32_e32 v21, 0
	v_mov_b32_e32 v20, 0
	s_mov_b32 s6, exec_lo
	v_mov_b32_e32 v3, v6
	v_mad_u64_u32 v[6:7], null, s21, v4, v[3:4]
	v_or_b32_e32 v3, 2, v17
	v_lshlrev_b64 v[5:6], 2, v[5:6]
	v_add_co_u32 v5, s0, s3, v5
	v_add_co_ci_u32_e64 v6, null, s4, v6, s0
	global_load_dword v12, v[5:6], off
	v_cmpx_gt_i32_e64 s29, v3
	s_cbranch_execz .LBB5_30
; %bb.27:
	v_mad_u64_u32 v[5:6], null, s20, v3, 0
	v_mov_b32_e32 v20, 0
	s_mov_b32 s7, exec_lo
	v_mad_u64_u32 v[6:7], null, s21, v3, v[6:7]
	v_or_b32_e32 v3, 3, v17
	v_lshlrev_b64 v[5:6], 2, v[5:6]
	v_add_co_u32 v5, s0, s3, v5
	v_add_co_ci_u32_e64 v6, null, s4, v6, s0
	global_load_dword v21, v[5:6], off
	v_cmpx_gt_i32_e64 s29, v3
	s_cbranch_execz .LBB5_29
; %bb.28:
	v_mad_u64_u32 v[5:6], null, s20, v3, 0
	v_mad_u64_u32 v[6:7], null, s21, v3, v[6:7]
	v_lshlrev_b64 v[5:6], 2, v[5:6]
	v_add_co_u32 v5, s0, s3, v5
	v_add_co_ci_u32_e64 v6, null, s4, v6, s0
	global_load_dword v20, v[5:6], off
.LBB5_29:
	s_or_b32 exec_lo, exec_lo, s7
.LBB5_30:
	s_or_b32 exec_lo, exec_lo, s6
.LBB5_31:
	s_or_b32 exec_lo, exec_lo, s2
.LBB5_32:
	s_or_b32 exec_lo, exec_lo, s1
	s_mov_b32 s1, exec_lo
	v_cmpx_gt_i32_e64 s28, v2
	s_cbranch_execz .LBB5_40
; %bb.33:
	v_mad_u64_u32 v[5:6], null, s12, v17, 0
	v_mad_u64_u32 v[7:8], null, s12, v4, 0
	v_ashrrev_i32_e32 v3, 31, v2
	v_or_b32_e32 v29, 2, v17
	s_lshl_b64 s[2:3], s[14:15], 2
	s_add_u32 s0, s8, s2
	v_lshlrev_b64 v[22:23], 2, v[2:3]
	v_mad_u64_u32 v[9:10], null, s13, v17, v[6:7]
	v_mov_b32_e32 v3, v8
	v_cndmask_b32_e32 v5, 0, v5, vcc_lo
	v_or_b32_e32 v17, 3, v17
	v_mad_u64_u32 v[24:25], null, s12, v29, 0
	v_mad_u64_u32 v[26:27], null, s13, v4, v[3:4]
	v_cndmask_b32_e32 v6, 0, v9, vcc_lo
	v_cmp_gt_i32_e32 vcc_lo, s29, v4
	s_addc_u32 s4, s9, s3
	s_lshl_b64 s[2:3], s[10:11], 2
	v_mad_u64_u32 v[8:9], null, s12, v17, 0
	v_lshlrev_b64 v[5:6], 2, v[5:6]
	v_cndmask_b32_e32 v27, 0, v7, vcc_lo
	v_cndmask_b32_e32 v28, 0, v26, vcc_lo
	s_add_u32 s2, s0, s2
	v_mov_b32_e32 v7, v25
	s_addc_u32 s3, s4, s3
	v_add_co_u32 v3, s0, s2, v5
	v_add_co_ci_u32_e64 v4, null, s3, v6, s0
	v_lshlrev_b64 v[5:6], 2, v[27:28]
	v_mad_u64_u32 v[25:26], null, s13, v29, v[7:8]
	v_add_co_u32 v3, vcc_lo, v3, v22
	v_add_co_ci_u32_e64 v4, null, v4, v23, vcc_lo
	v_cmp_gt_i32_e32 vcc_lo, s29, v29
	v_mov_b32_e32 v7, v9
	v_add_co_u32 v5, s0, s2, v5
	v_add_co_ci_u32_e64 v6, null, s3, v6, s0
	v_cndmask_b32_e32 v9, 0, v24, vcc_lo
	v_cndmask_b32_e32 v10, 0, v25, vcc_lo
	v_mad_u64_u32 v[24:25], null, s13, v17, v[7:8]
	v_add_co_u32 v5, vcc_lo, v5, v22
	v_add_co_ci_u32_e64 v6, null, v6, v23, vcc_lo
	v_cmp_gt_i32_e32 vcc_lo, s29, v17
	v_lshlrev_b64 v[9:10], 2, v[9:10]
	s_clause 0x1
	global_load_dword v25, v[3:4], off
	global_load_dword v26, v[5:6], off
	s_mov_b32 s0, exec_lo
	v_cndmask_b32_e32 v7, 0, v8, vcc_lo
	v_cndmask_b32_e32 v8, 0, v24, vcc_lo
	v_add_co_u32 v17, vcc_lo, s2, v9
	v_add_co_ci_u32_e64 v24, null, s3, v10, vcc_lo
	v_lshlrev_b64 v[9:10], 2, v[7:8]
	v_add_co_u32 v7, vcc_lo, v17, v22
	v_add_co_ci_u32_e64 v8, null, v24, v23, vcc_lo
	v_add_co_u32 v9, vcc_lo, s2, v9
	v_add_co_ci_u32_e64 v10, null, s3, v10, vcc_lo
	global_load_dword v24, v[7:8], off
	v_add_co_u32 v9, vcc_lo, v9, v22
	v_add_co_ci_u32_e64 v10, null, v10, v23, vcc_lo
	v_add_nc_u32_e32 v22, 64, v2
	global_load_dword v17, v[9:10], off
	s_waitcnt vmcnt(3)
	v_fmac_f32_e32 v15, v11, v25
	s_waitcnt vmcnt(2)
	v_fmac_f32_e32 v15, v12, v26
	;; [unrolled: 2-line block ×3, first 2 shown]
	v_cmpx_gt_i32_e64 s28, v22
	s_cbranch_execz .LBB5_39
; %bb.34:
	s_clause 0x3
	global_load_dword v23, v[3:4], off offset:256
	global_load_dword v24, v[5:6], off offset:256
	;; [unrolled: 1-line block ×4, first 2 shown]
	s_mov_b32 s2, exec_lo
	s_waitcnt vmcnt(3)
	v_fmac_f32_e32 v16, v11, v23
	v_add_nc_u32_e32 v23, 0x80, v2
	s_waitcnt vmcnt(2)
	v_fmac_f32_e32 v16, v12, v24
	s_waitcnt vmcnt(1)
	v_fmac_f32_e32 v16, v21, v25
	v_cmpx_gt_i32_e64 s28, v23
	s_cbranch_execz .LBB5_38
; %bb.35:
	s_clause 0x3
	global_load_dword v24, v[3:4], off offset:512
	global_load_dword v25, v[5:6], off offset:512
	;; [unrolled: 1-line block ×4, first 2 shown]
	v_add_nc_u32_e32 v2, 0xc0, v2
	s_mov_b32 s3, exec_lo
	s_waitcnt vmcnt(3)
	v_fmac_f32_e32 v18, v11, v24
	s_waitcnt vmcnt(2)
	v_fmac_f32_e32 v18, v12, v25
	;; [unrolled: 2-line block ×3, first 2 shown]
	v_cmpx_gt_i32_e64 s28, v2
	s_cbranch_execz .LBB5_37
; %bb.36:
	s_clause 0x3
	global_load_dword v2, v[3:4], off offset:768
	global_load_dword v3, v[5:6], off offset:768
	;; [unrolled: 1-line block ×4, first 2 shown]
	s_waitcnt vmcnt(3)
	v_fmac_f32_e32 v19, v11, v2
	s_waitcnt vmcnt(2)
	v_fmac_f32_e32 v19, v12, v3
	;; [unrolled: 2-line block ×4, first 2 shown]
.LBB5_37:
	s_or_b32 exec_lo, exec_lo, s3
	s_waitcnt vmcnt(0)
	v_fmac_f32_e32 v18, v20, v23
.LBB5_38:
	s_or_b32 exec_lo, exec_lo, s2
	s_waitcnt vmcnt(0)
	v_fmac_f32_e32 v16, v20, v22
.LBB5_39:
	s_or_b32 exec_lo, exec_lo, s0
	s_waitcnt vmcnt(0)
	v_fmac_f32_e32 v15, v20, v17
.LBB5_40:
	s_or_b32 exec_lo, exec_lo, s1
.LBB5_41:
	v_lshlrev_b32_e32 v0, 2, v0
	s_mov_b32 s0, exec_lo
                                        ; implicit-def: $vgpr3
                                        ; implicit-def: $vgpr4_vgpr5
	v_lshl_or_b32 v1, v1, 10, v0
	ds_write2st64_b32 v1, v15, v16 offset1:1
	ds_write2st64_b32 v1, v18, v19 offset0:2 offset1:3
	s_waitcnt vmcnt(0) lgkmcnt(0)
	s_barrier
	buffer_gl0_inv
	v_cmpx_gt_u32_e32 0x100, v14
	s_cbranch_execz .LBB5_47
; %bb.42:
	v_lshl_add_u32 v4, v13, 2, v0
	s_mov_b32 s2, s37
	s_mov_b32 s1, exec_lo
	ds_read2st64_b32 v[0:1], v4 offset1:4
	ds_read2st64_b32 v[2:3], v4 offset0:8 offset1:12
	s_waitcnt lgkmcnt(1)
	v_add_f32_e32 v0, v0, v1
	v_or_b32_e32 v1, s5, v14
	s_waitcnt lgkmcnt(0)
	v_add_f32_e32 v0, v2, v0
	v_add_f32_e32 v0, v3, v0
                                        ; implicit-def: $vgpr3
	ds_write_b32 v4, v0
                                        ; implicit-def: $vgpr4_vgpr5
	v_cmpx_gt_i32_e64 s28, v1
	s_cbranch_execz .LBB5_46
; %bb.43:
	v_ashrrev_i32_e32 v2, 31, v1
	v_mul_lo_u32 v6, s25, v1
	v_mad_u64_u32 v[4:5], null, s24, v1, 0
	v_cmp_eq_f32_e64 s2, s36, 0
	v_mul_lo_u32 v1, s24, v2
	v_mul_f32_e32 v3, s30, v0
	s_and_b32 vcc_lo, exec_lo, s2
	v_add3_u32 v5, v5, v1, v6
	s_cbranch_vccnz .LBB5_45
; %bb.44:
	v_lshlrev_b64 v[0:1], 2, v[4:5]
	v_add_co_u32 v0, vcc_lo, s31, v0
	v_add_co_ci_u32_e64 v1, null, s33, v1, vcc_lo
	global_load_dword v0, v[0:1], off
	s_waitcnt vmcnt(0)
	v_fmac_f32_e32 v3, s36, v0
.LBB5_45:
	s_or_b32 s2, s37, exec_lo
.LBB5_46:
	s_or_b32 exec_lo, exec_lo, s1
	s_andn2_b32 s1, s37, exec_lo
	s_and_b32 s2, s2, exec_lo
	s_or_b32 s37, s1, s2
.LBB5_47:
	s_or_b32 exec_lo, exec_lo, s0
.LBB5_48:
	s_and_saveexec_b32 s0, s37
	s_cbranch_execz .LBB5_50
; %bb.49:
	v_lshlrev_b64 v[0:1], 2, v[4:5]
	v_add_co_u32 v0, vcc_lo, s31, v0
	v_add_co_ci_u32_e64 v1, null, s33, v1, vcc_lo
	global_store_dword v[0:1], v3, off
.LBB5_50:
	s_endpgm
	.section	.rodata,"a",@progbits
	.p2align	6, 0x0
	.amdhsa_kernel _ZL20rocblas_gemvn_kernelILi64ELi4ElfffEviiT3_lPKT2_lT1_lS3_lS4_lS0_lPT4_lS4_li
		.amdhsa_group_segment_fixed_size 4096
		.amdhsa_private_segment_fixed_size 0
		.amdhsa_kernarg_size 400
		.amdhsa_user_sgpr_count 6
		.amdhsa_user_sgpr_private_segment_buffer 1
		.amdhsa_user_sgpr_dispatch_ptr 0
		.amdhsa_user_sgpr_queue_ptr 0
		.amdhsa_user_sgpr_kernarg_segment_ptr 1
		.amdhsa_user_sgpr_dispatch_id 0
		.amdhsa_user_sgpr_flat_scratch_init 0
		.amdhsa_user_sgpr_private_segment_size 0
		.amdhsa_wavefront_size32 1
		.amdhsa_uses_dynamic_stack 0
		.amdhsa_system_sgpr_private_segment_wavefront_offset 0
		.amdhsa_system_sgpr_workgroup_id_x 1
		.amdhsa_system_sgpr_workgroup_id_y 0
		.amdhsa_system_sgpr_workgroup_id_z 1
		.amdhsa_system_sgpr_workgroup_info 0
		.amdhsa_system_vgpr_workitem_id 1
		.amdhsa_next_free_vgpr 52
		.amdhsa_next_free_sgpr 43
		.amdhsa_reserve_vcc 1
		.amdhsa_reserve_flat_scratch 0
		.amdhsa_float_round_mode_32 0
		.amdhsa_float_round_mode_16_64 0
		.amdhsa_float_denorm_mode_32 3
		.amdhsa_float_denorm_mode_16_64 3
		.amdhsa_dx10_clamp 1
		.amdhsa_ieee_mode 1
		.amdhsa_fp16_overflow 0
		.amdhsa_workgroup_processor_mode 1
		.amdhsa_memory_ordered 1
		.amdhsa_forward_progress 1
		.amdhsa_shared_vgpr_count 0
		.amdhsa_exception_fp_ieee_invalid_op 0
		.amdhsa_exception_fp_denorm_src 0
		.amdhsa_exception_fp_ieee_div_zero 0
		.amdhsa_exception_fp_ieee_overflow 0
		.amdhsa_exception_fp_ieee_underflow 0
		.amdhsa_exception_fp_ieee_inexact 0
		.amdhsa_exception_int_div_zero 0
	.end_amdhsa_kernel
	.section	.text._ZL20rocblas_gemvn_kernelILi64ELi4ElfffEviiT3_lPKT2_lT1_lS3_lS4_lS0_lPT4_lS4_li,"axG",@progbits,_ZL20rocblas_gemvn_kernelILi64ELi4ElfffEviiT3_lPKT2_lT1_lS3_lS4_lS0_lPT4_lS4_li,comdat
.Lfunc_end5:
	.size	_ZL20rocblas_gemvn_kernelILi64ELi4ElfffEviiT3_lPKT2_lT1_lS3_lS4_lS0_lPT4_lS4_li, .Lfunc_end5-_ZL20rocblas_gemvn_kernelILi64ELi4ElfffEviiT3_lPKT2_lT1_lS3_lS4_lS0_lPT4_lS4_li
                                        ; -- End function
	.set _ZL20rocblas_gemvn_kernelILi64ELi4ElfffEviiT3_lPKT2_lT1_lS3_lS4_lS0_lPT4_lS4_li.num_vgpr, 52
	.set _ZL20rocblas_gemvn_kernelILi64ELi4ElfffEviiT3_lPKT2_lT1_lS3_lS4_lS0_lPT4_lS4_li.num_agpr, 0
	.set _ZL20rocblas_gemvn_kernelILi64ELi4ElfffEviiT3_lPKT2_lT1_lS3_lS4_lS0_lPT4_lS4_li.numbered_sgpr, 43
	.set _ZL20rocblas_gemvn_kernelILi64ELi4ElfffEviiT3_lPKT2_lT1_lS3_lS4_lS0_lPT4_lS4_li.num_named_barrier, 0
	.set _ZL20rocblas_gemvn_kernelILi64ELi4ElfffEviiT3_lPKT2_lT1_lS3_lS4_lS0_lPT4_lS4_li.private_seg_size, 0
	.set _ZL20rocblas_gemvn_kernelILi64ELi4ElfffEviiT3_lPKT2_lT1_lS3_lS4_lS0_lPT4_lS4_li.uses_vcc, 1
	.set _ZL20rocblas_gemvn_kernelILi64ELi4ElfffEviiT3_lPKT2_lT1_lS3_lS4_lS0_lPT4_lS4_li.uses_flat_scratch, 0
	.set _ZL20rocblas_gemvn_kernelILi64ELi4ElfffEviiT3_lPKT2_lT1_lS3_lS4_lS0_lPT4_lS4_li.has_dyn_sized_stack, 0
	.set _ZL20rocblas_gemvn_kernelILi64ELi4ElfffEviiT3_lPKT2_lT1_lS3_lS4_lS0_lPT4_lS4_li.has_recursion, 0
	.set _ZL20rocblas_gemvn_kernelILi64ELi4ElfffEviiT3_lPKT2_lT1_lS3_lS4_lS0_lPT4_lS4_li.has_indirect_call, 0
	.section	.AMDGPU.csdata,"",@progbits
; Kernel info:
; codeLenInByte = 2972
; TotalNumSgprs: 45
; NumVgprs: 52
; ScratchSize: 0
; MemoryBound: 0
; FloatMode: 240
; IeeeMode: 1
; LDSByteSize: 4096 bytes/workgroup (compile time only)
; SGPRBlocks: 0
; VGPRBlocks: 6
; NumSGPRsForWavesPerEU: 45
; NumVGPRsForWavesPerEU: 52
; Occupancy: 16
; WaveLimiterHint : 1
; COMPUTE_PGM_RSRC2:SCRATCH_EN: 0
; COMPUTE_PGM_RSRC2:USER_SGPR: 6
; COMPUTE_PGM_RSRC2:TRAP_HANDLER: 0
; COMPUTE_PGM_RSRC2:TGID_X_EN: 1
; COMPUTE_PGM_RSRC2:TGID_Y_EN: 0
; COMPUTE_PGM_RSRC2:TGID_Z_EN: 1
; COMPUTE_PGM_RSRC2:TIDIG_COMP_CNT: 1
	.section	.text._ZL24rocblas_gemv_scal_kernelILi256EPKfPfEviT0_lT1_lili,"axG",@progbits,_ZL24rocblas_gemv_scal_kernelILi256EPKfPfEviT0_lT1_lili,comdat
	.globl	_ZL24rocblas_gemv_scal_kernelILi256EPKfPfEviT0_lT1_lili ; -- Begin function _ZL24rocblas_gemv_scal_kernelILi256EPKfPfEviT0_lT1_lili
	.p2align	8
	.type	_ZL24rocblas_gemv_scal_kernelILi256EPKfPfEviT0_lT1_lili,@function
_ZL24rocblas_gemv_scal_kernelILi256EPKfPfEviT0_lT1_lili: ; @_ZL24rocblas_gemv_scal_kernelILi256EPKfPfEviT0_lT1_lili
; %bb.0:
	s_load_dwordx8 s[8:15], s[4:5], 0x8
	s_waitcnt lgkmcnt(0)
	s_mul_i32 s0, s11, s7
	s_mul_hi_u32 s1, s10, s7
	s_add_i32 s1, s1, s0
	s_mul_i32 s0, s10, s7
	s_lshl_b64 s[0:1], s[0:1], 2
	s_add_u32 s0, s8, s0
	s_addc_u32 s1, s9, s1
	s_load_dword s0, s[0:1], 0x0
	s_waitcnt lgkmcnt(0)
	v_cmp_eq_f32_e64 s1, s0, 1.0
	s_and_b32 vcc_lo, exec_lo, s1
	s_cbranch_vccnz .LBB6_5
; %bb.1:
	s_clause 0x1
	s_load_dword s1, s[4:5], 0x4c
	s_load_dword s2, s[4:5], 0x0
	s_waitcnt lgkmcnt(0)
	s_and_b32 s1, s1, 0xffff
	s_ashr_i32 s3, s2, 31
	v_mad_u64_u32 v[0:1], null, s6, s1, v[0:1]
	v_mov_b32_e32 v1, 0
	s_mov_b32 s1, exec_lo
	v_cmpx_gt_i64_e64 s[2:3], v[0:1]
	s_cbranch_execz .LBB6_5
; %bb.2:
	s_clause 0x1
	s_load_dword s1, s[4:5], 0x28
	s_load_dwordx2 s[2:3], s[4:5], 0x30
	v_cmp_eq_f32_e64 s5, s0, 0
	s_waitcnt lgkmcnt(0)
	v_mad_u64_u32 v[2:3], null, v0, s1, 0
	s_ashr_i32 s1, s1, 31
	v_mad_u64_u32 v[3:4], null, v0, s1, v[3:4]
	s_mul_i32 s1, s3, s7
	s_mul_hi_u32 s3, s2, s7
	s_mul_i32 s2, s2, s7
	s_add_i32 s3, s3, s1
	s_lshl_b64 s[2:3], s[2:3], 2
	v_lshlrev_b64 v[2:3], 2, v[2:3]
	s_add_u32 s1, s12, s2
	s_addc_u32 s4, s13, s3
	s_lshl_b64 s[2:3], s[14:15], 2
	s_add_u32 s1, s1, s2
	s_addc_u32 s2, s4, s3
	v_add_co_u32 v2, vcc_lo, s1, v2
	v_add_co_ci_u32_e64 v3, null, s2, v3, vcc_lo
	s_and_b32 vcc_lo, exec_lo, s5
	s_cbranch_vccnz .LBB6_4
; %bb.3:
	global_load_dword v0, v[2:3], off
	s_waitcnt vmcnt(0)
	v_mul_f32_e32 v1, s0, v0
.LBB6_4:
	global_store_dword v[2:3], v1, off
.LBB6_5:
	s_endpgm
	.section	.rodata,"a",@progbits
	.p2align	6, 0x0
	.amdhsa_kernel _ZL24rocblas_gemv_scal_kernelILi256EPKfPfEviT0_lT1_lili
		.amdhsa_group_segment_fixed_size 0
		.amdhsa_private_segment_fixed_size 0
		.amdhsa_kernarg_size 320
		.amdhsa_user_sgpr_count 6
		.amdhsa_user_sgpr_private_segment_buffer 1
		.amdhsa_user_sgpr_dispatch_ptr 0
		.amdhsa_user_sgpr_queue_ptr 0
		.amdhsa_user_sgpr_kernarg_segment_ptr 1
		.amdhsa_user_sgpr_dispatch_id 0
		.amdhsa_user_sgpr_flat_scratch_init 0
		.amdhsa_user_sgpr_private_segment_size 0
		.amdhsa_wavefront_size32 1
		.amdhsa_uses_dynamic_stack 0
		.amdhsa_system_sgpr_private_segment_wavefront_offset 0
		.amdhsa_system_sgpr_workgroup_id_x 1
		.amdhsa_system_sgpr_workgroup_id_y 0
		.amdhsa_system_sgpr_workgroup_id_z 1
		.amdhsa_system_sgpr_workgroup_info 0
		.amdhsa_system_vgpr_workitem_id 0
		.amdhsa_next_free_vgpr 5
		.amdhsa_next_free_sgpr 16
		.amdhsa_reserve_vcc 1
		.amdhsa_reserve_flat_scratch 0
		.amdhsa_float_round_mode_32 0
		.amdhsa_float_round_mode_16_64 0
		.amdhsa_float_denorm_mode_32 3
		.amdhsa_float_denorm_mode_16_64 3
		.amdhsa_dx10_clamp 1
		.amdhsa_ieee_mode 1
		.amdhsa_fp16_overflow 0
		.amdhsa_workgroup_processor_mode 1
		.amdhsa_memory_ordered 1
		.amdhsa_forward_progress 1
		.amdhsa_shared_vgpr_count 0
		.amdhsa_exception_fp_ieee_invalid_op 0
		.amdhsa_exception_fp_denorm_src 0
		.amdhsa_exception_fp_ieee_div_zero 0
		.amdhsa_exception_fp_ieee_overflow 0
		.amdhsa_exception_fp_ieee_underflow 0
		.amdhsa_exception_fp_ieee_inexact 0
		.amdhsa_exception_int_div_zero 0
	.end_amdhsa_kernel
	.section	.text._ZL24rocblas_gemv_scal_kernelILi256EPKfPfEviT0_lT1_lili,"axG",@progbits,_ZL24rocblas_gemv_scal_kernelILi256EPKfPfEviT0_lT1_lili,comdat
.Lfunc_end6:
	.size	_ZL24rocblas_gemv_scal_kernelILi256EPKfPfEviT0_lT1_lili, .Lfunc_end6-_ZL24rocblas_gemv_scal_kernelILi256EPKfPfEviT0_lT1_lili
                                        ; -- End function
	.set _ZL24rocblas_gemv_scal_kernelILi256EPKfPfEviT0_lT1_lili.num_vgpr, 5
	.set _ZL24rocblas_gemv_scal_kernelILi256EPKfPfEviT0_lT1_lili.num_agpr, 0
	.set _ZL24rocblas_gemv_scal_kernelILi256EPKfPfEviT0_lT1_lili.numbered_sgpr, 16
	.set _ZL24rocblas_gemv_scal_kernelILi256EPKfPfEviT0_lT1_lili.num_named_barrier, 0
	.set _ZL24rocblas_gemv_scal_kernelILi256EPKfPfEviT0_lT1_lili.private_seg_size, 0
	.set _ZL24rocblas_gemv_scal_kernelILi256EPKfPfEviT0_lT1_lili.uses_vcc, 1
	.set _ZL24rocblas_gemv_scal_kernelILi256EPKfPfEviT0_lT1_lili.uses_flat_scratch, 0
	.set _ZL24rocblas_gemv_scal_kernelILi256EPKfPfEviT0_lT1_lili.has_dyn_sized_stack, 0
	.set _ZL24rocblas_gemv_scal_kernelILi256EPKfPfEviT0_lT1_lili.has_recursion, 0
	.set _ZL24rocblas_gemv_scal_kernelILi256EPKfPfEviT0_lT1_lili.has_indirect_call, 0
	.section	.AMDGPU.csdata,"",@progbits
; Kernel info:
; codeLenInByte = 284
; TotalNumSgprs: 18
; NumVgprs: 5
; ScratchSize: 0
; MemoryBound: 0
; FloatMode: 240
; IeeeMode: 1
; LDSByteSize: 0 bytes/workgroup (compile time only)
; SGPRBlocks: 0
; VGPRBlocks: 0
; NumSGPRsForWavesPerEU: 18
; NumVGPRsForWavesPerEU: 5
; Occupancy: 16
; WaveLimiterHint : 0
; COMPUTE_PGM_RSRC2:SCRATCH_EN: 0
; COMPUTE_PGM_RSRC2:USER_SGPR: 6
; COMPUTE_PGM_RSRC2:TRAP_HANDLER: 0
; COMPUTE_PGM_RSRC2:TGID_X_EN: 1
; COMPUTE_PGM_RSRC2:TGID_Y_EN: 0
; COMPUTE_PGM_RSRC2:TGID_Z_EN: 1
; COMPUTE_PGM_RSRC2:TIDIG_COMP_CNT: 0
	.section	.text._ZL24rocblas_gemv_scal_kernelILi256EfPfEviT0_lT1_lili,"axG",@progbits,_ZL24rocblas_gemv_scal_kernelILi256EfPfEviT0_lT1_lili,comdat
	.globl	_ZL24rocblas_gemv_scal_kernelILi256EfPfEviT0_lT1_lili ; -- Begin function _ZL24rocblas_gemv_scal_kernelILi256EfPfEviT0_lT1_lili
	.p2align	8
	.type	_ZL24rocblas_gemv_scal_kernelILi256EfPfEviT0_lT1_lili,@function
_ZL24rocblas_gemv_scal_kernelILi256EfPfEviT0_lT1_lili: ; @_ZL24rocblas_gemv_scal_kernelILi256EfPfEviT0_lT1_lili
; %bb.0:
	s_load_dwordx2 s[0:1], s[4:5], 0x0
	s_waitcnt lgkmcnt(0)
	v_cmp_eq_f32_e64 s2, s1, 1.0
	s_and_b32 vcc_lo, exec_lo, s2
	s_cbranch_vccnz .LBB7_5
; %bb.1:
	s_load_dword s2, s[4:5], 0x44
	s_ashr_i32 s3, s0, 31
	s_waitcnt lgkmcnt(0)
	s_and_b32 s2, s2, 0xffff
	v_mad_u64_u32 v[0:1], null, s6, s2, v[0:1]
	v_mov_b32_e32 v1, 0
	s_mov_b32 s2, s0
	s_mov_b32 s0, exec_lo
	v_cmpx_gt_i64_e64 s[2:3], v[0:1]
	s_cbranch_execz .LBB7_5
; %bb.2:
	s_clause 0x2
	s_load_dword s0, s[4:5], 0x20
	s_load_dwordx2 s[2:3], s[4:5], 0x28
	s_load_dwordx4 s[8:11], s[4:5], 0x10
	v_cmp_eq_f32_e64 s5, s1, 0
	s_waitcnt lgkmcnt(0)
	v_mad_u64_u32 v[2:3], null, v0, s0, 0
	s_ashr_i32 s0, s0, 31
	v_mad_u64_u32 v[3:4], null, v0, s0, v[3:4]
	s_mul_i32 s0, s3, s7
	s_mul_hi_u32 s3, s2, s7
	s_mul_i32 s2, s2, s7
	s_add_i32 s3, s3, s0
	s_lshl_b64 s[2:3], s[2:3], 2
	v_lshlrev_b64 v[2:3], 2, v[2:3]
	s_add_u32 s0, s8, s2
	s_addc_u32 s4, s9, s3
	s_lshl_b64 s[2:3], s[10:11], 2
	s_add_u32 s0, s0, s2
	s_addc_u32 s2, s4, s3
	v_add_co_u32 v2, vcc_lo, s0, v2
	v_add_co_ci_u32_e64 v3, null, s2, v3, vcc_lo
	s_and_b32 vcc_lo, exec_lo, s5
	s_cbranch_vccnz .LBB7_4
; %bb.3:
	global_load_dword v0, v[2:3], off
	s_waitcnt vmcnt(0)
	v_mul_f32_e32 v1, s1, v0
.LBB7_4:
	global_store_dword v[2:3], v1, off
.LBB7_5:
	s_endpgm
	.section	.rodata,"a",@progbits
	.p2align	6, 0x0
	.amdhsa_kernel _ZL24rocblas_gemv_scal_kernelILi256EfPfEviT0_lT1_lili
		.amdhsa_group_segment_fixed_size 0
		.amdhsa_private_segment_fixed_size 0
		.amdhsa_kernarg_size 312
		.amdhsa_user_sgpr_count 6
		.amdhsa_user_sgpr_private_segment_buffer 1
		.amdhsa_user_sgpr_dispatch_ptr 0
		.amdhsa_user_sgpr_queue_ptr 0
		.amdhsa_user_sgpr_kernarg_segment_ptr 1
		.amdhsa_user_sgpr_dispatch_id 0
		.amdhsa_user_sgpr_flat_scratch_init 0
		.amdhsa_user_sgpr_private_segment_size 0
		.amdhsa_wavefront_size32 1
		.amdhsa_uses_dynamic_stack 0
		.amdhsa_system_sgpr_private_segment_wavefront_offset 0
		.amdhsa_system_sgpr_workgroup_id_x 1
		.amdhsa_system_sgpr_workgroup_id_y 0
		.amdhsa_system_sgpr_workgroup_id_z 1
		.amdhsa_system_sgpr_workgroup_info 0
		.amdhsa_system_vgpr_workitem_id 0
		.amdhsa_next_free_vgpr 5
		.amdhsa_next_free_sgpr 12
		.amdhsa_reserve_vcc 1
		.amdhsa_reserve_flat_scratch 0
		.amdhsa_float_round_mode_32 0
		.amdhsa_float_round_mode_16_64 0
		.amdhsa_float_denorm_mode_32 3
		.amdhsa_float_denorm_mode_16_64 3
		.amdhsa_dx10_clamp 1
		.amdhsa_ieee_mode 1
		.amdhsa_fp16_overflow 0
		.amdhsa_workgroup_processor_mode 1
		.amdhsa_memory_ordered 1
		.amdhsa_forward_progress 1
		.amdhsa_shared_vgpr_count 0
		.amdhsa_exception_fp_ieee_invalid_op 0
		.amdhsa_exception_fp_denorm_src 0
		.amdhsa_exception_fp_ieee_div_zero 0
		.amdhsa_exception_fp_ieee_overflow 0
		.amdhsa_exception_fp_ieee_underflow 0
		.amdhsa_exception_fp_ieee_inexact 0
		.amdhsa_exception_int_div_zero 0
	.end_amdhsa_kernel
	.section	.text._ZL24rocblas_gemv_scal_kernelILi256EfPfEviT0_lT1_lili,"axG",@progbits,_ZL24rocblas_gemv_scal_kernelILi256EfPfEviT0_lT1_lili,comdat
.Lfunc_end7:
	.size	_ZL24rocblas_gemv_scal_kernelILi256EfPfEviT0_lT1_lili, .Lfunc_end7-_ZL24rocblas_gemv_scal_kernelILi256EfPfEviT0_lT1_lili
                                        ; -- End function
	.set _ZL24rocblas_gemv_scal_kernelILi256EfPfEviT0_lT1_lili.num_vgpr, 5
	.set _ZL24rocblas_gemv_scal_kernelILi256EfPfEviT0_lT1_lili.num_agpr, 0
	.set _ZL24rocblas_gemv_scal_kernelILi256EfPfEviT0_lT1_lili.numbered_sgpr, 12
	.set _ZL24rocblas_gemv_scal_kernelILi256EfPfEviT0_lT1_lili.num_named_barrier, 0
	.set _ZL24rocblas_gemv_scal_kernelILi256EfPfEviT0_lT1_lili.private_seg_size, 0
	.set _ZL24rocblas_gemv_scal_kernelILi256EfPfEviT0_lT1_lili.uses_vcc, 1
	.set _ZL24rocblas_gemv_scal_kernelILi256EfPfEviT0_lT1_lili.uses_flat_scratch, 0
	.set _ZL24rocblas_gemv_scal_kernelILi256EfPfEviT0_lT1_lili.has_dyn_sized_stack, 0
	.set _ZL24rocblas_gemv_scal_kernelILi256EfPfEviT0_lT1_lili.has_recursion, 0
	.set _ZL24rocblas_gemv_scal_kernelILi256EfPfEviT0_lT1_lili.has_indirect_call, 0
	.section	.AMDGPU.csdata,"",@progbits
; Kernel info:
; codeLenInByte = 244
; TotalNumSgprs: 14
; NumVgprs: 5
; ScratchSize: 0
; MemoryBound: 0
; FloatMode: 240
; IeeeMode: 1
; LDSByteSize: 0 bytes/workgroup (compile time only)
; SGPRBlocks: 0
; VGPRBlocks: 0
; NumSGPRsForWavesPerEU: 14
; NumVGPRsForWavesPerEU: 5
; Occupancy: 16
; WaveLimiterHint : 0
; COMPUTE_PGM_RSRC2:SCRATCH_EN: 0
; COMPUTE_PGM_RSRC2:USER_SGPR: 6
; COMPUTE_PGM_RSRC2:TRAP_HANDLER: 0
; COMPUTE_PGM_RSRC2:TGID_X_EN: 1
; COMPUTE_PGM_RSRC2:TGID_Y_EN: 0
; COMPUTE_PGM_RSRC2:TGID_Z_EN: 1
; COMPUTE_PGM_RSRC2:TIDIG_COMP_CNT: 0
	.section	.text._ZL36rocblas_gemvn_double_buffered_kernelILi128ELi8ELi8EfPKffEviiT3_lPKT2_lilS5_lilPT4_lili,"axG",@progbits,_ZL36rocblas_gemvn_double_buffered_kernelILi128ELi8ELi8EfPKffEviiT3_lPKT2_lilS5_lilPT4_lili,comdat
	.globl	_ZL36rocblas_gemvn_double_buffered_kernelILi128ELi8ELi8EfPKffEviiT3_lPKT2_lilS5_lilPT4_lili ; -- Begin function _ZL36rocblas_gemvn_double_buffered_kernelILi128ELi8ELi8EfPKffEviiT3_lPKT2_lilS5_lilPT4_lili
	.p2align	8
	.type	_ZL36rocblas_gemvn_double_buffered_kernelILi128ELi8ELi8EfPKffEviiT3_lPKT2_lilS5_lilPT4_lili,@function
_ZL36rocblas_gemvn_double_buffered_kernelILi128ELi8ELi8EfPKffEviiT3_lPKT2_lilS5_lilPT4_lili: ; @_ZL36rocblas_gemvn_double_buffered_kernelILi128ELi8ELi8EfPKffEviiT3_lPKT2_lilS5_lilPT4_lili
; %bb.0:
	s_load_dwordx8 s[12:19], s[4:5], 0x8
	s_waitcnt lgkmcnt(0)
	s_mul_i32 s0, s15, s8
	s_mul_hi_u32 s1, s14, s8
	s_add_i32 s1, s1, s0
	s_mul_i32 s0, s14, s8
	s_lshl_b64 s[0:1], s[0:1], 2
	s_add_u32 s0, s12, s0
	s_addc_u32 s1, s13, s1
	s_load_dword s9, s[0:1], 0x0
	s_waitcnt lgkmcnt(0)
	v_cmp_eq_f32_e64 s0, s9, 0
	s_and_b32 vcc_lo, exec_lo, s0
	s_cbranch_vccnz .LBB8_12
; %bb.1:
	s_clause 0x1
	s_load_dword s0, s[4:5], 0x84
	s_load_dword s1, s[4:5], 0x4
	s_waitcnt lgkmcnt(0)
	v_cvt_f32_u32_e32 v2, s0
	s_ashr_i32 s3, s1, 31
	s_sub_i32 s10, 0, s0
	s_lshr_b32 s3, s3, 25
	s_add_i32 s1, s1, s3
	v_rcp_iflag_f32_e32 v2, v2
	s_ashr_i32 s1, s1, 7
	v_mul_f32_e32 v2, 0x4f7ffffe, v2
	v_cvt_u32_f32_e32 v2, v2
	v_readfirstlane_b32 s2, v2
	s_mul_i32 s10, s10, s2
	s_mul_hi_u32 s3, s2, s10
	s_add_i32 s2, s2, s3
	s_mul_hi_u32 s2, s1, s2
	s_mul_i32 s3, s2, s0
	s_add_i32 s10, s2, 1
	s_sub_i32 s3, s1, s3
	s_sub_i32 s11, s3, s0
	s_cmp_ge_u32 s3, s0
	s_cselect_b32 s2, s10, s2
	s_cselect_b32 s3, s11, s3
	s_add_i32 s10, s2, 1
	s_cmp_ge_u32 s3, s0
	s_cselect_b32 s12, s10, s2
	s_mul_i32 s0, s12, s0
	s_sub_i32 s13, s1, s0
	s_cmp_lt_u32 s7, s13
	s_cselect_b32 s0, -1, 0
	s_cmp_lg_u32 s0, 0
	s_addc_u32 s28, s12, 0
	s_cmp_eq_u32 s28, 0
	s_cbranch_scc1 .LBB8_12
; %bb.2:
	s_clause 0x1
	s_load_dwordx4 s[0:3], s[4:5], 0x50
	s_load_dwordx2 s[10:11], s[4:5], 0x60
	v_lshl_add_u32 v4, v1, 7, v0
	v_and_b32_e32 v2, 63, v0
	s_lshl_b32 s20, s6, 7
	s_ashr_i32 s21, s20, 31
	v_lshrrev_b32_e32 v22, 6, v4
	v_lshlrev_b32_e32 v23, 2, v2
	s_cmp_lt_i32 s28, 1
	s_cbranch_scc1 .LBB8_8
; %bb.3:
	v_cvt_f64_i32_e32 v[5:6], s7
	v_cvt_f64_u32_e32 v[7:8], s13
	s_mul_i32 s12, s12, s7
	v_mov_b32_e32 v3, 0
	v_cvt_f64_u32_e32 v[9:10], s12
	s_clause 0x2
	s_load_dwordx4 s[12:15], s[4:5], 0x30
	s_load_dword s24, s[4:5], 0x28
	s_load_dword s22, s[4:5], 0x48
	s_waitcnt lgkmcnt(0)
	s_mul_i32 s1, s1, s8
	s_mul_i32 s7, s13, s8
	v_min_f64 v[5:6], v[5:6], v[7:8]
	s_mul_hi_u32 s13, s12, s8
	s_mul_i32 s6, s12, s8
	s_add_i32 s7, s13, s7
	s_ashr_i32 s25, s24, 31
	s_lshl_b64 s[26:27], s[6:7], 2
	s_ashr_i32 s23, s22, 31
	s_add_u32 s6, s16, s26
	s_addc_u32 s7, s17, s27
	s_lshl_b64 s[30:31], s[18:19], 2
	s_add_u32 s6, s6, s30
	s_addc_u32 s7, s7, s31
	s_lshl_b64 s[34:35], s[20:21], 2
	s_add_u32 s13, s6, s34
	s_addc_u32 s18, s7, s35
	v_add_f64 v[5:6], v[5:6], v[9:10]
	v_cvt_i32_f64_e32 v7, v[5:6]
	v_lshlrev_b32_e32 v5, 3, v22
	v_mad_i64_i32 v[5:6], null, s24, v5, v[2:3]
	v_lshrrev_b32_e32 v2, 1, v4
	v_and_b32_e32 v2, 0x1ffe0, v2
	v_lshlrev_b64 v[5:6], 2, v[5:6]
	v_readfirstlane_b32 s12, v7
	s_lshl_b32 s36, s12, 7
	s_mul_hi_i32 s7, s36, s24
	s_mul_i32 s6, s36, s24
	s_ashr_i32 s37, s36, 31
	s_lshl_b64 s[6:7], s[6:7], 2
	s_add_u32 s6, s13, s6
	s_addc_u32 s7, s18, s7
	v_add_co_u32 v5, vcc_lo, s6, v5
	v_add_co_ci_u32_e64 v6, null, s7, v6, vcc_lo
	s_lshl_b64 s[6:7], s[24:25], 2
	s_lshl_b32 s18, s22, 7
	v_add_co_u32 v7, vcc_lo, v5, s6
	v_add_co_ci_u32_e64 v8, null, s7, v6, vcc_lo
	s_lshl_b64 s[36:37], s[36:37], 2
	v_add_co_u32 v9, vcc_lo, v7, s6
	v_add_co_ci_u32_e64 v10, null, s7, v8, vcc_lo
	s_lshl_b64 s[12:13], s[24:25], 9
	v_add_co_u32 v11, vcc_lo, v9, s6
	v_add_co_ci_u32_e64 v12, null, s7, v10, vcc_lo
	s_add_i32 s21, s28, -1
	v_add_co_u32 v13, vcc_lo, v11, s6
	v_add_co_ci_u32_e64 v14, null, s7, v12, vcc_lo
	s_ashr_i32 s19, s18, 31
	v_add_co_u32 v15, vcc_lo, v13, s6
	v_add_co_ci_u32_e64 v16, null, s7, v14, vcc_lo
	v_add_co_u32 v33, s29, v2, s36
	v_add_co_u32 v17, vcc_lo, v15, s6
	v_add_co_ci_u32_e64 v18, null, s7, v16, vcc_lo
	s_add_u32 s16, s16, s34
	v_add_co_u32 v19, vcc_lo, v17, s6
	v_add_co_ci_u32_e64 v20, null, s7, v18, vcc_lo
	s_clause 0x5
	global_load_dword v32, v[5:6], off
	global_load_dword v31, v[7:8], off
	global_load_dword v30, v[9:10], off
	global_load_dword v29, v[11:12], off
	global_load_dword v28, v[13:14], off
	global_load_dword v27, v[15:16], off
	global_load_dword v26, v[17:18], off
	global_load_dword v25, v[19:20], off
	s_addc_u32 s17, s17, s35
	v_add_co_ci_u32_e64 v34, null, 0, s37, s29
	s_add_u32 s16, s16, s30
	s_addc_u32 s17, s17, s31
	s_add_u32 s16, s16, s26
	s_addc_u32 s17, s17, s27
	v_mul_lo_u32 v2, v33, s25
	v_mad_u64_u32 v[6:7], null, v33, s24, s[16:17]
	v_mul_lo_u32 v4, v34, s24
	v_add_co_u32 v8, vcc_lo, 0x200, v33
	v_add_co_ci_u32_e64 v9, null, 0, v34, vcc_lo
	s_load_dwordx2 s[26:27], s[4:5], 0x40
	v_add3_u32 v7, v4, v7, v2
	v_mad_u64_u32 v[4:5], null, v8, s24, s[16:17]
	v_mul_lo_u32 v8, v8, s25
	v_mul_lo_u32 v9, v9, s24
	v_add_co_u32 v2, vcc_lo, 0x100, v6
	v_add_co_ci_u32_e64 v24, null, 0, v7, vcc_lo
	v_add_co_u32 v10, vcc_lo, 0x208, v33
	v_add3_u32 v5, v9, v5, v8
	v_add_co_ci_u32_e64 v8, null, 0, v34, vcc_lo
	v_mad_u64_u32 v[6:7], null, v10, s24, s[16:17]
	v_mul_lo_u32 v35, v10, s25
	v_add_co_u32 v10, vcc_lo, 0x20c, v33
	v_add_co_ci_u32_e64 v11, null, 0, v34, vcc_lo
	v_add_co_u32 v12, vcc_lo, 0x210, v33
	v_add_co_ci_u32_e64 v13, null, 0, v34, vcc_lo
	;; [unrolled: 2-line block ×5, first 2 shown]
	v_add_co_u32 v20, vcc_lo, 0x204, v33
	v_mul_lo_u32 v36, v8, s24
	v_mad_u64_u32 v[8:9], null, v10, s24, s[16:17]
	v_mul_lo_u32 v37, v10, s25
	v_mul_lo_u32 v38, v11, s24
	v_mad_u64_u32 v[10:11], null, v12, s24, s[16:17]
	v_mul_lo_u32 v39, v12, s25
	;; [unrolled: 3-line block ×5, first 2 shown]
	v_mul_lo_u32 v46, v19, s24
	v_mad_u64_u32 v[18:19], null, v20, s24, s[16:17]
	s_mul_hi_u32 s16, s0, s8
	s_mul_i32 s0, s0, s8
	s_add_i32 s1, s16, s1
	s_waitcnt lgkmcnt(0)
	s_lshl_b64 s[16:17], s[26:27], 2
	s_lshl_b64 s[0:1], s[0:1], 2
	v_add_co_ci_u32_e64 v21, null, 0, v34, vcc_lo
	s_add_u32 s14, s14, s16
	s_addc_u32 s15, s15, s17
	s_add_u32 s0, s14, s0
	s_addc_u32 s1, s15, s1
	v_mul_lo_u32 v47, v20, s25
	v_mul_lo_u32 v48, v21, s24
	v_mad_u64_u32 v[20:21], null, v33, s22, s[0:1]
	v_mul_lo_u32 v33, v33, s23
	v_mul_lo_u32 v34, v34, s22
	v_add3_u32 v7, v36, v7, v35
	v_add3_u32 v9, v38, v9, v37
	;; [unrolled: 1-line block ×8, first 2 shown]
	v_mov_b32_e32 v33, v3
	s_lshl_b64 s[0:1], s[18:19], 2
	s_lshl_b64 s[14:15], s[22:23], 2
	s_mov_b32 s16, 0
	s_waitcnt vmcnt(7)
	v_mov_b32_e32 v34, v32
	s_waitcnt vmcnt(6)
	v_mov_b32_e32 v35, v31
	;; [unrolled: 2-line block ×8, first 2 shown]
.LBB8_4:                                ; =>This Inner Loop Header: Depth=1
	v_add_co_u32 v42, vcc_lo, v2, v23
	v_add_co_ci_u32_e64 v43, null, 0, v24, vcc_lo
	s_cmp_eq_u32 s21, s16
	global_load_dword v47, v[42:43], off
	v_add_co_u32 v42, vcc_lo, v42, s6
	v_add_co_ci_u32_e64 v43, null, s7, v43, vcc_lo
	global_load_dword v48, v[42:43], off
	v_add_co_u32 v42, vcc_lo, v42, s6
	v_add_co_ci_u32_e64 v43, null, s7, v43, vcc_lo
	;; [unrolled: 3-line block ×5, first 2 shown]
	v_add_co_u32 v50, vcc_lo, v42, s6
	v_add_co_ci_u32_e64 v51, null, s7, v43, vcc_lo
	s_clause 0x1
	global_load_dword v44, v[42:43], off
	global_load_dword v43, v[50:51], off
	v_add_co_u32 v50, vcc_lo, v50, s6
	v_add_co_ci_u32_e64 v51, null, s7, v51, vcc_lo
	v_add_co_u32 v52, vcc_lo, v20, s14
	v_add_co_ci_u32_e64 v53, null, s15, v21, vcc_lo
	global_load_dword v42, v[50:51], off
	s_clause 0x1
	global_load_dword v50, v[20:21], off
	global_load_dword v51, v[52:53], off
	v_add_co_u32 v52, vcc_lo, v52, s14
	v_add_co_ci_u32_e64 v53, null, s15, v53, vcc_lo
	v_add_co_u32 v55, vcc_lo, v52, s14
	v_add_co_ci_u32_e64 v56, null, s15, v53, vcc_lo
	s_clause 0x1
	global_load_dword v54, v[52:53], off
	global_load_dword v52, v[55:56], off
	v_add_co_u32 v55, vcc_lo, v55, s14
	v_add_co_ci_u32_e64 v56, null, s15, v56, vcc_lo
	v_add_co_u32 v57, vcc_lo, v55, s14
	v_add_co_ci_u32_e64 v58, null, s15, v56, vcc_lo
	s_clause 0x1
	global_load_dword v53, v[55:56], off
	global_load_dword v55, v[57:58], off
	v_add_co_u32 v57, vcc_lo, v57, s14
	v_add_co_ci_u32_e64 v58, null, s15, v58, vcc_lo
	global_load_dword v56, v[57:58], off
	v_add_co_u32 v57, vcc_lo, v57, s14
	v_add_co_ci_u32_e64 v58, null, s15, v58, vcc_lo
	global_load_dword v57, v[57:58], off
	s_cbranch_scc1 .LBB8_6
; %bb.5:                                ;   in Loop: Header=BB8_4 Depth=1
	v_add_co_u32 v34, vcc_lo, v4, v23
	v_add_co_ci_u32_e64 v35, null, 0, v5, vcc_lo
	v_add_co_u32 v36, vcc_lo, v18, v23
	v_add_co_ci_u32_e64 v37, null, 0, v19, vcc_lo
	;; [unrolled: 2-line block ×3, first 2 shown]
	global_load_dword v34, v[34:35], off
	global_load_dword v35, v[36:37], off
	;; [unrolled: 1-line block ×3, first 2 shown]
	v_add_co_u32 v37, vcc_lo, v8, v23
	v_add_co_ci_u32_e64 v38, null, 0, v9, vcc_lo
	v_add_co_u32 v39, vcc_lo, v10, v23
	v_add_co_ci_u32_e64 v40, null, 0, v11, vcc_lo
	;; [unrolled: 2-line block ×5, first 2 shown]
	global_load_dword v37, v[37:38], off
	global_load_dword v38, v[39:40], off
	;; [unrolled: 1-line block ×5, first 2 shown]
.LBB8_6:                                ;   in Loop: Header=BB8_4 Depth=1
	s_waitcnt vmcnt(7)
	v_fmac_f32_e32 v33, v32, v50
	v_fmac_f32_e32 v3, v47, v50
	v_add_co_u32 v2, vcc_lo, v2, s12
	v_add_co_ci_u32_e64 v24, null, s13, v24, vcc_lo
	s_waitcnt vmcnt(6)
	v_fmac_f32_e32 v33, v31, v51
	v_fmac_f32_e32 v3, v48, v51
	v_add_co_u32 v4, vcc_lo, v4, s12
	v_add_co_ci_u32_e64 v5, null, s13, v5, vcc_lo
	;; [unrolled: 5-line block ×6, first 2 shown]
	v_add_co_u32 v14, vcc_lo, v14, s12
	v_add_co_ci_u32_e64 v15, null, s13, v15, vcc_lo
	v_add_co_u32 v16, vcc_lo, v16, s12
	s_waitcnt vmcnt(1)
	v_fmac_f32_e32 v33, v26, v56
	v_fmac_f32_e32 v3, v43, v56
	v_add_co_ci_u32_e64 v17, null, s13, v17, vcc_lo
	v_add_co_u32 v18, vcc_lo, v18, s12
	v_add_co_ci_u32_e64 v19, null, s13, v19, vcc_lo
	v_add_co_u32 v20, vcc_lo, v20, s0
	s_waitcnt vmcnt(0)
	v_fmac_f32_e32 v33, v25, v57
	v_fmac_f32_e32 v3, v42, v57
	v_add_co_ci_u32_e64 v21, null, s1, v21, vcc_lo
	s_add_i32 s16, s16, 1
	s_cmp_lt_i32 s16, s28
	s_cbranch_scc0 .LBB8_9
; %bb.7:                                ;   in Loop: Header=BB8_4 Depth=1
	v_mov_b32_e32 v32, v34
	v_mov_b32_e32 v31, v35
	;; [unrolled: 1-line block ×8, first 2 shown]
	s_branch .LBB8_4
.LBB8_8:
	v_mov_b32_e32 v3, 0
	v_mov_b32_e32 v33, 0
.LBB8_9:
	v_lshl_or_b32 v2, v22, 9, v23
	s_waitcnt lgkmcnt(0)
	s_mov_b32 s0, 0
	s_mov_b32 s1, exec_lo
	ds_write2st64_b32 v2, v33, v3 offset1:1
	s_waitcnt lgkmcnt(0)
	s_barrier
	buffer_gl0_inv
	v_cmpx_eq_u32_e32 0, v1
	s_cbranch_execz .LBB8_12
; %bb.10:
	s_clause 0x1
	s_load_dwordx2 s[6:7], s[4:5], 0x70
	s_load_dword s1, s[4:5], 0x68
	s_waitcnt lgkmcnt(0)
	s_mul_i32 s5, s7, s8
	s_mul_hi_u32 s7, s6, s8
	v_mad_i64_i32 v[1:2], null, s1, v0, 0
	s_mul_i32 s4, s6, s8
	s_add_i32 s5, s7, s5
	s_mul_hi_i32 s7, s1, s20
	s_lshl_b64 s[4:5], s[4:5], 2
	s_mul_i32 s6, s1, s20
	s_add_u32 s1, s2, s4
	s_addc_u32 s4, s3, s5
	s_lshl_b64 s[2:3], s[10:11], 2
	v_lshlrev_b64 v[1:2], 2, v[1:2]
	s_add_u32 s1, s1, s2
	s_addc_u32 s4, s4, s3
	s_lshl_b64 s[2:3], s[6:7], 2
	v_lshlrev_b32_e32 v0, 2, v0
	s_add_u32 s1, s1, s2
	s_addc_u32 s2, s4, s3
	v_add_co_u32 v1, vcc_lo, s1, v1
	v_add_co_ci_u32_e64 v2, null, s2, v2, vcc_lo
	global_load_dword v4, v[1:2], off
	ds_read2st64_b32 v[5:6], v0 offset1:2
	ds_read2st64_b32 v[7:8], v0 offset0:4 offset1:6
	ds_read2st64_b32 v[9:10], v0 offset0:8 offset1:10
	s_waitcnt lgkmcnt(2)
	v_add_f32_e32 v3, 0, v5
	v_add_f32_e32 v3, v3, v6
	ds_read2st64_b32 v[5:6], v0 offset0:12 offset1:14
	s_waitcnt lgkmcnt(2)
	v_add_f32_e32 v3, v3, v7
	v_add_f32_e32 v3, v3, v8
	;; [unrolled: 4-line block ×6, first 2 shown]
	s_waitcnt lgkmcnt(1)
	v_add_f32_e32 v0, v0, v5
	v_add_f32_e32 v0, v0, v6
	s_waitcnt lgkmcnt(0)
	v_add_f32_e32 v0, v0, v7
	v_add_f32_e32 v0, v0, v8
	v_mul_f32_e32 v0, s9, v0
.LBB8_11:                               ; =>This Inner Loop Header: Depth=1
	s_waitcnt vmcnt(0)
	v_add_f32_e32 v3, v4, v0
	global_atomic_cmpswap v3, v[1:2], v[3:4], off glc
	s_waitcnt vmcnt(0)
	v_cmp_eq_u32_e32 vcc_lo, v3, v4
	v_mov_b32_e32 v4, v3
	s_or_b32 s0, vcc_lo, s0
	s_andn2_b32 exec_lo, exec_lo, s0
	s_cbranch_execnz .LBB8_11
.LBB8_12:
	s_endpgm
	.section	.rodata,"a",@progbits
	.p2align	6, 0x0
	.amdhsa_kernel _ZL36rocblas_gemvn_double_buffered_kernelILi128ELi8ELi8EfPKffEviiT3_lPKT2_lilS5_lilPT4_lili
		.amdhsa_group_segment_fixed_size 8192
		.amdhsa_private_segment_fixed_size 0
		.amdhsa_kernarg_size 384
		.amdhsa_user_sgpr_count 6
		.amdhsa_user_sgpr_private_segment_buffer 1
		.amdhsa_user_sgpr_dispatch_ptr 0
		.amdhsa_user_sgpr_queue_ptr 0
		.amdhsa_user_sgpr_kernarg_segment_ptr 1
		.amdhsa_user_sgpr_dispatch_id 0
		.amdhsa_user_sgpr_flat_scratch_init 0
		.amdhsa_user_sgpr_private_segment_size 0
		.amdhsa_wavefront_size32 1
		.amdhsa_uses_dynamic_stack 0
		.amdhsa_system_sgpr_private_segment_wavefront_offset 0
		.amdhsa_system_sgpr_workgroup_id_x 1
		.amdhsa_system_sgpr_workgroup_id_y 1
		.amdhsa_system_sgpr_workgroup_id_z 1
		.amdhsa_system_sgpr_workgroup_info 0
		.amdhsa_system_vgpr_workitem_id 1
		.amdhsa_next_free_vgpr 64
		.amdhsa_next_free_sgpr 38
		.amdhsa_reserve_vcc 1
		.amdhsa_reserve_flat_scratch 0
		.amdhsa_float_round_mode_32 0
		.amdhsa_float_round_mode_16_64 0
		.amdhsa_float_denorm_mode_32 3
		.amdhsa_float_denorm_mode_16_64 3
		.amdhsa_dx10_clamp 1
		.amdhsa_ieee_mode 1
		.amdhsa_fp16_overflow 0
		.amdhsa_workgroup_processor_mode 1
		.amdhsa_memory_ordered 1
		.amdhsa_forward_progress 1
		.amdhsa_shared_vgpr_count 0
		.amdhsa_exception_fp_ieee_invalid_op 0
		.amdhsa_exception_fp_denorm_src 0
		.amdhsa_exception_fp_ieee_div_zero 0
		.amdhsa_exception_fp_ieee_overflow 0
		.amdhsa_exception_fp_ieee_underflow 0
		.amdhsa_exception_fp_ieee_inexact 0
		.amdhsa_exception_int_div_zero 0
	.end_amdhsa_kernel
	.section	.text._ZL36rocblas_gemvn_double_buffered_kernelILi128ELi8ELi8EfPKffEviiT3_lPKT2_lilS5_lilPT4_lili,"axG",@progbits,_ZL36rocblas_gemvn_double_buffered_kernelILi128ELi8ELi8EfPKffEviiT3_lPKT2_lilS5_lilPT4_lili,comdat
.Lfunc_end8:
	.size	_ZL36rocblas_gemvn_double_buffered_kernelILi128ELi8ELi8EfPKffEviiT3_lPKT2_lilS5_lilPT4_lili, .Lfunc_end8-_ZL36rocblas_gemvn_double_buffered_kernelILi128ELi8ELi8EfPKffEviiT3_lPKT2_lilS5_lilPT4_lili
                                        ; -- End function
	.set _ZL36rocblas_gemvn_double_buffered_kernelILi128ELi8ELi8EfPKffEviiT3_lPKT2_lilS5_lilPT4_lili.num_vgpr, 64
	.set _ZL36rocblas_gemvn_double_buffered_kernelILi128ELi8ELi8EfPKffEviiT3_lPKT2_lilS5_lilPT4_lili.num_agpr, 0
	.set _ZL36rocblas_gemvn_double_buffered_kernelILi128ELi8ELi8EfPKffEviiT3_lPKT2_lilS5_lilPT4_lili.numbered_sgpr, 38
	.set _ZL36rocblas_gemvn_double_buffered_kernelILi128ELi8ELi8EfPKffEviiT3_lPKT2_lilS5_lilPT4_lili.num_named_barrier, 0
	.set _ZL36rocblas_gemvn_double_buffered_kernelILi128ELi8ELi8EfPKffEviiT3_lPKT2_lilS5_lilPT4_lili.private_seg_size, 0
	.set _ZL36rocblas_gemvn_double_buffered_kernelILi128ELi8ELi8EfPKffEviiT3_lPKT2_lilS5_lilPT4_lili.uses_vcc, 1
	.set _ZL36rocblas_gemvn_double_buffered_kernelILi128ELi8ELi8EfPKffEviiT3_lPKT2_lilS5_lilPT4_lili.uses_flat_scratch, 0
	.set _ZL36rocblas_gemvn_double_buffered_kernelILi128ELi8ELi8EfPKffEviiT3_lPKT2_lilS5_lilPT4_lili.has_dyn_sized_stack, 0
	.set _ZL36rocblas_gemvn_double_buffered_kernelILi128ELi8ELi8EfPKffEviiT3_lPKT2_lilS5_lilPT4_lili.has_recursion, 0
	.set _ZL36rocblas_gemvn_double_buffered_kernelILi128ELi8ELi8EfPKffEviiT3_lPKT2_lilS5_lilPT4_lili.has_indirect_call, 0
	.section	.AMDGPU.csdata,"",@progbits
; Kernel info:
; codeLenInByte = 2652
; TotalNumSgprs: 40
; NumVgprs: 64
; ScratchSize: 0
; MemoryBound: 0
; FloatMode: 240
; IeeeMode: 1
; LDSByteSize: 8192 bytes/workgroup (compile time only)
; SGPRBlocks: 0
; VGPRBlocks: 7
; NumSGPRsForWavesPerEU: 40
; NumVGPRsForWavesPerEU: 64
; Occupancy: 16
; WaveLimiterHint : 0
; COMPUTE_PGM_RSRC2:SCRATCH_EN: 0
; COMPUTE_PGM_RSRC2:USER_SGPR: 6
; COMPUTE_PGM_RSRC2:TRAP_HANDLER: 0
; COMPUTE_PGM_RSRC2:TGID_X_EN: 1
; COMPUTE_PGM_RSRC2:TGID_Y_EN: 1
; COMPUTE_PGM_RSRC2:TGID_Z_EN: 1
; COMPUTE_PGM_RSRC2:TIDIG_COMP_CNT: 1
	.section	.text._ZL36rocblas_gemvn_double_buffered_kernelILi128ELi8ELi8EfffEviiT3_lPKT2_lilS3_lilPT4_lili,"axG",@progbits,_ZL36rocblas_gemvn_double_buffered_kernelILi128ELi8ELi8EfffEviiT3_lPKT2_lilS3_lilPT4_lili,comdat
	.globl	_ZL36rocblas_gemvn_double_buffered_kernelILi128ELi8ELi8EfffEviiT3_lPKT2_lilS3_lilPT4_lili ; -- Begin function _ZL36rocblas_gemvn_double_buffered_kernelILi128ELi8ELi8EfffEviiT3_lPKT2_lilS3_lilPT4_lili
	.p2align	8
	.type	_ZL36rocblas_gemvn_double_buffered_kernelILi128ELi8ELi8EfffEviiT3_lPKT2_lilS3_lilPT4_lili,@function
_ZL36rocblas_gemvn_double_buffered_kernelILi128ELi8ELi8EfffEviiT3_lPKT2_lilS3_lilPT4_lili: ; @_ZL36rocblas_gemvn_double_buffered_kernelILi128ELi8ELi8EfffEviiT3_lPKT2_lilS3_lilPT4_lili
; %bb.0:
	s_load_dwordx2 s[10:11], s[4:5], 0x4
	s_waitcnt lgkmcnt(0)
	v_cmp_eq_f32_e64 s0, s11, 0
	s_and_b32 vcc_lo, exec_lo, s0
	s_cbranch_vccnz .LBB9_12
; %bb.1:
	s_load_dword s0, s[4:5], 0x84
	s_ashr_i32 s2, s10, 31
	s_lshr_b32 s2, s2, 25
	s_add_i32 s2, s10, s2
	s_ashr_i32 s2, s2, 7
	s_waitcnt lgkmcnt(0)
	v_cvt_f32_u32_e32 v2, s0
	s_sub_i32 s3, 0, s0
	v_rcp_iflag_f32_e32 v2, v2
	v_mul_f32_e32 v2, 0x4f7ffffe, v2
	v_cvt_u32_f32_e32 v2, v2
	v_readfirstlane_b32 s1, v2
	s_mul_i32 s3, s3, s1
	s_mul_hi_u32 s3, s1, s3
	s_add_i32 s1, s1, s3
	s_mul_hi_u32 s1, s2, s1
	s_mul_i32 s3, s1, s0
	s_add_i32 s9, s1, 1
	s_sub_i32 s3, s2, s3
	s_sub_i32 s10, s3, s0
	s_cmp_ge_u32 s3, s0
	s_cselect_b32 s1, s9, s1
	s_cselect_b32 s3, s10, s3
	s_add_i32 s9, s1, 1
	s_cmp_ge_u32 s3, s0
	s_cselect_b32 s12, s9, s1
	s_mul_i32 s0, s12, s0
	s_sub_i32 s13, s2, s0
	s_cmp_lt_u32 s7, s13
	s_cselect_b32 s0, -1, 0
	s_cmp_lg_u32 s0, 0
	s_addc_u32 s9, s12, 0
	s_cmp_eq_u32 s9, 0
	s_cbranch_scc1 .LBB9_12
; %bb.2:
	s_clause 0x1
	s_load_dwordx4 s[0:3], s[4:5], 0x50
	s_load_dwordx2 s[20:21], s[4:5], 0x60
	v_lshl_add_u32 v4, v1, 7, v0
	v_and_b32_e32 v2, 63, v0
	s_lshl_b32 s22, s6, 7
	s_mov_b32 s10, 0
	s_ashr_i32 s23, s22, 31
	v_lshrrev_b32_e32 v22, 6, v4
	v_lshlrev_b32_e32 v23, 2, v2
	s_cmp_lt_i32 s9, 1
	s_cbranch_scc1 .LBB9_8
; %bb.3:
	v_cvt_f64_i32_e32 v[5:6], s7
	v_cvt_f64_u32_e32 v[7:8], s13
	s_mul_i32 s12, s12, s7
	v_mov_b32_e32 v3, 0
	v_cvt_f64_u32_e32 v[9:10], s12
	s_clause 0x4
	s_load_dwordx4 s[12:15], s[4:5], 0x30
	s_load_dword s28, s[4:5], 0x28
	s_load_dword s24, s[4:5], 0x48
	s_load_dwordx4 s[16:19], s[4:5], 0x18
	s_load_dwordx2 s[26:27], s[4:5], 0x40
	s_waitcnt lgkmcnt(0)
	s_mul_i32 s1, s1, s8
	s_mul_i32 s7, s13, s8
	v_min_f64 v[5:6], v[5:6], v[7:8]
	s_mul_hi_u32 s13, s12, s8
	s_mul_i32 s6, s12, s8
	s_add_i32 s7, s13, s7
	s_ashr_i32 s29, s28, 31
	s_lshl_b64 s[30:31], s[6:7], 2
	s_ashr_i32 s25, s24, 31
	s_add_u32 s6, s16, s30
	s_addc_u32 s7, s17, s31
	s_lshl_b64 s[34:35], s[18:19], 2
	s_add_u32 s6, s6, s34
	s_addc_u32 s7, s7, s35
	s_lshl_b64 s[36:37], s[22:23], 2
	s_add_u32 s13, s6, s36
	s_addc_u32 s18, s7, s37
	v_add_f64 v[5:6], v[5:6], v[9:10]
	v_cvt_i32_f64_e32 v7, v[5:6]
	v_lshlrev_b32_e32 v5, 3, v22
	v_mad_i64_i32 v[5:6], null, s28, v5, v[2:3]
	v_lshrrev_b32_e32 v2, 1, v4
	v_and_b32_e32 v2, 0x1ffe0, v2
	v_lshlrev_b64 v[5:6], 2, v[5:6]
	v_readfirstlane_b32 s12, v7
	s_lshl_b32 s38, s12, 7
	s_mul_hi_i32 s7, s38, s28
	s_mul_i32 s6, s38, s28
	s_ashr_i32 s39, s38, 31
	s_lshl_b64 s[6:7], s[6:7], 2
	s_add_u32 s6, s13, s6
	s_addc_u32 s7, s18, s7
	v_add_co_u32 v5, vcc_lo, s6, v5
	v_add_co_ci_u32_e64 v6, null, s7, v6, vcc_lo
	s_lshl_b64 s[6:7], s[28:29], 2
	s_lshl_b32 s18, s24, 7
	v_add_co_u32 v7, vcc_lo, v5, s6
	v_add_co_ci_u32_e64 v8, null, s7, v6, vcc_lo
	s_lshl_b64 s[38:39], s[38:39], 2
	v_add_co_u32 v9, vcc_lo, v7, s6
	v_add_co_ci_u32_e64 v10, null, s7, v8, vcc_lo
	s_lshl_b64 s[12:13], s[28:29], 9
	v_add_co_u32 v11, vcc_lo, v9, s6
	v_add_co_ci_u32_e64 v12, null, s7, v10, vcc_lo
	s_add_i32 s23, s9, -1
	v_add_co_u32 v13, vcc_lo, v11, s6
	v_add_co_ci_u32_e64 v14, null, s7, v12, vcc_lo
	s_ashr_i32 s19, s18, 31
	v_add_co_u32 v15, vcc_lo, v13, s6
	v_add_co_ci_u32_e64 v16, null, s7, v14, vcc_lo
	v_add_co_u32 v33, s33, v2, s38
	v_add_co_u32 v17, vcc_lo, v15, s6
	v_add_co_ci_u32_e64 v18, null, s7, v16, vcc_lo
	s_add_u32 s16, s16, s36
	v_add_co_u32 v19, vcc_lo, v17, s6
	v_add_co_ci_u32_e64 v20, null, s7, v18, vcc_lo
	s_clause 0x5
	global_load_dword v32, v[5:6], off
	global_load_dword v31, v[7:8], off
	;; [unrolled: 1-line block ×8, first 2 shown]
	s_addc_u32 s17, s17, s37
	v_add_co_ci_u32_e64 v34, null, 0, s39, s33
	s_add_u32 s16, s16, s34
	s_addc_u32 s17, s17, s35
	s_add_u32 s16, s16, s30
	s_addc_u32 s17, s17, s31
	v_mul_lo_u32 v2, v33, s29
	v_mad_u64_u32 v[6:7], null, v33, s28, s[16:17]
	v_mul_lo_u32 v4, v34, s28
	v_add_co_u32 v8, vcc_lo, 0x200, v33
	v_add_co_ci_u32_e64 v9, null, 0, v34, vcc_lo
	v_add3_u32 v7, v4, v7, v2
	v_mad_u64_u32 v[4:5], null, v8, s28, s[16:17]
	v_mul_lo_u32 v8, v8, s29
	v_mul_lo_u32 v9, v9, s28
	v_add_co_u32 v2, vcc_lo, 0x100, v6
	v_add_co_ci_u32_e64 v24, null, 0, v7, vcc_lo
	v_add_co_u32 v10, vcc_lo, 0x208, v33
	v_add3_u32 v5, v9, v5, v8
	v_add_co_ci_u32_e64 v8, null, 0, v34, vcc_lo
	v_mad_u64_u32 v[6:7], null, v10, s28, s[16:17]
	v_mul_lo_u32 v35, v10, s29
	v_add_co_u32 v10, vcc_lo, 0x20c, v33
	v_add_co_ci_u32_e64 v11, null, 0, v34, vcc_lo
	v_add_co_u32 v12, vcc_lo, 0x210, v33
	v_add_co_ci_u32_e64 v13, null, 0, v34, vcc_lo
	;; [unrolled: 2-line block ×5, first 2 shown]
	v_add_co_u32 v20, vcc_lo, 0x204, v33
	v_mul_lo_u32 v36, v8, s28
	v_mad_u64_u32 v[8:9], null, v10, s28, s[16:17]
	v_mul_lo_u32 v37, v10, s29
	v_mul_lo_u32 v38, v11, s28
	v_mad_u64_u32 v[10:11], null, v12, s28, s[16:17]
	v_mul_lo_u32 v39, v12, s29
	;; [unrolled: 3-line block ×5, first 2 shown]
	v_mul_lo_u32 v46, v19, s28
	v_mad_u64_u32 v[18:19], null, v20, s28, s[16:17]
	s_mul_hi_u32 s16, s0, s8
	s_mul_i32 s0, s0, s8
	s_add_i32 s1, s16, s1
	s_lshl_b64 s[16:17], s[26:27], 2
	s_lshl_b64 s[0:1], s[0:1], 2
	v_add_co_ci_u32_e64 v21, null, 0, v34, vcc_lo
	s_add_u32 s14, s14, s16
	s_addc_u32 s15, s15, s17
	s_add_u32 s0, s14, s0
	s_addc_u32 s1, s15, s1
	v_mul_lo_u32 v47, v20, s29
	v_mul_lo_u32 v48, v21, s28
	v_mad_u64_u32 v[20:21], null, v33, s24, s[0:1]
	v_mul_lo_u32 v33, v33, s25
	v_mul_lo_u32 v34, v34, s24
	v_add3_u32 v7, v36, v7, v35
	v_add3_u32 v9, v38, v9, v37
	;; [unrolled: 1-line block ×8, first 2 shown]
	v_mov_b32_e32 v33, v3
	s_lshl_b64 s[0:1], s[18:19], 2
	s_lshl_b64 s[14:15], s[24:25], 2
	s_waitcnt vmcnt(7)
	v_mov_b32_e32 v34, v32
	s_waitcnt vmcnt(6)
	v_mov_b32_e32 v35, v31
	;; [unrolled: 2-line block ×8, first 2 shown]
.LBB9_4:                                ; =>This Inner Loop Header: Depth=1
	v_add_co_u32 v42, vcc_lo, v2, v23
	v_add_co_ci_u32_e64 v43, null, 0, v24, vcc_lo
	s_cmp_eq_u32 s23, s10
	global_load_dword v47, v[42:43], off
	v_add_co_u32 v42, vcc_lo, v42, s6
	v_add_co_ci_u32_e64 v43, null, s7, v43, vcc_lo
	global_load_dword v48, v[42:43], off
	v_add_co_u32 v42, vcc_lo, v42, s6
	v_add_co_ci_u32_e64 v43, null, s7, v43, vcc_lo
	;; [unrolled: 3-line block ×5, first 2 shown]
	v_add_co_u32 v50, vcc_lo, v42, s6
	v_add_co_ci_u32_e64 v51, null, s7, v43, vcc_lo
	s_clause 0x1
	global_load_dword v44, v[42:43], off
	global_load_dword v43, v[50:51], off
	v_add_co_u32 v50, vcc_lo, v50, s6
	v_add_co_ci_u32_e64 v51, null, s7, v51, vcc_lo
	v_add_co_u32 v52, vcc_lo, v20, s14
	v_add_co_ci_u32_e64 v53, null, s15, v21, vcc_lo
	global_load_dword v42, v[50:51], off
	s_clause 0x1
	global_load_dword v50, v[20:21], off
	global_load_dword v51, v[52:53], off
	v_add_co_u32 v52, vcc_lo, v52, s14
	v_add_co_ci_u32_e64 v53, null, s15, v53, vcc_lo
	v_add_co_u32 v55, vcc_lo, v52, s14
	v_add_co_ci_u32_e64 v56, null, s15, v53, vcc_lo
	s_clause 0x1
	global_load_dword v54, v[52:53], off
	global_load_dword v52, v[55:56], off
	v_add_co_u32 v55, vcc_lo, v55, s14
	v_add_co_ci_u32_e64 v56, null, s15, v56, vcc_lo
	v_add_co_u32 v57, vcc_lo, v55, s14
	v_add_co_ci_u32_e64 v58, null, s15, v56, vcc_lo
	s_clause 0x1
	global_load_dword v53, v[55:56], off
	global_load_dword v55, v[57:58], off
	v_add_co_u32 v57, vcc_lo, v57, s14
	v_add_co_ci_u32_e64 v58, null, s15, v58, vcc_lo
	global_load_dword v56, v[57:58], off
	v_add_co_u32 v57, vcc_lo, v57, s14
	v_add_co_ci_u32_e64 v58, null, s15, v58, vcc_lo
	global_load_dword v57, v[57:58], off
	s_cbranch_scc1 .LBB9_6
; %bb.5:                                ;   in Loop: Header=BB9_4 Depth=1
	v_add_co_u32 v34, vcc_lo, v4, v23
	v_add_co_ci_u32_e64 v35, null, 0, v5, vcc_lo
	v_add_co_u32 v36, vcc_lo, v18, v23
	v_add_co_ci_u32_e64 v37, null, 0, v19, vcc_lo
	;; [unrolled: 2-line block ×3, first 2 shown]
	global_load_dword v34, v[34:35], off
	global_load_dword v35, v[36:37], off
	;; [unrolled: 1-line block ×3, first 2 shown]
	v_add_co_u32 v37, vcc_lo, v8, v23
	v_add_co_ci_u32_e64 v38, null, 0, v9, vcc_lo
	v_add_co_u32 v39, vcc_lo, v10, v23
	v_add_co_ci_u32_e64 v40, null, 0, v11, vcc_lo
	;; [unrolled: 2-line block ×5, first 2 shown]
	global_load_dword v37, v[37:38], off
	global_load_dword v38, v[39:40], off
	;; [unrolled: 1-line block ×5, first 2 shown]
.LBB9_6:                                ;   in Loop: Header=BB9_4 Depth=1
	s_waitcnt vmcnt(7)
	v_fmac_f32_e32 v33, v32, v50
	v_fmac_f32_e32 v3, v47, v50
	v_add_co_u32 v2, vcc_lo, v2, s12
	v_add_co_ci_u32_e64 v24, null, s13, v24, vcc_lo
	s_waitcnt vmcnt(6)
	v_fmac_f32_e32 v33, v31, v51
	v_fmac_f32_e32 v3, v48, v51
	v_add_co_u32 v4, vcc_lo, v4, s12
	v_add_co_ci_u32_e64 v5, null, s13, v5, vcc_lo
	;; [unrolled: 5-line block ×6, first 2 shown]
	v_add_co_u32 v14, vcc_lo, v14, s12
	v_add_co_ci_u32_e64 v15, null, s13, v15, vcc_lo
	v_add_co_u32 v16, vcc_lo, v16, s12
	s_waitcnt vmcnt(1)
	v_fmac_f32_e32 v33, v26, v56
	v_fmac_f32_e32 v3, v43, v56
	v_add_co_ci_u32_e64 v17, null, s13, v17, vcc_lo
	v_add_co_u32 v18, vcc_lo, v18, s12
	v_add_co_ci_u32_e64 v19, null, s13, v19, vcc_lo
	v_add_co_u32 v20, vcc_lo, v20, s0
	s_waitcnt vmcnt(0)
	v_fmac_f32_e32 v33, v25, v57
	v_fmac_f32_e32 v3, v42, v57
	v_add_co_ci_u32_e64 v21, null, s1, v21, vcc_lo
	s_add_i32 s10, s10, 1
	s_cmp_lt_i32 s10, s9
	s_cbranch_scc0 .LBB9_9
; %bb.7:                                ;   in Loop: Header=BB9_4 Depth=1
	v_mov_b32_e32 v32, v34
	v_mov_b32_e32 v31, v35
	;; [unrolled: 1-line block ×8, first 2 shown]
	s_branch .LBB9_4
.LBB9_8:
	v_mov_b32_e32 v3, 0
	v_mov_b32_e32 v33, 0
.LBB9_9:
	v_lshl_or_b32 v2, v22, 9, v23
	s_waitcnt lgkmcnt(0)
	s_mov_b32 s0, 0
	s_mov_b32 s1, exec_lo
	ds_write2st64_b32 v2, v33, v3 offset1:1
	s_waitcnt lgkmcnt(0)
	s_barrier
	buffer_gl0_inv
	v_cmpx_eq_u32_e32 0, v1
	s_cbranch_execz .LBB9_12
; %bb.10:
	s_clause 0x1
	s_load_dwordx2 s[6:7], s[4:5], 0x70
	s_load_dword s1, s[4:5], 0x68
	s_waitcnt lgkmcnt(0)
	s_mul_i32 s5, s7, s8
	s_mul_hi_u32 s7, s6, s8
	v_mad_i64_i32 v[1:2], null, s1, v0, 0
	s_mul_i32 s4, s6, s8
	s_add_i32 s5, s7, s5
	s_mul_hi_i32 s7, s1, s22
	s_lshl_b64 s[4:5], s[4:5], 2
	s_mul_i32 s6, s1, s22
	s_add_u32 s1, s2, s4
	s_addc_u32 s4, s3, s5
	s_lshl_b64 s[2:3], s[20:21], 2
	v_lshlrev_b64 v[1:2], 2, v[1:2]
	s_add_u32 s1, s1, s2
	s_addc_u32 s4, s4, s3
	s_lshl_b64 s[2:3], s[6:7], 2
	v_lshlrev_b32_e32 v0, 2, v0
	s_add_u32 s1, s1, s2
	s_addc_u32 s2, s4, s3
	v_add_co_u32 v1, vcc_lo, s1, v1
	v_add_co_ci_u32_e64 v2, null, s2, v2, vcc_lo
	global_load_dword v4, v[1:2], off
	ds_read2st64_b32 v[5:6], v0 offset1:2
	ds_read2st64_b32 v[7:8], v0 offset0:4 offset1:6
	ds_read2st64_b32 v[9:10], v0 offset0:8 offset1:10
	s_waitcnt lgkmcnt(2)
	v_add_f32_e32 v3, 0, v5
	v_add_f32_e32 v3, v3, v6
	ds_read2st64_b32 v[5:6], v0 offset0:12 offset1:14
	s_waitcnt lgkmcnt(2)
	v_add_f32_e32 v3, v3, v7
	v_add_f32_e32 v3, v3, v8
	;; [unrolled: 4-line block ×6, first 2 shown]
	s_waitcnt lgkmcnt(1)
	v_add_f32_e32 v0, v0, v5
	v_add_f32_e32 v0, v0, v6
	s_waitcnt lgkmcnt(0)
	v_add_f32_e32 v0, v0, v7
	v_add_f32_e32 v0, v0, v8
	v_mul_f32_e32 v0, s11, v0
.LBB9_11:                               ; =>This Inner Loop Header: Depth=1
	s_waitcnt vmcnt(0)
	v_add_f32_e32 v3, v4, v0
	global_atomic_cmpswap v3, v[1:2], v[3:4], off glc
	s_waitcnt vmcnt(0)
	v_cmp_eq_u32_e32 vcc_lo, v3, v4
	v_mov_b32_e32 v4, v3
	s_or_b32 s0, vcc_lo, s0
	s_andn2_b32 exec_lo, exec_lo, s0
	s_cbranch_execnz .LBB9_11
.LBB9_12:
	s_endpgm
	.section	.rodata,"a",@progbits
	.p2align	6, 0x0
	.amdhsa_kernel _ZL36rocblas_gemvn_double_buffered_kernelILi128ELi8ELi8EfffEviiT3_lPKT2_lilS3_lilPT4_lili
		.amdhsa_group_segment_fixed_size 8192
		.amdhsa_private_segment_fixed_size 0
		.amdhsa_kernarg_size 384
		.amdhsa_user_sgpr_count 6
		.amdhsa_user_sgpr_private_segment_buffer 1
		.amdhsa_user_sgpr_dispatch_ptr 0
		.amdhsa_user_sgpr_queue_ptr 0
		.amdhsa_user_sgpr_kernarg_segment_ptr 1
		.amdhsa_user_sgpr_dispatch_id 0
		.amdhsa_user_sgpr_flat_scratch_init 0
		.amdhsa_user_sgpr_private_segment_size 0
		.amdhsa_wavefront_size32 1
		.amdhsa_uses_dynamic_stack 0
		.amdhsa_system_sgpr_private_segment_wavefront_offset 0
		.amdhsa_system_sgpr_workgroup_id_x 1
		.amdhsa_system_sgpr_workgroup_id_y 1
		.amdhsa_system_sgpr_workgroup_id_z 1
		.amdhsa_system_sgpr_workgroup_info 0
		.amdhsa_system_vgpr_workitem_id 1
		.amdhsa_next_free_vgpr 64
		.amdhsa_next_free_sgpr 40
		.amdhsa_reserve_vcc 1
		.amdhsa_reserve_flat_scratch 0
		.amdhsa_float_round_mode_32 0
		.amdhsa_float_round_mode_16_64 0
		.amdhsa_float_denorm_mode_32 3
		.amdhsa_float_denorm_mode_16_64 3
		.amdhsa_dx10_clamp 1
		.amdhsa_ieee_mode 1
		.amdhsa_fp16_overflow 0
		.amdhsa_workgroup_processor_mode 1
		.amdhsa_memory_ordered 1
		.amdhsa_forward_progress 1
		.amdhsa_shared_vgpr_count 0
		.amdhsa_exception_fp_ieee_invalid_op 0
		.amdhsa_exception_fp_denorm_src 0
		.amdhsa_exception_fp_ieee_div_zero 0
		.amdhsa_exception_fp_ieee_overflow 0
		.amdhsa_exception_fp_ieee_underflow 0
		.amdhsa_exception_fp_ieee_inexact 0
		.amdhsa_exception_int_div_zero 0
	.end_amdhsa_kernel
	.section	.text._ZL36rocblas_gemvn_double_buffered_kernelILi128ELi8ELi8EfffEviiT3_lPKT2_lilS3_lilPT4_lili,"axG",@progbits,_ZL36rocblas_gemvn_double_buffered_kernelILi128ELi8ELi8EfffEviiT3_lPKT2_lilS3_lilPT4_lili,comdat
.Lfunc_end9:
	.size	_ZL36rocblas_gemvn_double_buffered_kernelILi128ELi8ELi8EfffEviiT3_lPKT2_lilS3_lilPT4_lili, .Lfunc_end9-_ZL36rocblas_gemvn_double_buffered_kernelILi128ELi8ELi8EfffEviiT3_lPKT2_lilS3_lilPT4_lili
                                        ; -- End function
	.set _ZL36rocblas_gemvn_double_buffered_kernelILi128ELi8ELi8EfffEviiT3_lPKT2_lilS3_lilPT4_lili.num_vgpr, 64
	.set _ZL36rocblas_gemvn_double_buffered_kernelILi128ELi8ELi8EfffEviiT3_lPKT2_lilS3_lilPT4_lili.num_agpr, 0
	.set _ZL36rocblas_gemvn_double_buffered_kernelILi128ELi8ELi8EfffEviiT3_lPKT2_lilS3_lilPT4_lili.numbered_sgpr, 40
	.set _ZL36rocblas_gemvn_double_buffered_kernelILi128ELi8ELi8EfffEviiT3_lPKT2_lilS3_lilPT4_lili.num_named_barrier, 0
	.set _ZL36rocblas_gemvn_double_buffered_kernelILi128ELi8ELi8EfffEviiT3_lPKT2_lilS3_lilPT4_lili.private_seg_size, 0
	.set _ZL36rocblas_gemvn_double_buffered_kernelILi128ELi8ELi8EfffEviiT3_lPKT2_lilS3_lilPT4_lili.uses_vcc, 1
	.set _ZL36rocblas_gemvn_double_buffered_kernelILi128ELi8ELi8EfffEviiT3_lPKT2_lilS3_lilPT4_lili.uses_flat_scratch, 0
	.set _ZL36rocblas_gemvn_double_buffered_kernelILi128ELi8ELi8EfffEviiT3_lPKT2_lilS3_lilPT4_lili.has_dyn_sized_stack, 0
	.set _ZL36rocblas_gemvn_double_buffered_kernelILi128ELi8ELi8EfffEviiT3_lPKT2_lilS3_lilPT4_lili.has_recursion, 0
	.set _ZL36rocblas_gemvn_double_buffered_kernelILi128ELi8ELi8EfffEviiT3_lPKT2_lilS3_lilPT4_lili.has_indirect_call, 0
	.section	.AMDGPU.csdata,"",@progbits
; Kernel info:
; codeLenInByte = 2604
; TotalNumSgprs: 42
; NumVgprs: 64
; ScratchSize: 0
; MemoryBound: 0
; FloatMode: 240
; IeeeMode: 1
; LDSByteSize: 8192 bytes/workgroup (compile time only)
; SGPRBlocks: 0
; VGPRBlocks: 7
; NumSGPRsForWavesPerEU: 42
; NumVGPRsForWavesPerEU: 64
; Occupancy: 16
; WaveLimiterHint : 0
; COMPUTE_PGM_RSRC2:SCRATCH_EN: 0
; COMPUTE_PGM_RSRC2:USER_SGPR: 6
; COMPUTE_PGM_RSRC2:TRAP_HANDLER: 0
; COMPUTE_PGM_RSRC2:TGID_X_EN: 1
; COMPUTE_PGM_RSRC2:TGID_Y_EN: 1
; COMPUTE_PGM_RSRC2:TGID_Z_EN: 1
; COMPUTE_PGM_RSRC2:TIDIG_COMP_CNT: 1
	.section	.text._ZL20rocblas_gemvn_kernelILi32ELi16EifPKffEviiT3_lPKT2_lT1_lS5_lS6_lS2_lPT4_lS6_li,"axG",@progbits,_ZL20rocblas_gemvn_kernelILi32ELi16EifPKffEviiT3_lPKT2_lT1_lS5_lS6_lS2_lPT4_lS6_li,comdat
	.globl	_ZL20rocblas_gemvn_kernelILi32ELi16EifPKffEviiT3_lPKT2_lT1_lS5_lS6_lS2_lPT4_lS6_li ; -- Begin function _ZL20rocblas_gemvn_kernelILi32ELi16EifPKffEviiT3_lPKT2_lT1_lS5_lS6_lS2_lPT4_lS6_li
	.p2align	8
	.type	_ZL20rocblas_gemvn_kernelILi32ELi16EifPKffEviiT3_lPKT2_lT1_lS5_lS6_lS2_lPT4_lS6_li,@function
_ZL20rocblas_gemvn_kernelILi32ELi16EifPKffEviiT3_lPKT2_lT1_lS5_lS6_lS2_lPT4_lS6_li: ; @_ZL20rocblas_gemvn_kernelILi32ELi16EifPKffEviiT3_lPKT2_lT1_lS5_lS6_lS2_lPT4_lS6_li
; %bb.0:
	s_load_dwordx2 s[0:1], s[4:5], 0x9c
	s_waitcnt lgkmcnt(0)
	s_lshr_b32 s2, s0, 16
	s_and_b32 s0, s0, 0xffff
	s_and_b32 s1, s1, 0xffff
	s_mul_i32 s0, s2, s0
	s_mul_i32 s0, s0, s1
	s_cmpk_lg_i32 s0, 0x200
	s_cbranch_scc1 .LBB10_50
; %bb.1:
	s_clause 0x1
	s_load_dwordx8 s[16:23], s[4:5], 0x8
	s_load_dwordx8 s[8:15], s[4:5], 0x50
	s_waitcnt lgkmcnt(0)
	s_mul_i32 s1, s19, s7
	s_mul_hi_u32 s2, s18, s7
	s_mul_i32 s0, s18, s7
	s_add_i32 s1, s2, s1
	s_mul_i32 s2, s13, s7
	s_lshl_b64 s[0:1], s[0:1], 2
	s_mul_hi_u32 s3, s12, s7
	s_add_u32 s0, s16, s0
	s_addc_u32 s1, s17, s1
	s_add_i32 s3, s3, s2
	s_mul_i32 s2, s12, s7
	s_mov_b32 s18, 0
	s_lshl_b64 s[2:3], s[2:3], 2
	s_add_u32 s2, s10, s2
	s_addc_u32 s3, s11, s3
	s_load_dword s17, s[0:1], 0x0
	s_load_dword s16, s[2:3], 0x0
	s_waitcnt lgkmcnt(0)
	v_cmp_eq_f32_e64 s0, s17, 0
	v_cmp_eq_f32_e64 s1, s16, 1.0
	s_and_b32 s0, s0, s1
	s_and_b32 vcc_lo, exec_lo, s0
	s_cbranch_vccnz .LBB10_50
; %bb.2:
	s_clause 0x3
	s_load_dwordx2 s[0:1], s[4:5], 0x80
	s_load_dwordx2 s[2:3], s[4:5], 0x70
	s_load_dword s19, s[4:5], 0x78
	s_load_dwordx2 s[10:11], s[4:5], 0x0
	v_lshlrev_b32_e32 v14, 5, v1
	v_cmp_neq_f32_e64 s24, s17, 0
	v_add_nc_u32_e32 v13, v14, v0
	s_waitcnt lgkmcnt(0)
	s_mul_i32 s1, s1, s7
	s_mul_hi_u32 s12, s0, s7
	s_mul_i32 s0, s0, s7
	s_add_i32 s1, s12, s1
	s_lshl_b64 s[0:1], s[0:1], 2
	s_add_u32 s12, s14, s0
	s_addc_u32 s13, s15, s1
	s_lshl_b64 s[0:1], s[2:3], 2
	s_add_u32 s12, s12, s0
	v_cmp_gt_u32_e64 s0, 0x80, v13
	s_addc_u32 s13, s13, s1
	s_and_b32 vcc_lo, exec_lo, s24
	s_cbranch_vccnz .LBB10_9
; %bb.3:
	s_mov_b32 s1, 0
                                        ; implicit-def: $vgpr3
                                        ; implicit-def: $vgpr4_vgpr5
	s_and_saveexec_b32 s2, s0
	s_cbranch_execz .LBB10_10
; %bb.4:
	v_lshl_or_b32 v2, s6, 7, v13
	v_mov_b32_e32 v3, 0
	s_ashr_i32 s15, s10, 31
	s_mov_b32 s14, s10
	s_mov_b32 s3, 0
	s_mov_b32 s0, exec_lo
                                        ; implicit-def: $vgpr4_vgpr5
	v_cmpx_gt_i64_e64 s[14:15], v[2:3]
	s_cbranch_execz .LBB10_8
; %bb.5:
	v_mad_u64_u32 v[4:5], null, s19, v2, 0
	s_ashr_i32 s3, s19, 31
	v_mad_u64_u32 v[5:6], null, s3, v2, v[5:6]
	v_cmp_eq_f32_e64 s3, s16, 0
	s_and_b32 vcc_lo, exec_lo, s3
	s_cbranch_vccnz .LBB10_7
; %bb.6:
	v_lshlrev_b64 v[2:3], 2, v[4:5]
	v_add_co_u32 v2, vcc_lo, s12, v2
	v_add_co_ci_u32_e64 v3, null, s13, v3, vcc_lo
	global_load_dword v2, v[2:3], off
	s_waitcnt vmcnt(0)
	v_mul_f32_e32 v3, s16, v2
.LBB10_7:
	s_mov_b32 s3, exec_lo
.LBB10_8:
	s_or_b32 exec_lo, exec_lo, s0
	s_and_b32 s18, s3, exec_lo
	s_or_b32 exec_lo, exec_lo, s2
	s_and_b32 vcc_lo, exec_lo, s1
	s_cbranch_vccnz .LBB10_11
	s_branch .LBB10_48
.LBB10_9:
                                        ; implicit-def: $vgpr3
                                        ; implicit-def: $vgpr4_vgpr5
	s_cbranch_execnz .LBB10_11
	s_branch .LBB10_48
.LBB10_10:
	s_or_b32 exec_lo, exec_lo, s2
	s_and_b32 vcc_lo, exec_lo, s1
	s_cbranch_vccz .LBB10_48
.LBB10_11:
	s_clause 0x3
	s_load_dwordx4 s[0:3], s[4:5], 0x30
	s_load_dword s14, s[4:5], 0x28
	s_load_dwordx2 s[24:25], s[4:5], 0x40
	s_load_dword s4, s[4:5], 0x48
	s_mul_i32 s9, s9, s7
	v_lshlrev_b32_e32 v20, 2, v1
	v_mov_b32_e32 v15, 0
	v_mov_b32_e32 v16, 0
	;; [unrolled: 1-line block ×4, first 2 shown]
	s_waitcnt lgkmcnt(0)
	s_mul_i32 s1, s1, s7
	s_mul_hi_u32 s15, s0, s7
	s_mul_i32 s0, s0, s7
	s_add_i32 s1, s15, s1
	s_mul_hi_u32 s15, s8, s7
	s_lshl_b64 s[0:1], s[0:1], 2
	s_add_u32 s26, s20, s0
	s_addc_u32 s21, s21, s1
	s_lshl_b64 s[0:1], s[22:23], 2
	s_mul_i32 s20, s8, s7
	s_add_u32 s7, s26, s0
	s_addc_u32 s8, s21, s1
	s_add_i32 s21, s15, s9
	s_lshl_b64 s[0:1], s[20:21], 2
	s_mov_b32 s20, exec_lo
	s_add_u32 s2, s2, s0
	s_addc_u32 s3, s3, s1
	s_lshl_b64 s[0:1], s[24:25], 2
	s_add_u32 s9, s2, s0
	s_addc_u32 s15, s3, s1
	s_ashr_i32 s0, s11, 31
	s_lshl_b32 s5, s6, 7
	s_lshr_b32 s0, s0, 26
	v_add_nc_u32_e32 v19, s5, v0
	s_add_i32 s0, s11, s0
	s_and_b32 s6, s0, 0xffffffc0
	v_cmpx_gt_i32_e64 s6, v20
	s_cbranch_execz .LBB10_23
; %bb.12:
	v_add_nc_u32_e32 v5, 0x60, v19
	v_mul_lo_u32 v3, s14, v20
	v_add_nc_u32_e32 v2, 32, v19
	v_add_nc_u32_e32 v6, 2, v20
	;; [unrolled: 1-line block ×3, first 2 shown]
	v_cmp_gt_i32_e64 s2, s10, v5
	v_mul_lo_u32 v5, v1, s14
	v_add_nc_u32_e32 v7, 3, v20
	v_mul_lo_u32 v8, v1, s4
	v_cmp_gt_i32_e64 s0, s10, v2
	v_add3_u32 v21, v3, s14, v0
	v_mad_u64_u32 v[2:3], null, s14, v6, v[0:1]
	v_cmp_gt_i32_e64 s1, s10, v4
	v_mad_u64_u32 v[3:4], null, s14, v7, v[0:1]
	v_lshl_add_u32 v22, v5, 2, v0
	v_mad_u64_u32 v[4:5], null, s4, v20, s[4:5]
	v_mul_lo_u32 v23, s4, v6
	v_mul_lo_u32 v24, s4, v7
	v_lshlrev_b32_e32 v25, 2, v8
	v_mov_b32_e32 v15, 0
	v_mov_b32_e32 v16, 0
	;; [unrolled: 1-line block ×4, first 2 shown]
	s_lshl_b32 s21, s14, 6
	s_lshl_b32 s23, s4, 6
	s_mov_b32 s22, 0
	s_mov_b32 s24, 0
	v_cmp_gt_i32_e32 vcc_lo, s10, v19
	s_branch .LBB10_17
.LBB10_13:                              ;   in Loop: Header=BB10_17 Depth=1
	s_or_b32 exec_lo, exec_lo, s27
	s_waitcnt vmcnt(3)
	v_fmac_f32_e32 v17, v29, v41
	s_waitcnt vmcnt(2)
	v_fmac_f32_e32 v17, v28, v40
	;; [unrolled: 2-line block ×4, first 2 shown]
.LBB10_14:                              ;   in Loop: Header=BB10_17 Depth=1
	s_or_b32 exec_lo, exec_lo, s26
	s_waitcnt vmcnt(3)
	v_fmac_f32_e32 v16, v29, v37
	s_waitcnt vmcnt(2)
	v_fmac_f32_e32 v16, v28, v36
	;; [unrolled: 2-line block ×4, first 2 shown]
.LBB10_15:                              ;   in Loop: Header=BB10_17 Depth=1
	s_or_b32 exec_lo, exec_lo, s3
	s_waitcnt vmcnt(3)
	v_fmac_f32_e32 v15, v29, v33
	s_waitcnt vmcnt(2)
	v_fmac_f32_e32 v15, v28, v31
	;; [unrolled: 2-line block ×4, first 2 shown]
.LBB10_16:                              ;   in Loop: Header=BB10_17 Depth=1
	s_or_b32 exec_lo, exec_lo, s25
	v_add_nc_u32_e32 v20, 64, v20
	v_add_nc_u32_e32 v21, s21, v21
	v_add_nc_u32_e32 v2, s21, v2
	v_add_nc_u32_e32 v3, s21, v3
	v_add_nc_u32_e32 v22, s21, v22
	v_cmp_le_i32_e64 s3, s6, v20
	s_add_i32 s24, s24, s23
	s_or_b32 s22, s3, s22
	s_andn2_b32 exec_lo, exec_lo, s22
	s_cbranch_execz .LBB10_22
.LBB10_17:                              ; =>This Inner Loop Header: Depth=1
	s_and_saveexec_b32 s25, vcc_lo
	s_cbranch_execz .LBB10_16
; %bb.18:                               ;   in Loop: Header=BB10_17 Depth=1
	v_add_nc_u32_e32 v5, s24, v25
	v_add_nc_u32_e32 v7, s24, v4
	v_add_nc_u32_e32 v9, s24, v23
	v_add_nc_u32_e32 v11, s24, v24
	v_add_nc_u32_e32 v26, s5, v22
	v_ashrrev_i32_e32 v6, 31, v5
	v_ashrrev_i32_e32 v8, 31, v7
	;; [unrolled: 1-line block ×5, first 2 shown]
	v_lshlrev_b64 v[5:6], 2, v[5:6]
	v_lshlrev_b64 v[7:8], 2, v[7:8]
	;; [unrolled: 1-line block ×3, first 2 shown]
	v_add_co_u32 v28, s3, s9, v5
	v_add_co_ci_u32_e64 v29, null, s15, v6, s3
	v_add_co_u32 v30, s3, s9, v7
	v_add_nc_u32_e32 v7, s5, v21
	v_add_co_ci_u32_e64 v31, null, s15, v8, s3
	v_lshlrev_b64 v[5:6], 2, v[11:12]
	v_add_co_u32 v32, s3, s9, v9
	v_add_nc_u32_e32 v11, s5, v2
	v_add_co_ci_u32_e64 v33, null, s15, v10, s3
	v_lshlrev_b64 v[9:10], 2, v[26:27]
	v_add_nc_u32_e32 v26, s5, v3
	v_ashrrev_i32_e32 v8, 31, v7
	v_ashrrev_i32_e32 v12, 31, v11
	v_add_co_u32 v34, s3, s9, v5
	v_ashrrev_i32_e32 v27, 31, v26
	v_add_co_ci_u32_e64 v35, null, s15, v6, s3
	v_lshlrev_b64 v[7:8], 2, v[7:8]
	v_add_co_u32 v5, s3, s7, v9
	v_add_co_ci_u32_e64 v6, null, s8, v10, s3
	v_lshlrev_b64 v[9:10], 2, v[11:12]
	v_lshlrev_b64 v[26:27], 2, v[26:27]
	v_add_co_u32 v7, s3, s7, v7
	v_add_co_ci_u32_e64 v8, null, s8, v8, s3
	v_add_co_u32 v11, s3, s7, v9
	v_add_co_ci_u32_e64 v12, null, s8, v10, s3
	;; [unrolled: 2-line block ×3, first 2 shown]
	s_clause 0x3
	global_load_dword v29, v[28:29], off
	global_load_dword v28, v[30:31], off
	;; [unrolled: 1-line block ×4, first 2 shown]
	s_clause 0x3
	global_load_dword v33, v[5:6], off
	global_load_dword v31, v[7:8], off
	;; [unrolled: 1-line block ×4, first 2 shown]
	s_and_saveexec_b32 s3, s0
	s_cbranch_execz .LBB10_15
; %bb.19:                               ;   in Loop: Header=BB10_17 Depth=1
	s_clause 0x3
	global_load_dword v37, v[5:6], off offset:128
	global_load_dword v36, v[7:8], off offset:128
	global_load_dword v35, v[11:12], off offset:128
	global_load_dword v34, v[9:10], off offset:128
	s_and_saveexec_b32 s26, s1
	s_cbranch_execz .LBB10_14
; %bb.20:                               ;   in Loop: Header=BB10_17 Depth=1
	s_clause 0x3
	global_load_dword v41, v[5:6], off offset:256
	global_load_dword v40, v[7:8], off offset:256
	global_load_dword v39, v[11:12], off offset:256
	global_load_dword v38, v[9:10], off offset:256
	;; [unrolled: 8-line block ×3, first 2 shown]
	s_waitcnt vmcnt(3)
	v_fmac_f32_e32 v18, v29, v5
	s_waitcnt vmcnt(2)
	v_fmac_f32_e32 v18, v28, v6
	;; [unrolled: 2-line block ×4, first 2 shown]
	s_branch .LBB10_13
.LBB10_22:
	s_or_b32 exec_lo, exec_lo, s22
.LBB10_23:
	s_or_b32 exec_lo, exec_lo, s20
	s_sub_i32 s0, s11, s6
	s_cmp_lt_i32 s0, 1
	s_cbranch_scc1 .LBB10_41
; %bb.24:
	v_cmp_gt_i32_e32 vcc_lo, s11, v20
	v_mov_b32_e32 v12, 0
	v_or_b32_e32 v2, 1, v20
	v_mov_b32_e32 v21, 0
	v_mov_b32_e32 v11, 0
	;; [unrolled: 1-line block ×3, first 2 shown]
	s_and_saveexec_b32 s1, vcc_lo
	s_cbranch_execz .LBB10_32
; %bb.25:
	v_mul_lo_u32 v3, v20, s4
	v_mov_b32_e32 v11, 0
	v_mov_b32_e32 v21, 0
	;; [unrolled: 1-line block ×3, first 2 shown]
	s_mov_b32 s2, exec_lo
	v_ashrrev_i32_e32 v4, 31, v3
	v_lshlrev_b64 v[3:4], 2, v[3:4]
	v_add_co_u32 v3, s0, s9, v3
	v_add_co_ci_u32_e64 v4, null, s15, v4, s0
	global_load_dword v10, v[3:4], off
	v_cmpx_gt_i32_e64 s11, v2
	s_cbranch_execz .LBB10_31
; %bb.26:
	v_mul_lo_u32 v3, v2, s4
	v_mov_b32_e32 v21, 0
	v_mov_b32_e32 v12, 0
	s_mov_b32 s3, exec_lo
	v_ashrrev_i32_e32 v4, 31, v3
	v_lshlrev_b64 v[3:4], 2, v[3:4]
	v_add_co_u32 v3, s0, s9, v3
	v_add_co_ci_u32_e64 v4, null, s15, v4, s0
	global_load_dword v11, v[3:4], off
	v_or_b32_e32 v3, 2, v20
	v_cmpx_gt_i32_e64 s11, v3
	s_cbranch_execz .LBB10_30
; %bb.27:
	v_mul_lo_u32 v3, v3, s4
	v_mov_b32_e32 v12, 0
	s_mov_b32 s6, exec_lo
	v_ashrrev_i32_e32 v4, 31, v3
	v_lshlrev_b64 v[3:4], 2, v[3:4]
	v_add_co_u32 v3, s0, s9, v3
	v_add_co_ci_u32_e64 v4, null, s15, v4, s0
	global_load_dword v21, v[3:4], off
	v_or_b32_e32 v3, 3, v20
	v_cmpx_gt_i32_e64 s11, v3
	s_cbranch_execz .LBB10_29
; %bb.28:
	v_mul_lo_u32 v3, v3, s4
	v_ashrrev_i32_e32 v4, 31, v3
	v_lshlrev_b64 v[3:4], 2, v[3:4]
	v_add_co_u32 v3, s0, s9, v3
	v_add_co_ci_u32_e64 v4, null, s15, v4, s0
	global_load_dword v12, v[3:4], off
.LBB10_29:
	s_or_b32 exec_lo, exec_lo, s6
.LBB10_30:
	s_or_b32 exec_lo, exec_lo, s3
.LBB10_31:
	s_or_b32 exec_lo, exec_lo, s2
.LBB10_32:
	s_or_b32 exec_lo, exec_lo, s1
	s_mov_b32 s1, exec_lo
	v_cmpx_gt_i32_e64 s10, v19
	s_cbranch_execz .LBB10_40
; %bb.33:
	v_mul_lo_u32 v3, v20, s14
	v_or_b32_e32 v4, 2, v20
	v_mul_lo_u32 v5, v2, s14
	v_or_b32_e32 v6, 3, v20
	s_mov_b32 s0, exec_lo
	v_mul_lo_u32 v7, v4, s14
	v_mul_lo_u32 v8, v6, s14
	v_cndmask_b32_e32 v3, 0, v3, vcc_lo
	v_cmp_gt_i32_e32 vcc_lo, s11, v2
	v_add_nc_u32_e32 v2, v3, v19
	v_cndmask_b32_e32 v5, 0, v5, vcc_lo
	v_cmp_gt_i32_e32 vcc_lo, s11, v4
	v_ashrrev_i32_e32 v3, 31, v2
	v_add_nc_u32_e32 v4, v5, v19
	v_cndmask_b32_e32 v7, 0, v7, vcc_lo
	v_cmp_gt_i32_e32 vcc_lo, s11, v6
	v_lshlrev_b64 v[2:3], 2, v[2:3]
	v_ashrrev_i32_e32 v5, 31, v4
	v_add_nc_u32_e32 v6, v7, v19
	v_cndmask_b32_e32 v8, 0, v8, vcc_lo
	v_lshlrev_b64 v[4:5], 2, v[4:5]
	v_ashrrev_i32_e32 v7, 31, v6
	v_add_nc_u32_e32 v8, v8, v19
	v_lshlrev_b64 v[22:23], 2, v[6:7]
	v_add_co_u32 v6, vcc_lo, s7, v2
	v_add_co_ci_u32_e64 v7, null, s8, v3, vcc_lo
	v_ashrrev_i32_e32 v9, 31, v8
	v_add_co_u32 v2, vcc_lo, s7, v4
	v_add_co_ci_u32_e64 v3, null, s8, v5, vcc_lo
	global_load_dword v24, v[6:7], off
	v_add_co_u32 v4, vcc_lo, s7, v22
	v_add_co_ci_u32_e64 v5, null, s8, v23, vcc_lo
	v_lshlrev_b64 v[8:9], 2, v[8:9]
	s_clause 0x1
	global_load_dword v22, v[2:3], off
	global_load_dword v23, v[4:5], off
	v_add_co_u32 v8, vcc_lo, s7, v8
	v_add_co_ci_u32_e64 v9, null, s8, v9, vcc_lo
	global_load_dword v20, v[8:9], off
	s_waitcnt vmcnt(3)
	v_fmac_f32_e32 v15, v10, v24
	s_waitcnt vmcnt(2)
	v_fmac_f32_e32 v15, v11, v22
	v_add_nc_u32_e32 v22, 32, v19
	s_waitcnt vmcnt(1)
	v_fmac_f32_e32 v15, v21, v23
	v_cmpx_gt_i32_e64 s10, v22
	s_cbranch_execz .LBB10_39
; %bb.34:
	s_clause 0x3
	global_load_dword v23, v[6:7], off offset:128
	global_load_dword v24, v[2:3], off offset:128
	;; [unrolled: 1-line block ×4, first 2 shown]
	s_mov_b32 s2, exec_lo
	s_waitcnt vmcnt(3)
	v_fmac_f32_e32 v16, v10, v23
	v_add_nc_u32_e32 v23, 64, v19
	s_waitcnt vmcnt(2)
	v_fmac_f32_e32 v16, v11, v24
	s_waitcnt vmcnt(1)
	v_fmac_f32_e32 v16, v21, v25
	v_cmpx_gt_i32_e64 s10, v23
	s_cbranch_execz .LBB10_38
; %bb.35:
	s_clause 0x3
	global_load_dword v24, v[6:7], off offset:256
	global_load_dword v25, v[2:3], off offset:256
	;; [unrolled: 1-line block ×4, first 2 shown]
	v_add_nc_u32_e32 v19, 0x60, v19
	s_mov_b32 s3, exec_lo
	s_waitcnt vmcnt(3)
	v_fmac_f32_e32 v17, v10, v24
	s_waitcnt vmcnt(2)
	v_fmac_f32_e32 v17, v11, v25
	;; [unrolled: 2-line block ×3, first 2 shown]
	v_cmpx_gt_i32_e64 s10, v19
	s_cbranch_execz .LBB10_37
; %bb.36:
	s_clause 0x3
	global_load_dword v6, v[6:7], off offset:384
	global_load_dword v2, v[2:3], off offset:384
	;; [unrolled: 1-line block ×4, first 2 shown]
	s_waitcnt vmcnt(3)
	v_fmac_f32_e32 v18, v10, v6
	s_waitcnt vmcnt(2)
	v_fmac_f32_e32 v18, v11, v2
	;; [unrolled: 2-line block ×4, first 2 shown]
.LBB10_37:
	s_or_b32 exec_lo, exec_lo, s3
	s_waitcnt vmcnt(0)
	v_fmac_f32_e32 v17, v12, v23
.LBB10_38:
	s_or_b32 exec_lo, exec_lo, s2
	s_waitcnt vmcnt(0)
	v_fmac_f32_e32 v16, v12, v22
.LBB10_39:
	s_or_b32 exec_lo, exec_lo, s0
	s_waitcnt vmcnt(0)
	v_fmac_f32_e32 v15, v12, v20
.LBB10_40:
	s_or_b32 exec_lo, exec_lo, s1
.LBB10_41:
	v_lshlrev_b32_e32 v0, 2, v0
	s_mov_b32 s0, exec_lo
                                        ; implicit-def: $vgpr3
                                        ; implicit-def: $vgpr4_vgpr5
	v_lshl_add_u32 v1, v1, 9, v0
	ds_write2_b32 v1, v15, v16 offset1:32
	ds_write2_b32 v1, v17, v18 offset0:64 offset1:96
	s_waitcnt vmcnt(0) lgkmcnt(0)
	s_barrier
	buffer_gl0_inv
	v_cmpx_gt_u32_e32 0x80, v13
	s_cbranch_execz .LBB10_47
; %bb.42:
	v_lshl_add_u32 v6, v14, 2, v0
	s_mov_b32 s2, s18
	s_mov_b32 s1, exec_lo
	ds_read2st64_b32 v[0:1], v6 offset1:2
	ds_read2st64_b32 v[2:3], v6 offset0:4 offset1:6
	ds_read2st64_b32 v[4:5], v6 offset0:8 offset1:10
	s_waitcnt lgkmcnt(2)
	v_add_f32_e32 v7, v0, v1
	ds_read2st64_b32 v[0:1], v6 offset0:12 offset1:14
	s_waitcnt lgkmcnt(2)
	v_add_f32_e32 v2, v2, v7
	v_add_f32_e32 v7, v3, v2
	ds_read2st64_b32 v[2:3], v6 offset0:16 offset1:18
	s_waitcnt lgkmcnt(2)
	v_add_f32_e32 v4, v4, v7
	v_add_f32_e32 v7, v5, v4
	ds_read2st64_b32 v[4:5], v6 offset0:20 offset1:22
	s_waitcnt lgkmcnt(2)
	v_add_f32_e32 v0, v0, v7
	v_add_f32_e32 v0, v1, v0
	s_waitcnt lgkmcnt(1)
	v_add_f32_e32 v2, v2, v0
	ds_read2st64_b32 v[0:1], v6 offset0:24 offset1:26
	v_add_f32_e32 v2, v3, v2
	s_waitcnt lgkmcnt(1)
	v_add_f32_e32 v4, v4, v2
	ds_read2st64_b32 v[2:3], v6 offset0:28 offset1:30
	v_add_f32_e32 v4, v5, v4
	s_waitcnt lgkmcnt(1)
	v_add_f32_e32 v0, v0, v4
                                        ; implicit-def: $vgpr4_vgpr5
	v_add_f32_e32 v0, v1, v0
	v_or_b32_e32 v1, s5, v13
	s_waitcnt lgkmcnt(0)
	v_add_f32_e32 v0, v2, v0
	v_add_f32_e32 v0, v3, v0
                                        ; implicit-def: $vgpr3
	ds_write_b32 v6, v0
	v_cmpx_gt_i32_e64 s10, v1
	s_cbranch_execz .LBB10_46
; %bb.43:
	v_mul_lo_u32 v4, s19, v1
	v_cmp_eq_f32_e64 s2, s16, 0
	v_mul_f32_e32 v3, s17, v0
	s_and_b32 vcc_lo, exec_lo, s2
	v_ashrrev_i32_e32 v5, 31, v4
	s_cbranch_vccnz .LBB10_45
; %bb.44:
	v_lshlrev_b64 v[0:1], 2, v[4:5]
	v_add_co_u32 v0, vcc_lo, s12, v0
	v_add_co_ci_u32_e64 v1, null, s13, v1, vcc_lo
	global_load_dword v0, v[0:1], off
	s_waitcnt vmcnt(0)
	v_fmac_f32_e32 v3, s16, v0
.LBB10_45:
	s_or_b32 s2, s18, exec_lo
.LBB10_46:
	s_or_b32 exec_lo, exec_lo, s1
	s_andn2_b32 s1, s18, exec_lo
	s_and_b32 s2, s2, exec_lo
	s_or_b32 s18, s1, s2
.LBB10_47:
	s_or_b32 exec_lo, exec_lo, s0
.LBB10_48:
	s_and_saveexec_b32 s0, s18
	s_cbranch_execz .LBB10_50
; %bb.49:
	v_lshlrev_b64 v[0:1], 2, v[4:5]
	v_add_co_u32 v0, vcc_lo, s12, v0
	v_add_co_ci_u32_e64 v1, null, s13, v1, vcc_lo
	global_store_dword v[0:1], v3, off
.LBB10_50:
	s_endpgm
	.section	.rodata,"a",@progbits
	.p2align	6, 0x0
	.amdhsa_kernel _ZL20rocblas_gemvn_kernelILi32ELi16EifPKffEviiT3_lPKT2_lT1_lS5_lS6_lS2_lPT4_lS6_li
		.amdhsa_group_segment_fixed_size 8192
		.amdhsa_private_segment_fixed_size 0
		.amdhsa_kernarg_size 400
		.amdhsa_user_sgpr_count 6
		.amdhsa_user_sgpr_private_segment_buffer 1
		.amdhsa_user_sgpr_dispatch_ptr 0
		.amdhsa_user_sgpr_queue_ptr 0
		.amdhsa_user_sgpr_kernarg_segment_ptr 1
		.amdhsa_user_sgpr_dispatch_id 0
		.amdhsa_user_sgpr_flat_scratch_init 0
		.amdhsa_user_sgpr_private_segment_size 0
		.amdhsa_wavefront_size32 1
		.amdhsa_uses_dynamic_stack 0
		.amdhsa_system_sgpr_private_segment_wavefront_offset 0
		.amdhsa_system_sgpr_workgroup_id_x 1
		.amdhsa_system_sgpr_workgroup_id_y 0
		.amdhsa_system_sgpr_workgroup_id_z 1
		.amdhsa_system_sgpr_workgroup_info 0
		.amdhsa_system_vgpr_workitem_id 1
		.amdhsa_next_free_vgpr 42
		.amdhsa_next_free_sgpr 28
		.amdhsa_reserve_vcc 1
		.amdhsa_reserve_flat_scratch 0
		.amdhsa_float_round_mode_32 0
		.amdhsa_float_round_mode_16_64 0
		.amdhsa_float_denorm_mode_32 3
		.amdhsa_float_denorm_mode_16_64 3
		.amdhsa_dx10_clamp 1
		.amdhsa_ieee_mode 1
		.amdhsa_fp16_overflow 0
		.amdhsa_workgroup_processor_mode 1
		.amdhsa_memory_ordered 1
		.amdhsa_forward_progress 1
		.amdhsa_shared_vgpr_count 0
		.amdhsa_exception_fp_ieee_invalid_op 0
		.amdhsa_exception_fp_denorm_src 0
		.amdhsa_exception_fp_ieee_div_zero 0
		.amdhsa_exception_fp_ieee_overflow 0
		.amdhsa_exception_fp_ieee_underflow 0
		.amdhsa_exception_fp_ieee_inexact 0
		.amdhsa_exception_int_div_zero 0
	.end_amdhsa_kernel
	.section	.text._ZL20rocblas_gemvn_kernelILi32ELi16EifPKffEviiT3_lPKT2_lT1_lS5_lS6_lS2_lPT4_lS6_li,"axG",@progbits,_ZL20rocblas_gemvn_kernelILi32ELi16EifPKffEviiT3_lPKT2_lT1_lS5_lS6_lS2_lPT4_lS6_li,comdat
.Lfunc_end10:
	.size	_ZL20rocblas_gemvn_kernelILi32ELi16EifPKffEviiT3_lPKT2_lT1_lS5_lS6_lS2_lPT4_lS6_li, .Lfunc_end10-_ZL20rocblas_gemvn_kernelILi32ELi16EifPKffEviiT3_lPKT2_lT1_lS5_lS6_lS2_lPT4_lS6_li
                                        ; -- End function
	.set _ZL20rocblas_gemvn_kernelILi32ELi16EifPKffEviiT3_lPKT2_lT1_lS5_lS6_lS2_lPT4_lS6_li.num_vgpr, 42
	.set _ZL20rocblas_gemvn_kernelILi32ELi16EifPKffEviiT3_lPKT2_lT1_lS5_lS6_lS2_lPT4_lS6_li.num_agpr, 0
	.set _ZL20rocblas_gemvn_kernelILi32ELi16EifPKffEviiT3_lPKT2_lT1_lS5_lS6_lS2_lPT4_lS6_li.numbered_sgpr, 28
	.set _ZL20rocblas_gemvn_kernelILi32ELi16EifPKffEviiT3_lPKT2_lT1_lS5_lS6_lS2_lPT4_lS6_li.num_named_barrier, 0
	.set _ZL20rocblas_gemvn_kernelILi32ELi16EifPKffEviiT3_lPKT2_lT1_lS5_lS6_lS2_lPT4_lS6_li.private_seg_size, 0
	.set _ZL20rocblas_gemvn_kernelILi32ELi16EifPKffEviiT3_lPKT2_lT1_lS5_lS6_lS2_lPT4_lS6_li.uses_vcc, 1
	.set _ZL20rocblas_gemvn_kernelILi32ELi16EifPKffEviiT3_lPKT2_lT1_lS5_lS6_lS2_lPT4_lS6_li.uses_flat_scratch, 0
	.set _ZL20rocblas_gemvn_kernelILi32ELi16EifPKffEviiT3_lPKT2_lT1_lS5_lS6_lS2_lPT4_lS6_li.has_dyn_sized_stack, 0
	.set _ZL20rocblas_gemvn_kernelILi32ELi16EifPKffEviiT3_lPKT2_lT1_lS5_lS6_lS2_lPT4_lS6_li.has_recursion, 0
	.set _ZL20rocblas_gemvn_kernelILi32ELi16EifPKffEviiT3_lPKT2_lT1_lS5_lS6_lS2_lPT4_lS6_li.has_indirect_call, 0
	.section	.AMDGPU.csdata,"",@progbits
; Kernel info:
; codeLenInByte = 2772
; TotalNumSgprs: 30
; NumVgprs: 42
; ScratchSize: 0
; MemoryBound: 0
; FloatMode: 240
; IeeeMode: 1
; LDSByteSize: 8192 bytes/workgroup (compile time only)
; SGPRBlocks: 0
; VGPRBlocks: 5
; NumSGPRsForWavesPerEU: 30
; NumVGPRsForWavesPerEU: 42
; Occupancy: 16
; WaveLimiterHint : 1
; COMPUTE_PGM_RSRC2:SCRATCH_EN: 0
; COMPUTE_PGM_RSRC2:USER_SGPR: 6
; COMPUTE_PGM_RSRC2:TRAP_HANDLER: 0
; COMPUTE_PGM_RSRC2:TGID_X_EN: 1
; COMPUTE_PGM_RSRC2:TGID_Y_EN: 0
; COMPUTE_PGM_RSRC2:TGID_Z_EN: 1
; COMPUTE_PGM_RSRC2:TIDIG_COMP_CNT: 1
	.section	.text._ZL20rocblas_gemvn_kernelILi32ELi16ElfPKffEviiT3_lPKT2_lT1_lS5_lS6_lS2_lPT4_lS6_li,"axG",@progbits,_ZL20rocblas_gemvn_kernelILi32ELi16ElfPKffEviiT3_lPKT2_lT1_lS5_lS6_lS2_lPT4_lS6_li,comdat
	.globl	_ZL20rocblas_gemvn_kernelILi32ELi16ElfPKffEviiT3_lPKT2_lT1_lS5_lS6_lS2_lPT4_lS6_li ; -- Begin function _ZL20rocblas_gemvn_kernelILi32ELi16ElfPKffEviiT3_lPKT2_lT1_lS5_lS6_lS2_lPT4_lS6_li
	.p2align	8
	.type	_ZL20rocblas_gemvn_kernelILi32ELi16ElfPKffEviiT3_lPKT2_lT1_lS5_lS6_lS2_lPT4_lS6_li,@function
_ZL20rocblas_gemvn_kernelILi32ELi16ElfPKffEviiT3_lPKT2_lT1_lS5_lS6_lS2_lPT4_lS6_li: ; @_ZL20rocblas_gemvn_kernelILi32ELi16ElfPKffEviiT3_lPKT2_lT1_lS5_lS6_lS2_lPT4_lS6_li
; %bb.0:
	s_load_dwordx2 s[0:1], s[4:5], 0x9c
	s_waitcnt lgkmcnt(0)
	s_lshr_b32 s2, s0, 16
	s_and_b32 s0, s0, 0xffff
	s_and_b32 s1, s1, 0xffff
	s_mul_i32 s0, s2, s0
	s_mul_i32 s0, s0, s1
	s_cmpk_lg_i32 s0, 0x200
	s_cbranch_scc1 .LBB11_50
; %bb.1:
	s_clause 0x1
	s_load_dwordx16 s[36:51], s[4:5], 0x8
	s_load_dwordx16 s[8:23], s[4:5], 0x48
	s_mov_b32 s26, 0
	s_waitcnt lgkmcnt(0)
	s_mul_i32 s1, s39, s7
	s_mul_hi_u32 s2, s38, s7
	s_mul_i32 s0, s38, s7
	s_add_i32 s1, s2, s1
	s_mul_i32 s2, s15, s7
	s_lshl_b64 s[0:1], s[0:1], 2
	s_mul_hi_u32 s3, s14, s7
	s_add_u32 s0, s36, s0
	s_addc_u32 s1, s37, s1
	s_add_i32 s3, s3, s2
	s_mul_i32 s2, s14, s7
	s_lshl_b64 s[2:3], s[2:3], 2
	s_add_u32 s2, s12, s2
	s_addc_u32 s3, s13, s3
	s_load_dword s25, s[0:1], 0x0
	s_load_dword s24, s[2:3], 0x0
	s_waitcnt lgkmcnt(0)
	v_cmp_eq_f32_e64 s0, s25, 0
	v_cmp_eq_f32_e64 s1, s24, 1.0
	s_and_b32 s0, s0, s1
	s_and_b32 vcc_lo, exec_lo, s0
	s_cbranch_vccnz .LBB11_50
; %bb.2:
	s_load_dwordx2 s[12:13], s[4:5], 0x0
	v_lshlrev_b32_e32 v14, 5, v1
	s_mul_i32 s0, s23, s7
	s_mul_hi_u32 s1, s22, s7
	v_cmp_neq_f32_e64 s4, s25, 0
	s_add_i32 s1, s1, s0
	s_mul_i32 s0, s22, s7
	v_add_nc_u32_e32 v13, v14, v0
	s_lshl_b64 s[0:1], s[0:1], 2
	s_add_u32 s2, s16, s0
	s_addc_u32 s3, s17, s1
	s_lshl_b64 s[0:1], s[18:19], 2
	s_add_u32 s5, s2, s0
	v_cmp_gt_u32_e64 s0, 0x80, v13
	s_addc_u32 s22, s3, s1
	s_and_b32 vcc_lo, exec_lo, s4
	s_cbranch_vccnz .LBB11_9
; %bb.3:
	s_mov_b32 s1, 0
                                        ; implicit-def: $vgpr3
                                        ; implicit-def: $vgpr4_vgpr5
	s_and_saveexec_b32 s2, s0
	s_cbranch_execz .LBB11_10
; %bb.4:
	v_lshl_or_b32 v2, s6, 7, v13
	v_mov_b32_e32 v3, 0
	s_waitcnt lgkmcnt(0)
	s_ashr_i32 s15, s12, 31
	s_mov_b32 s14, s12
	s_mov_b32 s3, 0
	s_mov_b32 s0, exec_lo
                                        ; implicit-def: $vgpr4_vgpr5
	v_cmpx_gt_i64_e64 s[14:15], v[2:3]
	s_cbranch_execz .LBB11_8
; %bb.5:
	v_mad_u64_u32 v[4:5], null, s20, v2, 0
	v_cmp_eq_f32_e64 s3, s24, 0
	s_and_b32 vcc_lo, exec_lo, s3
	v_mad_u64_u32 v[5:6], null, s21, v2, v[5:6]
	s_cbranch_vccnz .LBB11_7
; %bb.6:
	v_lshlrev_b64 v[2:3], 2, v[4:5]
	v_add_co_u32 v2, vcc_lo, s5, v2
	v_add_co_ci_u32_e64 v3, null, s22, v3, vcc_lo
	global_load_dword v2, v[2:3], off
	s_waitcnt vmcnt(0)
	v_mul_f32_e32 v3, s24, v2
.LBB11_7:
	s_mov_b32 s3, exec_lo
.LBB11_8:
	s_or_b32 exec_lo, exec_lo, s0
	s_and_b32 s26, s3, exec_lo
	s_or_b32 exec_lo, exec_lo, s2
	s_and_b32 vcc_lo, exec_lo, s1
	s_cbranch_vccnz .LBB11_11
	s_branch .LBB11_48
.LBB11_9:
                                        ; implicit-def: $vgpr3
                                        ; implicit-def: $vgpr4_vgpr5
	s_cbranch_execnz .LBB11_11
	s_branch .LBB11_48
.LBB11_10:
	s_or_b32 exec_lo, exec_lo, s2
	s_and_b32 vcc_lo, exec_lo, s1
	s_cbranch_vccz .LBB11_48
.LBB11_11:
	s_mul_i32 s0, s47, s7
	s_mul_hi_u32 s1, s46, s7
	s_lshl_b32 s23, s6, 7
	s_add_i32 s15, s1, s0
	s_waitcnt lgkmcnt(0)
	s_ashr_i32 s1, s13, 31
	v_lshlrev_b32_e32 v16, 2, v1
	s_lshr_b32 s1, s1, 26
	v_add_nc_u32_e32 v2, s23, v0
	v_mov_b32_e32 v15, 0
	v_mov_b32_e32 v17, 0
	;; [unrolled: 1-line block ×4, first 2 shown]
	s_mul_i32 s0, s11, s7
	s_mul_hi_u32 s2, s10, s7
	s_add_i32 s27, s13, s1
	s_mul_i32 s14, s46, s7
	s_andn2_b32 s27, s27, 63
	s_add_i32 s11, s2, s0
	s_mul_i32 s10, s10, s7
	s_mov_b32 s28, exec_lo
	v_cmpx_gt_i32_e64 s27, v16
	s_cbranch_execz .LBB11_23
; %bb.12:
	v_lshlrev_b32_e32 v15, 2, v1
	v_mad_u64_u32 v[4:5], null, s8, v1, 0
	v_add_nc_u32_e32 v11, 32, v2
	v_add_nc_u32_e32 v12, 64, v2
	v_or_b32_e32 v17, 3, v15
	s_lshl_b64 s[0:1], s[10:11], 2
	s_lshl_b64 s[6:7], s[50:51], 2
	s_add_u32 s4, s48, s0
	s_addc_u32 s29, s49, s1
	v_mad_u64_u32 v[6:7], null, s44, v17, 0
	v_cmp_gt_i32_e64 s0, s12, v11
	v_cmp_gt_i32_e64 s1, s12, v12
	v_add_nc_u32_e32 v18, 0x60, v2
	v_or_b32_e32 v19, 2, v15
	s_lshl_b64 s[18:19], s[42:43], 2
	s_lshl_b64 s[16:17], s[8:9], 8
	v_mad_u64_u32 v[8:9], null, s9, v1, v[5:6]
	v_mad_u64_u32 v[9:10], null, s8, v17, 0
	v_cmp_gt_i32_e64 s2, s12, v18
	s_lshl_b64 s[30:31], s[14:15], 2
	v_mad_u64_u32 v[28:29], null, s8, v19, 0
	v_mov_b32_e32 v5, v8
	v_mad_u64_u32 v[7:8], null, s45, v17, v[7:8]
	v_mad_u64_u32 v[30:31], null, s8, v15, s[8:9]
	v_lshlrev_b64 v[11:12], 4, v[4:5]
	v_mov_b32_e32 v5, v10
	v_mov_b32_e32 v8, v29
	v_mad_u64_u32 v[32:33], null, s44, v15, s[44:45]
	v_lshlrev_b64 v[6:7], 2, v[6:7]
	v_add_co_u32 v20, s3, s4, v11
	v_add_co_ci_u32_e64 v21, null, s29, v12, s3
	v_mad_u64_u32 v[11:12], null, s44, v1, 0
	v_mad_u64_u32 v[17:18], null, s9, v17, v[5:6]
	s_add_u32 s3, s40, s18
	s_addc_u32 s18, s41, s19
	s_add_u32 s19, s3, s30
	s_addc_u32 s18, s18, s31
	v_mov_b32_e32 v5, v12
	v_add_co_u32 v22, s3, s19, v6
	v_mov_b32_e32 v10, v17
	v_mad_u64_u32 v[17:18], null, s44, v19, 0
	v_mad_u64_u32 v[24:25], null, s45, v1, v[5:6]
	v_add_co_ci_u32_e64 v23, null, s18, v7, s3
	v_lshlrev_b64 v[6:7], 2, v[9:10]
	v_ashrrev_i32_e32 v3, 31, v2
	v_mov_b32_e32 v5, v18
	v_cmp_gt_i32_e32 vcc_lo, s12, v2
	v_mov_b32_e32 v12, v24
	v_add_co_u32 v24, s3, s4, v6
	v_mad_u64_u32 v[9:10], null, s45, v19, v[5:6]
	v_add_co_ci_u32_e64 v25, null, s29, v7, s3
	v_lshlrev_b64 v[6:7], 4, v[11:12]
	v_mov_b32_e32 v5, v31
	v_lshlrev_b64 v[3:4], 2, v[2:3]
	v_mad_u64_u32 v[26:27], null, s9, v19, v[8:9]
	v_mov_b32_e32 v18, v9
	v_mad_u64_u32 v[8:9], null, s9, v15, v[5:6]
	v_mov_b32_e32 v5, v33
	v_mov_b32_e32 v19, 0
	;; [unrolled: 1-line block ×3, first 2 shown]
	v_add_co_u32 v26, s3, s19, v6
	v_add_co_ci_u32_e64 v27, null, s18, v7, s3
	v_lshlrev_b64 v[6:7], 2, v[17:18]
	v_mov_b32_e32 v31, v8
	v_mov_b32_e32 v17, 0
	;; [unrolled: 1-line block ×3, first 2 shown]
	v_mad_u64_u32 v[9:10], null, s45, v15, v[5:6]
	v_lshlrev_b64 v[10:11], 2, v[28:29]
	v_add_co_u32 v28, s3, s19, v6
	v_lshlrev_b64 v[5:6], 2, v[30:31]
	v_add_co_ci_u32_e64 v29, null, s18, v7, s3
	v_mov_b32_e32 v33, v9
	v_add_co_u32 v30, s3, s4, v10
	v_add_co_ci_u32_e64 v31, null, s29, v11, s3
	v_lshlrev_b64 v[7:8], 2, v[32:33]
	v_add_co_u32 v32, s3, s4, v5
	v_add_co_ci_u32_e64 v33, null, s29, v6, s3
	v_mov_b32_e32 v15, 0
	v_add_co_u32 v34, s3, s19, v7
	v_add_co_ci_u32_e64 v35, null, s18, v8, s3
	s_lshl_b64 s[18:19], s[44:45], 8
	s_mov_b32 s29, 0
	s_branch .LBB11_17
.LBB11_13:                              ;   in Loop: Header=BB11_17 Depth=1
	s_or_b32 exec_lo, exec_lo, s31
	s_waitcnt vmcnt(3)
	v_fmac_f32_e32 v18, v37, v51
	s_waitcnt vmcnt(2)
	v_fmac_f32_e32 v18, v36, v50
	;; [unrolled: 2-line block ×4, first 2 shown]
.LBB11_14:                              ;   in Loop: Header=BB11_17 Depth=1
	s_or_b32 exec_lo, exec_lo, s30
	s_waitcnt vmcnt(3)
	v_fmac_f32_e32 v17, v37, v47
	s_waitcnt vmcnt(2)
	v_fmac_f32_e32 v17, v36, v46
	;; [unrolled: 2-line block ×4, first 2 shown]
.LBB11_15:                              ;   in Loop: Header=BB11_17 Depth=1
	s_or_b32 exec_lo, exec_lo, s3
	s_waitcnt vmcnt(3)
	v_fmac_f32_e32 v15, v37, v43
	s_waitcnt vmcnt(2)
	v_fmac_f32_e32 v15, v36, v41
	;; [unrolled: 2-line block ×4, first 2 shown]
.LBB11_16:                              ;   in Loop: Header=BB11_17 Depth=1
	s_or_b32 exec_lo, exec_lo, s4
	v_add_co_u32 v20, s3, v20, s16
	v_add_co_ci_u32_e64 v21, null, s17, v21, s3
	v_add_co_u32 v22, s3, v22, s18
	v_add_co_ci_u32_e64 v23, null, s19, v23, s3
	;; [unrolled: 2-line block ×4, first 2 shown]
	v_add_co_u32 v28, s3, v28, s18
	v_add_nc_u32_e32 v16, 64, v16
	v_add_co_ci_u32_e64 v29, null, s19, v29, s3
	v_add_co_u32 v30, s3, v30, s16
	v_add_co_ci_u32_e64 v31, null, s17, v31, s3
	v_add_co_u32 v32, s3, v32, s16
	v_add_co_ci_u32_e64 v33, null, s17, v33, s3
	v_cmp_le_i32_e64 s3, s27, v16
	v_add_co_u32 v34, s4, v34, s18
	v_add_co_ci_u32_e64 v35, null, s19, v35, s4
	s_or_b32 s29, s3, s29
	s_andn2_b32 exec_lo, exec_lo, s29
	s_cbranch_execz .LBB11_22
.LBB11_17:                              ; =>This Inner Loop Header: Depth=1
	s_and_saveexec_b32 s4, vcc_lo
	s_cbranch_execz .LBB11_16
; %bb.18:                               ;   in Loop: Header=BB11_17 Depth=1
	v_add_co_u32 v5, s3, v20, s6
	v_add_co_ci_u32_e64 v6, null, s7, v21, s3
	v_add_co_u32 v7, s3, v32, s6
	v_add_co_ci_u32_e64 v8, null, s7, v33, s3
	;; [unrolled: 2-line block ×3, first 2 shown]
	v_add_co_u32 v39, s3, v24, s6
	global_load_dword v37, v[5:6], off
	global_load_dword v36, v[7:8], off
	;; [unrolled: 1-line block ×3, first 2 shown]
	v_add_co_ci_u32_e64 v40, null, s7, v25, s3
	v_add_co_u32 v5, s3, v26, v3
	v_add_co_ci_u32_e64 v6, null, v27, v4, s3
	v_add_co_u32 v7, s3, v34, v3
	;; [unrolled: 2-line block ×4, first 2 shown]
	v_add_co_ci_u32_e64 v12, null, v23, v4, s3
	global_load_dword v39, v[39:40], off
	global_load_dword v43, v[5:6], off
	;; [unrolled: 1-line block ×5, first 2 shown]
	s_and_saveexec_b32 s3, s0
	s_cbranch_execz .LBB11_15
; %bb.19:                               ;   in Loop: Header=BB11_17 Depth=1
	global_load_dword v47, v[5:6], off offset:128
	global_load_dword v46, v[7:8], off offset:128
	global_load_dword v45, v[9:10], off offset:128
	global_load_dword v44, v[11:12], off offset:128
	s_and_saveexec_b32 s30, s1
	s_cbranch_execz .LBB11_14
; %bb.20:                               ;   in Loop: Header=BB11_17 Depth=1
	global_load_dword v51, v[5:6], off offset:256
	global_load_dword v50, v[7:8], off offset:256
	global_load_dword v49, v[9:10], off offset:256
	global_load_dword v48, v[11:12], off offset:256
	;; [unrolled: 7-line block ×3, first 2 shown]
	s_waitcnt vmcnt(3)
	v_fmac_f32_e32 v19, v37, v5
	s_waitcnt vmcnt(2)
	v_fmac_f32_e32 v19, v36, v6
	;; [unrolled: 2-line block ×4, first 2 shown]
	s_branch .LBB11_13
.LBB11_22:
	s_or_b32 exec_lo, exec_lo, s29
.LBB11_23:
	s_or_b32 exec_lo, exec_lo, s28
	s_sub_i32 s0, s13, s27
	s_cmp_lt_i32 s0, 1
	s_cbranch_scc1 .LBB11_41
; %bb.24:
	v_cmp_gt_i32_e32 vcc_lo, s13, v16
	v_mov_b32_e32 v20, 0
	v_or_b32_e32 v4, 1, v16
	v_mov_b32_e32 v21, 0
	v_mov_b32_e32 v12, 0
	;; [unrolled: 1-line block ×3, first 2 shown]
	s_and_saveexec_b32 s1, vcc_lo
	s_cbranch_execz .LBB11_32
; %bb.25:
	v_mad_u64_u32 v[5:6], null, s8, v16, 0
	s_lshl_b64 s[2:3], s[10:11], 2
	v_mov_b32_e32 v12, 0
	s_add_u32 s0, s48, s2
	s_addc_u32 s2, s49, s3
	s_lshl_b64 s[6:7], s[50:51], 2
	v_mov_b32_e32 v21, 0
	v_mov_b32_e32 v3, v6
	s_add_u32 s3, s0, s6
	s_addc_u32 s4, s2, s7
	v_mov_b32_e32 v20, 0
	s_mov_b32 s2, exec_lo
	v_mad_u64_u32 v[6:7], null, s9, v16, v[3:4]
	v_lshlrev_b64 v[5:6], 2, v[5:6]
	v_add_co_u32 v5, s0, s3, v5
	v_add_co_ci_u32_e64 v6, null, s4, v6, s0
	global_load_dword v11, v[5:6], off
	v_cmpx_gt_i32_e64 s13, v4
	s_cbranch_execz .LBB11_31
; %bb.26:
	v_mad_u64_u32 v[5:6], null, s8, v4, 0
	v_mov_b32_e32 v21, 0
	v_mov_b32_e32 v20, 0
	s_mov_b32 s6, exec_lo
	v_mov_b32_e32 v3, v6
	v_mad_u64_u32 v[6:7], null, s9, v4, v[3:4]
	v_or_b32_e32 v3, 2, v16
	v_lshlrev_b64 v[5:6], 2, v[5:6]
	v_add_co_u32 v5, s0, s3, v5
	v_add_co_ci_u32_e64 v6, null, s4, v6, s0
	global_load_dword v12, v[5:6], off
	v_cmpx_gt_i32_e64 s13, v3
	s_cbranch_execz .LBB11_30
; %bb.27:
	v_mad_u64_u32 v[5:6], null, s8, v3, 0
	v_mov_b32_e32 v20, 0
	s_mov_b32 s7, exec_lo
	v_mad_u64_u32 v[6:7], null, s9, v3, v[6:7]
	v_or_b32_e32 v3, 3, v16
	v_lshlrev_b64 v[5:6], 2, v[5:6]
	v_add_co_u32 v5, s0, s3, v5
	v_add_co_ci_u32_e64 v6, null, s4, v6, s0
	global_load_dword v21, v[5:6], off
	v_cmpx_gt_i32_e64 s13, v3
	s_cbranch_execz .LBB11_29
; %bb.28:
	v_mad_u64_u32 v[5:6], null, s8, v3, 0
	v_mad_u64_u32 v[6:7], null, s9, v3, v[6:7]
	v_lshlrev_b64 v[5:6], 2, v[5:6]
	v_add_co_u32 v5, s0, s3, v5
	v_add_co_ci_u32_e64 v6, null, s4, v6, s0
	global_load_dword v20, v[5:6], off
.LBB11_29:
	s_or_b32 exec_lo, exec_lo, s7
.LBB11_30:
	s_or_b32 exec_lo, exec_lo, s6
.LBB11_31:
	s_or_b32 exec_lo, exec_lo, s2
.LBB11_32:
	s_or_b32 exec_lo, exec_lo, s1
	s_mov_b32 s1, exec_lo
	v_cmpx_gt_i32_e64 s12, v2
	s_cbranch_execz .LBB11_40
; %bb.33:
	v_mad_u64_u32 v[5:6], null, s44, v16, 0
	v_mad_u64_u32 v[7:8], null, s44, v4, 0
	v_ashrrev_i32_e32 v3, 31, v2
	v_or_b32_e32 v29, 2, v16
	s_lshl_b64 s[2:3], s[14:15], 2
	s_add_u32 s0, s40, s2
	v_lshlrev_b64 v[22:23], 2, v[2:3]
	v_mad_u64_u32 v[9:10], null, s45, v16, v[6:7]
	v_mov_b32_e32 v3, v8
	v_cndmask_b32_e32 v5, 0, v5, vcc_lo
	v_or_b32_e32 v16, 3, v16
	v_mad_u64_u32 v[24:25], null, s44, v29, 0
	v_mad_u64_u32 v[26:27], null, s45, v4, v[3:4]
	v_cndmask_b32_e32 v6, 0, v9, vcc_lo
	v_cmp_gt_i32_e32 vcc_lo, s13, v4
	s_addc_u32 s4, s41, s3
	s_lshl_b64 s[2:3], s[42:43], 2
	v_mad_u64_u32 v[8:9], null, s44, v16, 0
	v_lshlrev_b64 v[5:6], 2, v[5:6]
	v_cndmask_b32_e32 v27, 0, v7, vcc_lo
	v_cndmask_b32_e32 v28, 0, v26, vcc_lo
	s_add_u32 s2, s0, s2
	v_mov_b32_e32 v7, v25
	s_addc_u32 s3, s4, s3
	v_add_co_u32 v3, s0, s2, v5
	v_add_co_ci_u32_e64 v4, null, s3, v6, s0
	v_lshlrev_b64 v[5:6], 2, v[27:28]
	v_mad_u64_u32 v[25:26], null, s45, v29, v[7:8]
	v_add_co_u32 v3, vcc_lo, v3, v22
	v_add_co_ci_u32_e64 v4, null, v4, v23, vcc_lo
	v_cmp_gt_i32_e32 vcc_lo, s13, v29
	v_mov_b32_e32 v7, v9
	v_add_co_u32 v5, s0, s2, v5
	v_add_co_ci_u32_e64 v6, null, s3, v6, s0
	v_cndmask_b32_e32 v9, 0, v24, vcc_lo
	v_cndmask_b32_e32 v10, 0, v25, vcc_lo
	v_mad_u64_u32 v[24:25], null, s45, v16, v[7:8]
	v_add_co_u32 v5, vcc_lo, v5, v22
	v_add_co_ci_u32_e64 v6, null, v6, v23, vcc_lo
	v_cmp_gt_i32_e32 vcc_lo, s13, v16
	v_lshlrev_b64 v[9:10], 2, v[9:10]
	s_clause 0x1
	global_load_dword v25, v[3:4], off
	global_load_dword v26, v[5:6], off
	s_mov_b32 s0, exec_lo
	v_cndmask_b32_e32 v7, 0, v8, vcc_lo
	v_cndmask_b32_e32 v8, 0, v24, vcc_lo
	v_add_co_u32 v16, vcc_lo, s2, v9
	v_add_co_ci_u32_e64 v24, null, s3, v10, vcc_lo
	v_lshlrev_b64 v[9:10], 2, v[7:8]
	v_add_co_u32 v7, vcc_lo, v16, v22
	v_add_co_ci_u32_e64 v8, null, v24, v23, vcc_lo
	v_add_co_u32 v9, vcc_lo, s2, v9
	v_add_co_ci_u32_e64 v10, null, s3, v10, vcc_lo
	global_load_dword v24, v[7:8], off
	v_add_co_u32 v9, vcc_lo, v9, v22
	v_add_co_ci_u32_e64 v10, null, v10, v23, vcc_lo
	v_add_nc_u32_e32 v22, 32, v2
	global_load_dword v16, v[9:10], off
	s_waitcnt vmcnt(3)
	v_fmac_f32_e32 v15, v11, v25
	s_waitcnt vmcnt(2)
	v_fmac_f32_e32 v15, v12, v26
	;; [unrolled: 2-line block ×3, first 2 shown]
	v_cmpx_gt_i32_e64 s12, v22
	s_cbranch_execz .LBB11_39
; %bb.34:
	s_clause 0x3
	global_load_dword v23, v[3:4], off offset:128
	global_load_dword v24, v[5:6], off offset:128
	;; [unrolled: 1-line block ×4, first 2 shown]
	s_mov_b32 s2, exec_lo
	s_waitcnt vmcnt(3)
	v_fmac_f32_e32 v17, v11, v23
	v_add_nc_u32_e32 v23, 64, v2
	s_waitcnt vmcnt(2)
	v_fmac_f32_e32 v17, v12, v24
	s_waitcnt vmcnt(1)
	v_fmac_f32_e32 v17, v21, v25
	v_cmpx_gt_i32_e64 s12, v23
	s_cbranch_execz .LBB11_38
; %bb.35:
	s_clause 0x3
	global_load_dword v24, v[3:4], off offset:256
	global_load_dword v25, v[5:6], off offset:256
	;; [unrolled: 1-line block ×4, first 2 shown]
	v_add_nc_u32_e32 v2, 0x60, v2
	s_mov_b32 s3, exec_lo
	s_waitcnt vmcnt(3)
	v_fmac_f32_e32 v18, v11, v24
	s_waitcnt vmcnt(2)
	v_fmac_f32_e32 v18, v12, v25
	;; [unrolled: 2-line block ×3, first 2 shown]
	v_cmpx_gt_i32_e64 s12, v2
	s_cbranch_execz .LBB11_37
; %bb.36:
	s_clause 0x3
	global_load_dword v2, v[3:4], off offset:384
	global_load_dword v3, v[5:6], off offset:384
	;; [unrolled: 1-line block ×4, first 2 shown]
	s_waitcnt vmcnt(3)
	v_fmac_f32_e32 v19, v11, v2
	s_waitcnt vmcnt(2)
	v_fmac_f32_e32 v19, v12, v3
	;; [unrolled: 2-line block ×4, first 2 shown]
.LBB11_37:
	s_or_b32 exec_lo, exec_lo, s3
	s_waitcnt vmcnt(0)
	v_fmac_f32_e32 v18, v20, v23
.LBB11_38:
	s_or_b32 exec_lo, exec_lo, s2
	s_waitcnt vmcnt(0)
	v_fmac_f32_e32 v17, v20, v22
.LBB11_39:
	s_or_b32 exec_lo, exec_lo, s0
	s_waitcnt vmcnt(0)
	v_fmac_f32_e32 v15, v20, v16
.LBB11_40:
	s_or_b32 exec_lo, exec_lo, s1
.LBB11_41:
	v_lshlrev_b32_e32 v0, 2, v0
	s_mov_b32 s0, exec_lo
                                        ; implicit-def: $vgpr3
                                        ; implicit-def: $vgpr4_vgpr5
	v_lshl_add_u32 v1, v1, 9, v0
	ds_write2_b32 v1, v15, v17 offset1:32
	ds_write2_b32 v1, v18, v19 offset0:64 offset1:96
	s_waitcnt vmcnt(0) lgkmcnt(0)
	s_barrier
	buffer_gl0_inv
	v_cmpx_gt_u32_e32 0x80, v13
	s_cbranch_execz .LBB11_47
; %bb.42:
	v_lshl_add_u32 v6, v14, 2, v0
	s_mov_b32 s2, s26
	s_mov_b32 s1, exec_lo
	ds_read2st64_b32 v[0:1], v6 offset1:2
	ds_read2st64_b32 v[2:3], v6 offset0:4 offset1:6
	ds_read2st64_b32 v[4:5], v6 offset0:8 offset1:10
	s_waitcnt lgkmcnt(2)
	v_add_f32_e32 v7, v0, v1
	ds_read2st64_b32 v[0:1], v6 offset0:12 offset1:14
	s_waitcnt lgkmcnt(2)
	v_add_f32_e32 v2, v2, v7
	v_add_f32_e32 v7, v3, v2
	ds_read2st64_b32 v[2:3], v6 offset0:16 offset1:18
	s_waitcnt lgkmcnt(2)
	v_add_f32_e32 v4, v4, v7
	;; [unrolled: 4-line block ×3, first 2 shown]
	v_add_f32_e32 v0, v1, v0
	s_waitcnt lgkmcnt(1)
	v_add_f32_e32 v2, v2, v0
	ds_read2st64_b32 v[0:1], v6 offset0:24 offset1:26
	v_add_f32_e32 v2, v3, v2
	s_waitcnt lgkmcnt(1)
	v_add_f32_e32 v4, v4, v2
	ds_read2st64_b32 v[2:3], v6 offset0:28 offset1:30
	v_add_f32_e32 v4, v5, v4
	s_waitcnt lgkmcnt(1)
	v_add_f32_e32 v0, v0, v4
                                        ; implicit-def: $vgpr4_vgpr5
	v_add_f32_e32 v0, v1, v0
	v_or_b32_e32 v1, s23, v13
	s_waitcnt lgkmcnt(0)
	v_add_f32_e32 v0, v2, v0
	v_add_f32_e32 v0, v3, v0
                                        ; implicit-def: $vgpr3
	ds_write_b32 v6, v0
	v_cmpx_gt_i32_e64 s12, v1
	s_cbranch_execz .LBB11_46
; %bb.43:
	v_ashrrev_i32_e32 v2, 31, v1
	v_mul_lo_u32 v6, s21, v1
	v_mad_u64_u32 v[4:5], null, s20, v1, 0
	v_cmp_eq_f32_e64 s2, s24, 0
	v_mul_lo_u32 v1, s20, v2
	v_mul_f32_e32 v3, s25, v0
	s_and_b32 vcc_lo, exec_lo, s2
	v_add3_u32 v5, v5, v1, v6
	s_cbranch_vccnz .LBB11_45
; %bb.44:
	v_lshlrev_b64 v[0:1], 2, v[4:5]
	v_add_co_u32 v0, vcc_lo, s5, v0
	v_add_co_ci_u32_e64 v1, null, s22, v1, vcc_lo
	global_load_dword v0, v[0:1], off
	s_waitcnt vmcnt(0)
	v_fmac_f32_e32 v3, s24, v0
.LBB11_45:
	s_or_b32 s2, s26, exec_lo
.LBB11_46:
	s_or_b32 exec_lo, exec_lo, s1
	s_andn2_b32 s1, s26, exec_lo
	s_and_b32 s2, s2, exec_lo
	s_or_b32 s26, s1, s2
.LBB11_47:
	s_or_b32 exec_lo, exec_lo, s0
.LBB11_48:
	s_and_saveexec_b32 s0, s26
	s_cbranch_execz .LBB11_50
; %bb.49:
	v_lshlrev_b64 v[0:1], 2, v[4:5]
	v_add_co_u32 v0, vcc_lo, s5, v0
	v_add_co_ci_u32_e64 v1, null, s22, v1, vcc_lo
	global_store_dword v[0:1], v3, off
.LBB11_50:
	s_endpgm
	.section	.rodata,"a",@progbits
	.p2align	6, 0x0
	.amdhsa_kernel _ZL20rocblas_gemvn_kernelILi32ELi16ElfPKffEviiT3_lPKT2_lT1_lS5_lS6_lS2_lPT4_lS6_li
		.amdhsa_group_segment_fixed_size 8192
		.amdhsa_private_segment_fixed_size 0
		.amdhsa_kernarg_size 400
		.amdhsa_user_sgpr_count 6
		.amdhsa_user_sgpr_private_segment_buffer 1
		.amdhsa_user_sgpr_dispatch_ptr 0
		.amdhsa_user_sgpr_queue_ptr 0
		.amdhsa_user_sgpr_kernarg_segment_ptr 1
		.amdhsa_user_sgpr_dispatch_id 0
		.amdhsa_user_sgpr_flat_scratch_init 0
		.amdhsa_user_sgpr_private_segment_size 0
		.amdhsa_wavefront_size32 1
		.amdhsa_uses_dynamic_stack 0
		.amdhsa_system_sgpr_private_segment_wavefront_offset 0
		.amdhsa_system_sgpr_workgroup_id_x 1
		.amdhsa_system_sgpr_workgroup_id_y 0
		.amdhsa_system_sgpr_workgroup_id_z 1
		.amdhsa_system_sgpr_workgroup_info 0
		.amdhsa_system_vgpr_workitem_id 1
		.amdhsa_next_free_vgpr 52
		.amdhsa_next_free_sgpr 52
		.amdhsa_reserve_vcc 1
		.amdhsa_reserve_flat_scratch 0
		.amdhsa_float_round_mode_32 0
		.amdhsa_float_round_mode_16_64 0
		.amdhsa_float_denorm_mode_32 3
		.amdhsa_float_denorm_mode_16_64 3
		.amdhsa_dx10_clamp 1
		.amdhsa_ieee_mode 1
		.amdhsa_fp16_overflow 0
		.amdhsa_workgroup_processor_mode 1
		.amdhsa_memory_ordered 1
		.amdhsa_forward_progress 1
		.amdhsa_shared_vgpr_count 0
		.amdhsa_exception_fp_ieee_invalid_op 0
		.amdhsa_exception_fp_denorm_src 0
		.amdhsa_exception_fp_ieee_div_zero 0
		.amdhsa_exception_fp_ieee_overflow 0
		.amdhsa_exception_fp_ieee_underflow 0
		.amdhsa_exception_fp_ieee_inexact 0
		.amdhsa_exception_int_div_zero 0
	.end_amdhsa_kernel
	.section	.text._ZL20rocblas_gemvn_kernelILi32ELi16ElfPKffEviiT3_lPKT2_lT1_lS5_lS6_lS2_lPT4_lS6_li,"axG",@progbits,_ZL20rocblas_gemvn_kernelILi32ELi16ElfPKffEviiT3_lPKT2_lT1_lS5_lS6_lS2_lPT4_lS6_li,comdat
.Lfunc_end11:
	.size	_ZL20rocblas_gemvn_kernelILi32ELi16ElfPKffEviiT3_lPKT2_lT1_lS5_lS6_lS2_lPT4_lS6_li, .Lfunc_end11-_ZL20rocblas_gemvn_kernelILi32ELi16ElfPKffEviiT3_lPKT2_lT1_lS5_lS6_lS2_lPT4_lS6_li
                                        ; -- End function
	.set _ZL20rocblas_gemvn_kernelILi32ELi16ElfPKffEviiT3_lPKT2_lT1_lS5_lS6_lS2_lPT4_lS6_li.num_vgpr, 52
	.set _ZL20rocblas_gemvn_kernelILi32ELi16ElfPKffEviiT3_lPKT2_lT1_lS5_lS6_lS2_lPT4_lS6_li.num_agpr, 0
	.set _ZL20rocblas_gemvn_kernelILi32ELi16ElfPKffEviiT3_lPKT2_lT1_lS5_lS6_lS2_lPT4_lS6_li.numbered_sgpr, 52
	.set _ZL20rocblas_gemvn_kernelILi32ELi16ElfPKffEviiT3_lPKT2_lT1_lS5_lS6_lS2_lPT4_lS6_li.num_named_barrier, 0
	.set _ZL20rocblas_gemvn_kernelILi32ELi16ElfPKffEviiT3_lPKT2_lT1_lS5_lS6_lS2_lPT4_lS6_li.private_seg_size, 0
	.set _ZL20rocblas_gemvn_kernelILi32ELi16ElfPKffEviiT3_lPKT2_lT1_lS5_lS6_lS2_lPT4_lS6_li.uses_vcc, 1
	.set _ZL20rocblas_gemvn_kernelILi32ELi16ElfPKffEviiT3_lPKT2_lT1_lS5_lS6_lS2_lPT4_lS6_li.uses_flat_scratch, 0
	.set _ZL20rocblas_gemvn_kernelILi32ELi16ElfPKffEviiT3_lPKT2_lT1_lS5_lS6_lS2_lPT4_lS6_li.has_dyn_sized_stack, 0
	.set _ZL20rocblas_gemvn_kernelILi32ELi16ElfPKffEviiT3_lPKT2_lT1_lS5_lS6_lS2_lPT4_lS6_li.has_recursion, 0
	.set _ZL20rocblas_gemvn_kernelILi32ELi16ElfPKffEviiT3_lPKT2_lT1_lS5_lS6_lS2_lPT4_lS6_li.has_indirect_call, 0
	.section	.AMDGPU.csdata,"",@progbits
; Kernel info:
; codeLenInByte = 3152
; TotalNumSgprs: 54
; NumVgprs: 52
; ScratchSize: 0
; MemoryBound: 0
; FloatMode: 240
; IeeeMode: 1
; LDSByteSize: 8192 bytes/workgroup (compile time only)
; SGPRBlocks: 0
; VGPRBlocks: 6
; NumSGPRsForWavesPerEU: 54
; NumVGPRsForWavesPerEU: 52
; Occupancy: 16
; WaveLimiterHint : 0
; COMPUTE_PGM_RSRC2:SCRATCH_EN: 0
; COMPUTE_PGM_RSRC2:USER_SGPR: 6
; COMPUTE_PGM_RSRC2:TRAP_HANDLER: 0
; COMPUTE_PGM_RSRC2:TGID_X_EN: 1
; COMPUTE_PGM_RSRC2:TGID_Y_EN: 0
; COMPUTE_PGM_RSRC2:TGID_Z_EN: 1
; COMPUTE_PGM_RSRC2:TIDIG_COMP_CNT: 1
	.section	.text._ZL20rocblas_gemvn_kernelILi32ELi16EifffEviiT3_lPKT2_lT1_lS3_lS4_lS0_lPT4_lS4_li,"axG",@progbits,_ZL20rocblas_gemvn_kernelILi32ELi16EifffEviiT3_lPKT2_lT1_lS3_lS4_lS0_lPT4_lS4_li,comdat
	.globl	_ZL20rocblas_gemvn_kernelILi32ELi16EifffEviiT3_lPKT2_lT1_lS3_lS4_lS0_lPT4_lS4_li ; -- Begin function _ZL20rocblas_gemvn_kernelILi32ELi16EifffEviiT3_lPKT2_lT1_lS3_lS4_lS0_lPT4_lS4_li
	.p2align	8
	.type	_ZL20rocblas_gemvn_kernelILi32ELi16EifffEviiT3_lPKT2_lT1_lS3_lS4_lS0_lPT4_lS4_li,@function
_ZL20rocblas_gemvn_kernelILi32ELi16EifffEviiT3_lPKT2_lT1_lS3_lS4_lS0_lPT4_lS4_li: ; @_ZL20rocblas_gemvn_kernelILi32ELi16EifffEviiT3_lPKT2_lT1_lS3_lS4_lS0_lPT4_lS4_li
; %bb.0:
	s_load_dwordx2 s[0:1], s[4:5], 0x9c
	s_waitcnt lgkmcnt(0)
	s_lshr_b32 s2, s0, 16
	s_and_b32 s0, s0, 0xffff
	s_and_b32 s1, s1, 0xffff
	s_mul_i32 s0, s2, s0
	s_mul_i32 s0, s0, s1
	s_cmpk_lg_i32 s0, 0x200
	s_cbranch_scc1 .LBB12_50
; %bb.1:
	s_clause 0x1
	s_load_dwordx4 s[8:11], s[4:5], 0x0
	s_load_dword s13, s[4:5], 0x58
	s_mov_b32 s14, 0
	s_waitcnt lgkmcnt(0)
	v_cmp_eq_f32_e64 s0, s10, 0
	v_cmp_eq_f32_e64 s1, s13, 1.0
	s_and_b32 s0, s0, s1
	s_and_b32 vcc_lo, exec_lo, s0
	s_cbranch_vccnz .LBB12_50
; %bb.2:
	s_clause 0x2
	s_load_dwordx2 s[16:17], s[4:5], 0x80
	s_load_dwordx4 s[0:3], s[4:5], 0x68
	s_load_dword s15, s[4:5], 0x78
	v_lshlrev_b32_e32 v14, 5, v1
	v_cmp_neq_f32_e64 s18, s10, 0
	v_add_nc_u32_e32 v13, v14, v0
	s_waitcnt lgkmcnt(0)
	s_mul_i32 s11, s17, s7
	s_mul_hi_u32 s12, s16, s7
	s_mul_i32 s16, s16, s7
	s_add_i32 s17, s12, s11
	s_lshl_b64 s[16:17], s[16:17], 2
	s_add_u32 s11, s0, s16
	s_addc_u32 s12, s1, s17
	s_lshl_b64 s[0:1], s[2:3], 2
	s_add_u32 s11, s11, s0
	v_cmp_gt_u32_e64 s0, 0x80, v13
	s_addc_u32 s12, s12, s1
	s_and_b32 vcc_lo, exec_lo, s18
	s_cbranch_vccnz .LBB12_9
; %bb.3:
	s_mov_b32 s1, 0
                                        ; implicit-def: $vgpr3
                                        ; implicit-def: $vgpr4_vgpr5
	s_and_saveexec_b32 s2, s0
	s_cbranch_execz .LBB12_10
; %bb.4:
	v_lshl_or_b32 v2, s6, 7, v13
	v_mov_b32_e32 v3, 0
	s_ashr_i32 s17, s8, 31
	s_mov_b32 s16, s8
	s_mov_b32 s3, 0
	s_mov_b32 s0, exec_lo
                                        ; implicit-def: $vgpr4_vgpr5
	v_cmpx_gt_i64_e64 s[16:17], v[2:3]
	s_cbranch_execz .LBB12_8
; %bb.5:
	v_mad_u64_u32 v[4:5], null, s15, v2, 0
	s_ashr_i32 s3, s15, 31
	v_mad_u64_u32 v[5:6], null, s3, v2, v[5:6]
	v_cmp_eq_f32_e64 s3, s13, 0
	s_and_b32 vcc_lo, exec_lo, s3
	s_cbranch_vccnz .LBB12_7
; %bb.6:
	v_lshlrev_b64 v[2:3], 2, v[4:5]
	v_add_co_u32 v2, vcc_lo, s11, v2
	v_add_co_ci_u32_e64 v3, null, s12, v3, vcc_lo
	global_load_dword v2, v[2:3], off
	s_waitcnt vmcnt(0)
	v_mul_f32_e32 v3, s13, v2
.LBB12_7:
	s_mov_b32 s3, exec_lo
.LBB12_8:
	s_or_b32 exec_lo, exec_lo, s0
	s_and_b32 s14, s3, exec_lo
	s_or_b32 exec_lo, exec_lo, s2
	s_and_b32 vcc_lo, exec_lo, s1
	s_cbranch_vccnz .LBB12_11
	s_branch .LBB12_48
.LBB12_9:
                                        ; implicit-def: $vgpr3
                                        ; implicit-def: $vgpr4_vgpr5
	s_cbranch_execnz .LBB12_11
	s_branch .LBB12_48
.LBB12_10:
	s_or_b32 exec_lo, exec_lo, s2
	s_and_b32 vcc_lo, exec_lo, s1
	s_cbranch_vccz .LBB12_48
.LBB12_11:
	s_clause 0x5
	s_load_dwordx4 s[0:3], s[4:5], 0x30
	s_load_dwordx2 s[18:19], s[4:5], 0x50
	s_load_dwordx4 s[20:23], s[4:5], 0x18
	s_load_dword s17, s[4:5], 0x28
	s_load_dwordx2 s[24:25], s[4:5], 0x40
	s_load_dword s4, s[4:5], 0x48
	v_lshlrev_b32_e32 v20, 2, v1
	v_mov_b32_e32 v15, 0
	v_mov_b32_e32 v16, 0
	;; [unrolled: 1-line block ×4, first 2 shown]
	s_waitcnt lgkmcnt(0)
	s_mul_i32 s1, s1, s7
	s_mul_hi_u32 s16, s0, s7
	s_mul_i32 s0, s0, s7
	s_add_i32 s1, s16, s1
	s_mul_i32 s19, s19, s7
	s_lshl_b64 s[0:1], s[0:1], 2
	s_mul_hi_u32 s26, s18, s7
	s_add_u32 s16, s20, s0
	s_addc_u32 s20, s21, s1
	s_lshl_b64 s[0:1], s[22:23], 2
	s_mul_i32 s18, s18, s7
	s_add_u32 s7, s16, s0
	s_addc_u32 s16, s20, s1
	s_add_i32 s19, s26, s19
	s_mov_b32 s20, exec_lo
	s_lshl_b64 s[0:1], s[18:19], 2
	s_add_u32 s2, s2, s0
	s_addc_u32 s3, s3, s1
	s_lshl_b64 s[0:1], s[24:25], 2
	s_add_u32 s18, s2, s0
	s_addc_u32 s19, s3, s1
	s_ashr_i32 s0, s9, 31
	s_lshl_b32 s5, s6, 7
	s_lshr_b32 s0, s0, 26
	v_add_nc_u32_e32 v19, s5, v0
	s_add_i32 s0, s9, s0
	s_and_b32 s6, s0, 0xffffffc0
	v_cmpx_gt_i32_e64 s6, v20
	s_cbranch_execz .LBB12_23
; %bb.12:
	v_add_nc_u32_e32 v5, 0x60, v19
	v_mul_lo_u32 v3, s17, v20
	v_add_nc_u32_e32 v2, 32, v19
	v_add_nc_u32_e32 v6, 2, v20
	v_add_nc_u32_e32 v4, 64, v19
	v_cmp_gt_i32_e64 s2, s8, v5
	v_mul_lo_u32 v5, v1, s17
	v_add_nc_u32_e32 v7, 3, v20
	v_mul_lo_u32 v8, v1, s4
	v_cmp_gt_i32_e64 s0, s8, v2
	v_add3_u32 v21, v3, s17, v0
	v_mad_u64_u32 v[2:3], null, s17, v6, v[0:1]
	v_cmp_gt_i32_e64 s1, s8, v4
	v_mad_u64_u32 v[3:4], null, s17, v7, v[0:1]
	v_lshl_add_u32 v22, v5, 2, v0
	v_mad_u64_u32 v[4:5], null, s4, v20, s[4:5]
	v_mul_lo_u32 v23, s4, v6
	v_mul_lo_u32 v24, s4, v7
	v_lshlrev_b32_e32 v25, 2, v8
	v_mov_b32_e32 v15, 0
	v_mov_b32_e32 v16, 0
	;; [unrolled: 1-line block ×4, first 2 shown]
	s_lshl_b32 s21, s17, 6
	s_lshl_b32 s23, s4, 6
	s_mov_b32 s22, 0
	s_mov_b32 s24, 0
	v_cmp_gt_i32_e32 vcc_lo, s8, v19
	s_branch .LBB12_17
.LBB12_13:                              ;   in Loop: Header=BB12_17 Depth=1
	s_or_b32 exec_lo, exec_lo, s27
	s_waitcnt vmcnt(3)
	v_fmac_f32_e32 v17, v29, v41
	s_waitcnt vmcnt(2)
	v_fmac_f32_e32 v17, v28, v40
	;; [unrolled: 2-line block ×4, first 2 shown]
.LBB12_14:                              ;   in Loop: Header=BB12_17 Depth=1
	s_or_b32 exec_lo, exec_lo, s26
	s_waitcnt vmcnt(3)
	v_fmac_f32_e32 v16, v29, v37
	s_waitcnt vmcnt(2)
	v_fmac_f32_e32 v16, v28, v36
	;; [unrolled: 2-line block ×4, first 2 shown]
.LBB12_15:                              ;   in Loop: Header=BB12_17 Depth=1
	s_or_b32 exec_lo, exec_lo, s3
	s_waitcnt vmcnt(3)
	v_fmac_f32_e32 v15, v29, v33
	s_waitcnt vmcnt(2)
	v_fmac_f32_e32 v15, v28, v31
	;; [unrolled: 2-line block ×4, first 2 shown]
.LBB12_16:                              ;   in Loop: Header=BB12_17 Depth=1
	s_or_b32 exec_lo, exec_lo, s25
	v_add_nc_u32_e32 v20, 64, v20
	v_add_nc_u32_e32 v21, s21, v21
	;; [unrolled: 1-line block ×5, first 2 shown]
	v_cmp_le_i32_e64 s3, s6, v20
	s_add_i32 s24, s24, s23
	s_or_b32 s22, s3, s22
	s_andn2_b32 exec_lo, exec_lo, s22
	s_cbranch_execz .LBB12_22
.LBB12_17:                              ; =>This Inner Loop Header: Depth=1
	s_and_saveexec_b32 s25, vcc_lo
	s_cbranch_execz .LBB12_16
; %bb.18:                               ;   in Loop: Header=BB12_17 Depth=1
	v_add_nc_u32_e32 v5, s24, v25
	v_add_nc_u32_e32 v7, s24, v4
	;; [unrolled: 1-line block ×5, first 2 shown]
	v_ashrrev_i32_e32 v6, 31, v5
	v_ashrrev_i32_e32 v8, 31, v7
	;; [unrolled: 1-line block ×5, first 2 shown]
	v_lshlrev_b64 v[5:6], 2, v[5:6]
	v_lshlrev_b64 v[7:8], 2, v[7:8]
	;; [unrolled: 1-line block ×3, first 2 shown]
	v_add_co_u32 v28, s3, s18, v5
	v_add_co_ci_u32_e64 v29, null, s19, v6, s3
	v_add_co_u32 v30, s3, s18, v7
	v_add_nc_u32_e32 v7, s5, v21
	v_add_co_ci_u32_e64 v31, null, s19, v8, s3
	v_lshlrev_b64 v[5:6], 2, v[11:12]
	v_add_co_u32 v32, s3, s18, v9
	v_add_nc_u32_e32 v11, s5, v2
	v_add_co_ci_u32_e64 v33, null, s19, v10, s3
	v_lshlrev_b64 v[9:10], 2, v[26:27]
	v_add_nc_u32_e32 v26, s5, v3
	v_ashrrev_i32_e32 v8, 31, v7
	v_ashrrev_i32_e32 v12, 31, v11
	v_add_co_u32 v34, s3, s18, v5
	v_ashrrev_i32_e32 v27, 31, v26
	v_add_co_ci_u32_e64 v35, null, s19, v6, s3
	v_lshlrev_b64 v[7:8], 2, v[7:8]
	v_add_co_u32 v5, s3, s7, v9
	v_add_co_ci_u32_e64 v6, null, s16, v10, s3
	v_lshlrev_b64 v[9:10], 2, v[11:12]
	v_lshlrev_b64 v[26:27], 2, v[26:27]
	v_add_co_u32 v7, s3, s7, v7
	v_add_co_ci_u32_e64 v8, null, s16, v8, s3
	v_add_co_u32 v11, s3, s7, v9
	v_add_co_ci_u32_e64 v12, null, s16, v10, s3
	;; [unrolled: 2-line block ×3, first 2 shown]
	s_clause 0x3
	global_load_dword v29, v[28:29], off
	global_load_dword v28, v[30:31], off
	;; [unrolled: 1-line block ×4, first 2 shown]
	s_clause 0x3
	global_load_dword v33, v[5:6], off
	global_load_dword v31, v[7:8], off
	;; [unrolled: 1-line block ×4, first 2 shown]
	s_and_saveexec_b32 s3, s0
	s_cbranch_execz .LBB12_15
; %bb.19:                               ;   in Loop: Header=BB12_17 Depth=1
	s_clause 0x3
	global_load_dword v37, v[5:6], off offset:128
	global_load_dword v36, v[7:8], off offset:128
	global_load_dword v35, v[11:12], off offset:128
	global_load_dword v34, v[9:10], off offset:128
	s_and_saveexec_b32 s26, s1
	s_cbranch_execz .LBB12_14
; %bb.20:                               ;   in Loop: Header=BB12_17 Depth=1
	s_clause 0x3
	global_load_dword v41, v[5:6], off offset:256
	global_load_dword v40, v[7:8], off offset:256
	global_load_dword v39, v[11:12], off offset:256
	global_load_dword v38, v[9:10], off offset:256
	;; [unrolled: 8-line block ×3, first 2 shown]
	s_waitcnt vmcnt(3)
	v_fmac_f32_e32 v18, v29, v5
	s_waitcnt vmcnt(2)
	v_fmac_f32_e32 v18, v28, v6
	;; [unrolled: 2-line block ×4, first 2 shown]
	s_branch .LBB12_13
.LBB12_22:
	s_or_b32 exec_lo, exec_lo, s22
.LBB12_23:
	s_or_b32 exec_lo, exec_lo, s20
	s_sub_i32 s0, s9, s6
	s_cmp_lt_i32 s0, 1
	s_cbranch_scc1 .LBB12_41
; %bb.24:
	v_cmp_gt_i32_e32 vcc_lo, s9, v20
	v_mov_b32_e32 v12, 0
	v_or_b32_e32 v2, 1, v20
	v_mov_b32_e32 v21, 0
	v_mov_b32_e32 v11, 0
	;; [unrolled: 1-line block ×3, first 2 shown]
	s_and_saveexec_b32 s1, vcc_lo
	s_cbranch_execz .LBB12_32
; %bb.25:
	v_mul_lo_u32 v3, v20, s4
	v_mov_b32_e32 v11, 0
	v_mov_b32_e32 v21, 0
	;; [unrolled: 1-line block ×3, first 2 shown]
	s_mov_b32 s2, exec_lo
	v_ashrrev_i32_e32 v4, 31, v3
	v_lshlrev_b64 v[3:4], 2, v[3:4]
	v_add_co_u32 v3, s0, s18, v3
	v_add_co_ci_u32_e64 v4, null, s19, v4, s0
	global_load_dword v10, v[3:4], off
	v_cmpx_gt_i32_e64 s9, v2
	s_cbranch_execz .LBB12_31
; %bb.26:
	v_mul_lo_u32 v3, v2, s4
	v_mov_b32_e32 v21, 0
	v_mov_b32_e32 v12, 0
	s_mov_b32 s3, exec_lo
	v_ashrrev_i32_e32 v4, 31, v3
	v_lshlrev_b64 v[3:4], 2, v[3:4]
	v_add_co_u32 v3, s0, s18, v3
	v_add_co_ci_u32_e64 v4, null, s19, v4, s0
	global_load_dword v11, v[3:4], off
	v_or_b32_e32 v3, 2, v20
	v_cmpx_gt_i32_e64 s9, v3
	s_cbranch_execz .LBB12_30
; %bb.27:
	v_mul_lo_u32 v3, v3, s4
	v_mov_b32_e32 v12, 0
	s_mov_b32 s6, exec_lo
	v_ashrrev_i32_e32 v4, 31, v3
	v_lshlrev_b64 v[3:4], 2, v[3:4]
	v_add_co_u32 v3, s0, s18, v3
	v_add_co_ci_u32_e64 v4, null, s19, v4, s0
	global_load_dword v21, v[3:4], off
	v_or_b32_e32 v3, 3, v20
	v_cmpx_gt_i32_e64 s9, v3
	s_cbranch_execz .LBB12_29
; %bb.28:
	v_mul_lo_u32 v3, v3, s4
	v_ashrrev_i32_e32 v4, 31, v3
	v_lshlrev_b64 v[3:4], 2, v[3:4]
	v_add_co_u32 v3, s0, s18, v3
	v_add_co_ci_u32_e64 v4, null, s19, v4, s0
	global_load_dword v12, v[3:4], off
.LBB12_29:
	s_or_b32 exec_lo, exec_lo, s6
.LBB12_30:
	s_or_b32 exec_lo, exec_lo, s3
.LBB12_31:
	s_or_b32 exec_lo, exec_lo, s2
.LBB12_32:
	s_or_b32 exec_lo, exec_lo, s1
	s_mov_b32 s1, exec_lo
	v_cmpx_gt_i32_e64 s8, v19
	s_cbranch_execz .LBB12_40
; %bb.33:
	v_mul_lo_u32 v3, v20, s17
	v_or_b32_e32 v4, 2, v20
	v_mul_lo_u32 v5, v2, s17
	v_or_b32_e32 v6, 3, v20
	s_mov_b32 s0, exec_lo
	v_mul_lo_u32 v7, v4, s17
	v_mul_lo_u32 v8, v6, s17
	v_cndmask_b32_e32 v3, 0, v3, vcc_lo
	v_cmp_gt_i32_e32 vcc_lo, s9, v2
	v_add_nc_u32_e32 v2, v3, v19
	v_cndmask_b32_e32 v5, 0, v5, vcc_lo
	v_cmp_gt_i32_e32 vcc_lo, s9, v4
	v_ashrrev_i32_e32 v3, 31, v2
	v_add_nc_u32_e32 v4, v5, v19
	v_cndmask_b32_e32 v7, 0, v7, vcc_lo
	v_cmp_gt_i32_e32 vcc_lo, s9, v6
	v_lshlrev_b64 v[2:3], 2, v[2:3]
	v_ashrrev_i32_e32 v5, 31, v4
	v_add_nc_u32_e32 v6, v7, v19
	v_cndmask_b32_e32 v8, 0, v8, vcc_lo
	v_lshlrev_b64 v[4:5], 2, v[4:5]
	v_ashrrev_i32_e32 v7, 31, v6
	v_add_nc_u32_e32 v8, v8, v19
	v_lshlrev_b64 v[22:23], 2, v[6:7]
	v_add_co_u32 v6, vcc_lo, s7, v2
	v_add_co_ci_u32_e64 v7, null, s16, v3, vcc_lo
	v_ashrrev_i32_e32 v9, 31, v8
	v_add_co_u32 v2, vcc_lo, s7, v4
	v_add_co_ci_u32_e64 v3, null, s16, v5, vcc_lo
	global_load_dword v24, v[6:7], off
	v_add_co_u32 v4, vcc_lo, s7, v22
	v_add_co_ci_u32_e64 v5, null, s16, v23, vcc_lo
	v_lshlrev_b64 v[8:9], 2, v[8:9]
	s_clause 0x1
	global_load_dword v22, v[2:3], off
	global_load_dword v23, v[4:5], off
	v_add_co_u32 v8, vcc_lo, s7, v8
	v_add_co_ci_u32_e64 v9, null, s16, v9, vcc_lo
	global_load_dword v20, v[8:9], off
	s_waitcnt vmcnt(3)
	v_fmac_f32_e32 v15, v10, v24
	s_waitcnt vmcnt(2)
	v_fmac_f32_e32 v15, v11, v22
	v_add_nc_u32_e32 v22, 32, v19
	s_waitcnt vmcnt(1)
	v_fmac_f32_e32 v15, v21, v23
	v_cmpx_gt_i32_e64 s8, v22
	s_cbranch_execz .LBB12_39
; %bb.34:
	s_clause 0x3
	global_load_dword v23, v[6:7], off offset:128
	global_load_dword v24, v[2:3], off offset:128
	;; [unrolled: 1-line block ×4, first 2 shown]
	s_mov_b32 s2, exec_lo
	s_waitcnt vmcnt(3)
	v_fmac_f32_e32 v16, v10, v23
	v_add_nc_u32_e32 v23, 64, v19
	s_waitcnt vmcnt(2)
	v_fmac_f32_e32 v16, v11, v24
	s_waitcnt vmcnt(1)
	v_fmac_f32_e32 v16, v21, v25
	v_cmpx_gt_i32_e64 s8, v23
	s_cbranch_execz .LBB12_38
; %bb.35:
	s_clause 0x3
	global_load_dword v24, v[6:7], off offset:256
	global_load_dword v25, v[2:3], off offset:256
	;; [unrolled: 1-line block ×4, first 2 shown]
	v_add_nc_u32_e32 v19, 0x60, v19
	s_mov_b32 s3, exec_lo
	s_waitcnt vmcnt(3)
	v_fmac_f32_e32 v17, v10, v24
	s_waitcnt vmcnt(2)
	v_fmac_f32_e32 v17, v11, v25
	;; [unrolled: 2-line block ×3, first 2 shown]
	v_cmpx_gt_i32_e64 s8, v19
	s_cbranch_execz .LBB12_37
; %bb.36:
	s_clause 0x3
	global_load_dword v6, v[6:7], off offset:384
	global_load_dword v2, v[2:3], off offset:384
	;; [unrolled: 1-line block ×4, first 2 shown]
	s_waitcnt vmcnt(3)
	v_fmac_f32_e32 v18, v10, v6
	s_waitcnt vmcnt(2)
	v_fmac_f32_e32 v18, v11, v2
	;; [unrolled: 2-line block ×4, first 2 shown]
.LBB12_37:
	s_or_b32 exec_lo, exec_lo, s3
	s_waitcnt vmcnt(0)
	v_fmac_f32_e32 v17, v12, v23
.LBB12_38:
	s_or_b32 exec_lo, exec_lo, s2
	s_waitcnt vmcnt(0)
	v_fmac_f32_e32 v16, v12, v22
.LBB12_39:
	s_or_b32 exec_lo, exec_lo, s0
	s_waitcnt vmcnt(0)
	v_fmac_f32_e32 v15, v12, v20
.LBB12_40:
	s_or_b32 exec_lo, exec_lo, s1
.LBB12_41:
	v_lshlrev_b32_e32 v0, 2, v0
	s_mov_b32 s0, exec_lo
                                        ; implicit-def: $vgpr3
                                        ; implicit-def: $vgpr4_vgpr5
	v_lshl_add_u32 v1, v1, 9, v0
	ds_write2_b32 v1, v15, v16 offset1:32
	ds_write2_b32 v1, v17, v18 offset0:64 offset1:96
	s_waitcnt vmcnt(0) lgkmcnt(0)
	s_barrier
	buffer_gl0_inv
	v_cmpx_gt_u32_e32 0x80, v13
	s_cbranch_execz .LBB12_47
; %bb.42:
	v_lshl_add_u32 v6, v14, 2, v0
	s_mov_b32 s2, s14
	s_mov_b32 s1, exec_lo
	ds_read2st64_b32 v[0:1], v6 offset1:2
	ds_read2st64_b32 v[2:3], v6 offset0:4 offset1:6
	ds_read2st64_b32 v[4:5], v6 offset0:8 offset1:10
	s_waitcnt lgkmcnt(2)
	v_add_f32_e32 v7, v0, v1
	ds_read2st64_b32 v[0:1], v6 offset0:12 offset1:14
	s_waitcnt lgkmcnt(2)
	v_add_f32_e32 v2, v2, v7
	v_add_f32_e32 v7, v3, v2
	ds_read2st64_b32 v[2:3], v6 offset0:16 offset1:18
	s_waitcnt lgkmcnt(2)
	v_add_f32_e32 v4, v4, v7
	v_add_f32_e32 v7, v5, v4
	ds_read2st64_b32 v[4:5], v6 offset0:20 offset1:22
	s_waitcnt lgkmcnt(2)
	v_add_f32_e32 v0, v0, v7
	v_add_f32_e32 v0, v1, v0
	s_waitcnt lgkmcnt(1)
	v_add_f32_e32 v2, v2, v0
	ds_read2st64_b32 v[0:1], v6 offset0:24 offset1:26
	v_add_f32_e32 v2, v3, v2
	s_waitcnt lgkmcnt(1)
	v_add_f32_e32 v4, v4, v2
	ds_read2st64_b32 v[2:3], v6 offset0:28 offset1:30
	v_add_f32_e32 v4, v5, v4
	s_waitcnt lgkmcnt(1)
	v_add_f32_e32 v0, v0, v4
                                        ; implicit-def: $vgpr4_vgpr5
	v_add_f32_e32 v0, v1, v0
	v_or_b32_e32 v1, s5, v13
	s_waitcnt lgkmcnt(0)
	v_add_f32_e32 v0, v2, v0
	v_add_f32_e32 v0, v3, v0
                                        ; implicit-def: $vgpr3
	ds_write_b32 v6, v0
	v_cmpx_gt_i32_e64 s8, v1
	s_cbranch_execz .LBB12_46
; %bb.43:
	v_mul_lo_u32 v4, s15, v1
	v_cmp_eq_f32_e64 s2, s13, 0
	v_mul_f32_e32 v3, s10, v0
	s_and_b32 vcc_lo, exec_lo, s2
	v_ashrrev_i32_e32 v5, 31, v4
	s_cbranch_vccnz .LBB12_45
; %bb.44:
	v_lshlrev_b64 v[0:1], 2, v[4:5]
	v_add_co_u32 v0, vcc_lo, s11, v0
	v_add_co_ci_u32_e64 v1, null, s12, v1, vcc_lo
	global_load_dword v0, v[0:1], off
	s_waitcnt vmcnt(0)
	v_fmac_f32_e32 v3, s13, v0
.LBB12_45:
	s_or_b32 s2, s14, exec_lo
.LBB12_46:
	s_or_b32 exec_lo, exec_lo, s1
	s_andn2_b32 s1, s14, exec_lo
	s_and_b32 s2, s2, exec_lo
	s_or_b32 s14, s1, s2
.LBB12_47:
	s_or_b32 exec_lo, exec_lo, s0
.LBB12_48:
	s_and_saveexec_b32 s0, s14
	s_cbranch_execz .LBB12_50
; %bb.49:
	v_lshlrev_b64 v[0:1], 2, v[4:5]
	v_add_co_u32 v0, vcc_lo, s11, v0
	v_add_co_ci_u32_e64 v1, null, s12, v1, vcc_lo
	global_store_dword v[0:1], v3, off
.LBB12_50:
	s_endpgm
	.section	.rodata,"a",@progbits
	.p2align	6, 0x0
	.amdhsa_kernel _ZL20rocblas_gemvn_kernelILi32ELi16EifffEviiT3_lPKT2_lT1_lS3_lS4_lS0_lPT4_lS4_li
		.amdhsa_group_segment_fixed_size 8192
		.amdhsa_private_segment_fixed_size 0
		.amdhsa_kernarg_size 400
		.amdhsa_user_sgpr_count 6
		.amdhsa_user_sgpr_private_segment_buffer 1
		.amdhsa_user_sgpr_dispatch_ptr 0
		.amdhsa_user_sgpr_queue_ptr 0
		.amdhsa_user_sgpr_kernarg_segment_ptr 1
		.amdhsa_user_sgpr_dispatch_id 0
		.amdhsa_user_sgpr_flat_scratch_init 0
		.amdhsa_user_sgpr_private_segment_size 0
		.amdhsa_wavefront_size32 1
		.amdhsa_uses_dynamic_stack 0
		.amdhsa_system_sgpr_private_segment_wavefront_offset 0
		.amdhsa_system_sgpr_workgroup_id_x 1
		.amdhsa_system_sgpr_workgroup_id_y 0
		.amdhsa_system_sgpr_workgroup_id_z 1
		.amdhsa_system_sgpr_workgroup_info 0
		.amdhsa_system_vgpr_workitem_id 1
		.amdhsa_next_free_vgpr 42
		.amdhsa_next_free_sgpr 28
		.amdhsa_reserve_vcc 1
		.amdhsa_reserve_flat_scratch 0
		.amdhsa_float_round_mode_32 0
		.amdhsa_float_round_mode_16_64 0
		.amdhsa_float_denorm_mode_32 3
		.amdhsa_float_denorm_mode_16_64 3
		.amdhsa_dx10_clamp 1
		.amdhsa_ieee_mode 1
		.amdhsa_fp16_overflow 0
		.amdhsa_workgroup_processor_mode 1
		.amdhsa_memory_ordered 1
		.amdhsa_forward_progress 1
		.amdhsa_shared_vgpr_count 0
		.amdhsa_exception_fp_ieee_invalid_op 0
		.amdhsa_exception_fp_denorm_src 0
		.amdhsa_exception_fp_ieee_div_zero 0
		.amdhsa_exception_fp_ieee_overflow 0
		.amdhsa_exception_fp_ieee_underflow 0
		.amdhsa_exception_fp_ieee_inexact 0
		.amdhsa_exception_int_div_zero 0
	.end_amdhsa_kernel
	.section	.text._ZL20rocblas_gemvn_kernelILi32ELi16EifffEviiT3_lPKT2_lT1_lS3_lS4_lS0_lPT4_lS4_li,"axG",@progbits,_ZL20rocblas_gemvn_kernelILi32ELi16EifffEviiT3_lPKT2_lT1_lS3_lS4_lS0_lPT4_lS4_li,comdat
.Lfunc_end12:
	.size	_ZL20rocblas_gemvn_kernelILi32ELi16EifffEviiT3_lPKT2_lT1_lS3_lS4_lS0_lPT4_lS4_li, .Lfunc_end12-_ZL20rocblas_gemvn_kernelILi32ELi16EifffEviiT3_lPKT2_lT1_lS3_lS4_lS0_lPT4_lS4_li
                                        ; -- End function
	.set _ZL20rocblas_gemvn_kernelILi32ELi16EifffEviiT3_lPKT2_lT1_lS3_lS4_lS0_lPT4_lS4_li.num_vgpr, 42
	.set _ZL20rocblas_gemvn_kernelILi32ELi16EifffEviiT3_lPKT2_lT1_lS3_lS4_lS0_lPT4_lS4_li.num_agpr, 0
	.set _ZL20rocblas_gemvn_kernelILi32ELi16EifffEviiT3_lPKT2_lT1_lS3_lS4_lS0_lPT4_lS4_li.numbered_sgpr, 28
	.set _ZL20rocblas_gemvn_kernelILi32ELi16EifffEviiT3_lPKT2_lT1_lS3_lS4_lS0_lPT4_lS4_li.num_named_barrier, 0
	.set _ZL20rocblas_gemvn_kernelILi32ELi16EifffEviiT3_lPKT2_lT1_lS3_lS4_lS0_lPT4_lS4_li.private_seg_size, 0
	.set _ZL20rocblas_gemvn_kernelILi32ELi16EifffEviiT3_lPKT2_lT1_lS3_lS4_lS0_lPT4_lS4_li.uses_vcc, 1
	.set _ZL20rocblas_gemvn_kernelILi32ELi16EifffEviiT3_lPKT2_lT1_lS3_lS4_lS0_lPT4_lS4_li.uses_flat_scratch, 0
	.set _ZL20rocblas_gemvn_kernelILi32ELi16EifffEviiT3_lPKT2_lT1_lS3_lS4_lS0_lPT4_lS4_li.has_dyn_sized_stack, 0
	.set _ZL20rocblas_gemvn_kernelILi32ELi16EifffEviiT3_lPKT2_lT1_lS3_lS4_lS0_lPT4_lS4_li.has_recursion, 0
	.set _ZL20rocblas_gemvn_kernelILi32ELi16EifffEviiT3_lPKT2_lT1_lS3_lS4_lS0_lPT4_lS4_li.has_indirect_call, 0
	.section	.AMDGPU.csdata,"",@progbits
; Kernel info:
; codeLenInByte = 2704
; TotalNumSgprs: 30
; NumVgprs: 42
; ScratchSize: 0
; MemoryBound: 0
; FloatMode: 240
; IeeeMode: 1
; LDSByteSize: 8192 bytes/workgroup (compile time only)
; SGPRBlocks: 0
; VGPRBlocks: 5
; NumSGPRsForWavesPerEU: 30
; NumVGPRsForWavesPerEU: 42
; Occupancy: 16
; WaveLimiterHint : 1
; COMPUTE_PGM_RSRC2:SCRATCH_EN: 0
; COMPUTE_PGM_RSRC2:USER_SGPR: 6
; COMPUTE_PGM_RSRC2:TRAP_HANDLER: 0
; COMPUTE_PGM_RSRC2:TGID_X_EN: 1
; COMPUTE_PGM_RSRC2:TGID_Y_EN: 0
; COMPUTE_PGM_RSRC2:TGID_Z_EN: 1
; COMPUTE_PGM_RSRC2:TIDIG_COMP_CNT: 1
	.section	.text._ZL20rocblas_gemvn_kernelILi32ELi16ElfffEviiT3_lPKT2_lT1_lS3_lS4_lS0_lPT4_lS4_li,"axG",@progbits,_ZL20rocblas_gemvn_kernelILi32ELi16ElfffEviiT3_lPKT2_lT1_lS3_lS4_lS0_lPT4_lS4_li,comdat
	.globl	_ZL20rocblas_gemvn_kernelILi32ELi16ElfffEviiT3_lPKT2_lT1_lS3_lS4_lS0_lPT4_lS4_li ; -- Begin function _ZL20rocblas_gemvn_kernelILi32ELi16ElfffEviiT3_lPKT2_lT1_lS3_lS4_lS0_lPT4_lS4_li
	.p2align	8
	.type	_ZL20rocblas_gemvn_kernelILi32ELi16ElfffEviiT3_lPKT2_lT1_lS3_lS4_lS0_lPT4_lS4_li,@function
_ZL20rocblas_gemvn_kernelILi32ELi16ElfffEviiT3_lPKT2_lT1_lS3_lS4_lS0_lPT4_lS4_li: ; @_ZL20rocblas_gemvn_kernelILi32ELi16ElfffEviiT3_lPKT2_lT1_lS3_lS4_lS0_lPT4_lS4_li
; %bb.0:
	s_load_dwordx2 s[0:1], s[4:5], 0x9c
	s_waitcnt lgkmcnt(0)
	s_lshr_b32 s2, s0, 16
	s_and_b32 s0, s0, 0xffff
	s_and_b32 s1, s1, 0xffff
	s_mul_i32 s0, s2, s0
	s_mul_i32 s0, s0, s1
	s_cmpk_lg_i32 s0, 0x200
	s_cbranch_scc1 .LBB13_50
; %bb.1:
	s_clause 0x1
	s_load_dwordx4 s[28:31], s[4:5], 0x0
	s_load_dword s36, s[4:5], 0x58
	s_mov_b32 s37, 0
	s_waitcnt lgkmcnt(0)
	v_cmp_eq_f32_e64 s0, s30, 0
	v_cmp_eq_f32_e64 s1, s36, 1.0
	s_and_b32 s0, s0, s1
	s_and_b32 vcc_lo, exec_lo, s0
	s_cbranch_vccnz .LBB13_50
; %bb.2:
	s_load_dwordx8 s[20:27], s[4:5], 0x68
	v_lshlrev_b32_e32 v14, 5, v1
	v_add_nc_u32_e32 v13, v14, v0
	s_waitcnt lgkmcnt(0)
	s_mul_i32 s1, s27, s7
	s_mul_hi_u32 s2, s26, s7
	s_mul_i32 s0, s26, s7
	s_add_i32 s1, s2, s1
	v_cmp_neq_f32_e64 s2, s30, 0
	s_lshl_b64 s[0:1], s[0:1], 2
	s_add_u32 s3, s20, s0
	s_addc_u32 s8, s21, s1
	s_lshl_b64 s[0:1], s[22:23], 2
	s_add_u32 s31, s3, s0
	v_cmp_gt_u32_e64 s0, 0x80, v13
	s_addc_u32 s33, s8, s1
	s_and_b32 vcc_lo, exec_lo, s2
	s_cbranch_vccnz .LBB13_9
; %bb.3:
	s_mov_b32 s1, 0
                                        ; implicit-def: $vgpr3
                                        ; implicit-def: $vgpr4_vgpr5
	s_and_saveexec_b32 s2, s0
	s_cbranch_execz .LBB13_10
; %bb.4:
	v_lshl_or_b32 v2, s6, 7, v13
	v_mov_b32_e32 v3, 0
	s_ashr_i32 s9, s28, 31
	s_mov_b32 s8, s28
	s_mov_b32 s3, 0
	s_mov_b32 s0, exec_lo
                                        ; implicit-def: $vgpr4_vgpr5
	v_cmpx_gt_i64_e64 s[8:9], v[2:3]
	s_cbranch_execz .LBB13_8
; %bb.5:
	v_mad_u64_u32 v[4:5], null, s24, v2, 0
	v_cmp_eq_f32_e64 s3, s36, 0
	s_and_b32 vcc_lo, exec_lo, s3
	v_mad_u64_u32 v[5:6], null, s25, v2, v[5:6]
	s_cbranch_vccnz .LBB13_7
; %bb.6:
	v_lshlrev_b64 v[2:3], 2, v[4:5]
	v_add_co_u32 v2, vcc_lo, s31, v2
	v_add_co_ci_u32_e64 v3, null, s33, v3, vcc_lo
	global_load_dword v2, v[2:3], off
	s_waitcnt vmcnt(0)
	v_mul_f32_e32 v3, s36, v2
.LBB13_7:
	s_mov_b32 s3, exec_lo
.LBB13_8:
	s_or_b32 exec_lo, exec_lo, s0
	s_and_b32 s37, s3, exec_lo
	s_or_b32 exec_lo, exec_lo, s2
	s_and_b32 vcc_lo, exec_lo, s1
	s_cbranch_vccnz .LBB13_11
	s_branch .LBB13_48
.LBB13_9:
                                        ; implicit-def: $vgpr3
                                        ; implicit-def: $vgpr4_vgpr5
	s_cbranch_execnz .LBB13_11
	s_branch .LBB13_48
.LBB13_10:
	s_or_b32 exec_lo, exec_lo, s2
	s_and_b32 vcc_lo, exec_lo, s1
	s_cbranch_vccz .LBB13_48
.LBB13_11:
	s_load_dwordx16 s[8:23], s[4:5], 0x18
	s_ashr_i32 s0, s29, 31
	s_lshl_b32 s5, s6, 7
	s_lshr_b32 s0, s0, 26
	v_lshlrev_b32_e32 v17, 2, v1
	v_mov_b32_e32 v15, 0
	v_mov_b32_e32 v16, 0
	;; [unrolled: 1-line block ×4, first 2 shown]
	v_add_nc_u32_e32 v2, s5, v0
	s_add_i32 s38, s29, s0
	s_mov_b32 s39, exec_lo
	s_andn2_b32 s38, s38, 63
	s_waitcnt lgkmcnt(0)
	s_mul_i32 s0, s15, s7
	s_mul_hi_u32 s1, s14, s7
	s_mul_i32 s2, s23, s7
	s_mul_hi_u32 s3, s22, s7
	s_mul_i32 s14, s14, s7
	s_add_i32 s15, s1, s0
	s_add_i32 s23, s3, s2
	s_mul_i32 s22, s22, s7
	v_cmpx_gt_i32_e64 s38, v17
	s_cbranch_execz .LBB13_23
; %bb.12:
	v_lshlrev_b32_e32 v30, 2, v1
	v_mad_u64_u32 v[4:5], null, s20, v1, 0
	v_add_nc_u32_e32 v11, 32, v2
	v_add_nc_u32_e32 v12, 64, v2
	v_or_b32_e32 v15, 3, v30
	s_lshl_b64 s[0:1], s[22:23], 2
	s_lshl_b64 s[6:7], s[18:19], 2
	s_add_u32 s4, s16, s0
	s_addc_u32 s42, s17, s1
	v_mad_u64_u32 v[6:7], null, s12, v15, 0
	v_cmp_gt_i32_e64 s0, s28, v11
	v_cmp_gt_i32_e64 s1, s28, v12
	v_add_nc_u32_e32 v16, 0x60, v2
	v_or_b32_e32 v24, 2, v30
	s_lshl_b64 s[34:35], s[10:11], 2
	s_lshl_b64 s[26:27], s[20:21], 8
	v_mad_u64_u32 v[8:9], null, s21, v1, v[5:6]
	v_mad_u64_u32 v[9:10], null, s20, v15, 0
	v_cmp_gt_i32_e64 s2, s28, v16
	s_lshl_b64 s[40:41], s[14:15], 2
	v_mad_u64_u32 v[28:29], null, s20, v24, 0
	v_mov_b32_e32 v5, v8
	v_mad_u64_u32 v[7:8], null, s13, v15, v[7:8]
	v_mad_u64_u32 v[32:33], null, s12, v30, s[12:13]
	v_lshlrev_b64 v[11:12], 4, v[4:5]
	v_mov_b32_e32 v5, v10
	v_mov_b32_e32 v8, v29
	v_ashrrev_i32_e32 v3, 31, v2
	v_lshlrev_b64 v[6:7], 2, v[6:7]
	v_cmp_gt_i32_e32 vcc_lo, s28, v2
	v_add_co_u32 v20, s3, s4, v11
	v_add_co_ci_u32_e64 v21, null, s42, v12, s3
	v_mad_u64_u32 v[15:16], null, s21, v15, v[5:6]
	v_mad_u64_u32 v[11:12], null, s12, v1, 0
	s_add_u32 s3, s8, s34
	s_addc_u32 s34, s9, s35
	s_add_u32 s35, s3, s40
	s_addc_u32 s34, s34, s41
	v_mov_b32_e32 v10, v15
	v_mad_u64_u32 v[15:16], null, s12, v24, 0
	v_mov_b32_e32 v5, v12
	v_add_co_u32 v22, s3, s35, v6
	v_add_co_ci_u32_e64 v23, null, s34, v7, s3
	v_mad_u64_u32 v[18:19], null, s13, v1, v[5:6]
	v_lshlrev_b64 v[6:7], 2, v[9:10]
	v_mov_b32_e32 v5, v16
	v_lshlrev_b64 v[3:4], 2, v[2:3]
	s_mov_b32 s40, 0
	v_mad_u64_u32 v[9:10], null, s13, v24, v[5:6]
	v_mov_b32_e32 v12, v18
	v_mad_u64_u32 v[18:19], null, s20, v30, s[20:21]
	v_mad_u64_u32 v[26:27], null, s21, v24, v[8:9]
	v_add_co_u32 v24, s3, s4, v6
	v_add_co_ci_u32_e64 v25, null, s42, v7, s3
	v_lshlrev_b64 v[6:7], 4, v[11:12]
	v_mov_b32_e32 v5, v19
	v_mov_b32_e32 v16, v9
	;; [unrolled: 1-line block ×3, first 2 shown]
	v_add_co_u32 v26, s3, s35, v6
	v_mad_u64_u32 v[8:9], null, s21, v30, v[5:6]
	v_add_co_ci_u32_e64 v27, null, s34, v7, s3
	v_lshlrev_b64 v[6:7], 2, v[15:16]
	v_mov_b32_e32 v5, v33
	v_mov_b32_e32 v15, 0
	;; [unrolled: 1-line block ×4, first 2 shown]
	v_mad_u64_u32 v[9:10], null, s13, v30, v[5:6]
	v_lshlrev_b64 v[10:11], 2, v[28:29]
	v_add_co_u32 v28, s3, s35, v6
	v_lshlrev_b64 v[5:6], 2, v[18:19]
	v_add_co_ci_u32_e64 v29, null, s34, v7, s3
	v_mov_b32_e32 v33, v9
	v_add_co_u32 v30, s3, s4, v10
	v_add_co_ci_u32_e64 v31, null, s42, v11, s3
	v_lshlrev_b64 v[7:8], 2, v[32:33]
	v_add_co_u32 v32, s3, s4, v5
	v_add_co_ci_u32_e64 v33, null, s42, v6, s3
	v_mov_b32_e32 v18, 0
	v_add_co_u32 v34, s3, s35, v7
	v_add_co_ci_u32_e64 v35, null, s34, v8, s3
	v_mov_b32_e32 v19, 0
	s_lshl_b64 s[34:35], s[12:13], 8
	s_branch .LBB13_17
.LBB13_13:                              ;   in Loop: Header=BB13_17 Depth=1
	s_or_b32 exec_lo, exec_lo, s42
	s_waitcnt vmcnt(3)
	v_fmac_f32_e32 v18, v37, v51
	s_waitcnt vmcnt(2)
	v_fmac_f32_e32 v18, v36, v50
	;; [unrolled: 2-line block ×4, first 2 shown]
.LBB13_14:                              ;   in Loop: Header=BB13_17 Depth=1
	s_or_b32 exec_lo, exec_lo, s41
	s_waitcnt vmcnt(3)
	v_fmac_f32_e32 v16, v37, v47
	s_waitcnt vmcnt(2)
	v_fmac_f32_e32 v16, v36, v46
	;; [unrolled: 2-line block ×4, first 2 shown]
.LBB13_15:                              ;   in Loop: Header=BB13_17 Depth=1
	s_or_b32 exec_lo, exec_lo, s3
	s_waitcnt vmcnt(3)
	v_fmac_f32_e32 v15, v37, v43
	s_waitcnt vmcnt(2)
	v_fmac_f32_e32 v15, v36, v41
	;; [unrolled: 2-line block ×4, first 2 shown]
.LBB13_16:                              ;   in Loop: Header=BB13_17 Depth=1
	s_or_b32 exec_lo, exec_lo, s4
	v_add_co_u32 v20, s3, v20, s26
	v_add_co_ci_u32_e64 v21, null, s27, v21, s3
	v_add_co_u32 v22, s3, v22, s34
	v_add_co_ci_u32_e64 v23, null, s35, v23, s3
	v_add_co_u32 v24, s3, v24, s26
	v_add_co_ci_u32_e64 v25, null, s27, v25, s3
	v_add_co_u32 v26, s3, v26, s34
	v_add_co_ci_u32_e64 v27, null, s35, v27, s3
	v_add_co_u32 v28, s3, v28, s34
	v_add_nc_u32_e32 v17, 64, v17
	v_add_co_ci_u32_e64 v29, null, s35, v29, s3
	v_add_co_u32 v30, s3, v30, s26
	v_add_co_ci_u32_e64 v31, null, s27, v31, s3
	v_add_co_u32 v32, s3, v32, s26
	v_add_co_ci_u32_e64 v33, null, s27, v33, s3
	v_cmp_le_i32_e64 s3, s38, v17
	v_add_co_u32 v34, s4, v34, s34
	v_add_co_ci_u32_e64 v35, null, s35, v35, s4
	s_or_b32 s40, s3, s40
	s_andn2_b32 exec_lo, exec_lo, s40
	s_cbranch_execz .LBB13_22
.LBB13_17:                              ; =>This Inner Loop Header: Depth=1
	s_and_saveexec_b32 s4, vcc_lo
	s_cbranch_execz .LBB13_16
; %bb.18:                               ;   in Loop: Header=BB13_17 Depth=1
	v_add_co_u32 v5, s3, v20, s6
	v_add_co_ci_u32_e64 v6, null, s7, v21, s3
	v_add_co_u32 v7, s3, v32, s6
	v_add_co_ci_u32_e64 v8, null, s7, v33, s3
	;; [unrolled: 2-line block ×3, first 2 shown]
	v_add_co_u32 v39, s3, v24, s6
	global_load_dword v37, v[5:6], off
	global_load_dword v36, v[7:8], off
	;; [unrolled: 1-line block ×3, first 2 shown]
	v_add_co_ci_u32_e64 v40, null, s7, v25, s3
	v_add_co_u32 v5, s3, v26, v3
	v_add_co_ci_u32_e64 v6, null, v27, v4, s3
	v_add_co_u32 v7, s3, v34, v3
	;; [unrolled: 2-line block ×4, first 2 shown]
	v_add_co_ci_u32_e64 v12, null, v23, v4, s3
	global_load_dword v39, v[39:40], off
	global_load_dword v43, v[5:6], off
	;; [unrolled: 1-line block ×5, first 2 shown]
	s_and_saveexec_b32 s3, s0
	s_cbranch_execz .LBB13_15
; %bb.19:                               ;   in Loop: Header=BB13_17 Depth=1
	global_load_dword v47, v[5:6], off offset:128
	global_load_dword v46, v[7:8], off offset:128
	global_load_dword v45, v[9:10], off offset:128
	global_load_dword v44, v[11:12], off offset:128
	s_and_saveexec_b32 s41, s1
	s_cbranch_execz .LBB13_14
; %bb.20:                               ;   in Loop: Header=BB13_17 Depth=1
	global_load_dword v51, v[5:6], off offset:256
	global_load_dword v50, v[7:8], off offset:256
	global_load_dword v49, v[9:10], off offset:256
	global_load_dword v48, v[11:12], off offset:256
	;; [unrolled: 7-line block ×3, first 2 shown]
	s_waitcnt vmcnt(3)
	v_fmac_f32_e32 v19, v37, v5
	s_waitcnt vmcnt(2)
	v_fmac_f32_e32 v19, v36, v6
	;; [unrolled: 2-line block ×4, first 2 shown]
	s_branch .LBB13_13
.LBB13_22:
	s_or_b32 exec_lo, exec_lo, s40
.LBB13_23:
	s_or_b32 exec_lo, exec_lo, s39
	s_sub_i32 s0, s29, s38
	s_cmp_lt_i32 s0, 1
	s_cbranch_scc1 .LBB13_41
; %bb.24:
	v_cmp_gt_i32_e32 vcc_lo, s29, v17
	v_mov_b32_e32 v20, 0
	v_or_b32_e32 v4, 1, v17
	v_mov_b32_e32 v21, 0
	v_mov_b32_e32 v12, 0
	;; [unrolled: 1-line block ×3, first 2 shown]
	s_and_saveexec_b32 s1, vcc_lo
	s_cbranch_execz .LBB13_32
; %bb.25:
	v_mad_u64_u32 v[5:6], null, s20, v17, 0
	s_lshl_b64 s[2:3], s[22:23], 2
	v_mov_b32_e32 v12, 0
	s_add_u32 s0, s16, s2
	s_addc_u32 s2, s17, s3
	s_lshl_b64 s[6:7], s[18:19], 2
	v_mov_b32_e32 v21, 0
	v_mov_b32_e32 v3, v6
	s_add_u32 s3, s0, s6
	s_addc_u32 s4, s2, s7
	v_mov_b32_e32 v20, 0
	s_mov_b32 s2, exec_lo
	v_mad_u64_u32 v[6:7], null, s21, v17, v[3:4]
	v_lshlrev_b64 v[5:6], 2, v[5:6]
	v_add_co_u32 v5, s0, s3, v5
	v_add_co_ci_u32_e64 v6, null, s4, v6, s0
	global_load_dword v11, v[5:6], off
	v_cmpx_gt_i32_e64 s29, v4
	s_cbranch_execz .LBB13_31
; %bb.26:
	v_mad_u64_u32 v[5:6], null, s20, v4, 0
	v_mov_b32_e32 v21, 0
	v_mov_b32_e32 v20, 0
	s_mov_b32 s6, exec_lo
	v_mov_b32_e32 v3, v6
	v_mad_u64_u32 v[6:7], null, s21, v4, v[3:4]
	v_or_b32_e32 v3, 2, v17
	v_lshlrev_b64 v[5:6], 2, v[5:6]
	v_add_co_u32 v5, s0, s3, v5
	v_add_co_ci_u32_e64 v6, null, s4, v6, s0
	global_load_dword v12, v[5:6], off
	v_cmpx_gt_i32_e64 s29, v3
	s_cbranch_execz .LBB13_30
; %bb.27:
	v_mad_u64_u32 v[5:6], null, s20, v3, 0
	v_mov_b32_e32 v20, 0
	s_mov_b32 s7, exec_lo
	v_mad_u64_u32 v[6:7], null, s21, v3, v[6:7]
	v_or_b32_e32 v3, 3, v17
	v_lshlrev_b64 v[5:6], 2, v[5:6]
	v_add_co_u32 v5, s0, s3, v5
	v_add_co_ci_u32_e64 v6, null, s4, v6, s0
	global_load_dword v21, v[5:6], off
	v_cmpx_gt_i32_e64 s29, v3
	s_cbranch_execz .LBB13_29
; %bb.28:
	v_mad_u64_u32 v[5:6], null, s20, v3, 0
	v_mad_u64_u32 v[6:7], null, s21, v3, v[6:7]
	v_lshlrev_b64 v[5:6], 2, v[5:6]
	v_add_co_u32 v5, s0, s3, v5
	v_add_co_ci_u32_e64 v6, null, s4, v6, s0
	global_load_dword v20, v[5:6], off
.LBB13_29:
	s_or_b32 exec_lo, exec_lo, s7
.LBB13_30:
	s_or_b32 exec_lo, exec_lo, s6
.LBB13_31:
	s_or_b32 exec_lo, exec_lo, s2
.LBB13_32:
	s_or_b32 exec_lo, exec_lo, s1
	s_mov_b32 s1, exec_lo
	v_cmpx_gt_i32_e64 s28, v2
	s_cbranch_execz .LBB13_40
; %bb.33:
	v_mad_u64_u32 v[5:6], null, s12, v17, 0
	v_mad_u64_u32 v[7:8], null, s12, v4, 0
	v_ashrrev_i32_e32 v3, 31, v2
	v_or_b32_e32 v29, 2, v17
	s_lshl_b64 s[2:3], s[14:15], 2
	s_add_u32 s0, s8, s2
	v_lshlrev_b64 v[22:23], 2, v[2:3]
	v_mad_u64_u32 v[9:10], null, s13, v17, v[6:7]
	v_mov_b32_e32 v3, v8
	v_cndmask_b32_e32 v5, 0, v5, vcc_lo
	v_or_b32_e32 v17, 3, v17
	v_mad_u64_u32 v[24:25], null, s12, v29, 0
	v_mad_u64_u32 v[26:27], null, s13, v4, v[3:4]
	v_cndmask_b32_e32 v6, 0, v9, vcc_lo
	v_cmp_gt_i32_e32 vcc_lo, s29, v4
	s_addc_u32 s4, s9, s3
	s_lshl_b64 s[2:3], s[10:11], 2
	v_mad_u64_u32 v[8:9], null, s12, v17, 0
	v_lshlrev_b64 v[5:6], 2, v[5:6]
	v_cndmask_b32_e32 v27, 0, v7, vcc_lo
	v_cndmask_b32_e32 v28, 0, v26, vcc_lo
	s_add_u32 s2, s0, s2
	v_mov_b32_e32 v7, v25
	s_addc_u32 s3, s4, s3
	v_add_co_u32 v3, s0, s2, v5
	v_add_co_ci_u32_e64 v4, null, s3, v6, s0
	v_lshlrev_b64 v[5:6], 2, v[27:28]
	v_mad_u64_u32 v[25:26], null, s13, v29, v[7:8]
	v_add_co_u32 v3, vcc_lo, v3, v22
	v_add_co_ci_u32_e64 v4, null, v4, v23, vcc_lo
	v_cmp_gt_i32_e32 vcc_lo, s29, v29
	v_mov_b32_e32 v7, v9
	v_add_co_u32 v5, s0, s2, v5
	v_add_co_ci_u32_e64 v6, null, s3, v6, s0
	v_cndmask_b32_e32 v9, 0, v24, vcc_lo
	v_cndmask_b32_e32 v10, 0, v25, vcc_lo
	v_mad_u64_u32 v[24:25], null, s13, v17, v[7:8]
	v_add_co_u32 v5, vcc_lo, v5, v22
	v_add_co_ci_u32_e64 v6, null, v6, v23, vcc_lo
	v_cmp_gt_i32_e32 vcc_lo, s29, v17
	v_lshlrev_b64 v[9:10], 2, v[9:10]
	s_clause 0x1
	global_load_dword v25, v[3:4], off
	global_load_dword v26, v[5:6], off
	s_mov_b32 s0, exec_lo
	v_cndmask_b32_e32 v7, 0, v8, vcc_lo
	v_cndmask_b32_e32 v8, 0, v24, vcc_lo
	v_add_co_u32 v17, vcc_lo, s2, v9
	v_add_co_ci_u32_e64 v24, null, s3, v10, vcc_lo
	v_lshlrev_b64 v[9:10], 2, v[7:8]
	v_add_co_u32 v7, vcc_lo, v17, v22
	v_add_co_ci_u32_e64 v8, null, v24, v23, vcc_lo
	v_add_co_u32 v9, vcc_lo, s2, v9
	v_add_co_ci_u32_e64 v10, null, s3, v10, vcc_lo
	global_load_dword v24, v[7:8], off
	v_add_co_u32 v9, vcc_lo, v9, v22
	v_add_co_ci_u32_e64 v10, null, v10, v23, vcc_lo
	v_add_nc_u32_e32 v22, 32, v2
	global_load_dword v17, v[9:10], off
	s_waitcnt vmcnt(3)
	v_fmac_f32_e32 v15, v11, v25
	s_waitcnt vmcnt(2)
	v_fmac_f32_e32 v15, v12, v26
	;; [unrolled: 2-line block ×3, first 2 shown]
	v_cmpx_gt_i32_e64 s28, v22
	s_cbranch_execz .LBB13_39
; %bb.34:
	s_clause 0x3
	global_load_dword v23, v[3:4], off offset:128
	global_load_dword v24, v[5:6], off offset:128
	;; [unrolled: 1-line block ×4, first 2 shown]
	s_mov_b32 s2, exec_lo
	s_waitcnt vmcnt(3)
	v_fmac_f32_e32 v16, v11, v23
	v_add_nc_u32_e32 v23, 64, v2
	s_waitcnt vmcnt(2)
	v_fmac_f32_e32 v16, v12, v24
	s_waitcnt vmcnt(1)
	v_fmac_f32_e32 v16, v21, v25
	v_cmpx_gt_i32_e64 s28, v23
	s_cbranch_execz .LBB13_38
; %bb.35:
	s_clause 0x3
	global_load_dword v24, v[3:4], off offset:256
	global_load_dword v25, v[5:6], off offset:256
	;; [unrolled: 1-line block ×4, first 2 shown]
	v_add_nc_u32_e32 v2, 0x60, v2
	s_mov_b32 s3, exec_lo
	s_waitcnt vmcnt(3)
	v_fmac_f32_e32 v18, v11, v24
	s_waitcnt vmcnt(2)
	v_fmac_f32_e32 v18, v12, v25
	;; [unrolled: 2-line block ×3, first 2 shown]
	v_cmpx_gt_i32_e64 s28, v2
	s_cbranch_execz .LBB13_37
; %bb.36:
	s_clause 0x3
	global_load_dword v2, v[3:4], off offset:384
	global_load_dword v3, v[5:6], off offset:384
	;; [unrolled: 1-line block ×4, first 2 shown]
	s_waitcnt vmcnt(3)
	v_fmac_f32_e32 v19, v11, v2
	s_waitcnt vmcnt(2)
	v_fmac_f32_e32 v19, v12, v3
	;; [unrolled: 2-line block ×4, first 2 shown]
.LBB13_37:
	s_or_b32 exec_lo, exec_lo, s3
	s_waitcnt vmcnt(0)
	v_fmac_f32_e32 v18, v20, v23
.LBB13_38:
	s_or_b32 exec_lo, exec_lo, s2
	s_waitcnt vmcnt(0)
	v_fmac_f32_e32 v16, v20, v22
.LBB13_39:
	s_or_b32 exec_lo, exec_lo, s0
	s_waitcnt vmcnt(0)
	v_fmac_f32_e32 v15, v20, v17
.LBB13_40:
	s_or_b32 exec_lo, exec_lo, s1
.LBB13_41:
	v_lshlrev_b32_e32 v0, 2, v0
	s_mov_b32 s0, exec_lo
                                        ; implicit-def: $vgpr3
                                        ; implicit-def: $vgpr4_vgpr5
	v_lshl_add_u32 v1, v1, 9, v0
	ds_write2_b32 v1, v15, v16 offset1:32
	ds_write2_b32 v1, v18, v19 offset0:64 offset1:96
	s_waitcnt vmcnt(0) lgkmcnt(0)
	s_barrier
	buffer_gl0_inv
	v_cmpx_gt_u32_e32 0x80, v13
	s_cbranch_execz .LBB13_47
; %bb.42:
	v_lshl_add_u32 v6, v14, 2, v0
	s_mov_b32 s2, s37
	s_mov_b32 s1, exec_lo
	ds_read2st64_b32 v[0:1], v6 offset1:2
	ds_read2st64_b32 v[2:3], v6 offset0:4 offset1:6
	ds_read2st64_b32 v[4:5], v6 offset0:8 offset1:10
	s_waitcnt lgkmcnt(2)
	v_add_f32_e32 v7, v0, v1
	ds_read2st64_b32 v[0:1], v6 offset0:12 offset1:14
	s_waitcnt lgkmcnt(2)
	v_add_f32_e32 v2, v2, v7
	v_add_f32_e32 v7, v3, v2
	ds_read2st64_b32 v[2:3], v6 offset0:16 offset1:18
	s_waitcnt lgkmcnt(2)
	v_add_f32_e32 v4, v4, v7
	;; [unrolled: 4-line block ×3, first 2 shown]
	v_add_f32_e32 v0, v1, v0
	s_waitcnt lgkmcnt(1)
	v_add_f32_e32 v2, v2, v0
	ds_read2st64_b32 v[0:1], v6 offset0:24 offset1:26
	v_add_f32_e32 v2, v3, v2
	s_waitcnt lgkmcnt(1)
	v_add_f32_e32 v4, v4, v2
	ds_read2st64_b32 v[2:3], v6 offset0:28 offset1:30
	v_add_f32_e32 v4, v5, v4
	s_waitcnt lgkmcnt(1)
	v_add_f32_e32 v0, v0, v4
                                        ; implicit-def: $vgpr4_vgpr5
	v_add_f32_e32 v0, v1, v0
	v_or_b32_e32 v1, s5, v13
	s_waitcnt lgkmcnt(0)
	v_add_f32_e32 v0, v2, v0
	v_add_f32_e32 v0, v3, v0
                                        ; implicit-def: $vgpr3
	ds_write_b32 v6, v0
	v_cmpx_gt_i32_e64 s28, v1
	s_cbranch_execz .LBB13_46
; %bb.43:
	v_ashrrev_i32_e32 v2, 31, v1
	v_mul_lo_u32 v6, s25, v1
	v_mad_u64_u32 v[4:5], null, s24, v1, 0
	v_cmp_eq_f32_e64 s2, s36, 0
	v_mul_lo_u32 v1, s24, v2
	v_mul_f32_e32 v3, s30, v0
	s_and_b32 vcc_lo, exec_lo, s2
	v_add3_u32 v5, v5, v1, v6
	s_cbranch_vccnz .LBB13_45
; %bb.44:
	v_lshlrev_b64 v[0:1], 2, v[4:5]
	v_add_co_u32 v0, vcc_lo, s31, v0
	v_add_co_ci_u32_e64 v1, null, s33, v1, vcc_lo
	global_load_dword v0, v[0:1], off
	s_waitcnt vmcnt(0)
	v_fmac_f32_e32 v3, s36, v0
.LBB13_45:
	s_or_b32 s2, s37, exec_lo
.LBB13_46:
	s_or_b32 exec_lo, exec_lo, s1
	s_andn2_b32 s1, s37, exec_lo
	s_and_b32 s2, s2, exec_lo
	s_or_b32 s37, s1, s2
.LBB13_47:
	s_or_b32 exec_lo, exec_lo, s0
.LBB13_48:
	s_and_saveexec_b32 s0, s37
	s_cbranch_execz .LBB13_50
; %bb.49:
	v_lshlrev_b64 v[0:1], 2, v[4:5]
	v_add_co_u32 v0, vcc_lo, s31, v0
	v_add_co_ci_u32_e64 v1, null, s33, v1, vcc_lo
	global_store_dword v[0:1], v3, off
.LBB13_50:
	s_endpgm
	.section	.rodata,"a",@progbits
	.p2align	6, 0x0
	.amdhsa_kernel _ZL20rocblas_gemvn_kernelILi32ELi16ElfffEviiT3_lPKT2_lT1_lS3_lS4_lS0_lPT4_lS4_li
		.amdhsa_group_segment_fixed_size 8192
		.amdhsa_private_segment_fixed_size 0
		.amdhsa_kernarg_size 400
		.amdhsa_user_sgpr_count 6
		.amdhsa_user_sgpr_private_segment_buffer 1
		.amdhsa_user_sgpr_dispatch_ptr 0
		.amdhsa_user_sgpr_queue_ptr 0
		.amdhsa_user_sgpr_kernarg_segment_ptr 1
		.amdhsa_user_sgpr_dispatch_id 0
		.amdhsa_user_sgpr_flat_scratch_init 0
		.amdhsa_user_sgpr_private_segment_size 0
		.amdhsa_wavefront_size32 1
		.amdhsa_uses_dynamic_stack 0
		.amdhsa_system_sgpr_private_segment_wavefront_offset 0
		.amdhsa_system_sgpr_workgroup_id_x 1
		.amdhsa_system_sgpr_workgroup_id_y 0
		.amdhsa_system_sgpr_workgroup_id_z 1
		.amdhsa_system_sgpr_workgroup_info 0
		.amdhsa_system_vgpr_workitem_id 1
		.amdhsa_next_free_vgpr 52
		.amdhsa_next_free_sgpr 43
		.amdhsa_reserve_vcc 1
		.amdhsa_reserve_flat_scratch 0
		.amdhsa_float_round_mode_32 0
		.amdhsa_float_round_mode_16_64 0
		.amdhsa_float_denorm_mode_32 3
		.amdhsa_float_denorm_mode_16_64 3
		.amdhsa_dx10_clamp 1
		.amdhsa_ieee_mode 1
		.amdhsa_fp16_overflow 0
		.amdhsa_workgroup_processor_mode 1
		.amdhsa_memory_ordered 1
		.amdhsa_forward_progress 1
		.amdhsa_shared_vgpr_count 0
		.amdhsa_exception_fp_ieee_invalid_op 0
		.amdhsa_exception_fp_denorm_src 0
		.amdhsa_exception_fp_ieee_div_zero 0
		.amdhsa_exception_fp_ieee_overflow 0
		.amdhsa_exception_fp_ieee_underflow 0
		.amdhsa_exception_fp_ieee_inexact 0
		.amdhsa_exception_int_div_zero 0
	.end_amdhsa_kernel
	.section	.text._ZL20rocblas_gemvn_kernelILi32ELi16ElfffEviiT3_lPKT2_lT1_lS3_lS4_lS0_lPT4_lS4_li,"axG",@progbits,_ZL20rocblas_gemvn_kernelILi32ELi16ElfffEviiT3_lPKT2_lT1_lS3_lS4_lS0_lPT4_lS4_li,comdat
.Lfunc_end13:
	.size	_ZL20rocblas_gemvn_kernelILi32ELi16ElfffEviiT3_lPKT2_lT1_lS3_lS4_lS0_lPT4_lS4_li, .Lfunc_end13-_ZL20rocblas_gemvn_kernelILi32ELi16ElfffEviiT3_lPKT2_lT1_lS3_lS4_lS0_lPT4_lS4_li
                                        ; -- End function
	.set _ZL20rocblas_gemvn_kernelILi32ELi16ElfffEviiT3_lPKT2_lT1_lS3_lS4_lS0_lPT4_lS4_li.num_vgpr, 52
	.set _ZL20rocblas_gemvn_kernelILi32ELi16ElfffEviiT3_lPKT2_lT1_lS3_lS4_lS0_lPT4_lS4_li.num_agpr, 0
	.set _ZL20rocblas_gemvn_kernelILi32ELi16ElfffEviiT3_lPKT2_lT1_lS3_lS4_lS0_lPT4_lS4_li.numbered_sgpr, 43
	.set _ZL20rocblas_gemvn_kernelILi32ELi16ElfffEviiT3_lPKT2_lT1_lS3_lS4_lS0_lPT4_lS4_li.num_named_barrier, 0
	.set _ZL20rocblas_gemvn_kernelILi32ELi16ElfffEviiT3_lPKT2_lT1_lS3_lS4_lS0_lPT4_lS4_li.private_seg_size, 0
	.set _ZL20rocblas_gemvn_kernelILi32ELi16ElfffEviiT3_lPKT2_lT1_lS3_lS4_lS0_lPT4_lS4_li.uses_vcc, 1
	.set _ZL20rocblas_gemvn_kernelILi32ELi16ElfffEviiT3_lPKT2_lT1_lS3_lS4_lS0_lPT4_lS4_li.uses_flat_scratch, 0
	.set _ZL20rocblas_gemvn_kernelILi32ELi16ElfffEviiT3_lPKT2_lT1_lS3_lS4_lS0_lPT4_lS4_li.has_dyn_sized_stack, 0
	.set _ZL20rocblas_gemvn_kernelILi32ELi16ElfffEviiT3_lPKT2_lT1_lS3_lS4_lS0_lPT4_lS4_li.has_recursion, 0
	.set _ZL20rocblas_gemvn_kernelILi32ELi16ElfffEviiT3_lPKT2_lT1_lS3_lS4_lS0_lPT4_lS4_li.has_indirect_call, 0
	.section	.AMDGPU.csdata,"",@progbits
; Kernel info:
; codeLenInByte = 3084
; TotalNumSgprs: 45
; NumVgprs: 52
; ScratchSize: 0
; MemoryBound: 0
; FloatMode: 240
; IeeeMode: 1
; LDSByteSize: 8192 bytes/workgroup (compile time only)
; SGPRBlocks: 0
; VGPRBlocks: 6
; NumSGPRsForWavesPerEU: 45
; NumVGPRsForWavesPerEU: 52
; Occupancy: 16
; WaveLimiterHint : 1
; COMPUTE_PGM_RSRC2:SCRATCH_EN: 0
; COMPUTE_PGM_RSRC2:USER_SGPR: 6
; COMPUTE_PGM_RSRC2:TRAP_HANDLER: 0
; COMPUTE_PGM_RSRC2:TGID_X_EN: 1
; COMPUTE_PGM_RSRC2:TGID_Y_EN: 0
; COMPUTE_PGM_RSRC2:TGID_Z_EN: 1
; COMPUTE_PGM_RSRC2:TIDIG_COMP_CNT: 1
	.section	.text._ZL20rocblas_gemvn_kernelILi64ELi16EifPKffEviiT3_lPKT2_lT1_lS5_lS6_lS2_lPT4_lS6_li,"axG",@progbits,_ZL20rocblas_gemvn_kernelILi64ELi16EifPKffEviiT3_lPKT2_lT1_lS5_lS6_lS2_lPT4_lS6_li,comdat
	.globl	_ZL20rocblas_gemvn_kernelILi64ELi16EifPKffEviiT3_lPKT2_lT1_lS5_lS6_lS2_lPT4_lS6_li ; -- Begin function _ZL20rocblas_gemvn_kernelILi64ELi16EifPKffEviiT3_lPKT2_lT1_lS5_lS6_lS2_lPT4_lS6_li
	.p2align	8
	.type	_ZL20rocblas_gemvn_kernelILi64ELi16EifPKffEviiT3_lPKT2_lT1_lS5_lS6_lS2_lPT4_lS6_li,@function
_ZL20rocblas_gemvn_kernelILi64ELi16EifPKffEviiT3_lPKT2_lT1_lS5_lS6_lS2_lPT4_lS6_li: ; @_ZL20rocblas_gemvn_kernelILi64ELi16EifPKffEviiT3_lPKT2_lT1_lS5_lS6_lS2_lPT4_lS6_li
; %bb.0:
	s_load_dwordx2 s[0:1], s[4:5], 0x9c
	s_waitcnt lgkmcnt(0)
	s_lshr_b32 s2, s0, 16
	s_and_b32 s0, s0, 0xffff
	s_and_b32 s1, s1, 0xffff
	s_mul_i32 s0, s2, s0
	s_mul_i32 s0, s0, s1
	s_cmpk_lg_i32 s0, 0x400
	s_cbranch_scc1 .LBB14_50
; %bb.1:
	s_clause 0x1
	s_load_dwordx8 s[16:23], s[4:5], 0x8
	s_load_dwordx8 s[8:15], s[4:5], 0x50
	s_waitcnt lgkmcnt(0)
	s_mul_i32 s1, s19, s7
	s_mul_hi_u32 s2, s18, s7
	s_mul_i32 s0, s18, s7
	s_add_i32 s1, s2, s1
	s_mul_i32 s2, s13, s7
	s_lshl_b64 s[0:1], s[0:1], 2
	s_mul_hi_u32 s3, s12, s7
	s_add_u32 s0, s16, s0
	s_addc_u32 s1, s17, s1
	s_add_i32 s3, s3, s2
	s_mul_i32 s2, s12, s7
	s_mov_b32 s18, 0
	s_lshl_b64 s[2:3], s[2:3], 2
	s_add_u32 s2, s10, s2
	s_addc_u32 s3, s11, s3
	s_load_dword s17, s[0:1], 0x0
	s_load_dword s16, s[2:3], 0x0
	s_waitcnt lgkmcnt(0)
	v_cmp_eq_f32_e64 s0, s17, 0
	v_cmp_eq_f32_e64 s1, s16, 1.0
	s_and_b32 s0, s0, s1
	s_and_b32 vcc_lo, exec_lo, s0
	s_cbranch_vccnz .LBB14_50
; %bb.2:
	s_clause 0x3
	s_load_dwordx2 s[0:1], s[4:5], 0x80
	s_load_dwordx2 s[2:3], s[4:5], 0x70
	s_load_dword s19, s[4:5], 0x78
	s_load_dwordx2 s[10:11], s[4:5], 0x0
	v_lshlrev_b32_e32 v14, 6, v1
	v_cmp_neq_f32_e64 s24, s17, 0
	v_add_nc_u32_e32 v13, v14, v0
	s_waitcnt lgkmcnt(0)
	s_mul_i32 s1, s1, s7
	s_mul_hi_u32 s12, s0, s7
	s_mul_i32 s0, s0, s7
	s_add_i32 s1, s12, s1
	s_lshl_b64 s[0:1], s[0:1], 2
	s_add_u32 s12, s14, s0
	s_addc_u32 s13, s15, s1
	s_lshl_b64 s[0:1], s[2:3], 2
	s_add_u32 s12, s12, s0
	v_cmp_gt_u32_e64 s0, 0x100, v13
	s_addc_u32 s13, s13, s1
	s_and_b32 vcc_lo, exec_lo, s24
	s_cbranch_vccnz .LBB14_9
; %bb.3:
	s_mov_b32 s1, 0
                                        ; implicit-def: $vgpr3
                                        ; implicit-def: $vgpr4_vgpr5
	s_and_saveexec_b32 s2, s0
	s_cbranch_execz .LBB14_10
; %bb.4:
	v_lshl_or_b32 v2, s6, 8, v13
	v_mov_b32_e32 v3, 0
	s_ashr_i32 s15, s10, 31
	s_mov_b32 s14, s10
	s_mov_b32 s3, 0
	s_mov_b32 s0, exec_lo
                                        ; implicit-def: $vgpr4_vgpr5
	v_cmpx_gt_i64_e64 s[14:15], v[2:3]
	s_cbranch_execz .LBB14_8
; %bb.5:
	v_mad_u64_u32 v[4:5], null, s19, v2, 0
	s_ashr_i32 s3, s19, 31
	v_mad_u64_u32 v[5:6], null, s3, v2, v[5:6]
	v_cmp_eq_f32_e64 s3, s16, 0
	s_and_b32 vcc_lo, exec_lo, s3
	s_cbranch_vccnz .LBB14_7
; %bb.6:
	v_lshlrev_b64 v[2:3], 2, v[4:5]
	v_add_co_u32 v2, vcc_lo, s12, v2
	v_add_co_ci_u32_e64 v3, null, s13, v3, vcc_lo
	global_load_dword v2, v[2:3], off
	s_waitcnt vmcnt(0)
	v_mul_f32_e32 v3, s16, v2
.LBB14_7:
	s_mov_b32 s3, exec_lo
.LBB14_8:
	s_or_b32 exec_lo, exec_lo, s0
	s_and_b32 s18, s3, exec_lo
	s_or_b32 exec_lo, exec_lo, s2
	s_and_b32 vcc_lo, exec_lo, s1
	s_cbranch_vccnz .LBB14_11
	s_branch .LBB14_48
.LBB14_9:
                                        ; implicit-def: $vgpr3
                                        ; implicit-def: $vgpr4_vgpr5
	s_cbranch_execnz .LBB14_11
	s_branch .LBB14_48
.LBB14_10:
	s_or_b32 exec_lo, exec_lo, s2
	s_and_b32 vcc_lo, exec_lo, s1
	s_cbranch_vccz .LBB14_48
.LBB14_11:
	s_clause 0x3
	s_load_dwordx4 s[0:3], s[4:5], 0x30
	s_load_dword s14, s[4:5], 0x28
	s_load_dwordx2 s[24:25], s[4:5], 0x40
	s_load_dword s4, s[4:5], 0x48
	s_mul_i32 s9, s9, s7
	v_lshlrev_b32_e32 v20, 2, v1
	v_mov_b32_e32 v15, 0
	v_mov_b32_e32 v16, 0
	v_mov_b32_e32 v17, 0
	v_mov_b32_e32 v18, 0
	s_waitcnt lgkmcnt(0)
	s_mul_i32 s1, s1, s7
	s_mul_hi_u32 s15, s0, s7
	s_mul_i32 s0, s0, s7
	s_add_i32 s1, s15, s1
	s_mul_hi_u32 s15, s8, s7
	s_lshl_b64 s[0:1], s[0:1], 2
	s_add_u32 s26, s20, s0
	s_addc_u32 s21, s21, s1
	s_lshl_b64 s[0:1], s[22:23], 2
	s_mul_i32 s20, s8, s7
	s_add_u32 s7, s26, s0
	s_addc_u32 s8, s21, s1
	s_add_i32 s21, s15, s9
	s_lshl_b64 s[0:1], s[20:21], 2
	s_mov_b32 s20, exec_lo
	s_add_u32 s2, s2, s0
	s_addc_u32 s3, s3, s1
	s_lshl_b64 s[0:1], s[24:25], 2
	s_add_u32 s9, s2, s0
	s_addc_u32 s15, s3, s1
	s_ashr_i32 s0, s11, 31
	s_lshl_b32 s5, s6, 8
	s_lshr_b32 s0, s0, 26
	v_add_nc_u32_e32 v19, s5, v0
	s_add_i32 s0, s11, s0
	s_and_b32 s6, s0, 0xffffffc0
	v_cmpx_gt_i32_e64 s6, v20
	s_cbranch_execz .LBB14_23
; %bb.12:
	v_add_nc_u32_e32 v5, 0xc0, v19
	v_mul_lo_u32 v3, s14, v20
	v_add_nc_u32_e32 v2, 64, v19
	v_add_nc_u32_e32 v6, 2, v20
	;; [unrolled: 1-line block ×3, first 2 shown]
	v_cmp_gt_i32_e64 s2, s10, v5
	v_mul_lo_u32 v5, v1, s14
	v_add_nc_u32_e32 v7, 3, v20
	v_mul_lo_u32 v8, v1, s4
	v_cmp_gt_i32_e64 s0, s10, v2
	v_add3_u32 v21, v3, s14, v0
	v_mad_u64_u32 v[2:3], null, s14, v6, v[0:1]
	v_cmp_gt_i32_e64 s1, s10, v4
	v_mad_u64_u32 v[3:4], null, s14, v7, v[0:1]
	v_lshl_add_u32 v22, v5, 2, v0
	v_mad_u64_u32 v[4:5], null, s4, v20, s[4:5]
	v_mul_lo_u32 v23, s4, v6
	v_mul_lo_u32 v24, s4, v7
	v_lshlrev_b32_e32 v25, 2, v8
	v_mov_b32_e32 v15, 0
	v_mov_b32_e32 v16, 0
	;; [unrolled: 1-line block ×4, first 2 shown]
	s_lshl_b32 s21, s14, 6
	s_lshl_b32 s23, s4, 6
	s_mov_b32 s22, 0
	s_mov_b32 s24, 0
	v_cmp_gt_i32_e32 vcc_lo, s10, v19
	s_branch .LBB14_17
.LBB14_13:                              ;   in Loop: Header=BB14_17 Depth=1
	s_or_b32 exec_lo, exec_lo, s27
	s_waitcnt vmcnt(3)
	v_fmac_f32_e32 v17, v29, v41
	s_waitcnt vmcnt(2)
	v_fmac_f32_e32 v17, v28, v40
	;; [unrolled: 2-line block ×4, first 2 shown]
.LBB14_14:                              ;   in Loop: Header=BB14_17 Depth=1
	s_or_b32 exec_lo, exec_lo, s26
	s_waitcnt vmcnt(3)
	v_fmac_f32_e32 v16, v29, v37
	s_waitcnt vmcnt(2)
	v_fmac_f32_e32 v16, v28, v36
	;; [unrolled: 2-line block ×4, first 2 shown]
.LBB14_15:                              ;   in Loop: Header=BB14_17 Depth=1
	s_or_b32 exec_lo, exec_lo, s3
	s_waitcnt vmcnt(3)
	v_fmac_f32_e32 v15, v29, v33
	s_waitcnt vmcnt(2)
	v_fmac_f32_e32 v15, v28, v31
	;; [unrolled: 2-line block ×4, first 2 shown]
.LBB14_16:                              ;   in Loop: Header=BB14_17 Depth=1
	s_or_b32 exec_lo, exec_lo, s25
	v_add_nc_u32_e32 v20, 64, v20
	v_add_nc_u32_e32 v21, s21, v21
	;; [unrolled: 1-line block ×5, first 2 shown]
	v_cmp_le_i32_e64 s3, s6, v20
	s_add_i32 s24, s24, s23
	s_or_b32 s22, s3, s22
	s_andn2_b32 exec_lo, exec_lo, s22
	s_cbranch_execz .LBB14_22
.LBB14_17:                              ; =>This Inner Loop Header: Depth=1
	s_and_saveexec_b32 s25, vcc_lo
	s_cbranch_execz .LBB14_16
; %bb.18:                               ;   in Loop: Header=BB14_17 Depth=1
	v_add_nc_u32_e32 v5, s24, v25
	v_add_nc_u32_e32 v7, s24, v4
	;; [unrolled: 1-line block ×5, first 2 shown]
	v_ashrrev_i32_e32 v6, 31, v5
	v_ashrrev_i32_e32 v8, 31, v7
	;; [unrolled: 1-line block ×5, first 2 shown]
	v_lshlrev_b64 v[5:6], 2, v[5:6]
	v_lshlrev_b64 v[7:8], 2, v[7:8]
	;; [unrolled: 1-line block ×3, first 2 shown]
	v_add_co_u32 v28, s3, s9, v5
	v_add_co_ci_u32_e64 v29, null, s15, v6, s3
	v_add_co_u32 v30, s3, s9, v7
	v_add_nc_u32_e32 v7, s5, v21
	v_add_co_ci_u32_e64 v31, null, s15, v8, s3
	v_lshlrev_b64 v[5:6], 2, v[11:12]
	v_add_co_u32 v32, s3, s9, v9
	v_add_nc_u32_e32 v11, s5, v2
	v_add_co_ci_u32_e64 v33, null, s15, v10, s3
	v_lshlrev_b64 v[9:10], 2, v[26:27]
	v_add_nc_u32_e32 v26, s5, v3
	v_ashrrev_i32_e32 v8, 31, v7
	v_ashrrev_i32_e32 v12, 31, v11
	v_add_co_u32 v34, s3, s9, v5
	v_ashrrev_i32_e32 v27, 31, v26
	v_add_co_ci_u32_e64 v35, null, s15, v6, s3
	v_lshlrev_b64 v[7:8], 2, v[7:8]
	v_add_co_u32 v5, s3, s7, v9
	v_add_co_ci_u32_e64 v6, null, s8, v10, s3
	v_lshlrev_b64 v[9:10], 2, v[11:12]
	v_lshlrev_b64 v[26:27], 2, v[26:27]
	v_add_co_u32 v7, s3, s7, v7
	v_add_co_ci_u32_e64 v8, null, s8, v8, s3
	v_add_co_u32 v11, s3, s7, v9
	v_add_co_ci_u32_e64 v12, null, s8, v10, s3
	;; [unrolled: 2-line block ×3, first 2 shown]
	s_clause 0x3
	global_load_dword v29, v[28:29], off
	global_load_dword v28, v[30:31], off
	;; [unrolled: 1-line block ×4, first 2 shown]
	s_clause 0x3
	global_load_dword v33, v[5:6], off
	global_load_dword v31, v[7:8], off
	;; [unrolled: 1-line block ×4, first 2 shown]
	s_and_saveexec_b32 s3, s0
	s_cbranch_execz .LBB14_15
; %bb.19:                               ;   in Loop: Header=BB14_17 Depth=1
	s_clause 0x3
	global_load_dword v37, v[5:6], off offset:256
	global_load_dword v36, v[7:8], off offset:256
	global_load_dword v35, v[11:12], off offset:256
	global_load_dword v34, v[9:10], off offset:256
	s_and_saveexec_b32 s26, s1
	s_cbranch_execz .LBB14_14
; %bb.20:                               ;   in Loop: Header=BB14_17 Depth=1
	s_clause 0x3
	global_load_dword v41, v[5:6], off offset:512
	global_load_dword v40, v[7:8], off offset:512
	global_load_dword v39, v[11:12], off offset:512
	global_load_dword v38, v[9:10], off offset:512
	;; [unrolled: 8-line block ×3, first 2 shown]
	s_waitcnt vmcnt(3)
	v_fmac_f32_e32 v18, v29, v5
	s_waitcnt vmcnt(2)
	v_fmac_f32_e32 v18, v28, v6
	;; [unrolled: 2-line block ×4, first 2 shown]
	s_branch .LBB14_13
.LBB14_22:
	s_or_b32 exec_lo, exec_lo, s22
.LBB14_23:
	s_or_b32 exec_lo, exec_lo, s20
	s_sub_i32 s0, s11, s6
	s_cmp_lt_i32 s0, 1
	s_cbranch_scc1 .LBB14_41
; %bb.24:
	v_cmp_gt_i32_e32 vcc_lo, s11, v20
	v_mov_b32_e32 v12, 0
	v_or_b32_e32 v2, 1, v20
	v_mov_b32_e32 v21, 0
	v_mov_b32_e32 v11, 0
	;; [unrolled: 1-line block ×3, first 2 shown]
	s_and_saveexec_b32 s1, vcc_lo
	s_cbranch_execz .LBB14_32
; %bb.25:
	v_mul_lo_u32 v3, v20, s4
	v_mov_b32_e32 v11, 0
	v_mov_b32_e32 v21, 0
	;; [unrolled: 1-line block ×3, first 2 shown]
	s_mov_b32 s2, exec_lo
	v_ashrrev_i32_e32 v4, 31, v3
	v_lshlrev_b64 v[3:4], 2, v[3:4]
	v_add_co_u32 v3, s0, s9, v3
	v_add_co_ci_u32_e64 v4, null, s15, v4, s0
	global_load_dword v10, v[3:4], off
	v_cmpx_gt_i32_e64 s11, v2
	s_cbranch_execz .LBB14_31
; %bb.26:
	v_mul_lo_u32 v3, v2, s4
	v_mov_b32_e32 v21, 0
	v_mov_b32_e32 v12, 0
	s_mov_b32 s3, exec_lo
	v_ashrrev_i32_e32 v4, 31, v3
	v_lshlrev_b64 v[3:4], 2, v[3:4]
	v_add_co_u32 v3, s0, s9, v3
	v_add_co_ci_u32_e64 v4, null, s15, v4, s0
	global_load_dword v11, v[3:4], off
	v_or_b32_e32 v3, 2, v20
	v_cmpx_gt_i32_e64 s11, v3
	s_cbranch_execz .LBB14_30
; %bb.27:
	v_mul_lo_u32 v3, v3, s4
	v_mov_b32_e32 v12, 0
	s_mov_b32 s6, exec_lo
	v_ashrrev_i32_e32 v4, 31, v3
	v_lshlrev_b64 v[3:4], 2, v[3:4]
	v_add_co_u32 v3, s0, s9, v3
	v_add_co_ci_u32_e64 v4, null, s15, v4, s0
	global_load_dword v21, v[3:4], off
	v_or_b32_e32 v3, 3, v20
	v_cmpx_gt_i32_e64 s11, v3
	s_cbranch_execz .LBB14_29
; %bb.28:
	v_mul_lo_u32 v3, v3, s4
	v_ashrrev_i32_e32 v4, 31, v3
	v_lshlrev_b64 v[3:4], 2, v[3:4]
	v_add_co_u32 v3, s0, s9, v3
	v_add_co_ci_u32_e64 v4, null, s15, v4, s0
	global_load_dword v12, v[3:4], off
.LBB14_29:
	s_or_b32 exec_lo, exec_lo, s6
.LBB14_30:
	s_or_b32 exec_lo, exec_lo, s3
.LBB14_31:
	s_or_b32 exec_lo, exec_lo, s2
.LBB14_32:
	s_or_b32 exec_lo, exec_lo, s1
	s_mov_b32 s1, exec_lo
	v_cmpx_gt_i32_e64 s10, v19
	s_cbranch_execz .LBB14_40
; %bb.33:
	v_mul_lo_u32 v3, v20, s14
	v_or_b32_e32 v4, 2, v20
	v_mul_lo_u32 v5, v2, s14
	v_or_b32_e32 v6, 3, v20
	s_mov_b32 s0, exec_lo
	v_mul_lo_u32 v7, v4, s14
	v_mul_lo_u32 v8, v6, s14
	v_cndmask_b32_e32 v3, 0, v3, vcc_lo
	v_cmp_gt_i32_e32 vcc_lo, s11, v2
	v_add_nc_u32_e32 v2, v3, v19
	v_cndmask_b32_e32 v5, 0, v5, vcc_lo
	v_cmp_gt_i32_e32 vcc_lo, s11, v4
	v_ashrrev_i32_e32 v3, 31, v2
	v_add_nc_u32_e32 v4, v5, v19
	v_cndmask_b32_e32 v7, 0, v7, vcc_lo
	v_cmp_gt_i32_e32 vcc_lo, s11, v6
	v_lshlrev_b64 v[2:3], 2, v[2:3]
	v_ashrrev_i32_e32 v5, 31, v4
	v_add_nc_u32_e32 v6, v7, v19
	v_cndmask_b32_e32 v8, 0, v8, vcc_lo
	v_lshlrev_b64 v[4:5], 2, v[4:5]
	v_ashrrev_i32_e32 v7, 31, v6
	v_add_nc_u32_e32 v8, v8, v19
	v_lshlrev_b64 v[22:23], 2, v[6:7]
	v_add_co_u32 v6, vcc_lo, s7, v2
	v_add_co_ci_u32_e64 v7, null, s8, v3, vcc_lo
	v_ashrrev_i32_e32 v9, 31, v8
	v_add_co_u32 v2, vcc_lo, s7, v4
	v_add_co_ci_u32_e64 v3, null, s8, v5, vcc_lo
	global_load_dword v24, v[6:7], off
	v_add_co_u32 v4, vcc_lo, s7, v22
	v_add_co_ci_u32_e64 v5, null, s8, v23, vcc_lo
	v_lshlrev_b64 v[8:9], 2, v[8:9]
	s_clause 0x1
	global_load_dword v22, v[2:3], off
	global_load_dword v23, v[4:5], off
	v_add_co_u32 v8, vcc_lo, s7, v8
	v_add_co_ci_u32_e64 v9, null, s8, v9, vcc_lo
	global_load_dword v20, v[8:9], off
	s_waitcnt vmcnt(3)
	v_fmac_f32_e32 v15, v10, v24
	s_waitcnt vmcnt(2)
	v_fmac_f32_e32 v15, v11, v22
	v_add_nc_u32_e32 v22, 64, v19
	s_waitcnt vmcnt(1)
	v_fmac_f32_e32 v15, v21, v23
	v_cmpx_gt_i32_e64 s10, v22
	s_cbranch_execz .LBB14_39
; %bb.34:
	s_clause 0x3
	global_load_dword v23, v[6:7], off offset:256
	global_load_dword v24, v[2:3], off offset:256
	;; [unrolled: 1-line block ×4, first 2 shown]
	s_mov_b32 s2, exec_lo
	s_waitcnt vmcnt(3)
	v_fmac_f32_e32 v16, v10, v23
	v_add_nc_u32_e32 v23, 0x80, v19
	s_waitcnt vmcnt(2)
	v_fmac_f32_e32 v16, v11, v24
	s_waitcnt vmcnt(1)
	v_fmac_f32_e32 v16, v21, v25
	v_cmpx_gt_i32_e64 s10, v23
	s_cbranch_execz .LBB14_38
; %bb.35:
	s_clause 0x3
	global_load_dword v24, v[6:7], off offset:512
	global_load_dword v25, v[2:3], off offset:512
	;; [unrolled: 1-line block ×4, first 2 shown]
	v_add_nc_u32_e32 v19, 0xc0, v19
	s_mov_b32 s3, exec_lo
	s_waitcnt vmcnt(3)
	v_fmac_f32_e32 v17, v10, v24
	s_waitcnt vmcnt(2)
	v_fmac_f32_e32 v17, v11, v25
	;; [unrolled: 2-line block ×3, first 2 shown]
	v_cmpx_gt_i32_e64 s10, v19
	s_cbranch_execz .LBB14_37
; %bb.36:
	s_clause 0x3
	global_load_dword v6, v[6:7], off offset:768
	global_load_dword v2, v[2:3], off offset:768
	;; [unrolled: 1-line block ×4, first 2 shown]
	s_waitcnt vmcnt(3)
	v_fmac_f32_e32 v18, v10, v6
	s_waitcnt vmcnt(2)
	v_fmac_f32_e32 v18, v11, v2
	;; [unrolled: 2-line block ×4, first 2 shown]
.LBB14_37:
	s_or_b32 exec_lo, exec_lo, s3
	s_waitcnt vmcnt(0)
	v_fmac_f32_e32 v17, v12, v23
.LBB14_38:
	s_or_b32 exec_lo, exec_lo, s2
	s_waitcnt vmcnt(0)
	v_fmac_f32_e32 v16, v12, v22
.LBB14_39:
	s_or_b32 exec_lo, exec_lo, s0
	s_waitcnt vmcnt(0)
	v_fmac_f32_e32 v15, v12, v20
.LBB14_40:
	s_or_b32 exec_lo, exec_lo, s1
.LBB14_41:
	v_lshlrev_b32_e32 v0, 2, v0
	s_mov_b32 s0, exec_lo
                                        ; implicit-def: $vgpr3
                                        ; implicit-def: $vgpr4_vgpr5
	v_lshl_add_u32 v1, v1, 10, v0
	ds_write2st64_b32 v1, v15, v16 offset1:1
	ds_write2st64_b32 v1, v17, v18 offset0:2 offset1:3
	s_waitcnt vmcnt(0) lgkmcnt(0)
	s_barrier
	buffer_gl0_inv
	v_cmpx_gt_u32_e32 0x100, v13
	s_cbranch_execz .LBB14_47
; %bb.42:
	v_lshl_add_u32 v6, v14, 2, v0
	s_mov_b32 s2, s18
	s_mov_b32 s1, exec_lo
	ds_read2st64_b32 v[0:1], v6 offset1:4
	ds_read2st64_b32 v[2:3], v6 offset0:8 offset1:12
	ds_read2st64_b32 v[4:5], v6 offset0:16 offset1:20
	s_waitcnt lgkmcnt(2)
	v_add_f32_e32 v7, v0, v1
	ds_read2st64_b32 v[0:1], v6 offset0:24 offset1:28
	s_waitcnt lgkmcnt(2)
	v_add_f32_e32 v2, v2, v7
	v_add_f32_e32 v7, v3, v2
	ds_read2st64_b32 v[2:3], v6 offset0:32 offset1:36
	s_waitcnt lgkmcnt(2)
	v_add_f32_e32 v4, v4, v7
	;; [unrolled: 4-line block ×3, first 2 shown]
	v_add_f32_e32 v0, v1, v0
	s_waitcnt lgkmcnt(1)
	v_add_f32_e32 v2, v2, v0
	ds_read2st64_b32 v[0:1], v6 offset0:48 offset1:52
	v_add_f32_e32 v2, v3, v2
	s_waitcnt lgkmcnt(1)
	v_add_f32_e32 v4, v4, v2
	ds_read2st64_b32 v[2:3], v6 offset0:56 offset1:60
	v_add_f32_e32 v4, v5, v4
	s_waitcnt lgkmcnt(1)
	v_add_f32_e32 v0, v0, v4
                                        ; implicit-def: $vgpr4_vgpr5
	v_add_f32_e32 v0, v1, v0
	v_or_b32_e32 v1, s5, v13
	s_waitcnt lgkmcnt(0)
	v_add_f32_e32 v0, v2, v0
	v_add_f32_e32 v0, v3, v0
                                        ; implicit-def: $vgpr3
	ds_write_b32 v6, v0
	v_cmpx_gt_i32_e64 s10, v1
	s_cbranch_execz .LBB14_46
; %bb.43:
	v_mul_lo_u32 v4, s19, v1
	v_cmp_eq_f32_e64 s2, s16, 0
	v_mul_f32_e32 v3, s17, v0
	s_and_b32 vcc_lo, exec_lo, s2
	v_ashrrev_i32_e32 v5, 31, v4
	s_cbranch_vccnz .LBB14_45
; %bb.44:
	v_lshlrev_b64 v[0:1], 2, v[4:5]
	v_add_co_u32 v0, vcc_lo, s12, v0
	v_add_co_ci_u32_e64 v1, null, s13, v1, vcc_lo
	global_load_dword v0, v[0:1], off
	s_waitcnt vmcnt(0)
	v_fmac_f32_e32 v3, s16, v0
.LBB14_45:
	s_or_b32 s2, s18, exec_lo
.LBB14_46:
	s_or_b32 exec_lo, exec_lo, s1
	s_andn2_b32 s1, s18, exec_lo
	s_and_b32 s2, s2, exec_lo
	s_or_b32 s18, s1, s2
.LBB14_47:
	s_or_b32 exec_lo, exec_lo, s0
.LBB14_48:
	s_and_saveexec_b32 s0, s18
	s_cbranch_execz .LBB14_50
; %bb.49:
	v_lshlrev_b64 v[0:1], 2, v[4:5]
	v_add_co_u32 v0, vcc_lo, s12, v0
	v_add_co_ci_u32_e64 v1, null, s13, v1, vcc_lo
	global_store_dword v[0:1], v3, off
.LBB14_50:
	s_endpgm
	.section	.rodata,"a",@progbits
	.p2align	6, 0x0
	.amdhsa_kernel _ZL20rocblas_gemvn_kernelILi64ELi16EifPKffEviiT3_lPKT2_lT1_lS5_lS6_lS2_lPT4_lS6_li
		.amdhsa_group_segment_fixed_size 16384
		.amdhsa_private_segment_fixed_size 0
		.amdhsa_kernarg_size 400
		.amdhsa_user_sgpr_count 6
		.amdhsa_user_sgpr_private_segment_buffer 1
		.amdhsa_user_sgpr_dispatch_ptr 0
		.amdhsa_user_sgpr_queue_ptr 0
		.amdhsa_user_sgpr_kernarg_segment_ptr 1
		.amdhsa_user_sgpr_dispatch_id 0
		.amdhsa_user_sgpr_flat_scratch_init 0
		.amdhsa_user_sgpr_private_segment_size 0
		.amdhsa_wavefront_size32 1
		.amdhsa_uses_dynamic_stack 0
		.amdhsa_system_sgpr_private_segment_wavefront_offset 0
		.amdhsa_system_sgpr_workgroup_id_x 1
		.amdhsa_system_sgpr_workgroup_id_y 0
		.amdhsa_system_sgpr_workgroup_id_z 1
		.amdhsa_system_sgpr_workgroup_info 0
		.amdhsa_system_vgpr_workitem_id 1
		.amdhsa_next_free_vgpr 42
		.amdhsa_next_free_sgpr 28
		.amdhsa_reserve_vcc 1
		.amdhsa_reserve_flat_scratch 0
		.amdhsa_float_round_mode_32 0
		.amdhsa_float_round_mode_16_64 0
		.amdhsa_float_denorm_mode_32 3
		.amdhsa_float_denorm_mode_16_64 3
		.amdhsa_dx10_clamp 1
		.amdhsa_ieee_mode 1
		.amdhsa_fp16_overflow 0
		.amdhsa_workgroup_processor_mode 1
		.amdhsa_memory_ordered 1
		.amdhsa_forward_progress 1
		.amdhsa_shared_vgpr_count 0
		.amdhsa_exception_fp_ieee_invalid_op 0
		.amdhsa_exception_fp_denorm_src 0
		.amdhsa_exception_fp_ieee_div_zero 0
		.amdhsa_exception_fp_ieee_overflow 0
		.amdhsa_exception_fp_ieee_underflow 0
		.amdhsa_exception_fp_ieee_inexact 0
		.amdhsa_exception_int_div_zero 0
	.end_amdhsa_kernel
	.section	.text._ZL20rocblas_gemvn_kernelILi64ELi16EifPKffEviiT3_lPKT2_lT1_lS5_lS6_lS2_lPT4_lS6_li,"axG",@progbits,_ZL20rocblas_gemvn_kernelILi64ELi16EifPKffEviiT3_lPKT2_lT1_lS5_lS6_lS2_lPT4_lS6_li,comdat
.Lfunc_end14:
	.size	_ZL20rocblas_gemvn_kernelILi64ELi16EifPKffEviiT3_lPKT2_lT1_lS5_lS6_lS2_lPT4_lS6_li, .Lfunc_end14-_ZL20rocblas_gemvn_kernelILi64ELi16EifPKffEviiT3_lPKT2_lT1_lS5_lS6_lS2_lPT4_lS6_li
                                        ; -- End function
	.set _ZL20rocblas_gemvn_kernelILi64ELi16EifPKffEviiT3_lPKT2_lT1_lS5_lS6_lS2_lPT4_lS6_li.num_vgpr, 42
	.set _ZL20rocblas_gemvn_kernelILi64ELi16EifPKffEviiT3_lPKT2_lT1_lS5_lS6_lS2_lPT4_lS6_li.num_agpr, 0
	.set _ZL20rocblas_gemvn_kernelILi64ELi16EifPKffEviiT3_lPKT2_lT1_lS5_lS6_lS2_lPT4_lS6_li.numbered_sgpr, 28
	.set _ZL20rocblas_gemvn_kernelILi64ELi16EifPKffEviiT3_lPKT2_lT1_lS5_lS6_lS2_lPT4_lS6_li.num_named_barrier, 0
	.set _ZL20rocblas_gemvn_kernelILi64ELi16EifPKffEviiT3_lPKT2_lT1_lS5_lS6_lS2_lPT4_lS6_li.private_seg_size, 0
	.set _ZL20rocblas_gemvn_kernelILi64ELi16EifPKffEviiT3_lPKT2_lT1_lS5_lS6_lS2_lPT4_lS6_li.uses_vcc, 1
	.set _ZL20rocblas_gemvn_kernelILi64ELi16EifPKffEviiT3_lPKT2_lT1_lS5_lS6_lS2_lPT4_lS6_li.uses_flat_scratch, 0
	.set _ZL20rocblas_gemvn_kernelILi64ELi16EifPKffEviiT3_lPKT2_lT1_lS5_lS6_lS2_lPT4_lS6_li.has_dyn_sized_stack, 0
	.set _ZL20rocblas_gemvn_kernelILi64ELi16EifPKffEviiT3_lPKT2_lT1_lS5_lS6_lS2_lPT4_lS6_li.has_recursion, 0
	.set _ZL20rocblas_gemvn_kernelILi64ELi16EifPKffEviiT3_lPKT2_lT1_lS5_lS6_lS2_lPT4_lS6_li.has_indirect_call, 0
	.section	.AMDGPU.csdata,"",@progbits
; Kernel info:
; codeLenInByte = 2780
; TotalNumSgprs: 30
; NumVgprs: 42
; ScratchSize: 0
; MemoryBound: 0
; FloatMode: 240
; IeeeMode: 1
; LDSByteSize: 16384 bytes/workgroup (compile time only)
; SGPRBlocks: 0
; VGPRBlocks: 5
; NumSGPRsForWavesPerEU: 30
; NumVGPRsForWavesPerEU: 42
; Occupancy: 16
; WaveLimiterHint : 1
; COMPUTE_PGM_RSRC2:SCRATCH_EN: 0
; COMPUTE_PGM_RSRC2:USER_SGPR: 6
; COMPUTE_PGM_RSRC2:TRAP_HANDLER: 0
; COMPUTE_PGM_RSRC2:TGID_X_EN: 1
; COMPUTE_PGM_RSRC2:TGID_Y_EN: 0
; COMPUTE_PGM_RSRC2:TGID_Z_EN: 1
; COMPUTE_PGM_RSRC2:TIDIG_COMP_CNT: 1
	.section	.text._ZL20rocblas_gemvn_kernelILi64ELi16ElfPKffEviiT3_lPKT2_lT1_lS5_lS6_lS2_lPT4_lS6_li,"axG",@progbits,_ZL20rocblas_gemvn_kernelILi64ELi16ElfPKffEviiT3_lPKT2_lT1_lS5_lS6_lS2_lPT4_lS6_li,comdat
	.globl	_ZL20rocblas_gemvn_kernelILi64ELi16ElfPKffEviiT3_lPKT2_lT1_lS5_lS6_lS2_lPT4_lS6_li ; -- Begin function _ZL20rocblas_gemvn_kernelILi64ELi16ElfPKffEviiT3_lPKT2_lT1_lS5_lS6_lS2_lPT4_lS6_li
	.p2align	8
	.type	_ZL20rocblas_gemvn_kernelILi64ELi16ElfPKffEviiT3_lPKT2_lT1_lS5_lS6_lS2_lPT4_lS6_li,@function
_ZL20rocblas_gemvn_kernelILi64ELi16ElfPKffEviiT3_lPKT2_lT1_lS5_lS6_lS2_lPT4_lS6_li: ; @_ZL20rocblas_gemvn_kernelILi64ELi16ElfPKffEviiT3_lPKT2_lT1_lS5_lS6_lS2_lPT4_lS6_li
; %bb.0:
	s_load_dwordx2 s[0:1], s[4:5], 0x9c
	s_waitcnt lgkmcnt(0)
	s_lshr_b32 s2, s0, 16
	s_and_b32 s0, s0, 0xffff
	s_and_b32 s1, s1, 0xffff
	s_mul_i32 s0, s2, s0
	s_mul_i32 s0, s0, s1
	s_cmpk_lg_i32 s0, 0x400
	s_cbranch_scc1 .LBB15_50
; %bb.1:
	s_clause 0x1
	s_load_dwordx16 s[36:51], s[4:5], 0x8
	s_load_dwordx16 s[8:23], s[4:5], 0x48
	s_mov_b32 s26, 0
	s_waitcnt lgkmcnt(0)
	s_mul_i32 s1, s39, s7
	s_mul_hi_u32 s2, s38, s7
	s_mul_i32 s0, s38, s7
	s_add_i32 s1, s2, s1
	s_mul_i32 s2, s15, s7
	s_lshl_b64 s[0:1], s[0:1], 2
	s_mul_hi_u32 s3, s14, s7
	s_add_u32 s0, s36, s0
	s_addc_u32 s1, s37, s1
	s_add_i32 s3, s3, s2
	s_mul_i32 s2, s14, s7
	s_lshl_b64 s[2:3], s[2:3], 2
	s_add_u32 s2, s12, s2
	s_addc_u32 s3, s13, s3
	s_load_dword s25, s[0:1], 0x0
	s_load_dword s24, s[2:3], 0x0
	s_waitcnt lgkmcnt(0)
	v_cmp_eq_f32_e64 s0, s25, 0
	v_cmp_eq_f32_e64 s1, s24, 1.0
	s_and_b32 s0, s0, s1
	s_and_b32 vcc_lo, exec_lo, s0
	s_cbranch_vccnz .LBB15_50
; %bb.2:
	s_load_dwordx2 s[12:13], s[4:5], 0x0
	v_lshlrev_b32_e32 v14, 6, v1
	s_mul_i32 s0, s23, s7
	s_mul_hi_u32 s1, s22, s7
	v_cmp_neq_f32_e64 s4, s25, 0
	s_add_i32 s1, s1, s0
	s_mul_i32 s0, s22, s7
	v_add_nc_u32_e32 v13, v14, v0
	s_lshl_b64 s[0:1], s[0:1], 2
	s_add_u32 s2, s16, s0
	s_addc_u32 s3, s17, s1
	s_lshl_b64 s[0:1], s[18:19], 2
	s_add_u32 s5, s2, s0
	v_cmp_gt_u32_e64 s0, 0x100, v13
	s_addc_u32 s22, s3, s1
	s_and_b32 vcc_lo, exec_lo, s4
	s_cbranch_vccnz .LBB15_9
; %bb.3:
	s_mov_b32 s1, 0
                                        ; implicit-def: $vgpr3
                                        ; implicit-def: $vgpr4_vgpr5
	s_and_saveexec_b32 s2, s0
	s_cbranch_execz .LBB15_10
; %bb.4:
	v_lshl_or_b32 v2, s6, 8, v13
	v_mov_b32_e32 v3, 0
	s_waitcnt lgkmcnt(0)
	s_ashr_i32 s15, s12, 31
	s_mov_b32 s14, s12
	s_mov_b32 s3, 0
	s_mov_b32 s0, exec_lo
                                        ; implicit-def: $vgpr4_vgpr5
	v_cmpx_gt_i64_e64 s[14:15], v[2:3]
	s_cbranch_execz .LBB15_8
; %bb.5:
	v_mad_u64_u32 v[4:5], null, s20, v2, 0
	v_cmp_eq_f32_e64 s3, s24, 0
	s_and_b32 vcc_lo, exec_lo, s3
	v_mad_u64_u32 v[5:6], null, s21, v2, v[5:6]
	s_cbranch_vccnz .LBB15_7
; %bb.6:
	v_lshlrev_b64 v[2:3], 2, v[4:5]
	v_add_co_u32 v2, vcc_lo, s5, v2
	v_add_co_ci_u32_e64 v3, null, s22, v3, vcc_lo
	global_load_dword v2, v[2:3], off
	s_waitcnt vmcnt(0)
	v_mul_f32_e32 v3, s24, v2
.LBB15_7:
	s_mov_b32 s3, exec_lo
.LBB15_8:
	s_or_b32 exec_lo, exec_lo, s0
	s_and_b32 s26, s3, exec_lo
	s_or_b32 exec_lo, exec_lo, s2
	s_and_b32 vcc_lo, exec_lo, s1
	s_cbranch_vccnz .LBB15_11
	s_branch .LBB15_48
.LBB15_9:
                                        ; implicit-def: $vgpr3
                                        ; implicit-def: $vgpr4_vgpr5
	s_cbranch_execnz .LBB15_11
	s_branch .LBB15_48
.LBB15_10:
	s_or_b32 exec_lo, exec_lo, s2
	s_and_b32 vcc_lo, exec_lo, s1
	s_cbranch_vccz .LBB15_48
.LBB15_11:
	s_mul_i32 s0, s47, s7
	s_mul_hi_u32 s1, s46, s7
	s_lshl_b32 s23, s6, 8
	s_add_i32 s15, s1, s0
	s_waitcnt lgkmcnt(0)
	s_ashr_i32 s1, s13, 31
	v_lshlrev_b32_e32 v16, 2, v1
	s_lshr_b32 s1, s1, 26
	v_add_nc_u32_e32 v2, s23, v0
	v_mov_b32_e32 v15, 0
	v_mov_b32_e32 v17, 0
	;; [unrolled: 1-line block ×4, first 2 shown]
	s_mul_i32 s0, s11, s7
	s_mul_hi_u32 s2, s10, s7
	s_add_i32 s27, s13, s1
	s_mul_i32 s14, s46, s7
	s_andn2_b32 s27, s27, 63
	s_add_i32 s11, s2, s0
	s_mul_i32 s10, s10, s7
	s_mov_b32 s28, exec_lo
	v_cmpx_gt_i32_e64 s27, v16
	s_cbranch_execz .LBB15_23
; %bb.12:
	v_lshlrev_b32_e32 v15, 2, v1
	v_mad_u64_u32 v[4:5], null, s8, v1, 0
	v_add_nc_u32_e32 v11, 64, v2
	v_add_nc_u32_e32 v12, 0x80, v2
	v_or_b32_e32 v17, 3, v15
	s_lshl_b64 s[0:1], s[10:11], 2
	s_lshl_b64 s[6:7], s[50:51], 2
	s_add_u32 s4, s48, s0
	s_addc_u32 s29, s49, s1
	v_mad_u64_u32 v[6:7], null, s44, v17, 0
	v_cmp_gt_i32_e64 s0, s12, v11
	v_cmp_gt_i32_e64 s1, s12, v12
	v_add_nc_u32_e32 v18, 0xc0, v2
	v_or_b32_e32 v19, 2, v15
	s_lshl_b64 s[18:19], s[42:43], 2
	s_lshl_b64 s[16:17], s[8:9], 8
	v_mad_u64_u32 v[8:9], null, s9, v1, v[5:6]
	v_mad_u64_u32 v[9:10], null, s8, v17, 0
	v_cmp_gt_i32_e64 s2, s12, v18
	s_lshl_b64 s[30:31], s[14:15], 2
	v_mad_u64_u32 v[28:29], null, s8, v19, 0
	v_mov_b32_e32 v5, v8
	v_mad_u64_u32 v[7:8], null, s45, v17, v[7:8]
	v_mad_u64_u32 v[30:31], null, s8, v15, s[8:9]
	v_lshlrev_b64 v[11:12], 4, v[4:5]
	v_mov_b32_e32 v5, v10
	v_mov_b32_e32 v8, v29
	v_mad_u64_u32 v[32:33], null, s44, v15, s[44:45]
	v_lshlrev_b64 v[6:7], 2, v[6:7]
	v_add_co_u32 v20, s3, s4, v11
	v_add_co_ci_u32_e64 v21, null, s29, v12, s3
	v_mad_u64_u32 v[11:12], null, s44, v1, 0
	v_mad_u64_u32 v[17:18], null, s9, v17, v[5:6]
	s_add_u32 s3, s40, s18
	s_addc_u32 s18, s41, s19
	s_add_u32 s19, s3, s30
	s_addc_u32 s18, s18, s31
	v_mov_b32_e32 v5, v12
	v_add_co_u32 v22, s3, s19, v6
	v_mov_b32_e32 v10, v17
	v_mad_u64_u32 v[17:18], null, s44, v19, 0
	v_mad_u64_u32 v[24:25], null, s45, v1, v[5:6]
	v_add_co_ci_u32_e64 v23, null, s18, v7, s3
	v_lshlrev_b64 v[6:7], 2, v[9:10]
	v_ashrrev_i32_e32 v3, 31, v2
	v_mov_b32_e32 v5, v18
	v_cmp_gt_i32_e32 vcc_lo, s12, v2
	v_mov_b32_e32 v12, v24
	v_add_co_u32 v24, s3, s4, v6
	v_mad_u64_u32 v[9:10], null, s45, v19, v[5:6]
	v_add_co_ci_u32_e64 v25, null, s29, v7, s3
	v_lshlrev_b64 v[6:7], 4, v[11:12]
	v_mov_b32_e32 v5, v31
	v_lshlrev_b64 v[3:4], 2, v[2:3]
	v_mad_u64_u32 v[26:27], null, s9, v19, v[8:9]
	v_mov_b32_e32 v18, v9
	v_mad_u64_u32 v[8:9], null, s9, v15, v[5:6]
	v_mov_b32_e32 v5, v33
	v_mov_b32_e32 v19, 0
	;; [unrolled: 1-line block ×3, first 2 shown]
	v_add_co_u32 v26, s3, s19, v6
	v_add_co_ci_u32_e64 v27, null, s18, v7, s3
	v_lshlrev_b64 v[6:7], 2, v[17:18]
	v_mov_b32_e32 v31, v8
	v_mov_b32_e32 v17, 0
	;; [unrolled: 1-line block ×3, first 2 shown]
	v_mad_u64_u32 v[9:10], null, s45, v15, v[5:6]
	v_lshlrev_b64 v[10:11], 2, v[28:29]
	v_add_co_u32 v28, s3, s19, v6
	v_lshlrev_b64 v[5:6], 2, v[30:31]
	v_add_co_ci_u32_e64 v29, null, s18, v7, s3
	v_mov_b32_e32 v33, v9
	v_add_co_u32 v30, s3, s4, v10
	v_add_co_ci_u32_e64 v31, null, s29, v11, s3
	v_lshlrev_b64 v[7:8], 2, v[32:33]
	v_add_co_u32 v32, s3, s4, v5
	v_add_co_ci_u32_e64 v33, null, s29, v6, s3
	v_mov_b32_e32 v15, 0
	v_add_co_u32 v34, s3, s19, v7
	v_add_co_ci_u32_e64 v35, null, s18, v8, s3
	s_lshl_b64 s[18:19], s[44:45], 8
	s_mov_b32 s29, 0
	s_branch .LBB15_17
.LBB15_13:                              ;   in Loop: Header=BB15_17 Depth=1
	s_or_b32 exec_lo, exec_lo, s31
	s_waitcnt vmcnt(3)
	v_fmac_f32_e32 v18, v37, v51
	s_waitcnt vmcnt(2)
	v_fmac_f32_e32 v18, v36, v50
	;; [unrolled: 2-line block ×4, first 2 shown]
.LBB15_14:                              ;   in Loop: Header=BB15_17 Depth=1
	s_or_b32 exec_lo, exec_lo, s30
	s_waitcnt vmcnt(3)
	v_fmac_f32_e32 v17, v37, v47
	s_waitcnt vmcnt(2)
	v_fmac_f32_e32 v17, v36, v46
	;; [unrolled: 2-line block ×4, first 2 shown]
.LBB15_15:                              ;   in Loop: Header=BB15_17 Depth=1
	s_or_b32 exec_lo, exec_lo, s3
	s_waitcnt vmcnt(3)
	v_fmac_f32_e32 v15, v37, v43
	s_waitcnt vmcnt(2)
	v_fmac_f32_e32 v15, v36, v41
	s_waitcnt vmcnt(1)
	v_fmac_f32_e32 v15, v38, v40
	s_waitcnt vmcnt(0)
	v_fmac_f32_e32 v15, v39, v42
.LBB15_16:                              ;   in Loop: Header=BB15_17 Depth=1
	s_or_b32 exec_lo, exec_lo, s4
	v_add_co_u32 v20, s3, v20, s16
	v_add_co_ci_u32_e64 v21, null, s17, v21, s3
	v_add_co_u32 v22, s3, v22, s18
	v_add_co_ci_u32_e64 v23, null, s19, v23, s3
	;; [unrolled: 2-line block ×4, first 2 shown]
	v_add_co_u32 v28, s3, v28, s18
	v_add_nc_u32_e32 v16, 64, v16
	v_add_co_ci_u32_e64 v29, null, s19, v29, s3
	v_add_co_u32 v30, s3, v30, s16
	v_add_co_ci_u32_e64 v31, null, s17, v31, s3
	v_add_co_u32 v32, s3, v32, s16
	v_add_co_ci_u32_e64 v33, null, s17, v33, s3
	v_cmp_le_i32_e64 s3, s27, v16
	v_add_co_u32 v34, s4, v34, s18
	v_add_co_ci_u32_e64 v35, null, s19, v35, s4
	s_or_b32 s29, s3, s29
	s_andn2_b32 exec_lo, exec_lo, s29
	s_cbranch_execz .LBB15_22
.LBB15_17:                              ; =>This Inner Loop Header: Depth=1
	s_and_saveexec_b32 s4, vcc_lo
	s_cbranch_execz .LBB15_16
; %bb.18:                               ;   in Loop: Header=BB15_17 Depth=1
	v_add_co_u32 v5, s3, v20, s6
	v_add_co_ci_u32_e64 v6, null, s7, v21, s3
	v_add_co_u32 v7, s3, v32, s6
	v_add_co_ci_u32_e64 v8, null, s7, v33, s3
	;; [unrolled: 2-line block ×3, first 2 shown]
	v_add_co_u32 v39, s3, v24, s6
	global_load_dword v37, v[5:6], off
	global_load_dword v36, v[7:8], off
	;; [unrolled: 1-line block ×3, first 2 shown]
	v_add_co_ci_u32_e64 v40, null, s7, v25, s3
	v_add_co_u32 v5, s3, v26, v3
	v_add_co_ci_u32_e64 v6, null, v27, v4, s3
	v_add_co_u32 v7, s3, v34, v3
	;; [unrolled: 2-line block ×4, first 2 shown]
	v_add_co_ci_u32_e64 v12, null, v23, v4, s3
	global_load_dword v39, v[39:40], off
	global_load_dword v43, v[5:6], off
	;; [unrolled: 1-line block ×5, first 2 shown]
	s_and_saveexec_b32 s3, s0
	s_cbranch_execz .LBB15_15
; %bb.19:                               ;   in Loop: Header=BB15_17 Depth=1
	global_load_dword v47, v[5:6], off offset:256
	global_load_dword v46, v[7:8], off offset:256
	global_load_dword v45, v[9:10], off offset:256
	global_load_dword v44, v[11:12], off offset:256
	s_and_saveexec_b32 s30, s1
	s_cbranch_execz .LBB15_14
; %bb.20:                               ;   in Loop: Header=BB15_17 Depth=1
	global_load_dword v51, v[5:6], off offset:512
	global_load_dword v50, v[7:8], off offset:512
	global_load_dword v49, v[9:10], off offset:512
	global_load_dword v48, v[11:12], off offset:512
	;; [unrolled: 7-line block ×3, first 2 shown]
	s_waitcnt vmcnt(3)
	v_fmac_f32_e32 v19, v37, v5
	s_waitcnt vmcnt(2)
	v_fmac_f32_e32 v19, v36, v6
	;; [unrolled: 2-line block ×4, first 2 shown]
	s_branch .LBB15_13
.LBB15_22:
	s_or_b32 exec_lo, exec_lo, s29
.LBB15_23:
	s_or_b32 exec_lo, exec_lo, s28
	s_sub_i32 s0, s13, s27
	s_cmp_lt_i32 s0, 1
	s_cbranch_scc1 .LBB15_41
; %bb.24:
	v_cmp_gt_i32_e32 vcc_lo, s13, v16
	v_mov_b32_e32 v20, 0
	v_or_b32_e32 v4, 1, v16
	v_mov_b32_e32 v21, 0
	v_mov_b32_e32 v12, 0
	;; [unrolled: 1-line block ×3, first 2 shown]
	s_and_saveexec_b32 s1, vcc_lo
	s_cbranch_execz .LBB15_32
; %bb.25:
	v_mad_u64_u32 v[5:6], null, s8, v16, 0
	s_lshl_b64 s[2:3], s[10:11], 2
	v_mov_b32_e32 v12, 0
	s_add_u32 s0, s48, s2
	s_addc_u32 s2, s49, s3
	s_lshl_b64 s[6:7], s[50:51], 2
	v_mov_b32_e32 v21, 0
	v_mov_b32_e32 v3, v6
	s_add_u32 s3, s0, s6
	s_addc_u32 s4, s2, s7
	v_mov_b32_e32 v20, 0
	s_mov_b32 s2, exec_lo
	v_mad_u64_u32 v[6:7], null, s9, v16, v[3:4]
	v_lshlrev_b64 v[5:6], 2, v[5:6]
	v_add_co_u32 v5, s0, s3, v5
	v_add_co_ci_u32_e64 v6, null, s4, v6, s0
	global_load_dword v11, v[5:6], off
	v_cmpx_gt_i32_e64 s13, v4
	s_cbranch_execz .LBB15_31
; %bb.26:
	v_mad_u64_u32 v[5:6], null, s8, v4, 0
	v_mov_b32_e32 v21, 0
	v_mov_b32_e32 v20, 0
	s_mov_b32 s6, exec_lo
	v_mov_b32_e32 v3, v6
	v_mad_u64_u32 v[6:7], null, s9, v4, v[3:4]
	v_or_b32_e32 v3, 2, v16
	v_lshlrev_b64 v[5:6], 2, v[5:6]
	v_add_co_u32 v5, s0, s3, v5
	v_add_co_ci_u32_e64 v6, null, s4, v6, s0
	global_load_dword v12, v[5:6], off
	v_cmpx_gt_i32_e64 s13, v3
	s_cbranch_execz .LBB15_30
; %bb.27:
	v_mad_u64_u32 v[5:6], null, s8, v3, 0
	v_mov_b32_e32 v20, 0
	s_mov_b32 s7, exec_lo
	v_mad_u64_u32 v[6:7], null, s9, v3, v[6:7]
	v_or_b32_e32 v3, 3, v16
	v_lshlrev_b64 v[5:6], 2, v[5:6]
	v_add_co_u32 v5, s0, s3, v5
	v_add_co_ci_u32_e64 v6, null, s4, v6, s0
	global_load_dword v21, v[5:6], off
	v_cmpx_gt_i32_e64 s13, v3
	s_cbranch_execz .LBB15_29
; %bb.28:
	v_mad_u64_u32 v[5:6], null, s8, v3, 0
	v_mad_u64_u32 v[6:7], null, s9, v3, v[6:7]
	v_lshlrev_b64 v[5:6], 2, v[5:6]
	v_add_co_u32 v5, s0, s3, v5
	v_add_co_ci_u32_e64 v6, null, s4, v6, s0
	global_load_dword v20, v[5:6], off
.LBB15_29:
	s_or_b32 exec_lo, exec_lo, s7
.LBB15_30:
	s_or_b32 exec_lo, exec_lo, s6
.LBB15_31:
	s_or_b32 exec_lo, exec_lo, s2
.LBB15_32:
	s_or_b32 exec_lo, exec_lo, s1
	s_mov_b32 s1, exec_lo
	v_cmpx_gt_i32_e64 s12, v2
	s_cbranch_execz .LBB15_40
; %bb.33:
	v_mad_u64_u32 v[5:6], null, s44, v16, 0
	v_mad_u64_u32 v[7:8], null, s44, v4, 0
	v_ashrrev_i32_e32 v3, 31, v2
	v_or_b32_e32 v29, 2, v16
	s_lshl_b64 s[2:3], s[14:15], 2
	s_add_u32 s0, s40, s2
	v_lshlrev_b64 v[22:23], 2, v[2:3]
	v_mad_u64_u32 v[9:10], null, s45, v16, v[6:7]
	v_mov_b32_e32 v3, v8
	v_cndmask_b32_e32 v5, 0, v5, vcc_lo
	v_or_b32_e32 v16, 3, v16
	v_mad_u64_u32 v[24:25], null, s44, v29, 0
	v_mad_u64_u32 v[26:27], null, s45, v4, v[3:4]
	v_cndmask_b32_e32 v6, 0, v9, vcc_lo
	v_cmp_gt_i32_e32 vcc_lo, s13, v4
	s_addc_u32 s4, s41, s3
	s_lshl_b64 s[2:3], s[42:43], 2
	v_mad_u64_u32 v[8:9], null, s44, v16, 0
	v_lshlrev_b64 v[5:6], 2, v[5:6]
	v_cndmask_b32_e32 v27, 0, v7, vcc_lo
	v_cndmask_b32_e32 v28, 0, v26, vcc_lo
	s_add_u32 s2, s0, s2
	v_mov_b32_e32 v7, v25
	s_addc_u32 s3, s4, s3
	v_add_co_u32 v3, s0, s2, v5
	v_add_co_ci_u32_e64 v4, null, s3, v6, s0
	v_lshlrev_b64 v[5:6], 2, v[27:28]
	v_mad_u64_u32 v[25:26], null, s45, v29, v[7:8]
	v_add_co_u32 v3, vcc_lo, v3, v22
	v_add_co_ci_u32_e64 v4, null, v4, v23, vcc_lo
	v_cmp_gt_i32_e32 vcc_lo, s13, v29
	v_mov_b32_e32 v7, v9
	v_add_co_u32 v5, s0, s2, v5
	v_add_co_ci_u32_e64 v6, null, s3, v6, s0
	v_cndmask_b32_e32 v9, 0, v24, vcc_lo
	v_cndmask_b32_e32 v10, 0, v25, vcc_lo
	v_mad_u64_u32 v[24:25], null, s45, v16, v[7:8]
	v_add_co_u32 v5, vcc_lo, v5, v22
	v_add_co_ci_u32_e64 v6, null, v6, v23, vcc_lo
	v_cmp_gt_i32_e32 vcc_lo, s13, v16
	v_lshlrev_b64 v[9:10], 2, v[9:10]
	s_clause 0x1
	global_load_dword v25, v[3:4], off
	global_load_dword v26, v[5:6], off
	s_mov_b32 s0, exec_lo
	v_cndmask_b32_e32 v7, 0, v8, vcc_lo
	v_cndmask_b32_e32 v8, 0, v24, vcc_lo
	v_add_co_u32 v16, vcc_lo, s2, v9
	v_add_co_ci_u32_e64 v24, null, s3, v10, vcc_lo
	v_lshlrev_b64 v[9:10], 2, v[7:8]
	v_add_co_u32 v7, vcc_lo, v16, v22
	v_add_co_ci_u32_e64 v8, null, v24, v23, vcc_lo
	v_add_co_u32 v9, vcc_lo, s2, v9
	v_add_co_ci_u32_e64 v10, null, s3, v10, vcc_lo
	global_load_dword v24, v[7:8], off
	v_add_co_u32 v9, vcc_lo, v9, v22
	v_add_co_ci_u32_e64 v10, null, v10, v23, vcc_lo
	v_add_nc_u32_e32 v22, 64, v2
	global_load_dword v16, v[9:10], off
	s_waitcnt vmcnt(3)
	v_fmac_f32_e32 v15, v11, v25
	s_waitcnt vmcnt(2)
	v_fmac_f32_e32 v15, v12, v26
	;; [unrolled: 2-line block ×3, first 2 shown]
	v_cmpx_gt_i32_e64 s12, v22
	s_cbranch_execz .LBB15_39
; %bb.34:
	s_clause 0x3
	global_load_dword v23, v[3:4], off offset:256
	global_load_dword v24, v[5:6], off offset:256
	;; [unrolled: 1-line block ×4, first 2 shown]
	s_mov_b32 s2, exec_lo
	s_waitcnt vmcnt(3)
	v_fmac_f32_e32 v17, v11, v23
	v_add_nc_u32_e32 v23, 0x80, v2
	s_waitcnt vmcnt(2)
	v_fmac_f32_e32 v17, v12, v24
	s_waitcnt vmcnt(1)
	v_fmac_f32_e32 v17, v21, v25
	v_cmpx_gt_i32_e64 s12, v23
	s_cbranch_execz .LBB15_38
; %bb.35:
	s_clause 0x3
	global_load_dword v24, v[3:4], off offset:512
	global_load_dword v25, v[5:6], off offset:512
	;; [unrolled: 1-line block ×4, first 2 shown]
	v_add_nc_u32_e32 v2, 0xc0, v2
	s_mov_b32 s3, exec_lo
	s_waitcnt vmcnt(3)
	v_fmac_f32_e32 v18, v11, v24
	s_waitcnt vmcnt(2)
	v_fmac_f32_e32 v18, v12, v25
	;; [unrolled: 2-line block ×3, first 2 shown]
	v_cmpx_gt_i32_e64 s12, v2
	s_cbranch_execz .LBB15_37
; %bb.36:
	s_clause 0x3
	global_load_dword v2, v[3:4], off offset:768
	global_load_dword v3, v[5:6], off offset:768
	;; [unrolled: 1-line block ×4, first 2 shown]
	s_waitcnt vmcnt(3)
	v_fmac_f32_e32 v19, v11, v2
	s_waitcnt vmcnt(2)
	v_fmac_f32_e32 v19, v12, v3
	;; [unrolled: 2-line block ×4, first 2 shown]
.LBB15_37:
	s_or_b32 exec_lo, exec_lo, s3
	s_waitcnt vmcnt(0)
	v_fmac_f32_e32 v18, v20, v23
.LBB15_38:
	s_or_b32 exec_lo, exec_lo, s2
	s_waitcnt vmcnt(0)
	v_fmac_f32_e32 v17, v20, v22
.LBB15_39:
	s_or_b32 exec_lo, exec_lo, s0
	s_waitcnt vmcnt(0)
	v_fmac_f32_e32 v15, v20, v16
.LBB15_40:
	s_or_b32 exec_lo, exec_lo, s1
.LBB15_41:
	v_lshlrev_b32_e32 v0, 2, v0
	s_mov_b32 s0, exec_lo
                                        ; implicit-def: $vgpr3
                                        ; implicit-def: $vgpr4_vgpr5
	v_lshl_add_u32 v1, v1, 10, v0
	ds_write2st64_b32 v1, v15, v17 offset1:1
	ds_write2st64_b32 v1, v18, v19 offset0:2 offset1:3
	s_waitcnt vmcnt(0) lgkmcnt(0)
	s_barrier
	buffer_gl0_inv
	v_cmpx_gt_u32_e32 0x100, v13
	s_cbranch_execz .LBB15_47
; %bb.42:
	v_lshl_add_u32 v6, v14, 2, v0
	s_mov_b32 s2, s26
	s_mov_b32 s1, exec_lo
	ds_read2st64_b32 v[0:1], v6 offset1:4
	ds_read2st64_b32 v[2:3], v6 offset0:8 offset1:12
	ds_read2st64_b32 v[4:5], v6 offset0:16 offset1:20
	s_waitcnt lgkmcnt(2)
	v_add_f32_e32 v7, v0, v1
	ds_read2st64_b32 v[0:1], v6 offset0:24 offset1:28
	s_waitcnt lgkmcnt(2)
	v_add_f32_e32 v2, v2, v7
	v_add_f32_e32 v7, v3, v2
	ds_read2st64_b32 v[2:3], v6 offset0:32 offset1:36
	s_waitcnt lgkmcnt(2)
	v_add_f32_e32 v4, v4, v7
	;; [unrolled: 4-line block ×3, first 2 shown]
	v_add_f32_e32 v0, v1, v0
	s_waitcnt lgkmcnt(1)
	v_add_f32_e32 v2, v2, v0
	ds_read2st64_b32 v[0:1], v6 offset0:48 offset1:52
	v_add_f32_e32 v2, v3, v2
	s_waitcnt lgkmcnt(1)
	v_add_f32_e32 v4, v4, v2
	ds_read2st64_b32 v[2:3], v6 offset0:56 offset1:60
	v_add_f32_e32 v4, v5, v4
	s_waitcnt lgkmcnt(1)
	v_add_f32_e32 v0, v0, v4
                                        ; implicit-def: $vgpr4_vgpr5
	v_add_f32_e32 v0, v1, v0
	v_or_b32_e32 v1, s23, v13
	s_waitcnt lgkmcnt(0)
	v_add_f32_e32 v0, v2, v0
	v_add_f32_e32 v0, v3, v0
                                        ; implicit-def: $vgpr3
	ds_write_b32 v6, v0
	v_cmpx_gt_i32_e64 s12, v1
	s_cbranch_execz .LBB15_46
; %bb.43:
	v_ashrrev_i32_e32 v2, 31, v1
	v_mul_lo_u32 v6, s21, v1
	v_mad_u64_u32 v[4:5], null, s20, v1, 0
	v_cmp_eq_f32_e64 s2, s24, 0
	v_mul_lo_u32 v1, s20, v2
	v_mul_f32_e32 v3, s25, v0
	s_and_b32 vcc_lo, exec_lo, s2
	v_add3_u32 v5, v5, v1, v6
	s_cbranch_vccnz .LBB15_45
; %bb.44:
	v_lshlrev_b64 v[0:1], 2, v[4:5]
	v_add_co_u32 v0, vcc_lo, s5, v0
	v_add_co_ci_u32_e64 v1, null, s22, v1, vcc_lo
	global_load_dword v0, v[0:1], off
	s_waitcnt vmcnt(0)
	v_fmac_f32_e32 v3, s24, v0
.LBB15_45:
	s_or_b32 s2, s26, exec_lo
.LBB15_46:
	s_or_b32 exec_lo, exec_lo, s1
	s_andn2_b32 s1, s26, exec_lo
	s_and_b32 s2, s2, exec_lo
	s_or_b32 s26, s1, s2
.LBB15_47:
	s_or_b32 exec_lo, exec_lo, s0
.LBB15_48:
	s_and_saveexec_b32 s0, s26
	s_cbranch_execz .LBB15_50
; %bb.49:
	v_lshlrev_b64 v[0:1], 2, v[4:5]
	v_add_co_u32 v0, vcc_lo, s5, v0
	v_add_co_ci_u32_e64 v1, null, s22, v1, vcc_lo
	global_store_dword v[0:1], v3, off
.LBB15_50:
	s_endpgm
	.section	.rodata,"a",@progbits
	.p2align	6, 0x0
	.amdhsa_kernel _ZL20rocblas_gemvn_kernelILi64ELi16ElfPKffEviiT3_lPKT2_lT1_lS5_lS6_lS2_lPT4_lS6_li
		.amdhsa_group_segment_fixed_size 16384
		.amdhsa_private_segment_fixed_size 0
		.amdhsa_kernarg_size 400
		.amdhsa_user_sgpr_count 6
		.amdhsa_user_sgpr_private_segment_buffer 1
		.amdhsa_user_sgpr_dispatch_ptr 0
		.amdhsa_user_sgpr_queue_ptr 0
		.amdhsa_user_sgpr_kernarg_segment_ptr 1
		.amdhsa_user_sgpr_dispatch_id 0
		.amdhsa_user_sgpr_flat_scratch_init 0
		.amdhsa_user_sgpr_private_segment_size 0
		.amdhsa_wavefront_size32 1
		.amdhsa_uses_dynamic_stack 0
		.amdhsa_system_sgpr_private_segment_wavefront_offset 0
		.amdhsa_system_sgpr_workgroup_id_x 1
		.amdhsa_system_sgpr_workgroup_id_y 0
		.amdhsa_system_sgpr_workgroup_id_z 1
		.amdhsa_system_sgpr_workgroup_info 0
		.amdhsa_system_vgpr_workitem_id 1
		.amdhsa_next_free_vgpr 52
		.amdhsa_next_free_sgpr 52
		.amdhsa_reserve_vcc 1
		.amdhsa_reserve_flat_scratch 0
		.amdhsa_float_round_mode_32 0
		.amdhsa_float_round_mode_16_64 0
		.amdhsa_float_denorm_mode_32 3
		.amdhsa_float_denorm_mode_16_64 3
		.amdhsa_dx10_clamp 1
		.amdhsa_ieee_mode 1
		.amdhsa_fp16_overflow 0
		.amdhsa_workgroup_processor_mode 1
		.amdhsa_memory_ordered 1
		.amdhsa_forward_progress 1
		.amdhsa_shared_vgpr_count 0
		.amdhsa_exception_fp_ieee_invalid_op 0
		.amdhsa_exception_fp_denorm_src 0
		.amdhsa_exception_fp_ieee_div_zero 0
		.amdhsa_exception_fp_ieee_overflow 0
		.amdhsa_exception_fp_ieee_underflow 0
		.amdhsa_exception_fp_ieee_inexact 0
		.amdhsa_exception_int_div_zero 0
	.end_amdhsa_kernel
	.section	.text._ZL20rocblas_gemvn_kernelILi64ELi16ElfPKffEviiT3_lPKT2_lT1_lS5_lS6_lS2_lPT4_lS6_li,"axG",@progbits,_ZL20rocblas_gemvn_kernelILi64ELi16ElfPKffEviiT3_lPKT2_lT1_lS5_lS6_lS2_lPT4_lS6_li,comdat
.Lfunc_end15:
	.size	_ZL20rocblas_gemvn_kernelILi64ELi16ElfPKffEviiT3_lPKT2_lT1_lS5_lS6_lS2_lPT4_lS6_li, .Lfunc_end15-_ZL20rocblas_gemvn_kernelILi64ELi16ElfPKffEviiT3_lPKT2_lT1_lS5_lS6_lS2_lPT4_lS6_li
                                        ; -- End function
	.set _ZL20rocblas_gemvn_kernelILi64ELi16ElfPKffEviiT3_lPKT2_lT1_lS5_lS6_lS2_lPT4_lS6_li.num_vgpr, 52
	.set _ZL20rocblas_gemvn_kernelILi64ELi16ElfPKffEviiT3_lPKT2_lT1_lS5_lS6_lS2_lPT4_lS6_li.num_agpr, 0
	.set _ZL20rocblas_gemvn_kernelILi64ELi16ElfPKffEviiT3_lPKT2_lT1_lS5_lS6_lS2_lPT4_lS6_li.numbered_sgpr, 52
	.set _ZL20rocblas_gemvn_kernelILi64ELi16ElfPKffEviiT3_lPKT2_lT1_lS5_lS6_lS2_lPT4_lS6_li.num_named_barrier, 0
	.set _ZL20rocblas_gemvn_kernelILi64ELi16ElfPKffEviiT3_lPKT2_lT1_lS5_lS6_lS2_lPT4_lS6_li.private_seg_size, 0
	.set _ZL20rocblas_gemvn_kernelILi64ELi16ElfPKffEviiT3_lPKT2_lT1_lS5_lS6_lS2_lPT4_lS6_li.uses_vcc, 1
	.set _ZL20rocblas_gemvn_kernelILi64ELi16ElfPKffEviiT3_lPKT2_lT1_lS5_lS6_lS2_lPT4_lS6_li.uses_flat_scratch, 0
	.set _ZL20rocblas_gemvn_kernelILi64ELi16ElfPKffEviiT3_lPKT2_lT1_lS5_lS6_lS2_lPT4_lS6_li.has_dyn_sized_stack, 0
	.set _ZL20rocblas_gemvn_kernelILi64ELi16ElfPKffEviiT3_lPKT2_lT1_lS5_lS6_lS2_lPT4_lS6_li.has_recursion, 0
	.set _ZL20rocblas_gemvn_kernelILi64ELi16ElfPKffEviiT3_lPKT2_lT1_lS5_lS6_lS2_lPT4_lS6_li.has_indirect_call, 0
	.section	.AMDGPU.csdata,"",@progbits
; Kernel info:
; codeLenInByte = 3160
; TotalNumSgprs: 54
; NumVgprs: 52
; ScratchSize: 0
; MemoryBound: 0
; FloatMode: 240
; IeeeMode: 1
; LDSByteSize: 16384 bytes/workgroup (compile time only)
; SGPRBlocks: 0
; VGPRBlocks: 6
; NumSGPRsForWavesPerEU: 54
; NumVGPRsForWavesPerEU: 52
; Occupancy: 16
; WaveLimiterHint : 0
; COMPUTE_PGM_RSRC2:SCRATCH_EN: 0
; COMPUTE_PGM_RSRC2:USER_SGPR: 6
; COMPUTE_PGM_RSRC2:TRAP_HANDLER: 0
; COMPUTE_PGM_RSRC2:TGID_X_EN: 1
; COMPUTE_PGM_RSRC2:TGID_Y_EN: 0
; COMPUTE_PGM_RSRC2:TGID_Z_EN: 1
; COMPUTE_PGM_RSRC2:TIDIG_COMP_CNT: 1
	.section	.text._ZL20rocblas_gemvn_kernelILi64ELi16EifffEviiT3_lPKT2_lT1_lS3_lS4_lS0_lPT4_lS4_li,"axG",@progbits,_ZL20rocblas_gemvn_kernelILi64ELi16EifffEviiT3_lPKT2_lT1_lS3_lS4_lS0_lPT4_lS4_li,comdat
	.globl	_ZL20rocblas_gemvn_kernelILi64ELi16EifffEviiT3_lPKT2_lT1_lS3_lS4_lS0_lPT4_lS4_li ; -- Begin function _ZL20rocblas_gemvn_kernelILi64ELi16EifffEviiT3_lPKT2_lT1_lS3_lS4_lS0_lPT4_lS4_li
	.p2align	8
	.type	_ZL20rocblas_gemvn_kernelILi64ELi16EifffEviiT3_lPKT2_lT1_lS3_lS4_lS0_lPT4_lS4_li,@function
_ZL20rocblas_gemvn_kernelILi64ELi16EifffEviiT3_lPKT2_lT1_lS3_lS4_lS0_lPT4_lS4_li: ; @_ZL20rocblas_gemvn_kernelILi64ELi16EifffEviiT3_lPKT2_lT1_lS3_lS4_lS0_lPT4_lS4_li
; %bb.0:
	s_load_dwordx2 s[0:1], s[4:5], 0x9c
	s_waitcnt lgkmcnt(0)
	s_lshr_b32 s2, s0, 16
	s_and_b32 s0, s0, 0xffff
	s_and_b32 s1, s1, 0xffff
	s_mul_i32 s0, s2, s0
	s_mul_i32 s0, s0, s1
	s_cmpk_lg_i32 s0, 0x400
	s_cbranch_scc1 .LBB16_50
; %bb.1:
	s_clause 0x1
	s_load_dwordx4 s[8:11], s[4:5], 0x0
	s_load_dword s13, s[4:5], 0x58
	s_mov_b32 s14, 0
	s_waitcnt lgkmcnt(0)
	v_cmp_eq_f32_e64 s0, s10, 0
	v_cmp_eq_f32_e64 s1, s13, 1.0
	s_and_b32 s0, s0, s1
	s_and_b32 vcc_lo, exec_lo, s0
	s_cbranch_vccnz .LBB16_50
; %bb.2:
	s_clause 0x2
	s_load_dwordx2 s[16:17], s[4:5], 0x80
	s_load_dwordx4 s[0:3], s[4:5], 0x68
	s_load_dword s15, s[4:5], 0x78
	v_lshlrev_b32_e32 v14, 6, v1
	v_cmp_neq_f32_e64 s18, s10, 0
	v_add_nc_u32_e32 v13, v14, v0
	s_waitcnt lgkmcnt(0)
	s_mul_i32 s11, s17, s7
	s_mul_hi_u32 s12, s16, s7
	s_mul_i32 s16, s16, s7
	s_add_i32 s17, s12, s11
	s_lshl_b64 s[16:17], s[16:17], 2
	s_add_u32 s11, s0, s16
	s_addc_u32 s12, s1, s17
	s_lshl_b64 s[0:1], s[2:3], 2
	s_add_u32 s11, s11, s0
	v_cmp_gt_u32_e64 s0, 0x100, v13
	s_addc_u32 s12, s12, s1
	s_and_b32 vcc_lo, exec_lo, s18
	s_cbranch_vccnz .LBB16_9
; %bb.3:
	s_mov_b32 s1, 0
                                        ; implicit-def: $vgpr3
                                        ; implicit-def: $vgpr4_vgpr5
	s_and_saveexec_b32 s2, s0
	s_cbranch_execz .LBB16_10
; %bb.4:
	v_lshl_or_b32 v2, s6, 8, v13
	v_mov_b32_e32 v3, 0
	s_ashr_i32 s17, s8, 31
	s_mov_b32 s16, s8
	s_mov_b32 s3, 0
	s_mov_b32 s0, exec_lo
                                        ; implicit-def: $vgpr4_vgpr5
	v_cmpx_gt_i64_e64 s[16:17], v[2:3]
	s_cbranch_execz .LBB16_8
; %bb.5:
	v_mad_u64_u32 v[4:5], null, s15, v2, 0
	s_ashr_i32 s3, s15, 31
	v_mad_u64_u32 v[5:6], null, s3, v2, v[5:6]
	v_cmp_eq_f32_e64 s3, s13, 0
	s_and_b32 vcc_lo, exec_lo, s3
	s_cbranch_vccnz .LBB16_7
; %bb.6:
	v_lshlrev_b64 v[2:3], 2, v[4:5]
	v_add_co_u32 v2, vcc_lo, s11, v2
	v_add_co_ci_u32_e64 v3, null, s12, v3, vcc_lo
	global_load_dword v2, v[2:3], off
	s_waitcnt vmcnt(0)
	v_mul_f32_e32 v3, s13, v2
.LBB16_7:
	s_mov_b32 s3, exec_lo
.LBB16_8:
	s_or_b32 exec_lo, exec_lo, s0
	s_and_b32 s14, s3, exec_lo
	s_or_b32 exec_lo, exec_lo, s2
	s_and_b32 vcc_lo, exec_lo, s1
	s_cbranch_vccnz .LBB16_11
	s_branch .LBB16_48
.LBB16_9:
                                        ; implicit-def: $vgpr3
                                        ; implicit-def: $vgpr4_vgpr5
	s_cbranch_execnz .LBB16_11
	s_branch .LBB16_48
.LBB16_10:
	s_or_b32 exec_lo, exec_lo, s2
	s_and_b32 vcc_lo, exec_lo, s1
	s_cbranch_vccz .LBB16_48
.LBB16_11:
	s_clause 0x5
	s_load_dwordx4 s[0:3], s[4:5], 0x30
	s_load_dwordx2 s[18:19], s[4:5], 0x50
	s_load_dwordx4 s[20:23], s[4:5], 0x18
	s_load_dword s17, s[4:5], 0x28
	s_load_dwordx2 s[24:25], s[4:5], 0x40
	s_load_dword s4, s[4:5], 0x48
	v_lshlrev_b32_e32 v20, 2, v1
	v_mov_b32_e32 v15, 0
	v_mov_b32_e32 v16, 0
	v_mov_b32_e32 v17, 0
	v_mov_b32_e32 v18, 0
	s_waitcnt lgkmcnt(0)
	s_mul_i32 s1, s1, s7
	s_mul_hi_u32 s16, s0, s7
	s_mul_i32 s0, s0, s7
	s_add_i32 s1, s16, s1
	s_mul_i32 s19, s19, s7
	s_lshl_b64 s[0:1], s[0:1], 2
	s_mul_hi_u32 s26, s18, s7
	s_add_u32 s16, s20, s0
	s_addc_u32 s20, s21, s1
	s_lshl_b64 s[0:1], s[22:23], 2
	s_mul_i32 s18, s18, s7
	s_add_u32 s7, s16, s0
	s_addc_u32 s16, s20, s1
	s_add_i32 s19, s26, s19
	s_mov_b32 s20, exec_lo
	s_lshl_b64 s[0:1], s[18:19], 2
	s_add_u32 s2, s2, s0
	s_addc_u32 s3, s3, s1
	s_lshl_b64 s[0:1], s[24:25], 2
	s_add_u32 s18, s2, s0
	s_addc_u32 s19, s3, s1
	s_ashr_i32 s0, s9, 31
	s_lshl_b32 s5, s6, 8
	s_lshr_b32 s0, s0, 26
	v_add_nc_u32_e32 v19, s5, v0
	s_add_i32 s0, s9, s0
	s_and_b32 s6, s0, 0xffffffc0
	v_cmpx_gt_i32_e64 s6, v20
	s_cbranch_execz .LBB16_23
; %bb.12:
	v_add_nc_u32_e32 v5, 0xc0, v19
	v_mul_lo_u32 v3, s17, v20
	v_add_nc_u32_e32 v2, 64, v19
	v_add_nc_u32_e32 v6, 2, v20
	;; [unrolled: 1-line block ×3, first 2 shown]
	v_cmp_gt_i32_e64 s2, s8, v5
	v_mul_lo_u32 v5, v1, s17
	v_add_nc_u32_e32 v7, 3, v20
	v_mul_lo_u32 v8, v1, s4
	v_cmp_gt_i32_e64 s0, s8, v2
	v_add3_u32 v21, v3, s17, v0
	v_mad_u64_u32 v[2:3], null, s17, v6, v[0:1]
	v_cmp_gt_i32_e64 s1, s8, v4
	v_mad_u64_u32 v[3:4], null, s17, v7, v[0:1]
	v_lshl_add_u32 v22, v5, 2, v0
	v_mad_u64_u32 v[4:5], null, s4, v20, s[4:5]
	v_mul_lo_u32 v23, s4, v6
	v_mul_lo_u32 v24, s4, v7
	v_lshlrev_b32_e32 v25, 2, v8
	v_mov_b32_e32 v15, 0
	v_mov_b32_e32 v16, 0
	v_mov_b32_e32 v17, 0
	v_mov_b32_e32 v18, 0
	s_lshl_b32 s21, s17, 6
	s_lshl_b32 s23, s4, 6
	s_mov_b32 s22, 0
	s_mov_b32 s24, 0
	v_cmp_gt_i32_e32 vcc_lo, s8, v19
	s_branch .LBB16_17
.LBB16_13:                              ;   in Loop: Header=BB16_17 Depth=1
	s_or_b32 exec_lo, exec_lo, s27
	s_waitcnt vmcnt(3)
	v_fmac_f32_e32 v17, v29, v41
	s_waitcnt vmcnt(2)
	v_fmac_f32_e32 v17, v28, v40
	;; [unrolled: 2-line block ×4, first 2 shown]
.LBB16_14:                              ;   in Loop: Header=BB16_17 Depth=1
	s_or_b32 exec_lo, exec_lo, s26
	s_waitcnt vmcnt(3)
	v_fmac_f32_e32 v16, v29, v37
	s_waitcnt vmcnt(2)
	v_fmac_f32_e32 v16, v28, v36
	s_waitcnt vmcnt(1)
	v_fmac_f32_e32 v16, v27, v35
	s_waitcnt vmcnt(0)
	v_fmac_f32_e32 v16, v26, v34
.LBB16_15:                              ;   in Loop: Header=BB16_17 Depth=1
	s_or_b32 exec_lo, exec_lo, s3
	s_waitcnt vmcnt(3)
	v_fmac_f32_e32 v15, v29, v33
	s_waitcnt vmcnt(2)
	v_fmac_f32_e32 v15, v28, v31
	;; [unrolled: 2-line block ×4, first 2 shown]
.LBB16_16:                              ;   in Loop: Header=BB16_17 Depth=1
	s_or_b32 exec_lo, exec_lo, s25
	v_add_nc_u32_e32 v20, 64, v20
	v_add_nc_u32_e32 v21, s21, v21
	v_add_nc_u32_e32 v2, s21, v2
	v_add_nc_u32_e32 v3, s21, v3
	v_add_nc_u32_e32 v22, s21, v22
	v_cmp_le_i32_e64 s3, s6, v20
	s_add_i32 s24, s24, s23
	s_or_b32 s22, s3, s22
	s_andn2_b32 exec_lo, exec_lo, s22
	s_cbranch_execz .LBB16_22
.LBB16_17:                              ; =>This Inner Loop Header: Depth=1
	s_and_saveexec_b32 s25, vcc_lo
	s_cbranch_execz .LBB16_16
; %bb.18:                               ;   in Loop: Header=BB16_17 Depth=1
	v_add_nc_u32_e32 v5, s24, v25
	v_add_nc_u32_e32 v7, s24, v4
	;; [unrolled: 1-line block ×5, first 2 shown]
	v_ashrrev_i32_e32 v6, 31, v5
	v_ashrrev_i32_e32 v8, 31, v7
	;; [unrolled: 1-line block ×5, first 2 shown]
	v_lshlrev_b64 v[5:6], 2, v[5:6]
	v_lshlrev_b64 v[7:8], 2, v[7:8]
	;; [unrolled: 1-line block ×3, first 2 shown]
	v_add_co_u32 v28, s3, s18, v5
	v_add_co_ci_u32_e64 v29, null, s19, v6, s3
	v_add_co_u32 v30, s3, s18, v7
	v_add_nc_u32_e32 v7, s5, v21
	v_add_co_ci_u32_e64 v31, null, s19, v8, s3
	v_lshlrev_b64 v[5:6], 2, v[11:12]
	v_add_co_u32 v32, s3, s18, v9
	v_add_nc_u32_e32 v11, s5, v2
	v_add_co_ci_u32_e64 v33, null, s19, v10, s3
	v_lshlrev_b64 v[9:10], 2, v[26:27]
	v_add_nc_u32_e32 v26, s5, v3
	v_ashrrev_i32_e32 v8, 31, v7
	v_ashrrev_i32_e32 v12, 31, v11
	v_add_co_u32 v34, s3, s18, v5
	v_ashrrev_i32_e32 v27, 31, v26
	v_add_co_ci_u32_e64 v35, null, s19, v6, s3
	v_lshlrev_b64 v[7:8], 2, v[7:8]
	v_add_co_u32 v5, s3, s7, v9
	v_add_co_ci_u32_e64 v6, null, s16, v10, s3
	v_lshlrev_b64 v[9:10], 2, v[11:12]
	v_lshlrev_b64 v[26:27], 2, v[26:27]
	v_add_co_u32 v7, s3, s7, v7
	v_add_co_ci_u32_e64 v8, null, s16, v8, s3
	v_add_co_u32 v11, s3, s7, v9
	v_add_co_ci_u32_e64 v12, null, s16, v10, s3
	;; [unrolled: 2-line block ×3, first 2 shown]
	s_clause 0x3
	global_load_dword v29, v[28:29], off
	global_load_dword v28, v[30:31], off
	;; [unrolled: 1-line block ×4, first 2 shown]
	s_clause 0x3
	global_load_dword v33, v[5:6], off
	global_load_dword v31, v[7:8], off
	;; [unrolled: 1-line block ×4, first 2 shown]
	s_and_saveexec_b32 s3, s0
	s_cbranch_execz .LBB16_15
; %bb.19:                               ;   in Loop: Header=BB16_17 Depth=1
	s_clause 0x3
	global_load_dword v37, v[5:6], off offset:256
	global_load_dword v36, v[7:8], off offset:256
	global_load_dword v35, v[11:12], off offset:256
	global_load_dword v34, v[9:10], off offset:256
	s_and_saveexec_b32 s26, s1
	s_cbranch_execz .LBB16_14
; %bb.20:                               ;   in Loop: Header=BB16_17 Depth=1
	s_clause 0x3
	global_load_dword v41, v[5:6], off offset:512
	global_load_dword v40, v[7:8], off offset:512
	global_load_dword v39, v[11:12], off offset:512
	global_load_dword v38, v[9:10], off offset:512
	;; [unrolled: 8-line block ×3, first 2 shown]
	s_waitcnt vmcnt(3)
	v_fmac_f32_e32 v18, v29, v5
	s_waitcnt vmcnt(2)
	v_fmac_f32_e32 v18, v28, v6
	;; [unrolled: 2-line block ×4, first 2 shown]
	s_branch .LBB16_13
.LBB16_22:
	s_or_b32 exec_lo, exec_lo, s22
.LBB16_23:
	s_or_b32 exec_lo, exec_lo, s20
	s_sub_i32 s0, s9, s6
	s_cmp_lt_i32 s0, 1
	s_cbranch_scc1 .LBB16_41
; %bb.24:
	v_cmp_gt_i32_e32 vcc_lo, s9, v20
	v_mov_b32_e32 v12, 0
	v_or_b32_e32 v2, 1, v20
	v_mov_b32_e32 v21, 0
	v_mov_b32_e32 v11, 0
	;; [unrolled: 1-line block ×3, first 2 shown]
	s_and_saveexec_b32 s1, vcc_lo
	s_cbranch_execz .LBB16_32
; %bb.25:
	v_mul_lo_u32 v3, v20, s4
	v_mov_b32_e32 v11, 0
	v_mov_b32_e32 v21, 0
	;; [unrolled: 1-line block ×3, first 2 shown]
	s_mov_b32 s2, exec_lo
	v_ashrrev_i32_e32 v4, 31, v3
	v_lshlrev_b64 v[3:4], 2, v[3:4]
	v_add_co_u32 v3, s0, s18, v3
	v_add_co_ci_u32_e64 v4, null, s19, v4, s0
	global_load_dword v10, v[3:4], off
	v_cmpx_gt_i32_e64 s9, v2
	s_cbranch_execz .LBB16_31
; %bb.26:
	v_mul_lo_u32 v3, v2, s4
	v_mov_b32_e32 v21, 0
	v_mov_b32_e32 v12, 0
	s_mov_b32 s3, exec_lo
	v_ashrrev_i32_e32 v4, 31, v3
	v_lshlrev_b64 v[3:4], 2, v[3:4]
	v_add_co_u32 v3, s0, s18, v3
	v_add_co_ci_u32_e64 v4, null, s19, v4, s0
	global_load_dword v11, v[3:4], off
	v_or_b32_e32 v3, 2, v20
	v_cmpx_gt_i32_e64 s9, v3
	s_cbranch_execz .LBB16_30
; %bb.27:
	v_mul_lo_u32 v3, v3, s4
	v_mov_b32_e32 v12, 0
	s_mov_b32 s6, exec_lo
	v_ashrrev_i32_e32 v4, 31, v3
	v_lshlrev_b64 v[3:4], 2, v[3:4]
	v_add_co_u32 v3, s0, s18, v3
	v_add_co_ci_u32_e64 v4, null, s19, v4, s0
	global_load_dword v21, v[3:4], off
	v_or_b32_e32 v3, 3, v20
	v_cmpx_gt_i32_e64 s9, v3
	s_cbranch_execz .LBB16_29
; %bb.28:
	v_mul_lo_u32 v3, v3, s4
	v_ashrrev_i32_e32 v4, 31, v3
	v_lshlrev_b64 v[3:4], 2, v[3:4]
	v_add_co_u32 v3, s0, s18, v3
	v_add_co_ci_u32_e64 v4, null, s19, v4, s0
	global_load_dword v12, v[3:4], off
.LBB16_29:
	s_or_b32 exec_lo, exec_lo, s6
.LBB16_30:
	s_or_b32 exec_lo, exec_lo, s3
.LBB16_31:
	s_or_b32 exec_lo, exec_lo, s2
.LBB16_32:
	s_or_b32 exec_lo, exec_lo, s1
	s_mov_b32 s1, exec_lo
	v_cmpx_gt_i32_e64 s8, v19
	s_cbranch_execz .LBB16_40
; %bb.33:
	v_mul_lo_u32 v3, v20, s17
	v_or_b32_e32 v4, 2, v20
	v_mul_lo_u32 v5, v2, s17
	v_or_b32_e32 v6, 3, v20
	s_mov_b32 s0, exec_lo
	v_mul_lo_u32 v7, v4, s17
	v_mul_lo_u32 v8, v6, s17
	v_cndmask_b32_e32 v3, 0, v3, vcc_lo
	v_cmp_gt_i32_e32 vcc_lo, s9, v2
	v_add_nc_u32_e32 v2, v3, v19
	v_cndmask_b32_e32 v5, 0, v5, vcc_lo
	v_cmp_gt_i32_e32 vcc_lo, s9, v4
	v_ashrrev_i32_e32 v3, 31, v2
	v_add_nc_u32_e32 v4, v5, v19
	v_cndmask_b32_e32 v7, 0, v7, vcc_lo
	v_cmp_gt_i32_e32 vcc_lo, s9, v6
	v_lshlrev_b64 v[2:3], 2, v[2:3]
	v_ashrrev_i32_e32 v5, 31, v4
	v_add_nc_u32_e32 v6, v7, v19
	v_cndmask_b32_e32 v8, 0, v8, vcc_lo
	v_lshlrev_b64 v[4:5], 2, v[4:5]
	v_ashrrev_i32_e32 v7, 31, v6
	v_add_nc_u32_e32 v8, v8, v19
	v_lshlrev_b64 v[22:23], 2, v[6:7]
	v_add_co_u32 v6, vcc_lo, s7, v2
	v_add_co_ci_u32_e64 v7, null, s16, v3, vcc_lo
	v_ashrrev_i32_e32 v9, 31, v8
	v_add_co_u32 v2, vcc_lo, s7, v4
	v_add_co_ci_u32_e64 v3, null, s16, v5, vcc_lo
	global_load_dword v24, v[6:7], off
	v_add_co_u32 v4, vcc_lo, s7, v22
	v_add_co_ci_u32_e64 v5, null, s16, v23, vcc_lo
	v_lshlrev_b64 v[8:9], 2, v[8:9]
	s_clause 0x1
	global_load_dword v22, v[2:3], off
	global_load_dword v23, v[4:5], off
	v_add_co_u32 v8, vcc_lo, s7, v8
	v_add_co_ci_u32_e64 v9, null, s16, v9, vcc_lo
	global_load_dword v20, v[8:9], off
	s_waitcnt vmcnt(3)
	v_fmac_f32_e32 v15, v10, v24
	s_waitcnt vmcnt(2)
	v_fmac_f32_e32 v15, v11, v22
	v_add_nc_u32_e32 v22, 64, v19
	s_waitcnt vmcnt(1)
	v_fmac_f32_e32 v15, v21, v23
	v_cmpx_gt_i32_e64 s8, v22
	s_cbranch_execz .LBB16_39
; %bb.34:
	s_clause 0x3
	global_load_dword v23, v[6:7], off offset:256
	global_load_dword v24, v[2:3], off offset:256
	;; [unrolled: 1-line block ×4, first 2 shown]
	s_mov_b32 s2, exec_lo
	s_waitcnt vmcnt(3)
	v_fmac_f32_e32 v16, v10, v23
	v_add_nc_u32_e32 v23, 0x80, v19
	s_waitcnt vmcnt(2)
	v_fmac_f32_e32 v16, v11, v24
	s_waitcnt vmcnt(1)
	v_fmac_f32_e32 v16, v21, v25
	v_cmpx_gt_i32_e64 s8, v23
	s_cbranch_execz .LBB16_38
; %bb.35:
	s_clause 0x3
	global_load_dword v24, v[6:7], off offset:512
	global_load_dword v25, v[2:3], off offset:512
	;; [unrolled: 1-line block ×4, first 2 shown]
	v_add_nc_u32_e32 v19, 0xc0, v19
	s_mov_b32 s3, exec_lo
	s_waitcnt vmcnt(3)
	v_fmac_f32_e32 v17, v10, v24
	s_waitcnt vmcnt(2)
	v_fmac_f32_e32 v17, v11, v25
	s_waitcnt vmcnt(1)
	v_fmac_f32_e32 v17, v21, v26
	v_cmpx_gt_i32_e64 s8, v19
	s_cbranch_execz .LBB16_37
; %bb.36:
	s_clause 0x3
	global_load_dword v6, v[6:7], off offset:768
	global_load_dword v2, v[2:3], off offset:768
	;; [unrolled: 1-line block ×4, first 2 shown]
	s_waitcnt vmcnt(3)
	v_fmac_f32_e32 v18, v10, v6
	s_waitcnt vmcnt(2)
	v_fmac_f32_e32 v18, v11, v2
	;; [unrolled: 2-line block ×4, first 2 shown]
.LBB16_37:
	s_or_b32 exec_lo, exec_lo, s3
	s_waitcnt vmcnt(0)
	v_fmac_f32_e32 v17, v12, v23
.LBB16_38:
	s_or_b32 exec_lo, exec_lo, s2
	s_waitcnt vmcnt(0)
	v_fmac_f32_e32 v16, v12, v22
.LBB16_39:
	s_or_b32 exec_lo, exec_lo, s0
	s_waitcnt vmcnt(0)
	v_fmac_f32_e32 v15, v12, v20
.LBB16_40:
	s_or_b32 exec_lo, exec_lo, s1
.LBB16_41:
	v_lshlrev_b32_e32 v0, 2, v0
	s_mov_b32 s0, exec_lo
                                        ; implicit-def: $vgpr3
                                        ; implicit-def: $vgpr4_vgpr5
	v_lshl_add_u32 v1, v1, 10, v0
	ds_write2st64_b32 v1, v15, v16 offset1:1
	ds_write2st64_b32 v1, v17, v18 offset0:2 offset1:3
	s_waitcnt vmcnt(0) lgkmcnt(0)
	s_barrier
	buffer_gl0_inv
	v_cmpx_gt_u32_e32 0x100, v13
	s_cbranch_execz .LBB16_47
; %bb.42:
	v_lshl_add_u32 v6, v14, 2, v0
	s_mov_b32 s2, s14
	s_mov_b32 s1, exec_lo
	ds_read2st64_b32 v[0:1], v6 offset1:4
	ds_read2st64_b32 v[2:3], v6 offset0:8 offset1:12
	ds_read2st64_b32 v[4:5], v6 offset0:16 offset1:20
	s_waitcnt lgkmcnt(2)
	v_add_f32_e32 v7, v0, v1
	ds_read2st64_b32 v[0:1], v6 offset0:24 offset1:28
	s_waitcnt lgkmcnt(2)
	v_add_f32_e32 v2, v2, v7
	v_add_f32_e32 v7, v3, v2
	ds_read2st64_b32 v[2:3], v6 offset0:32 offset1:36
	s_waitcnt lgkmcnt(2)
	v_add_f32_e32 v4, v4, v7
	;; [unrolled: 4-line block ×3, first 2 shown]
	v_add_f32_e32 v0, v1, v0
	s_waitcnt lgkmcnt(1)
	v_add_f32_e32 v2, v2, v0
	ds_read2st64_b32 v[0:1], v6 offset0:48 offset1:52
	v_add_f32_e32 v2, v3, v2
	s_waitcnt lgkmcnt(1)
	v_add_f32_e32 v4, v4, v2
	ds_read2st64_b32 v[2:3], v6 offset0:56 offset1:60
	v_add_f32_e32 v4, v5, v4
	s_waitcnt lgkmcnt(1)
	v_add_f32_e32 v0, v0, v4
                                        ; implicit-def: $vgpr4_vgpr5
	v_add_f32_e32 v0, v1, v0
	v_or_b32_e32 v1, s5, v13
	s_waitcnt lgkmcnt(0)
	v_add_f32_e32 v0, v2, v0
	v_add_f32_e32 v0, v3, v0
                                        ; implicit-def: $vgpr3
	ds_write_b32 v6, v0
	v_cmpx_gt_i32_e64 s8, v1
	s_cbranch_execz .LBB16_46
; %bb.43:
	v_mul_lo_u32 v4, s15, v1
	v_cmp_eq_f32_e64 s2, s13, 0
	v_mul_f32_e32 v3, s10, v0
	s_and_b32 vcc_lo, exec_lo, s2
	v_ashrrev_i32_e32 v5, 31, v4
	s_cbranch_vccnz .LBB16_45
; %bb.44:
	v_lshlrev_b64 v[0:1], 2, v[4:5]
	v_add_co_u32 v0, vcc_lo, s11, v0
	v_add_co_ci_u32_e64 v1, null, s12, v1, vcc_lo
	global_load_dword v0, v[0:1], off
	s_waitcnt vmcnt(0)
	v_fmac_f32_e32 v3, s13, v0
.LBB16_45:
	s_or_b32 s2, s14, exec_lo
.LBB16_46:
	s_or_b32 exec_lo, exec_lo, s1
	s_andn2_b32 s1, s14, exec_lo
	s_and_b32 s2, s2, exec_lo
	s_or_b32 s14, s1, s2
.LBB16_47:
	s_or_b32 exec_lo, exec_lo, s0
.LBB16_48:
	s_and_saveexec_b32 s0, s14
	s_cbranch_execz .LBB16_50
; %bb.49:
	v_lshlrev_b64 v[0:1], 2, v[4:5]
	v_add_co_u32 v0, vcc_lo, s11, v0
	v_add_co_ci_u32_e64 v1, null, s12, v1, vcc_lo
	global_store_dword v[0:1], v3, off
.LBB16_50:
	s_endpgm
	.section	.rodata,"a",@progbits
	.p2align	6, 0x0
	.amdhsa_kernel _ZL20rocblas_gemvn_kernelILi64ELi16EifffEviiT3_lPKT2_lT1_lS3_lS4_lS0_lPT4_lS4_li
		.amdhsa_group_segment_fixed_size 16384
		.amdhsa_private_segment_fixed_size 0
		.amdhsa_kernarg_size 400
		.amdhsa_user_sgpr_count 6
		.amdhsa_user_sgpr_private_segment_buffer 1
		.amdhsa_user_sgpr_dispatch_ptr 0
		.amdhsa_user_sgpr_queue_ptr 0
		.amdhsa_user_sgpr_kernarg_segment_ptr 1
		.amdhsa_user_sgpr_dispatch_id 0
		.amdhsa_user_sgpr_flat_scratch_init 0
		.amdhsa_user_sgpr_private_segment_size 0
		.amdhsa_wavefront_size32 1
		.amdhsa_uses_dynamic_stack 0
		.amdhsa_system_sgpr_private_segment_wavefront_offset 0
		.amdhsa_system_sgpr_workgroup_id_x 1
		.amdhsa_system_sgpr_workgroup_id_y 0
		.amdhsa_system_sgpr_workgroup_id_z 1
		.amdhsa_system_sgpr_workgroup_info 0
		.amdhsa_system_vgpr_workitem_id 1
		.amdhsa_next_free_vgpr 42
		.amdhsa_next_free_sgpr 28
		.amdhsa_reserve_vcc 1
		.amdhsa_reserve_flat_scratch 0
		.amdhsa_float_round_mode_32 0
		.amdhsa_float_round_mode_16_64 0
		.amdhsa_float_denorm_mode_32 3
		.amdhsa_float_denorm_mode_16_64 3
		.amdhsa_dx10_clamp 1
		.amdhsa_ieee_mode 1
		.amdhsa_fp16_overflow 0
		.amdhsa_workgroup_processor_mode 1
		.amdhsa_memory_ordered 1
		.amdhsa_forward_progress 1
		.amdhsa_shared_vgpr_count 0
		.amdhsa_exception_fp_ieee_invalid_op 0
		.amdhsa_exception_fp_denorm_src 0
		.amdhsa_exception_fp_ieee_div_zero 0
		.amdhsa_exception_fp_ieee_overflow 0
		.amdhsa_exception_fp_ieee_underflow 0
		.amdhsa_exception_fp_ieee_inexact 0
		.amdhsa_exception_int_div_zero 0
	.end_amdhsa_kernel
	.section	.text._ZL20rocblas_gemvn_kernelILi64ELi16EifffEviiT3_lPKT2_lT1_lS3_lS4_lS0_lPT4_lS4_li,"axG",@progbits,_ZL20rocblas_gemvn_kernelILi64ELi16EifffEviiT3_lPKT2_lT1_lS3_lS4_lS0_lPT4_lS4_li,comdat
.Lfunc_end16:
	.size	_ZL20rocblas_gemvn_kernelILi64ELi16EifffEviiT3_lPKT2_lT1_lS3_lS4_lS0_lPT4_lS4_li, .Lfunc_end16-_ZL20rocblas_gemvn_kernelILi64ELi16EifffEviiT3_lPKT2_lT1_lS3_lS4_lS0_lPT4_lS4_li
                                        ; -- End function
	.set _ZL20rocblas_gemvn_kernelILi64ELi16EifffEviiT3_lPKT2_lT1_lS3_lS4_lS0_lPT4_lS4_li.num_vgpr, 42
	.set _ZL20rocblas_gemvn_kernelILi64ELi16EifffEviiT3_lPKT2_lT1_lS3_lS4_lS0_lPT4_lS4_li.num_agpr, 0
	.set _ZL20rocblas_gemvn_kernelILi64ELi16EifffEviiT3_lPKT2_lT1_lS3_lS4_lS0_lPT4_lS4_li.numbered_sgpr, 28
	.set _ZL20rocblas_gemvn_kernelILi64ELi16EifffEviiT3_lPKT2_lT1_lS3_lS4_lS0_lPT4_lS4_li.num_named_barrier, 0
	.set _ZL20rocblas_gemvn_kernelILi64ELi16EifffEviiT3_lPKT2_lT1_lS3_lS4_lS0_lPT4_lS4_li.private_seg_size, 0
	.set _ZL20rocblas_gemvn_kernelILi64ELi16EifffEviiT3_lPKT2_lT1_lS3_lS4_lS0_lPT4_lS4_li.uses_vcc, 1
	.set _ZL20rocblas_gemvn_kernelILi64ELi16EifffEviiT3_lPKT2_lT1_lS3_lS4_lS0_lPT4_lS4_li.uses_flat_scratch, 0
	.set _ZL20rocblas_gemvn_kernelILi64ELi16EifffEviiT3_lPKT2_lT1_lS3_lS4_lS0_lPT4_lS4_li.has_dyn_sized_stack, 0
	.set _ZL20rocblas_gemvn_kernelILi64ELi16EifffEviiT3_lPKT2_lT1_lS3_lS4_lS0_lPT4_lS4_li.has_recursion, 0
	.set _ZL20rocblas_gemvn_kernelILi64ELi16EifffEviiT3_lPKT2_lT1_lS3_lS4_lS0_lPT4_lS4_li.has_indirect_call, 0
	.section	.AMDGPU.csdata,"",@progbits
; Kernel info:
; codeLenInByte = 2712
; TotalNumSgprs: 30
; NumVgprs: 42
; ScratchSize: 0
; MemoryBound: 0
; FloatMode: 240
; IeeeMode: 1
; LDSByteSize: 16384 bytes/workgroup (compile time only)
; SGPRBlocks: 0
; VGPRBlocks: 5
; NumSGPRsForWavesPerEU: 30
; NumVGPRsForWavesPerEU: 42
; Occupancy: 16
; WaveLimiterHint : 1
; COMPUTE_PGM_RSRC2:SCRATCH_EN: 0
; COMPUTE_PGM_RSRC2:USER_SGPR: 6
; COMPUTE_PGM_RSRC2:TRAP_HANDLER: 0
; COMPUTE_PGM_RSRC2:TGID_X_EN: 1
; COMPUTE_PGM_RSRC2:TGID_Y_EN: 0
; COMPUTE_PGM_RSRC2:TGID_Z_EN: 1
; COMPUTE_PGM_RSRC2:TIDIG_COMP_CNT: 1
	.section	.text._ZL20rocblas_gemvn_kernelILi64ELi16ElfffEviiT3_lPKT2_lT1_lS3_lS4_lS0_lPT4_lS4_li,"axG",@progbits,_ZL20rocblas_gemvn_kernelILi64ELi16ElfffEviiT3_lPKT2_lT1_lS3_lS4_lS0_lPT4_lS4_li,comdat
	.globl	_ZL20rocblas_gemvn_kernelILi64ELi16ElfffEviiT3_lPKT2_lT1_lS3_lS4_lS0_lPT4_lS4_li ; -- Begin function _ZL20rocblas_gemvn_kernelILi64ELi16ElfffEviiT3_lPKT2_lT1_lS3_lS4_lS0_lPT4_lS4_li
	.p2align	8
	.type	_ZL20rocblas_gemvn_kernelILi64ELi16ElfffEviiT3_lPKT2_lT1_lS3_lS4_lS0_lPT4_lS4_li,@function
_ZL20rocblas_gemvn_kernelILi64ELi16ElfffEviiT3_lPKT2_lT1_lS3_lS4_lS0_lPT4_lS4_li: ; @_ZL20rocblas_gemvn_kernelILi64ELi16ElfffEviiT3_lPKT2_lT1_lS3_lS4_lS0_lPT4_lS4_li
; %bb.0:
	s_load_dwordx2 s[0:1], s[4:5], 0x9c
	s_waitcnt lgkmcnt(0)
	s_lshr_b32 s2, s0, 16
	s_and_b32 s0, s0, 0xffff
	s_and_b32 s1, s1, 0xffff
	s_mul_i32 s0, s2, s0
	s_mul_i32 s0, s0, s1
	s_cmpk_lg_i32 s0, 0x400
	s_cbranch_scc1 .LBB17_50
; %bb.1:
	s_clause 0x1
	s_load_dwordx4 s[28:31], s[4:5], 0x0
	s_load_dword s36, s[4:5], 0x58
	s_mov_b32 s37, 0
	s_waitcnt lgkmcnt(0)
	v_cmp_eq_f32_e64 s0, s30, 0
	v_cmp_eq_f32_e64 s1, s36, 1.0
	s_and_b32 s0, s0, s1
	s_and_b32 vcc_lo, exec_lo, s0
	s_cbranch_vccnz .LBB17_50
; %bb.2:
	s_load_dwordx8 s[20:27], s[4:5], 0x68
	v_lshlrev_b32_e32 v14, 6, v1
	v_add_nc_u32_e32 v13, v14, v0
	s_waitcnt lgkmcnt(0)
	s_mul_i32 s1, s27, s7
	s_mul_hi_u32 s2, s26, s7
	s_mul_i32 s0, s26, s7
	s_add_i32 s1, s2, s1
	v_cmp_neq_f32_e64 s2, s30, 0
	s_lshl_b64 s[0:1], s[0:1], 2
	s_add_u32 s3, s20, s0
	s_addc_u32 s8, s21, s1
	s_lshl_b64 s[0:1], s[22:23], 2
	s_add_u32 s31, s3, s0
	v_cmp_gt_u32_e64 s0, 0x100, v13
	s_addc_u32 s33, s8, s1
	s_and_b32 vcc_lo, exec_lo, s2
	s_cbranch_vccnz .LBB17_9
; %bb.3:
	s_mov_b32 s1, 0
                                        ; implicit-def: $vgpr3
                                        ; implicit-def: $vgpr4_vgpr5
	s_and_saveexec_b32 s2, s0
	s_cbranch_execz .LBB17_10
; %bb.4:
	v_lshl_or_b32 v2, s6, 8, v13
	v_mov_b32_e32 v3, 0
	s_ashr_i32 s9, s28, 31
	s_mov_b32 s8, s28
	s_mov_b32 s3, 0
	s_mov_b32 s0, exec_lo
                                        ; implicit-def: $vgpr4_vgpr5
	v_cmpx_gt_i64_e64 s[8:9], v[2:3]
	s_cbranch_execz .LBB17_8
; %bb.5:
	v_mad_u64_u32 v[4:5], null, s24, v2, 0
	v_cmp_eq_f32_e64 s3, s36, 0
	s_and_b32 vcc_lo, exec_lo, s3
	v_mad_u64_u32 v[5:6], null, s25, v2, v[5:6]
	s_cbranch_vccnz .LBB17_7
; %bb.6:
	v_lshlrev_b64 v[2:3], 2, v[4:5]
	v_add_co_u32 v2, vcc_lo, s31, v2
	v_add_co_ci_u32_e64 v3, null, s33, v3, vcc_lo
	global_load_dword v2, v[2:3], off
	s_waitcnt vmcnt(0)
	v_mul_f32_e32 v3, s36, v2
.LBB17_7:
	s_mov_b32 s3, exec_lo
.LBB17_8:
	s_or_b32 exec_lo, exec_lo, s0
	s_and_b32 s37, s3, exec_lo
	s_or_b32 exec_lo, exec_lo, s2
	s_and_b32 vcc_lo, exec_lo, s1
	s_cbranch_vccnz .LBB17_11
	s_branch .LBB17_48
.LBB17_9:
                                        ; implicit-def: $vgpr3
                                        ; implicit-def: $vgpr4_vgpr5
	s_cbranch_execnz .LBB17_11
	s_branch .LBB17_48
.LBB17_10:
	s_or_b32 exec_lo, exec_lo, s2
	s_and_b32 vcc_lo, exec_lo, s1
	s_cbranch_vccz .LBB17_48
.LBB17_11:
	s_load_dwordx16 s[8:23], s[4:5], 0x18
	s_ashr_i32 s0, s29, 31
	s_lshl_b32 s5, s6, 8
	s_lshr_b32 s0, s0, 26
	v_lshlrev_b32_e32 v17, 2, v1
	v_mov_b32_e32 v15, 0
	v_mov_b32_e32 v16, 0
	;; [unrolled: 1-line block ×4, first 2 shown]
	v_add_nc_u32_e32 v2, s5, v0
	s_add_i32 s38, s29, s0
	s_mov_b32 s39, exec_lo
	s_andn2_b32 s38, s38, 63
	s_waitcnt lgkmcnt(0)
	s_mul_i32 s0, s15, s7
	s_mul_hi_u32 s1, s14, s7
	s_mul_i32 s2, s23, s7
	s_mul_hi_u32 s3, s22, s7
	s_mul_i32 s14, s14, s7
	s_add_i32 s15, s1, s0
	s_add_i32 s23, s3, s2
	s_mul_i32 s22, s22, s7
	v_cmpx_gt_i32_e64 s38, v17
	s_cbranch_execz .LBB17_23
; %bb.12:
	v_lshlrev_b32_e32 v30, 2, v1
	v_mad_u64_u32 v[4:5], null, s20, v1, 0
	v_add_nc_u32_e32 v11, 64, v2
	v_add_nc_u32_e32 v12, 0x80, v2
	v_or_b32_e32 v15, 3, v30
	s_lshl_b64 s[0:1], s[22:23], 2
	s_lshl_b64 s[6:7], s[18:19], 2
	s_add_u32 s4, s16, s0
	s_addc_u32 s42, s17, s1
	v_mad_u64_u32 v[6:7], null, s12, v15, 0
	v_cmp_gt_i32_e64 s0, s28, v11
	v_cmp_gt_i32_e64 s1, s28, v12
	v_add_nc_u32_e32 v16, 0xc0, v2
	v_or_b32_e32 v24, 2, v30
	s_lshl_b64 s[34:35], s[10:11], 2
	s_lshl_b64 s[26:27], s[20:21], 8
	v_mad_u64_u32 v[8:9], null, s21, v1, v[5:6]
	v_mad_u64_u32 v[9:10], null, s20, v15, 0
	v_cmp_gt_i32_e64 s2, s28, v16
	s_lshl_b64 s[40:41], s[14:15], 2
	v_mad_u64_u32 v[28:29], null, s20, v24, 0
	v_mov_b32_e32 v5, v8
	v_mad_u64_u32 v[7:8], null, s13, v15, v[7:8]
	v_mad_u64_u32 v[32:33], null, s12, v30, s[12:13]
	v_lshlrev_b64 v[11:12], 4, v[4:5]
	v_mov_b32_e32 v5, v10
	v_mov_b32_e32 v8, v29
	v_ashrrev_i32_e32 v3, 31, v2
	v_lshlrev_b64 v[6:7], 2, v[6:7]
	v_cmp_gt_i32_e32 vcc_lo, s28, v2
	v_add_co_u32 v20, s3, s4, v11
	v_add_co_ci_u32_e64 v21, null, s42, v12, s3
	v_mad_u64_u32 v[15:16], null, s21, v15, v[5:6]
	v_mad_u64_u32 v[11:12], null, s12, v1, 0
	s_add_u32 s3, s8, s34
	s_addc_u32 s34, s9, s35
	s_add_u32 s35, s3, s40
	s_addc_u32 s34, s34, s41
	v_mov_b32_e32 v10, v15
	v_mad_u64_u32 v[15:16], null, s12, v24, 0
	v_mov_b32_e32 v5, v12
	v_add_co_u32 v22, s3, s35, v6
	v_add_co_ci_u32_e64 v23, null, s34, v7, s3
	v_mad_u64_u32 v[18:19], null, s13, v1, v[5:6]
	v_lshlrev_b64 v[6:7], 2, v[9:10]
	v_mov_b32_e32 v5, v16
	v_lshlrev_b64 v[3:4], 2, v[2:3]
	s_mov_b32 s40, 0
	v_mad_u64_u32 v[9:10], null, s13, v24, v[5:6]
	v_mov_b32_e32 v12, v18
	v_mad_u64_u32 v[18:19], null, s20, v30, s[20:21]
	v_mad_u64_u32 v[26:27], null, s21, v24, v[8:9]
	v_add_co_u32 v24, s3, s4, v6
	v_add_co_ci_u32_e64 v25, null, s42, v7, s3
	v_lshlrev_b64 v[6:7], 4, v[11:12]
	v_mov_b32_e32 v5, v19
	v_mov_b32_e32 v16, v9
	;; [unrolled: 1-line block ×3, first 2 shown]
	v_add_co_u32 v26, s3, s35, v6
	v_mad_u64_u32 v[8:9], null, s21, v30, v[5:6]
	v_add_co_ci_u32_e64 v27, null, s34, v7, s3
	v_lshlrev_b64 v[6:7], 2, v[15:16]
	v_mov_b32_e32 v5, v33
	v_mov_b32_e32 v15, 0
	;; [unrolled: 1-line block ×4, first 2 shown]
	v_mad_u64_u32 v[9:10], null, s13, v30, v[5:6]
	v_lshlrev_b64 v[10:11], 2, v[28:29]
	v_add_co_u32 v28, s3, s35, v6
	v_lshlrev_b64 v[5:6], 2, v[18:19]
	v_add_co_ci_u32_e64 v29, null, s34, v7, s3
	v_mov_b32_e32 v33, v9
	v_add_co_u32 v30, s3, s4, v10
	v_add_co_ci_u32_e64 v31, null, s42, v11, s3
	v_lshlrev_b64 v[7:8], 2, v[32:33]
	v_add_co_u32 v32, s3, s4, v5
	v_add_co_ci_u32_e64 v33, null, s42, v6, s3
	v_mov_b32_e32 v18, 0
	v_add_co_u32 v34, s3, s35, v7
	v_add_co_ci_u32_e64 v35, null, s34, v8, s3
	v_mov_b32_e32 v19, 0
	s_lshl_b64 s[34:35], s[12:13], 8
	s_branch .LBB17_17
.LBB17_13:                              ;   in Loop: Header=BB17_17 Depth=1
	s_or_b32 exec_lo, exec_lo, s42
	s_waitcnt vmcnt(3)
	v_fmac_f32_e32 v18, v37, v51
	s_waitcnt vmcnt(2)
	v_fmac_f32_e32 v18, v36, v50
	;; [unrolled: 2-line block ×4, first 2 shown]
.LBB17_14:                              ;   in Loop: Header=BB17_17 Depth=1
	s_or_b32 exec_lo, exec_lo, s41
	s_waitcnt vmcnt(3)
	v_fmac_f32_e32 v16, v37, v47
	s_waitcnt vmcnt(2)
	v_fmac_f32_e32 v16, v36, v46
	s_waitcnt vmcnt(1)
	v_fmac_f32_e32 v16, v38, v45
	s_waitcnt vmcnt(0)
	v_fmac_f32_e32 v16, v39, v44
.LBB17_15:                              ;   in Loop: Header=BB17_17 Depth=1
	s_or_b32 exec_lo, exec_lo, s3
	s_waitcnt vmcnt(3)
	v_fmac_f32_e32 v15, v37, v43
	s_waitcnt vmcnt(2)
	v_fmac_f32_e32 v15, v36, v41
	;; [unrolled: 2-line block ×4, first 2 shown]
.LBB17_16:                              ;   in Loop: Header=BB17_17 Depth=1
	s_or_b32 exec_lo, exec_lo, s4
	v_add_co_u32 v20, s3, v20, s26
	v_add_co_ci_u32_e64 v21, null, s27, v21, s3
	v_add_co_u32 v22, s3, v22, s34
	v_add_co_ci_u32_e64 v23, null, s35, v23, s3
	;; [unrolled: 2-line block ×4, first 2 shown]
	v_add_co_u32 v28, s3, v28, s34
	v_add_nc_u32_e32 v17, 64, v17
	v_add_co_ci_u32_e64 v29, null, s35, v29, s3
	v_add_co_u32 v30, s3, v30, s26
	v_add_co_ci_u32_e64 v31, null, s27, v31, s3
	v_add_co_u32 v32, s3, v32, s26
	v_add_co_ci_u32_e64 v33, null, s27, v33, s3
	v_cmp_le_i32_e64 s3, s38, v17
	v_add_co_u32 v34, s4, v34, s34
	v_add_co_ci_u32_e64 v35, null, s35, v35, s4
	s_or_b32 s40, s3, s40
	s_andn2_b32 exec_lo, exec_lo, s40
	s_cbranch_execz .LBB17_22
.LBB17_17:                              ; =>This Inner Loop Header: Depth=1
	s_and_saveexec_b32 s4, vcc_lo
	s_cbranch_execz .LBB17_16
; %bb.18:                               ;   in Loop: Header=BB17_17 Depth=1
	v_add_co_u32 v5, s3, v20, s6
	v_add_co_ci_u32_e64 v6, null, s7, v21, s3
	v_add_co_u32 v7, s3, v32, s6
	v_add_co_ci_u32_e64 v8, null, s7, v33, s3
	;; [unrolled: 2-line block ×3, first 2 shown]
	v_add_co_u32 v39, s3, v24, s6
	global_load_dword v37, v[5:6], off
	global_load_dword v36, v[7:8], off
	;; [unrolled: 1-line block ×3, first 2 shown]
	v_add_co_ci_u32_e64 v40, null, s7, v25, s3
	v_add_co_u32 v5, s3, v26, v3
	v_add_co_ci_u32_e64 v6, null, v27, v4, s3
	v_add_co_u32 v7, s3, v34, v3
	;; [unrolled: 2-line block ×4, first 2 shown]
	v_add_co_ci_u32_e64 v12, null, v23, v4, s3
	global_load_dword v39, v[39:40], off
	global_load_dword v43, v[5:6], off
	;; [unrolled: 1-line block ×5, first 2 shown]
	s_and_saveexec_b32 s3, s0
	s_cbranch_execz .LBB17_15
; %bb.19:                               ;   in Loop: Header=BB17_17 Depth=1
	global_load_dword v47, v[5:6], off offset:256
	global_load_dword v46, v[7:8], off offset:256
	global_load_dword v45, v[9:10], off offset:256
	global_load_dword v44, v[11:12], off offset:256
	s_and_saveexec_b32 s41, s1
	s_cbranch_execz .LBB17_14
; %bb.20:                               ;   in Loop: Header=BB17_17 Depth=1
	global_load_dword v51, v[5:6], off offset:512
	global_load_dword v50, v[7:8], off offset:512
	global_load_dword v49, v[9:10], off offset:512
	global_load_dword v48, v[11:12], off offset:512
	;; [unrolled: 7-line block ×3, first 2 shown]
	s_waitcnt vmcnt(3)
	v_fmac_f32_e32 v19, v37, v5
	s_waitcnt vmcnt(2)
	v_fmac_f32_e32 v19, v36, v6
	;; [unrolled: 2-line block ×4, first 2 shown]
	s_branch .LBB17_13
.LBB17_22:
	s_or_b32 exec_lo, exec_lo, s40
.LBB17_23:
	s_or_b32 exec_lo, exec_lo, s39
	s_sub_i32 s0, s29, s38
	s_cmp_lt_i32 s0, 1
	s_cbranch_scc1 .LBB17_41
; %bb.24:
	v_cmp_gt_i32_e32 vcc_lo, s29, v17
	v_mov_b32_e32 v20, 0
	v_or_b32_e32 v4, 1, v17
	v_mov_b32_e32 v21, 0
	v_mov_b32_e32 v12, 0
	;; [unrolled: 1-line block ×3, first 2 shown]
	s_and_saveexec_b32 s1, vcc_lo
	s_cbranch_execz .LBB17_32
; %bb.25:
	v_mad_u64_u32 v[5:6], null, s20, v17, 0
	s_lshl_b64 s[2:3], s[22:23], 2
	v_mov_b32_e32 v12, 0
	s_add_u32 s0, s16, s2
	s_addc_u32 s2, s17, s3
	s_lshl_b64 s[6:7], s[18:19], 2
	v_mov_b32_e32 v21, 0
	v_mov_b32_e32 v3, v6
	s_add_u32 s3, s0, s6
	s_addc_u32 s4, s2, s7
	v_mov_b32_e32 v20, 0
	s_mov_b32 s2, exec_lo
	v_mad_u64_u32 v[6:7], null, s21, v17, v[3:4]
	v_lshlrev_b64 v[5:6], 2, v[5:6]
	v_add_co_u32 v5, s0, s3, v5
	v_add_co_ci_u32_e64 v6, null, s4, v6, s0
	global_load_dword v11, v[5:6], off
	v_cmpx_gt_i32_e64 s29, v4
	s_cbranch_execz .LBB17_31
; %bb.26:
	v_mad_u64_u32 v[5:6], null, s20, v4, 0
	v_mov_b32_e32 v21, 0
	v_mov_b32_e32 v20, 0
	s_mov_b32 s6, exec_lo
	v_mov_b32_e32 v3, v6
	v_mad_u64_u32 v[6:7], null, s21, v4, v[3:4]
	v_or_b32_e32 v3, 2, v17
	v_lshlrev_b64 v[5:6], 2, v[5:6]
	v_add_co_u32 v5, s0, s3, v5
	v_add_co_ci_u32_e64 v6, null, s4, v6, s0
	global_load_dword v12, v[5:6], off
	v_cmpx_gt_i32_e64 s29, v3
	s_cbranch_execz .LBB17_30
; %bb.27:
	v_mad_u64_u32 v[5:6], null, s20, v3, 0
	v_mov_b32_e32 v20, 0
	s_mov_b32 s7, exec_lo
	v_mad_u64_u32 v[6:7], null, s21, v3, v[6:7]
	v_or_b32_e32 v3, 3, v17
	v_lshlrev_b64 v[5:6], 2, v[5:6]
	v_add_co_u32 v5, s0, s3, v5
	v_add_co_ci_u32_e64 v6, null, s4, v6, s0
	global_load_dword v21, v[5:6], off
	v_cmpx_gt_i32_e64 s29, v3
	s_cbranch_execz .LBB17_29
; %bb.28:
	v_mad_u64_u32 v[5:6], null, s20, v3, 0
	v_mad_u64_u32 v[6:7], null, s21, v3, v[6:7]
	v_lshlrev_b64 v[5:6], 2, v[5:6]
	v_add_co_u32 v5, s0, s3, v5
	v_add_co_ci_u32_e64 v6, null, s4, v6, s0
	global_load_dword v20, v[5:6], off
.LBB17_29:
	s_or_b32 exec_lo, exec_lo, s7
.LBB17_30:
	s_or_b32 exec_lo, exec_lo, s6
.LBB17_31:
	s_or_b32 exec_lo, exec_lo, s2
.LBB17_32:
	s_or_b32 exec_lo, exec_lo, s1
	s_mov_b32 s1, exec_lo
	v_cmpx_gt_i32_e64 s28, v2
	s_cbranch_execz .LBB17_40
; %bb.33:
	v_mad_u64_u32 v[5:6], null, s12, v17, 0
	v_mad_u64_u32 v[7:8], null, s12, v4, 0
	v_ashrrev_i32_e32 v3, 31, v2
	v_or_b32_e32 v29, 2, v17
	s_lshl_b64 s[2:3], s[14:15], 2
	s_add_u32 s0, s8, s2
	v_lshlrev_b64 v[22:23], 2, v[2:3]
	v_mad_u64_u32 v[9:10], null, s13, v17, v[6:7]
	v_mov_b32_e32 v3, v8
	v_cndmask_b32_e32 v5, 0, v5, vcc_lo
	v_or_b32_e32 v17, 3, v17
	v_mad_u64_u32 v[24:25], null, s12, v29, 0
	v_mad_u64_u32 v[26:27], null, s13, v4, v[3:4]
	v_cndmask_b32_e32 v6, 0, v9, vcc_lo
	v_cmp_gt_i32_e32 vcc_lo, s29, v4
	s_addc_u32 s4, s9, s3
	s_lshl_b64 s[2:3], s[10:11], 2
	v_mad_u64_u32 v[8:9], null, s12, v17, 0
	v_lshlrev_b64 v[5:6], 2, v[5:6]
	v_cndmask_b32_e32 v27, 0, v7, vcc_lo
	v_cndmask_b32_e32 v28, 0, v26, vcc_lo
	s_add_u32 s2, s0, s2
	v_mov_b32_e32 v7, v25
	s_addc_u32 s3, s4, s3
	v_add_co_u32 v3, s0, s2, v5
	v_add_co_ci_u32_e64 v4, null, s3, v6, s0
	v_lshlrev_b64 v[5:6], 2, v[27:28]
	v_mad_u64_u32 v[25:26], null, s13, v29, v[7:8]
	v_add_co_u32 v3, vcc_lo, v3, v22
	v_add_co_ci_u32_e64 v4, null, v4, v23, vcc_lo
	v_cmp_gt_i32_e32 vcc_lo, s29, v29
	v_mov_b32_e32 v7, v9
	v_add_co_u32 v5, s0, s2, v5
	v_add_co_ci_u32_e64 v6, null, s3, v6, s0
	v_cndmask_b32_e32 v9, 0, v24, vcc_lo
	v_cndmask_b32_e32 v10, 0, v25, vcc_lo
	v_mad_u64_u32 v[24:25], null, s13, v17, v[7:8]
	v_add_co_u32 v5, vcc_lo, v5, v22
	v_add_co_ci_u32_e64 v6, null, v6, v23, vcc_lo
	v_cmp_gt_i32_e32 vcc_lo, s29, v17
	v_lshlrev_b64 v[9:10], 2, v[9:10]
	s_clause 0x1
	global_load_dword v25, v[3:4], off
	global_load_dword v26, v[5:6], off
	s_mov_b32 s0, exec_lo
	v_cndmask_b32_e32 v7, 0, v8, vcc_lo
	v_cndmask_b32_e32 v8, 0, v24, vcc_lo
	v_add_co_u32 v17, vcc_lo, s2, v9
	v_add_co_ci_u32_e64 v24, null, s3, v10, vcc_lo
	v_lshlrev_b64 v[9:10], 2, v[7:8]
	v_add_co_u32 v7, vcc_lo, v17, v22
	v_add_co_ci_u32_e64 v8, null, v24, v23, vcc_lo
	v_add_co_u32 v9, vcc_lo, s2, v9
	v_add_co_ci_u32_e64 v10, null, s3, v10, vcc_lo
	global_load_dword v24, v[7:8], off
	v_add_co_u32 v9, vcc_lo, v9, v22
	v_add_co_ci_u32_e64 v10, null, v10, v23, vcc_lo
	v_add_nc_u32_e32 v22, 64, v2
	global_load_dword v17, v[9:10], off
	s_waitcnt vmcnt(3)
	v_fmac_f32_e32 v15, v11, v25
	s_waitcnt vmcnt(2)
	v_fmac_f32_e32 v15, v12, v26
	;; [unrolled: 2-line block ×3, first 2 shown]
	v_cmpx_gt_i32_e64 s28, v22
	s_cbranch_execz .LBB17_39
; %bb.34:
	s_clause 0x3
	global_load_dword v23, v[3:4], off offset:256
	global_load_dword v24, v[5:6], off offset:256
	;; [unrolled: 1-line block ×4, first 2 shown]
	s_mov_b32 s2, exec_lo
	s_waitcnt vmcnt(3)
	v_fmac_f32_e32 v16, v11, v23
	v_add_nc_u32_e32 v23, 0x80, v2
	s_waitcnt vmcnt(2)
	v_fmac_f32_e32 v16, v12, v24
	s_waitcnt vmcnt(1)
	v_fmac_f32_e32 v16, v21, v25
	v_cmpx_gt_i32_e64 s28, v23
	s_cbranch_execz .LBB17_38
; %bb.35:
	s_clause 0x3
	global_load_dword v24, v[3:4], off offset:512
	global_load_dword v25, v[5:6], off offset:512
	global_load_dword v26, v[7:8], off offset:512
	global_load_dword v23, v[9:10], off offset:512
	v_add_nc_u32_e32 v2, 0xc0, v2
	s_mov_b32 s3, exec_lo
	s_waitcnt vmcnt(3)
	v_fmac_f32_e32 v18, v11, v24
	s_waitcnt vmcnt(2)
	v_fmac_f32_e32 v18, v12, v25
	;; [unrolled: 2-line block ×3, first 2 shown]
	v_cmpx_gt_i32_e64 s28, v2
	s_cbranch_execz .LBB17_37
; %bb.36:
	s_clause 0x3
	global_load_dword v2, v[3:4], off offset:768
	global_load_dword v3, v[5:6], off offset:768
	;; [unrolled: 1-line block ×4, first 2 shown]
	s_waitcnt vmcnt(3)
	v_fmac_f32_e32 v19, v11, v2
	s_waitcnt vmcnt(2)
	v_fmac_f32_e32 v19, v12, v3
	;; [unrolled: 2-line block ×4, first 2 shown]
.LBB17_37:
	s_or_b32 exec_lo, exec_lo, s3
	s_waitcnt vmcnt(0)
	v_fmac_f32_e32 v18, v20, v23
.LBB17_38:
	s_or_b32 exec_lo, exec_lo, s2
	s_waitcnt vmcnt(0)
	v_fmac_f32_e32 v16, v20, v22
.LBB17_39:
	s_or_b32 exec_lo, exec_lo, s0
	s_waitcnt vmcnt(0)
	v_fmac_f32_e32 v15, v20, v17
.LBB17_40:
	s_or_b32 exec_lo, exec_lo, s1
.LBB17_41:
	v_lshlrev_b32_e32 v0, 2, v0
	s_mov_b32 s0, exec_lo
                                        ; implicit-def: $vgpr3
                                        ; implicit-def: $vgpr4_vgpr5
	v_lshl_add_u32 v1, v1, 10, v0
	ds_write2st64_b32 v1, v15, v16 offset1:1
	ds_write2st64_b32 v1, v18, v19 offset0:2 offset1:3
	s_waitcnt vmcnt(0) lgkmcnt(0)
	s_barrier
	buffer_gl0_inv
	v_cmpx_gt_u32_e32 0x100, v13
	s_cbranch_execz .LBB17_47
; %bb.42:
	v_lshl_add_u32 v6, v14, 2, v0
	s_mov_b32 s2, s37
	s_mov_b32 s1, exec_lo
	ds_read2st64_b32 v[0:1], v6 offset1:4
	ds_read2st64_b32 v[2:3], v6 offset0:8 offset1:12
	ds_read2st64_b32 v[4:5], v6 offset0:16 offset1:20
	s_waitcnt lgkmcnt(2)
	v_add_f32_e32 v7, v0, v1
	ds_read2st64_b32 v[0:1], v6 offset0:24 offset1:28
	s_waitcnt lgkmcnt(2)
	v_add_f32_e32 v2, v2, v7
	v_add_f32_e32 v7, v3, v2
	ds_read2st64_b32 v[2:3], v6 offset0:32 offset1:36
	s_waitcnt lgkmcnt(2)
	v_add_f32_e32 v4, v4, v7
	;; [unrolled: 4-line block ×3, first 2 shown]
	v_add_f32_e32 v0, v1, v0
	s_waitcnt lgkmcnt(1)
	v_add_f32_e32 v2, v2, v0
	ds_read2st64_b32 v[0:1], v6 offset0:48 offset1:52
	v_add_f32_e32 v2, v3, v2
	s_waitcnt lgkmcnt(1)
	v_add_f32_e32 v4, v4, v2
	ds_read2st64_b32 v[2:3], v6 offset0:56 offset1:60
	v_add_f32_e32 v4, v5, v4
	s_waitcnt lgkmcnt(1)
	v_add_f32_e32 v0, v0, v4
                                        ; implicit-def: $vgpr4_vgpr5
	v_add_f32_e32 v0, v1, v0
	v_or_b32_e32 v1, s5, v13
	s_waitcnt lgkmcnt(0)
	v_add_f32_e32 v0, v2, v0
	v_add_f32_e32 v0, v3, v0
                                        ; implicit-def: $vgpr3
	ds_write_b32 v6, v0
	v_cmpx_gt_i32_e64 s28, v1
	s_cbranch_execz .LBB17_46
; %bb.43:
	v_ashrrev_i32_e32 v2, 31, v1
	v_mul_lo_u32 v6, s25, v1
	v_mad_u64_u32 v[4:5], null, s24, v1, 0
	v_cmp_eq_f32_e64 s2, s36, 0
	v_mul_lo_u32 v1, s24, v2
	v_mul_f32_e32 v3, s30, v0
	s_and_b32 vcc_lo, exec_lo, s2
	v_add3_u32 v5, v5, v1, v6
	s_cbranch_vccnz .LBB17_45
; %bb.44:
	v_lshlrev_b64 v[0:1], 2, v[4:5]
	v_add_co_u32 v0, vcc_lo, s31, v0
	v_add_co_ci_u32_e64 v1, null, s33, v1, vcc_lo
	global_load_dword v0, v[0:1], off
	s_waitcnt vmcnt(0)
	v_fmac_f32_e32 v3, s36, v0
.LBB17_45:
	s_or_b32 s2, s37, exec_lo
.LBB17_46:
	s_or_b32 exec_lo, exec_lo, s1
	s_andn2_b32 s1, s37, exec_lo
	s_and_b32 s2, s2, exec_lo
	s_or_b32 s37, s1, s2
.LBB17_47:
	s_or_b32 exec_lo, exec_lo, s0
.LBB17_48:
	s_and_saveexec_b32 s0, s37
	s_cbranch_execz .LBB17_50
; %bb.49:
	v_lshlrev_b64 v[0:1], 2, v[4:5]
	v_add_co_u32 v0, vcc_lo, s31, v0
	v_add_co_ci_u32_e64 v1, null, s33, v1, vcc_lo
	global_store_dword v[0:1], v3, off
.LBB17_50:
	s_endpgm
	.section	.rodata,"a",@progbits
	.p2align	6, 0x0
	.amdhsa_kernel _ZL20rocblas_gemvn_kernelILi64ELi16ElfffEviiT3_lPKT2_lT1_lS3_lS4_lS0_lPT4_lS4_li
		.amdhsa_group_segment_fixed_size 16384
		.amdhsa_private_segment_fixed_size 0
		.amdhsa_kernarg_size 400
		.amdhsa_user_sgpr_count 6
		.amdhsa_user_sgpr_private_segment_buffer 1
		.amdhsa_user_sgpr_dispatch_ptr 0
		.amdhsa_user_sgpr_queue_ptr 0
		.amdhsa_user_sgpr_kernarg_segment_ptr 1
		.amdhsa_user_sgpr_dispatch_id 0
		.amdhsa_user_sgpr_flat_scratch_init 0
		.amdhsa_user_sgpr_private_segment_size 0
		.amdhsa_wavefront_size32 1
		.amdhsa_uses_dynamic_stack 0
		.amdhsa_system_sgpr_private_segment_wavefront_offset 0
		.amdhsa_system_sgpr_workgroup_id_x 1
		.amdhsa_system_sgpr_workgroup_id_y 0
		.amdhsa_system_sgpr_workgroup_id_z 1
		.amdhsa_system_sgpr_workgroup_info 0
		.amdhsa_system_vgpr_workitem_id 1
		.amdhsa_next_free_vgpr 52
		.amdhsa_next_free_sgpr 43
		.amdhsa_reserve_vcc 1
		.amdhsa_reserve_flat_scratch 0
		.amdhsa_float_round_mode_32 0
		.amdhsa_float_round_mode_16_64 0
		.amdhsa_float_denorm_mode_32 3
		.amdhsa_float_denorm_mode_16_64 3
		.amdhsa_dx10_clamp 1
		.amdhsa_ieee_mode 1
		.amdhsa_fp16_overflow 0
		.amdhsa_workgroup_processor_mode 1
		.amdhsa_memory_ordered 1
		.amdhsa_forward_progress 1
		.amdhsa_shared_vgpr_count 0
		.amdhsa_exception_fp_ieee_invalid_op 0
		.amdhsa_exception_fp_denorm_src 0
		.amdhsa_exception_fp_ieee_div_zero 0
		.amdhsa_exception_fp_ieee_overflow 0
		.amdhsa_exception_fp_ieee_underflow 0
		.amdhsa_exception_fp_ieee_inexact 0
		.amdhsa_exception_int_div_zero 0
	.end_amdhsa_kernel
	.section	.text._ZL20rocblas_gemvn_kernelILi64ELi16ElfffEviiT3_lPKT2_lT1_lS3_lS4_lS0_lPT4_lS4_li,"axG",@progbits,_ZL20rocblas_gemvn_kernelILi64ELi16ElfffEviiT3_lPKT2_lT1_lS3_lS4_lS0_lPT4_lS4_li,comdat
.Lfunc_end17:
	.size	_ZL20rocblas_gemvn_kernelILi64ELi16ElfffEviiT3_lPKT2_lT1_lS3_lS4_lS0_lPT4_lS4_li, .Lfunc_end17-_ZL20rocblas_gemvn_kernelILi64ELi16ElfffEviiT3_lPKT2_lT1_lS3_lS4_lS0_lPT4_lS4_li
                                        ; -- End function
	.set _ZL20rocblas_gemvn_kernelILi64ELi16ElfffEviiT3_lPKT2_lT1_lS3_lS4_lS0_lPT4_lS4_li.num_vgpr, 52
	.set _ZL20rocblas_gemvn_kernelILi64ELi16ElfffEviiT3_lPKT2_lT1_lS3_lS4_lS0_lPT4_lS4_li.num_agpr, 0
	.set _ZL20rocblas_gemvn_kernelILi64ELi16ElfffEviiT3_lPKT2_lT1_lS3_lS4_lS0_lPT4_lS4_li.numbered_sgpr, 43
	.set _ZL20rocblas_gemvn_kernelILi64ELi16ElfffEviiT3_lPKT2_lT1_lS3_lS4_lS0_lPT4_lS4_li.num_named_barrier, 0
	.set _ZL20rocblas_gemvn_kernelILi64ELi16ElfffEviiT3_lPKT2_lT1_lS3_lS4_lS0_lPT4_lS4_li.private_seg_size, 0
	.set _ZL20rocblas_gemvn_kernelILi64ELi16ElfffEviiT3_lPKT2_lT1_lS3_lS4_lS0_lPT4_lS4_li.uses_vcc, 1
	.set _ZL20rocblas_gemvn_kernelILi64ELi16ElfffEviiT3_lPKT2_lT1_lS3_lS4_lS0_lPT4_lS4_li.uses_flat_scratch, 0
	.set _ZL20rocblas_gemvn_kernelILi64ELi16ElfffEviiT3_lPKT2_lT1_lS3_lS4_lS0_lPT4_lS4_li.has_dyn_sized_stack, 0
	.set _ZL20rocblas_gemvn_kernelILi64ELi16ElfffEviiT3_lPKT2_lT1_lS3_lS4_lS0_lPT4_lS4_li.has_recursion, 0
	.set _ZL20rocblas_gemvn_kernelILi64ELi16ElfffEviiT3_lPKT2_lT1_lS3_lS4_lS0_lPT4_lS4_li.has_indirect_call, 0
	.section	.AMDGPU.csdata,"",@progbits
; Kernel info:
; codeLenInByte = 3092
; TotalNumSgprs: 45
; NumVgprs: 52
; ScratchSize: 0
; MemoryBound: 0
; FloatMode: 240
; IeeeMode: 1
; LDSByteSize: 16384 bytes/workgroup (compile time only)
; SGPRBlocks: 0
; VGPRBlocks: 6
; NumSGPRsForWavesPerEU: 45
; NumVGPRsForWavesPerEU: 52
; Occupancy: 16
; WaveLimiterHint : 1
; COMPUTE_PGM_RSRC2:SCRATCH_EN: 0
; COMPUTE_PGM_RSRC2:USER_SGPR: 6
; COMPUTE_PGM_RSRC2:TRAP_HANDLER: 0
; COMPUTE_PGM_RSRC2:TGID_X_EN: 1
; COMPUTE_PGM_RSRC2:TGID_Y_EN: 0
; COMPUTE_PGM_RSRC2:TGID_Z_EN: 1
; COMPUTE_PGM_RSRC2:TIDIG_COMP_CNT: 1
	.section	.text._ZL22rocblas_gemvtsm_kernelILb0ELi256EfPKffEviiT2_lPKT1_lilS5_lilS2_lPT3_lil,"axG",@progbits,_ZL22rocblas_gemvtsm_kernelILb0ELi256EfPKffEviiT2_lPKT1_lilS5_lilS2_lPT3_lil,comdat
	.globl	_ZL22rocblas_gemvtsm_kernelILb0ELi256EfPKffEviiT2_lPKT1_lilS5_lilS2_lPT3_lil ; -- Begin function _ZL22rocblas_gemvtsm_kernelILb0ELi256EfPKffEviiT2_lPKT1_lilS5_lilS2_lPT3_lil
	.p2align	8
	.type	_ZL22rocblas_gemvtsm_kernelILb0ELi256EfPKffEviiT2_lPKT1_lilS5_lilS2_lPT3_lil,@function
_ZL22rocblas_gemvtsm_kernelILb0ELi256EfPKffEviiT2_lPKT1_lilS5_lilS2_lPT3_lil: ; @_ZL22rocblas_gemvtsm_kernelILb0ELi256EfPKffEviiT2_lPKT1_lilS5_lilS2_lPT3_lil
; %bb.0:
	s_clause 0x1
	s_load_dwordx8 s[8:15], s[4:5], 0x8
	s_load_dwordx8 s[16:23], s[4:5], 0x50
	s_waitcnt lgkmcnt(0)
	s_mul_i32 s1, s11, s6
	s_mul_hi_u32 s2, s10, s6
	s_mul_i32 s0, s10, s6
	s_add_i32 s1, s2, s1
	s_mul_i32 s2, s21, s6
	s_lshl_b64 s[0:1], s[0:1], 2
	s_mul_hi_u32 s3, s20, s6
	s_add_u32 s0, s8, s0
	s_addc_u32 s1, s9, s1
	s_add_i32 s3, s3, s2
	s_mul_i32 s2, s20, s6
	s_lshl_b64 s[2:3], s[2:3], 2
	s_add_u32 s2, s18, s2
	s_addc_u32 s3, s19, s3
	s_load_dword s26, s[0:1], 0x0
	s_load_dword s7, s[2:3], 0x0
	s_waitcnt lgkmcnt(0)
	v_cmp_eq_f32_e64 s0, s26, 0
	v_cmp_eq_f32_e64 s1, s7, 1.0
	s_and_b32 s0, s0, s1
	s_and_b32 vcc_lo, exec_lo, s0
	s_cbranch_vccnz .LBB18_34
; %bb.1:
	s_clause 0x3
	s_load_dwordx2 s[0:1], s[4:5], 0x80
	s_load_dwordx2 s[18:19], s[4:5], 0x70
	s_load_dword s8, s[4:5], 0x78
	s_load_dwordx2 s[10:11], s[4:5], 0x0
	v_cmp_neq_f32_e64 s2, s26, 0
	s_and_b32 vcc_lo, exec_lo, s2
	s_waitcnt lgkmcnt(0)
	s_mul_i32 s1, s1, s6
	s_mul_hi_u32 s2, s0, s6
	s_mul_i32 s20, s0, s6
	s_add_i32 s21, s2, s1
	s_cbranch_vccnz .LBB18_9
; %bb.2:
	s_cmp_gt_i32 s11, 0
	v_cmp_neq_f32_e64 s0, s7, 0
	s_cselect_b32 s2, -1, 0
	v_cndmask_b32_e64 v1, 0, 1, s2
	s_and_b32 vcc_lo, exec_lo, s0
	v_cmp_ne_u32_e64 s0, 1, v1
	s_cbranch_vccnz .LBB18_10
; %bb.3:
	s_and_b32 vcc_lo, exec_lo, s0
	s_cbranch_vccnz .LBB18_8
; %bb.4:
	v_mad_i64_i32 v[1:2], null, s8, v0, 0
	s_lshl_b64 s[24:25], s[18:19], 2
	s_ashr_i32 s9, s8, 31
	s_lshl_b64 s[0:1], s[20:21], 2
	s_add_u32 s3, s22, s24
	s_addc_u32 s24, s23, s25
	s_add_u32 s0, s3, s0
	v_lshlrev_b64 v[1:2], 2, v[1:2]
	s_addc_u32 s1, s24, s1
	v_mov_b32_e32 v3, 0
	s_mov_b32 s3, 0
	v_add_co_u32 v1, vcc_lo, s0, v1
	v_add_co_ci_u32_e64 v2, null, s1, v2, vcc_lo
	s_lshl_b64 s[0:1], s[8:9], 10
	s_branch .LBB18_6
.LBB18_5:                               ;   in Loop: Header=BB18_6 Depth=1
	s_or_b32 exec_lo, exec_lo, s9
	v_add_co_u32 v1, vcc_lo, v1, s0
	v_add_co_ci_u32_e64 v2, null, s1, v2, vcc_lo
	s_addk_i32 s3, 0x100
	s_cmp_ge_i32 s3, s11
	s_cbranch_scc1 .LBB18_8
.LBB18_6:                               ; =>This Inner Loop Header: Depth=1
	v_add_nc_u32_e32 v4, s3, v0
	s_mov_b32 s9, exec_lo
	v_cmpx_gt_i32_e64 s11, v4
	s_cbranch_execz .LBB18_5
; %bb.7:                                ;   in Loop: Header=BB18_6 Depth=1
	global_store_dword v[1:2], v3, off
	s_branch .LBB18_5
.LBB18_8:
	s_cbranch_execz .LBB18_11
	s_branch .LBB18_16
.LBB18_9:
	s_branch .LBB18_17
.LBB18_10:
.LBB18_11:
	s_andn2_b32 vcc_lo, exec_lo, s2
	s_cbranch_vccnz .LBB18_16
; %bb.12:
	v_mad_i64_i32 v[1:2], null, s8, v0, 0
	s_lshl_b64 s[2:3], s[18:19], 2
	s_ashr_i32 s9, s8, 31
	s_lshl_b64 s[0:1], s[20:21], 2
	s_add_u32 s2, s22, s2
	s_addc_u32 s3, s23, s3
	s_add_u32 s0, s2, s0
	v_lshlrev_b64 v[1:2], 2, v[1:2]
	s_addc_u32 s1, s3, s1
	s_mov_b32 s2, 0
	v_add_co_u32 v1, vcc_lo, s0, v1
	v_add_co_ci_u32_e64 v2, null, s1, v2, vcc_lo
	s_lshl_b64 s[0:1], s[8:9], 10
	s_branch .LBB18_14
	.p2align	6
.LBB18_13:                              ;   in Loop: Header=BB18_14 Depth=1
	s_or_b32 exec_lo, exec_lo, s3
	v_add_co_u32 v1, vcc_lo, v1, s0
	v_add_co_ci_u32_e64 v2, null, s1, v2, vcc_lo
	s_addk_i32 s2, 0x100
	s_cmp_ge_i32 s2, s11
	s_cbranch_scc1 .LBB18_16
.LBB18_14:                              ; =>This Inner Loop Header: Depth=1
	v_add_nc_u32_e32 v3, s2, v0
	s_mov_b32 s3, exec_lo
	v_cmpx_gt_i32_e64 s11, v3
	s_cbranch_execz .LBB18_13
; %bb.15:                               ;   in Loop: Header=BB18_14 Depth=1
	global_load_dword v3, v[1:2], off
	s_waitcnt vmcnt(0)
	v_mul_f32_e32 v3, s7, v3
	global_store_dword v[1:2], v3, off
	s_branch .LBB18_13
.LBB18_16:
	s_cbranch_execnz .LBB18_34
.LBB18_17:
	s_clause 0x1
	s_load_dwordx4 s[0:3], s[4:5], 0x30
	s_load_dwordx2 s[24:25], s[4:5], 0x40
	s_mov_b32 s9, exec_lo
	v_cmpx_gt_i32_e64 s10, v0
	s_cbranch_execz .LBB18_19
; %bb.18:
	s_load_dword s27, s[4:5], 0x48
	s_mul_i32 s17, s17, s6
	s_mul_hi_u32 s28, s16, s6
	s_mul_i32 s16, s16, s6
	s_add_i32 s17, s28, s17
	s_lshl_b64 s[16:17], s[16:17], 2
	s_waitcnt lgkmcnt(0)
	s_add_u32 s16, s2, s16
	s_addc_u32 s17, s3, s17
	s_lshl_b64 s[2:3], s[24:25], 2
	s_add_u32 s2, s16, s2
	s_addc_u32 s3, s17, s3
	v_mad_i64_i32 v[1:2], null, s27, v0, 0
	v_lshlrev_b64 v[1:2], 2, v[1:2]
	v_add_co_u32 v1, vcc_lo, s2, v1
	v_add_co_ci_u32_e64 v2, null, s3, v2, vcc_lo
	global_load_dword v1, v[1:2], off
	v_lshlrev_b32_e32 v2, 2, v0
	s_waitcnt vmcnt(0)
	v_mul_f32_e32 v1, s26, v1
	ds_write_b32 v2, v1
.LBB18_19:
	s_or_b32 exec_lo, exec_lo, s9
	s_cmp_lt_i32 s11, 1
	s_waitcnt lgkmcnt(0)
	s_waitcnt_vscnt null, 0x0
	s_barrier
	buffer_gl0_inv
	s_cbranch_scc1 .LBB18_34
; %bb.20:
	s_load_dword s2, s[4:5], 0x28
	s_lshl_b64 s[4:5], s[20:21], 2
	s_mul_i32 s1, s1, s6
	s_add_u32 s3, s22, s4
	s_mul_hi_u32 s20, s0, s6
	s_mul_i32 s0, s0, s6
	s_addc_u32 s6, s23, s5
	s_lshl_b64 s[16:17], s[18:19], 2
	v_cmp_neq_f32_e64 s4, s7, 0
	s_add_u32 s5, s3, s16
	s_addc_u32 s6, s6, s17
	s_ashr_i32 s9, s8, 31
	s_waitcnt lgkmcnt(0)
	s_ashr_i32 s3, s2, 31
	s_cmp_gt_i32 s10, 0
	v_mad_i64_i32 v[1:2], null, s2, v0, 0
	s_cselect_b32 s16, -1, 0
	s_and_b32 s17, s10, 7
	s_cmp_gt_u32 s10, 7
	s_cselect_b32 s18, -1, 0
	s_and_b32 s10, s10, 0x7ffffff8
	s_cmp_lg_u32 s17, 0
	v_lshlrev_b64 v[1:2], 2, v[1:2]
	s_cselect_b32 s19, -1, 0
	s_add_i32 s1, s20, s1
	s_lshl_b64 s[14:15], s[14:15], 2
	s_lshl_b64 s[0:1], s[0:1], 2
	s_add_u32 s12, s12, s14
	s_addc_u32 s13, s13, s15
	s_add_u32 s0, s12, s0
	s_addc_u32 s1, s13, s1
	v_add_co_u32 v7, vcc_lo, s0, v1
	v_add_co_ci_u32_e64 v8, null, s1, v2, vcc_lo
	s_mov_b32 s1, 0
	v_add_co_u32 v1, vcc_lo, v7, 28
	v_add_co_ci_u32_e64 v2, null, 0, v8, vcc_lo
	s_lshl_b64 s[2:3], s[2:3], 10
	s_mov_b32 s12, 0
	s_branch .LBB18_23
.LBB18_21:                              ;   in Loop: Header=BB18_23 Depth=1
	v_add_co_u32 v3, vcc_lo, s5, v3
	v_add_co_ci_u32_e64 v4, null, s6, v4, vcc_lo
	global_store_dword v[3:4], v9, off
.LBB18_22:                              ;   in Loop: Header=BB18_23 Depth=1
	s_or_b32 exec_lo, exec_lo, s13
	v_add_co_u32 v1, vcc_lo, v1, s2
	v_add_co_ci_u32_e64 v2, null, s3, v2, vcc_lo
	v_add_co_u32 v7, vcc_lo, v7, s2
	v_add_co_ci_u32_e64 v8, null, s3, v8, vcc_lo
	s_addk_i32 s12, 0x100
	s_cmp_ge_i32 s12, s11
	s_cbranch_scc1 .LBB18_34
.LBB18_23:                              ; =>This Loop Header: Depth=1
                                        ;     Child Loop BB18_29 Depth 2
                                        ;     Child Loop BB18_33 Depth 2
	v_add_nc_u32_e32 v3, s12, v0
	s_mov_b32 s13, exec_lo
	v_cmpx_gt_i32_e64 s11, v3
	s_cbranch_execz .LBB18_22
; %bb.24:                               ;   in Loop: Header=BB18_23 Depth=1
	v_mad_u64_u32 v[4:5], null, v3, s8, 0
	s_andn2_b32 vcc_lo, exec_lo, s4
	v_mad_u64_u32 v[5:6], null, v3, s9, v[5:6]
	v_lshlrev_b64 v[3:4], 2, v[4:5]
	s_cbranch_vccnz .LBB18_26
; %bb.25:                               ;   in Loop: Header=BB18_23 Depth=1
	v_add_co_u32 v5, vcc_lo, s5, v3
	v_add_co_ci_u32_e64 v6, null, s6, v4, vcc_lo
	global_load_dword v5, v[5:6], off
	s_waitcnt vmcnt(0)
	v_mul_f32_e32 v9, s7, v5
	s_andn2_b32 vcc_lo, exec_lo, s16
	s_cbranch_vccz .LBB18_27
	s_branch .LBB18_21
.LBB18_26:                              ;   in Loop: Header=BB18_23 Depth=1
	v_mov_b32_e32 v9, 0
	s_andn2_b32 vcc_lo, exec_lo, s16
	s_cbranch_vccnz .LBB18_21
.LBB18_27:                              ;   in Loop: Header=BB18_23 Depth=1
	s_andn2_b32 vcc_lo, exec_lo, s18
	s_mov_b32 s0, 0
	s_cbranch_vccnz .LBB18_31
; %bb.28:                               ;   in Loop: Header=BB18_23 Depth=1
	v_mov_b32_e32 v6, v2
	v_mov_b32_e32 v5, v1
	s_mov_b32 s14, 0
	.p2align	6
.LBB18_29:                              ;   Parent Loop BB18_23 Depth=1
                                        ; =>  This Inner Loop Header: Depth=2
	s_clause 0x1
	global_load_dwordx4 v[10:13], v[5:6], off offset:-28
	global_load_dwordx4 v[14:17], v[5:6], off offset:-12
	v_mov_b32_e32 v22, s0
	v_add_co_u32 v5, vcc_lo, v5, 32
	v_add_co_ci_u32_e64 v6, null, 0, v6, vcc_lo
	ds_read_b128 v[18:21], v22
	ds_read_b128 v[22:25], v22 offset:16
	s_add_i32 s14, s14, 8
	s_add_i32 s0, s0, 32
	s_cmp_eq_u32 s10, s14
	s_waitcnt vmcnt(1) lgkmcnt(1)
	v_fmac_f32_e32 v9, v18, v10
	v_fmac_f32_e32 v9, v19, v11
	;; [unrolled: 1-line block ×4, first 2 shown]
	s_waitcnt vmcnt(0) lgkmcnt(0)
	v_fmac_f32_e32 v9, v22, v14
	v_fmac_f32_e32 v9, v23, v15
	;; [unrolled: 1-line block ×4, first 2 shown]
	s_cbranch_scc0 .LBB18_29
; %bb.30:                               ;   in Loop: Header=BB18_23 Depth=1
	s_mov_b32 s0, s10
.LBB18_31:                              ;   in Loop: Header=BB18_23 Depth=1
	s_andn2_b32 vcc_lo, exec_lo, s19
	s_cbranch_vccnz .LBB18_21
; %bb.32:                               ;   in Loop: Header=BB18_23 Depth=1
	s_lshl_b64 s[14:15], s[0:1], 2
	s_lshl_b32 s0, s0, 2
	v_add_co_u32 v5, vcc_lo, v7, s14
	v_add_co_ci_u32_e64 v6, null, s15, v8, vcc_lo
	s_mov_b32 s14, s17
.LBB18_33:                              ;   Parent Loop BB18_23 Depth=1
                                        ; =>  This Inner Loop Header: Depth=2
	global_load_dword v10, v[5:6], off
	v_mov_b32_e32 v11, s0
	v_add_co_u32 v5, vcc_lo, v5, 4
	v_add_co_ci_u32_e64 v6, null, 0, v6, vcc_lo
	ds_read_b32 v11, v11
	s_add_i32 s14, s14, -1
	s_add_i32 s0, s0, 4
	s_cmp_lg_u32 s14, 0
	s_waitcnt vmcnt(0) lgkmcnt(0)
	v_fmac_f32_e32 v9, v11, v10
	s_cbranch_scc1 .LBB18_33
	s_branch .LBB18_21
.LBB18_34:
	s_endpgm
	.section	.rodata,"a",@progbits
	.p2align	6, 0x0
	.amdhsa_kernel _ZL22rocblas_gemvtsm_kernelILb0ELi256EfPKffEviiT2_lPKT1_lilS5_lilS2_lPT3_lil
		.amdhsa_group_segment_fixed_size 256
		.amdhsa_private_segment_fixed_size 0
		.amdhsa_kernarg_size 136
		.amdhsa_user_sgpr_count 6
		.amdhsa_user_sgpr_private_segment_buffer 1
		.amdhsa_user_sgpr_dispatch_ptr 0
		.amdhsa_user_sgpr_queue_ptr 0
		.amdhsa_user_sgpr_kernarg_segment_ptr 1
		.amdhsa_user_sgpr_dispatch_id 0
		.amdhsa_user_sgpr_flat_scratch_init 0
		.amdhsa_user_sgpr_private_segment_size 0
		.amdhsa_wavefront_size32 1
		.amdhsa_uses_dynamic_stack 0
		.amdhsa_system_sgpr_private_segment_wavefront_offset 0
		.amdhsa_system_sgpr_workgroup_id_x 1
		.amdhsa_system_sgpr_workgroup_id_y 0
		.amdhsa_system_sgpr_workgroup_id_z 0
		.amdhsa_system_sgpr_workgroup_info 0
		.amdhsa_system_vgpr_workitem_id 0
		.amdhsa_next_free_vgpr 26
		.amdhsa_next_free_sgpr 29
		.amdhsa_reserve_vcc 1
		.amdhsa_reserve_flat_scratch 0
		.amdhsa_float_round_mode_32 0
		.amdhsa_float_round_mode_16_64 0
		.amdhsa_float_denorm_mode_32 3
		.amdhsa_float_denorm_mode_16_64 3
		.amdhsa_dx10_clamp 1
		.amdhsa_ieee_mode 1
		.amdhsa_fp16_overflow 0
		.amdhsa_workgroup_processor_mode 1
		.amdhsa_memory_ordered 1
		.amdhsa_forward_progress 1
		.amdhsa_shared_vgpr_count 0
		.amdhsa_exception_fp_ieee_invalid_op 0
		.amdhsa_exception_fp_denorm_src 0
		.amdhsa_exception_fp_ieee_div_zero 0
		.amdhsa_exception_fp_ieee_overflow 0
		.amdhsa_exception_fp_ieee_underflow 0
		.amdhsa_exception_fp_ieee_inexact 0
		.amdhsa_exception_int_div_zero 0
	.end_amdhsa_kernel
	.section	.text._ZL22rocblas_gemvtsm_kernelILb0ELi256EfPKffEviiT2_lPKT1_lilS5_lilS2_lPT3_lil,"axG",@progbits,_ZL22rocblas_gemvtsm_kernelILb0ELi256EfPKffEviiT2_lPKT1_lilS5_lilS2_lPT3_lil,comdat
.Lfunc_end18:
	.size	_ZL22rocblas_gemvtsm_kernelILb0ELi256EfPKffEviiT2_lPKT1_lilS5_lilS2_lPT3_lil, .Lfunc_end18-_ZL22rocblas_gemvtsm_kernelILb0ELi256EfPKffEviiT2_lPKT1_lilS5_lilS2_lPT3_lil
                                        ; -- End function
	.set _ZL22rocblas_gemvtsm_kernelILb0ELi256EfPKffEviiT2_lPKT1_lilS5_lilS2_lPT3_lil.num_vgpr, 26
	.set _ZL22rocblas_gemvtsm_kernelILb0ELi256EfPKffEviiT2_lPKT1_lilS5_lilS2_lPT3_lil.num_agpr, 0
	.set _ZL22rocblas_gemvtsm_kernelILb0ELi256EfPKffEviiT2_lPKT1_lilS5_lilS2_lPT3_lil.numbered_sgpr, 29
	.set _ZL22rocblas_gemvtsm_kernelILb0ELi256EfPKffEviiT2_lPKT1_lilS5_lilS2_lPT3_lil.num_named_barrier, 0
	.set _ZL22rocblas_gemvtsm_kernelILb0ELi256EfPKffEviiT2_lPKT1_lilS5_lilS2_lPT3_lil.private_seg_size, 0
	.set _ZL22rocblas_gemvtsm_kernelILb0ELi256EfPKffEviiT2_lPKT1_lilS5_lilS2_lPT3_lil.uses_vcc, 1
	.set _ZL22rocblas_gemvtsm_kernelILb0ELi256EfPKffEviiT2_lPKT1_lilS5_lilS2_lPT3_lil.uses_flat_scratch, 0
	.set _ZL22rocblas_gemvtsm_kernelILb0ELi256EfPKffEviiT2_lPKT1_lilS5_lilS2_lPT3_lil.has_dyn_sized_stack, 0
	.set _ZL22rocblas_gemvtsm_kernelILb0ELi256EfPKffEviiT2_lPKT1_lilS5_lilS2_lPT3_lil.has_recursion, 0
	.set _ZL22rocblas_gemvtsm_kernelILb0ELi256EfPKffEviiT2_lPKT1_lilS5_lilS2_lPT3_lil.has_indirect_call, 0
	.section	.AMDGPU.csdata,"",@progbits
; Kernel info:
; codeLenInByte = 1436
; TotalNumSgprs: 31
; NumVgprs: 26
; ScratchSize: 0
; MemoryBound: 0
; FloatMode: 240
; IeeeMode: 1
; LDSByteSize: 256 bytes/workgroup (compile time only)
; SGPRBlocks: 0
; VGPRBlocks: 3
; NumSGPRsForWavesPerEU: 31
; NumVGPRsForWavesPerEU: 26
; Occupancy: 16
; WaveLimiterHint : 1
; COMPUTE_PGM_RSRC2:SCRATCH_EN: 0
; COMPUTE_PGM_RSRC2:USER_SGPR: 6
; COMPUTE_PGM_RSRC2:TRAP_HANDLER: 0
; COMPUTE_PGM_RSRC2:TGID_X_EN: 1
; COMPUTE_PGM_RSRC2:TGID_Y_EN: 0
; COMPUTE_PGM_RSRC2:TGID_Z_EN: 0
; COMPUTE_PGM_RSRC2:TIDIG_COMP_CNT: 0
	.section	.text._ZL22rocblas_gemvtsm_kernelILb0ELi256EfffEviiT2_lPKT1_lilS3_lilS0_lPT3_lil,"axG",@progbits,_ZL22rocblas_gemvtsm_kernelILb0ELi256EfffEviiT2_lPKT1_lilS3_lilS0_lPT3_lil,comdat
	.globl	_ZL22rocblas_gemvtsm_kernelILb0ELi256EfffEviiT2_lPKT1_lilS3_lilS0_lPT3_lil ; -- Begin function _ZL22rocblas_gemvtsm_kernelILb0ELi256EfffEviiT2_lPKT1_lilS3_lilS0_lPT3_lil
	.p2align	8
	.type	_ZL22rocblas_gemvtsm_kernelILb0ELi256EfffEviiT2_lPKT1_lilS3_lilS0_lPT3_lil,@function
_ZL22rocblas_gemvtsm_kernelILb0ELi256EfffEviiT2_lPKT1_lilS3_lilS0_lPT3_lil: ; @_ZL22rocblas_gemvtsm_kernelILb0ELi256EfffEviiT2_lPKT1_lilS3_lilS0_lPT3_lil
; %bb.0:
	s_clause 0x1
	s_load_dwordx4 s[8:11], s[4:5], 0x0
	s_load_dword s7, s[4:5], 0x58
	s_waitcnt lgkmcnt(0)
	v_cmp_eq_f32_e64 s0, s10, 0
	v_cmp_eq_f32_e64 s1, s7, 1.0
	s_and_b32 s0, s0, s1
	s_and_b32 vcc_lo, exec_lo, s0
	s_cbranch_vccnz .LBB19_34
; %bb.1:
	s_clause 0x2
	s_load_dwordx2 s[0:1], s[4:5], 0x80
	s_load_dwordx4 s[12:15], s[4:5], 0x68
	s_load_dword s20, s[4:5], 0x78
	v_cmp_neq_f32_e64 s2, s10, 0
	s_and_b32 vcc_lo, exec_lo, s2
	s_waitcnt lgkmcnt(0)
	s_mul_i32 s1, s1, s6
	s_mul_hi_u32 s2, s0, s6
	s_mul_i32 s22, s0, s6
	s_add_i32 s23, s2, s1
	s_cbranch_vccnz .LBB19_9
; %bb.2:
	s_cmp_gt_i32 s9, 0
	v_cmp_neq_f32_e64 s0, s7, 0
	s_cselect_b32 s2, -1, 0
	v_cndmask_b32_e64 v1, 0, 1, s2
	s_and_b32 vcc_lo, exec_lo, s0
	v_cmp_ne_u32_e64 s0, 1, v1
	s_cbranch_vccnz .LBB19_10
; %bb.3:
	s_and_b32 vcc_lo, exec_lo, s0
	s_cbranch_vccnz .LBB19_8
; %bb.4:
	v_mad_i64_i32 v[1:2], null, s20, v0, 0
	s_lshl_b64 s[16:17], s[14:15], 2
	s_ashr_i32 s21, s20, 31
	s_lshl_b64 s[0:1], s[22:23], 2
	s_add_u32 s3, s12, s16
	s_addc_u32 s11, s13, s17
	s_add_u32 s0, s3, s0
	v_lshlrev_b64 v[1:2], 2, v[1:2]
	s_addc_u32 s1, s11, s1
	v_mov_b32_e32 v3, 0
	s_mov_b32 s3, 0
	v_add_co_u32 v1, vcc_lo, s0, v1
	v_add_co_ci_u32_e64 v2, null, s1, v2, vcc_lo
	s_lshl_b64 s[0:1], s[20:21], 10
	s_branch .LBB19_6
.LBB19_5:                               ;   in Loop: Header=BB19_6 Depth=1
	s_or_b32 exec_lo, exec_lo, s11
	v_add_co_u32 v1, vcc_lo, v1, s0
	v_add_co_ci_u32_e64 v2, null, s1, v2, vcc_lo
	s_addk_i32 s3, 0x100
	s_cmp_ge_i32 s3, s9
	s_cbranch_scc1 .LBB19_8
.LBB19_6:                               ; =>This Inner Loop Header: Depth=1
	v_add_nc_u32_e32 v4, s3, v0
	s_mov_b32 s11, exec_lo
	v_cmpx_gt_i32_e64 s9, v4
	s_cbranch_execz .LBB19_5
; %bb.7:                                ;   in Loop: Header=BB19_6 Depth=1
	global_store_dword v[1:2], v3, off
	s_branch .LBB19_5
.LBB19_8:
	s_cbranch_execz .LBB19_11
	s_branch .LBB19_16
.LBB19_9:
	s_branch .LBB19_17
.LBB19_10:
.LBB19_11:
	s_andn2_b32 vcc_lo, exec_lo, s2
	s_cbranch_vccnz .LBB19_16
; %bb.12:
	v_mad_i64_i32 v[1:2], null, s20, v0, 0
	s_lshl_b64 s[2:3], s[14:15], 2
	s_ashr_i32 s21, s20, 31
	s_lshl_b64 s[0:1], s[22:23], 2
	s_add_u32 s2, s12, s2
	s_addc_u32 s3, s13, s3
	s_add_u32 s0, s2, s0
	v_lshlrev_b64 v[1:2], 2, v[1:2]
	s_addc_u32 s1, s3, s1
	s_mov_b32 s2, 0
	v_add_co_u32 v1, vcc_lo, s0, v1
	v_add_co_ci_u32_e64 v2, null, s1, v2, vcc_lo
	s_lshl_b64 s[0:1], s[20:21], 10
	s_branch .LBB19_14
	.p2align	6
.LBB19_13:                              ;   in Loop: Header=BB19_14 Depth=1
	s_or_b32 exec_lo, exec_lo, s3
	v_add_co_u32 v1, vcc_lo, v1, s0
	v_add_co_ci_u32_e64 v2, null, s1, v2, vcc_lo
	s_addk_i32 s2, 0x100
	s_cmp_ge_i32 s2, s9
	s_cbranch_scc1 .LBB19_16
.LBB19_14:                              ; =>This Inner Loop Header: Depth=1
	v_add_nc_u32_e32 v3, s2, v0
	s_mov_b32 s3, exec_lo
	v_cmpx_gt_i32_e64 s9, v3
	s_cbranch_execz .LBB19_13
; %bb.15:                               ;   in Loop: Header=BB19_14 Depth=1
	global_load_dword v3, v[1:2], off
	s_waitcnt vmcnt(0)
	v_mul_f32_e32 v3, s7, v3
	global_store_dword v[1:2], v3, off
	s_branch .LBB19_13
.LBB19_16:
	s_cbranch_execnz .LBB19_34
.LBB19_17:
	s_clause 0x1
	s_load_dwordx4 s[0:3], s[4:5], 0x30
	s_load_dwordx2 s[16:17], s[4:5], 0x40
	s_mov_b32 s11, exec_lo
	v_cmpx_gt_i32_e64 s8, v0
	s_cbranch_execz .LBB19_19
; %bb.18:
	s_clause 0x1
	s_load_dwordx2 s[18:19], s[4:5], 0x50
	s_load_dword s21, s[4:5], 0x48
	s_waitcnt lgkmcnt(0)
	s_mul_i32 s19, s19, s6
	v_mad_i64_i32 v[1:2], null, s21, v0, 0
	s_mul_hi_u32 s24, s18, s6
	s_mul_i32 s18, s18, s6
	s_add_i32 s19, s24, s19
	s_lshl_b64 s[18:19], s[18:19], 2
	s_add_u32 s18, s2, s18
	v_lshlrev_b64 v[1:2], 2, v[1:2]
	s_addc_u32 s19, s3, s19
	s_lshl_b64 s[2:3], s[16:17], 2
	s_add_u32 s2, s18, s2
	s_addc_u32 s3, s19, s3
	v_add_co_u32 v1, vcc_lo, s2, v1
	v_add_co_ci_u32_e64 v2, null, s3, v2, vcc_lo
	global_load_dword v1, v[1:2], off
	v_lshlrev_b32_e32 v2, 2, v0
	s_waitcnt vmcnt(0)
	v_mul_f32_e32 v1, s10, v1
	ds_write_b32 v2, v1
.LBB19_19:
	s_or_b32 exec_lo, exec_lo, s11
	s_cmp_lt_i32 s9, 1
	s_waitcnt lgkmcnt(0)
	s_waitcnt_vscnt null, 0x0
	s_barrier
	buffer_gl0_inv
	s_cbranch_scc1 .LBB19_34
; %bb.20:
	s_clause 0x1
	s_load_dword s2, s[4:5], 0x28
	s_load_dwordx4 s[16:19], s[4:5], 0x18
	s_lshl_b64 s[4:5], s[22:23], 2
	s_mul_i32 s1, s1, s6
	s_add_u32 s3, s12, s4
	s_mul_hi_u32 s21, s0, s6
	s_mul_i32 s0, s0, s6
	s_addc_u32 s6, s13, s5
	s_lshl_b64 s[10:11], s[14:15], 2
	v_cmp_neq_f32_e64 s4, s7, 0
	s_add_u32 s5, s3, s10
	s_addc_u32 s6, s6, s11
	s_ashr_i32 s10, s20, 31
	s_waitcnt lgkmcnt(0)
	s_ashr_i32 s3, s2, 31
	s_cmp_gt_i32 s8, 0
	v_mad_i64_i32 v[1:2], null, s2, v0, 0
	s_cselect_b32 s11, -1, 0
	s_and_b32 s12, s8, 7
	s_cmp_gt_u32 s8, 7
	s_cselect_b32 s13, -1, 0
	s_and_b32 s8, s8, 0x7ffffff8
	s_cmp_lg_u32 s12, 0
	v_lshlrev_b64 v[1:2], 2, v[1:2]
	s_cselect_b32 s14, -1, 0
	s_add_i32 s1, s21, s1
	s_lshl_b64 s[18:19], s[18:19], 2
	s_lshl_b64 s[0:1], s[0:1], 2
	s_add_u32 s15, s16, s18
	s_addc_u32 s16, s17, s19
	s_add_u32 s0, s15, s0
	s_addc_u32 s1, s16, s1
	v_add_co_u32 v7, vcc_lo, s0, v1
	v_add_co_ci_u32_e64 v8, null, s1, v2, vcc_lo
	s_mov_b32 s1, 0
	v_add_co_u32 v1, vcc_lo, v7, 28
	v_add_co_ci_u32_e64 v2, null, 0, v8, vcc_lo
	s_lshl_b64 s[2:3], s[2:3], 10
	s_mov_b32 s15, 0
	s_branch .LBB19_23
.LBB19_21:                              ;   in Loop: Header=BB19_23 Depth=1
	v_add_co_u32 v3, vcc_lo, s5, v3
	v_add_co_ci_u32_e64 v4, null, s6, v4, vcc_lo
	global_store_dword v[3:4], v9, off
.LBB19_22:                              ;   in Loop: Header=BB19_23 Depth=1
	s_or_b32 exec_lo, exec_lo, s16
	v_add_co_u32 v1, vcc_lo, v1, s2
	v_add_co_ci_u32_e64 v2, null, s3, v2, vcc_lo
	v_add_co_u32 v7, vcc_lo, v7, s2
	v_add_co_ci_u32_e64 v8, null, s3, v8, vcc_lo
	s_addk_i32 s15, 0x100
	s_cmp_ge_i32 s15, s9
	s_cbranch_scc1 .LBB19_34
.LBB19_23:                              ; =>This Loop Header: Depth=1
                                        ;     Child Loop BB19_29 Depth 2
                                        ;     Child Loop BB19_33 Depth 2
	v_add_nc_u32_e32 v3, s15, v0
	s_mov_b32 s16, exec_lo
	v_cmpx_gt_i32_e64 s9, v3
	s_cbranch_execz .LBB19_22
; %bb.24:                               ;   in Loop: Header=BB19_23 Depth=1
	v_mad_u64_u32 v[4:5], null, v3, s20, 0
	s_andn2_b32 vcc_lo, exec_lo, s4
	v_mad_u64_u32 v[5:6], null, v3, s10, v[5:6]
	v_lshlrev_b64 v[3:4], 2, v[4:5]
	s_cbranch_vccnz .LBB19_26
; %bb.25:                               ;   in Loop: Header=BB19_23 Depth=1
	v_add_co_u32 v5, vcc_lo, s5, v3
	v_add_co_ci_u32_e64 v6, null, s6, v4, vcc_lo
	global_load_dword v5, v[5:6], off
	s_waitcnt vmcnt(0)
	v_mul_f32_e32 v9, s7, v5
	s_andn2_b32 vcc_lo, exec_lo, s11
	s_cbranch_vccz .LBB19_27
	s_branch .LBB19_21
.LBB19_26:                              ;   in Loop: Header=BB19_23 Depth=1
	v_mov_b32_e32 v9, 0
	s_andn2_b32 vcc_lo, exec_lo, s11
	s_cbranch_vccnz .LBB19_21
.LBB19_27:                              ;   in Loop: Header=BB19_23 Depth=1
	s_andn2_b32 vcc_lo, exec_lo, s13
	s_mov_b32 s0, 0
	s_cbranch_vccnz .LBB19_31
; %bb.28:                               ;   in Loop: Header=BB19_23 Depth=1
	v_mov_b32_e32 v6, v2
	v_mov_b32_e32 v5, v1
	s_mov_b32 s17, 0
	.p2align	6
.LBB19_29:                              ;   Parent Loop BB19_23 Depth=1
                                        ; =>  This Inner Loop Header: Depth=2
	s_clause 0x1
	global_load_dwordx4 v[10:13], v[5:6], off offset:-28
	global_load_dwordx4 v[14:17], v[5:6], off offset:-12
	v_mov_b32_e32 v22, s0
	v_add_co_u32 v5, vcc_lo, v5, 32
	v_add_co_ci_u32_e64 v6, null, 0, v6, vcc_lo
	ds_read_b128 v[18:21], v22
	ds_read_b128 v[22:25], v22 offset:16
	s_add_i32 s17, s17, 8
	s_add_i32 s0, s0, 32
	s_cmp_eq_u32 s8, s17
	s_waitcnt vmcnt(1) lgkmcnt(1)
	v_fmac_f32_e32 v9, v18, v10
	v_fmac_f32_e32 v9, v19, v11
	;; [unrolled: 1-line block ×4, first 2 shown]
	s_waitcnt vmcnt(0) lgkmcnt(0)
	v_fmac_f32_e32 v9, v22, v14
	v_fmac_f32_e32 v9, v23, v15
	;; [unrolled: 1-line block ×4, first 2 shown]
	s_cbranch_scc0 .LBB19_29
; %bb.30:                               ;   in Loop: Header=BB19_23 Depth=1
	s_mov_b32 s0, s8
.LBB19_31:                              ;   in Loop: Header=BB19_23 Depth=1
	s_andn2_b32 vcc_lo, exec_lo, s14
	s_cbranch_vccnz .LBB19_21
; %bb.32:                               ;   in Loop: Header=BB19_23 Depth=1
	s_lshl_b64 s[18:19], s[0:1], 2
	s_lshl_b32 s0, s0, 2
	v_add_co_u32 v5, vcc_lo, v7, s18
	v_add_co_ci_u32_e64 v6, null, s19, v8, vcc_lo
	s_mov_b32 s17, s12
.LBB19_33:                              ;   Parent Loop BB19_23 Depth=1
                                        ; =>  This Inner Loop Header: Depth=2
	global_load_dword v10, v[5:6], off
	v_mov_b32_e32 v11, s0
	v_add_co_u32 v5, vcc_lo, v5, 4
	v_add_co_ci_u32_e64 v6, null, 0, v6, vcc_lo
	ds_read_b32 v11, v11
	s_add_i32 s17, s17, -1
	s_add_i32 s0, s0, 4
	s_cmp_lg_u32 s17, 0
	s_waitcnt vmcnt(0) lgkmcnt(0)
	v_fmac_f32_e32 v9, v11, v10
	s_cbranch_scc1 .LBB19_33
	s_branch .LBB19_21
.LBB19_34:
	s_endpgm
	.section	.rodata,"a",@progbits
	.p2align	6, 0x0
	.amdhsa_kernel _ZL22rocblas_gemvtsm_kernelILb0ELi256EfffEviiT2_lPKT1_lilS3_lilS0_lPT3_lil
		.amdhsa_group_segment_fixed_size 256
		.amdhsa_private_segment_fixed_size 0
		.amdhsa_kernarg_size 136
		.amdhsa_user_sgpr_count 6
		.amdhsa_user_sgpr_private_segment_buffer 1
		.amdhsa_user_sgpr_dispatch_ptr 0
		.amdhsa_user_sgpr_queue_ptr 0
		.amdhsa_user_sgpr_kernarg_segment_ptr 1
		.amdhsa_user_sgpr_dispatch_id 0
		.amdhsa_user_sgpr_flat_scratch_init 0
		.amdhsa_user_sgpr_private_segment_size 0
		.amdhsa_wavefront_size32 1
		.amdhsa_uses_dynamic_stack 0
		.amdhsa_system_sgpr_private_segment_wavefront_offset 0
		.amdhsa_system_sgpr_workgroup_id_x 1
		.amdhsa_system_sgpr_workgroup_id_y 0
		.amdhsa_system_sgpr_workgroup_id_z 0
		.amdhsa_system_sgpr_workgroup_info 0
		.amdhsa_system_vgpr_workitem_id 0
		.amdhsa_next_free_vgpr 26
		.amdhsa_next_free_sgpr 25
		.amdhsa_reserve_vcc 1
		.amdhsa_reserve_flat_scratch 0
		.amdhsa_float_round_mode_32 0
		.amdhsa_float_round_mode_16_64 0
		.amdhsa_float_denorm_mode_32 3
		.amdhsa_float_denorm_mode_16_64 3
		.amdhsa_dx10_clamp 1
		.amdhsa_ieee_mode 1
		.amdhsa_fp16_overflow 0
		.amdhsa_workgroup_processor_mode 1
		.amdhsa_memory_ordered 1
		.amdhsa_forward_progress 1
		.amdhsa_shared_vgpr_count 0
		.amdhsa_exception_fp_ieee_invalid_op 0
		.amdhsa_exception_fp_denorm_src 0
		.amdhsa_exception_fp_ieee_div_zero 0
		.amdhsa_exception_fp_ieee_overflow 0
		.amdhsa_exception_fp_ieee_underflow 0
		.amdhsa_exception_fp_ieee_inexact 0
		.amdhsa_exception_int_div_zero 0
	.end_amdhsa_kernel
	.section	.text._ZL22rocblas_gemvtsm_kernelILb0ELi256EfffEviiT2_lPKT1_lilS3_lilS0_lPT3_lil,"axG",@progbits,_ZL22rocblas_gemvtsm_kernelILb0ELi256EfffEviiT2_lPKT1_lilS3_lilS0_lPT3_lil,comdat
.Lfunc_end19:
	.size	_ZL22rocblas_gemvtsm_kernelILb0ELi256EfffEviiT2_lPKT1_lilS3_lilS0_lPT3_lil, .Lfunc_end19-_ZL22rocblas_gemvtsm_kernelILb0ELi256EfffEviiT2_lPKT1_lilS3_lilS0_lPT3_lil
                                        ; -- End function
	.set _ZL22rocblas_gemvtsm_kernelILb0ELi256EfffEviiT2_lPKT1_lilS3_lilS0_lPT3_lil.num_vgpr, 26
	.set _ZL22rocblas_gemvtsm_kernelILb0ELi256EfffEviiT2_lPKT1_lilS3_lilS0_lPT3_lil.num_agpr, 0
	.set _ZL22rocblas_gemvtsm_kernelILb0ELi256EfffEviiT2_lPKT1_lilS3_lilS0_lPT3_lil.numbered_sgpr, 25
	.set _ZL22rocblas_gemvtsm_kernelILb0ELi256EfffEviiT2_lPKT1_lilS3_lilS0_lPT3_lil.num_named_barrier, 0
	.set _ZL22rocblas_gemvtsm_kernelILb0ELi256EfffEviiT2_lPKT1_lilS3_lilS0_lPT3_lil.private_seg_size, 0
	.set _ZL22rocblas_gemvtsm_kernelILb0ELi256EfffEviiT2_lPKT1_lilS3_lilS0_lPT3_lil.uses_vcc, 1
	.set _ZL22rocblas_gemvtsm_kernelILb0ELi256EfffEviiT2_lPKT1_lilS3_lilS0_lPT3_lil.uses_flat_scratch, 0
	.set _ZL22rocblas_gemvtsm_kernelILb0ELi256EfffEviiT2_lPKT1_lilS3_lilS0_lPT3_lil.has_dyn_sized_stack, 0
	.set _ZL22rocblas_gemvtsm_kernelILb0ELi256EfffEviiT2_lPKT1_lilS3_lilS0_lPT3_lil.has_recursion, 0
	.set _ZL22rocblas_gemvtsm_kernelILb0ELi256EfffEviiT2_lPKT1_lilS3_lilS0_lPT3_lil.has_indirect_call, 0
	.section	.AMDGPU.csdata,"",@progbits
; Kernel info:
; codeLenInByte = 1372
; TotalNumSgprs: 27
; NumVgprs: 26
; ScratchSize: 0
; MemoryBound: 0
; FloatMode: 240
; IeeeMode: 1
; LDSByteSize: 256 bytes/workgroup (compile time only)
; SGPRBlocks: 0
; VGPRBlocks: 3
; NumSGPRsForWavesPerEU: 27
; NumVGPRsForWavesPerEU: 26
; Occupancy: 16
; WaveLimiterHint : 1
; COMPUTE_PGM_RSRC2:SCRATCH_EN: 0
; COMPUTE_PGM_RSRC2:USER_SGPR: 6
; COMPUTE_PGM_RSRC2:TRAP_HANDLER: 0
; COMPUTE_PGM_RSRC2:TGID_X_EN: 1
; COMPUTE_PGM_RSRC2:TGID_Y_EN: 0
; COMPUTE_PGM_RSRC2:TGID_Z_EN: 0
; COMPUTE_PGM_RSRC2:TIDIG_COMP_CNT: 0
	.section	.text._ZL23rocblas_gemvt_sn_kernelILb0ELi256ELi4EifPKffEviiT4_lPKT3_lilS5_lilPT5_i,"axG",@progbits,_ZL23rocblas_gemvt_sn_kernelILb0ELi256ELi4EifPKffEviiT4_lPKT3_lilS5_lilPT5_i,comdat
	.globl	_ZL23rocblas_gemvt_sn_kernelILb0ELi256ELi4EifPKffEviiT4_lPKT3_lilS5_lilPT5_i ; -- Begin function _ZL23rocblas_gemvt_sn_kernelILb0ELi256ELi4EifPKffEviiT4_lPKT3_lilS5_lilPT5_i
	.p2align	8
	.type	_ZL23rocblas_gemvt_sn_kernelILb0ELi256ELi4EifPKffEviiT4_lPKT3_lilS5_lilPT5_i,@function
_ZL23rocblas_gemvt_sn_kernelILb0ELi256ELi4EifPKffEviiT4_lPKT3_lilS5_lilPT5_i: ; @_ZL23rocblas_gemvt_sn_kernelILb0ELi256ELi4EifPKffEviiT4_lPKT3_lilS5_lilPT5_i
; %bb.0:
	s_clause 0x2
	s_load_dwordx8 s[8:15], s[4:5], 0x8
	s_load_dwordx2 s[16:17], s[4:5], 0x0
	s_load_dword s18, s[4:5], 0x68
	s_mov_b32 s19, 0
	s_waitcnt lgkmcnt(0)
	s_mul_i32 s1, s11, s7
	s_mul_hi_u32 s2, s10, s7
	s_mul_i32 s0, s10, s7
	s_add_i32 s1, s2, s1
	s_mul_i32 s2, s17, s7
	s_lshl_b64 s[0:1], s[0:1], 2
	s_add_u32 s0, s8, s0
	s_addc_u32 s1, s9, s1
	s_load_dword s33, s[0:1], 0x0
	s_load_dwordx4 s[8:11], s[4:5], 0x50
	s_ashr_i32 s22, s17, 31
	s_mul_hi_u32 s0, s17, s7
	s_mul_i32 s1, s22, s7
	s_add_i32 s0, s0, s1
	s_mul_hi_u32 s1, s2, s18
	s_mul_i32 s3, s0, s18
	s_mul_i32 s0, s2, s18
	s_add_i32 s1, s1, s3
	s_lshl_b64 s[0:1], s[0:1], 2
	s_waitcnt lgkmcnt(0)
	v_cmp_neq_f32_e64 s2, s33, 0
	s_add_u32 s38, s10, s0
	v_cmp_eq_u32_e64 s0, 0, v0
	s_addc_u32 s37, s11, s1
	s_and_b32 vcc_lo, exec_lo, s2
	s_cbranch_vccnz .LBB20_5
; %bb.1:
	s_cmp_gt_i32 s17, 0
	s_cselect_b32 s1, -1, 0
	s_and_b32 s0, s0, s1
	s_and_saveexec_b32 s10, s0
	s_cbranch_execz .LBB20_4
; %bb.2:
	s_mov_b32 s0, s7
	s_mov_b32 s7, 0
	v_mov_b32_e32 v1, 0
	s_lshl_b64 s[2:3], s[6:7], 2
	s_mov_b32 s7, s0
	s_add_u32 s0, s38, s2
	s_addc_u32 s1, s37, s3
	s_lshl_b64 s[2:3], s[18:19], 2
	s_mov_b32 s11, s17
.LBB20_3:                               ; =>This Inner Loop Header: Depth=1
	s_add_i32 s11, s11, -1
	global_store_dword v1, v1, s[0:1]
	s_add_u32 s0, s0, s2
	s_addc_u32 s1, s1, s3
	s_cmp_eq_u32 s11, 0
	s_cbranch_scc0 .LBB20_3
.LBB20_4:
	s_or_b32 exec_lo, exec_lo, s10
	s_cbranch_execz .LBB20_6
	s_branch .LBB20_80
.LBB20_5:
.LBB20_6:
	s_clause 0x1
	s_load_dwordx4 s[0:3], s[4:5], 0x30
	s_load_dwordx2 s[10:11], s[4:5], 0x40
	s_mul_i32 s9, s9, s7
	s_mul_hi_u32 s19, s8, s7
	s_mul_i32 s8, s8, s7
	s_add_i32 s9, s19, s9
	s_load_dword s19, s[4:5], 0x48
	s_lshl_b64 s[8:9], s[8:9], 2
	v_and_b32_e32 v10, 31, v0
	v_mbcnt_lo_u32_b32 v24, -1, 0
	v_lshrrev_b32_e32 v25, 3, v0
	s_waitcnt lgkmcnt(0)
	s_add_u32 s8, s2, s8
	s_addc_u32 s9, s3, s9
	s_lshl_b64 s[2:3], s[10:11], 2
	s_mul_i32 s1, s1, s7
	s_mul_hi_u32 s20, s0, s7
	s_add_u32 s34, s8, s2
	s_mul_i32 s0, s0, s7
	s_addc_u32 s35, s9, s3
	s_add_i32 s1, s20, s1
	s_load_dword s10, s[4:5], 0x28
	s_lshl_b64 s[20:21], s[0:1], 2
	v_cmp_gt_u32_e64 s0, 32, v0
	s_add_u32 s1, s12, s20
	s_addc_u32 s2, s13, s21
	s_lshl_b64 s[14:15], s[14:15], 2
	s_add_u32 s3, s1, s14
	s_addc_u32 s2, s2, s15
	s_lshl_b32 s1, s6, 10
	s_ashr_i32 s4, s16, 31
	v_lshl_or_b32 v1, v0, 2, s1
	s_lshr_b32 s4, s4, 30
	s_lshr_b32 s5, s22, 30
	s_add_i32 s4, s16, s4
	s_add_i32 s5, s17, s5
	v_ashrrev_i32_e32 v2, 31, v1
	s_and_b32 s4, s4, -4
	v_mul_lo_u32 v9, s19, v1
	s_sub_i32 s36, s16, s4
	v_cmp_gt_u32_e64 s1, 8, v0
	v_lshlrev_b64 v[11:12], 2, v[1:2]
	v_add_nc_u32_e32 v26, 4, v1
	v_add_nc_u32_e32 v27, s36, v1
	s_and_b32 s39, s5, -4
	s_cmp_lt_i32 s39, 1
	v_add_co_u32 v22, vcc_lo, s3, v11
	v_add_co_ci_u32_e64 v23, null, s2, v12, vcc_lo
	s_cbranch_scc1 .LBB20_55
; %bb.7:
	v_cmp_gt_u32_e32 vcc_lo, 24, v24
	v_mul_lo_u32 v13, s19, v1
	s_cmp_gt_i32 s36, 0
	s_mov_b32 s23, 0
	s_cselect_b32 s40, -1, 0
	v_cndmask_b32_e64 v2, 0, 8, vcc_lo
	v_cmp_gt_u32_e32 vcc_lo, 28, v24
	s_waitcnt lgkmcnt(0)
	s_lshl_b32 s41, s10, 2
	s_lshl_b32 s22, s10, 1
	v_ashrrev_i32_e32 v14, 31, v13
	v_add_lshl_u32 v29, v2, v24, 2
	v_cndmask_b32_e64 v3, 0, 4, vcc_lo
	v_cmp_gt_u32_e32 vcc_lo, 30, v24
	s_add_u32 s7, s20, s14
	v_lshlrev_b64 v[5:6], 2, v[13:14]
	s_addc_u32 s8, s21, s15
	v_add_lshl_u32 v30, v3, v24, 2
	v_cndmask_b32_e64 v1, 0, 2, vcc_lo
	v_cmp_ne_u32_e32 vcc_lo, 31, v24
	s_add_u32 s7, s12, s7
	s_addc_u32 s8, s13, s8
	v_cmp_ge_i32_e64 s2, s16, v26
	v_add_lshl_u32 v31, v1, v24, 2
	v_add_nc_u32_e32 v1, s19, v13
	v_add_co_ci_u32_e64 v4, null, 0, v24, vcc_lo
	v_add_co_u32 v14, vcc_lo, s34, v5
	v_add_nc_u32_e32 v3, s19, v1
	v_ashrrev_i32_e32 v2, 31, v1
	v_lshlrev_b32_e32 v32, 2, v4
	v_add_co_ci_u32_e64 v15, null, s35, v6, vcc_lo
	v_add_nc_u32_e32 v7, s19, v3
	v_lshlrev_b64 v[1:2], 2, v[1:2]
	v_ashrrev_i32_e32 v4, 31, v3
	v_mov_b32_e32 v5, 0
	v_cmp_ge_i32_e64 s3, s16, v27
	v_ashrrev_i32_e32 v8, 31, v7
	v_lshl_or_b32 v28, v24, 2, 64
	v_lshlrev_b64 v[3:4], 2, v[3:4]
	v_add_co_u32 v16, vcc_lo, s34, v1
	v_add_co_ci_u32_e64 v17, null, s35, v2, vcc_lo
	v_lshlrev_b64 v[1:2], 2, v[7:8]
	v_add_co_u32 v18, vcc_lo, s34, v3
	v_mov_b32_e32 v6, v5
	v_mov_b32_e32 v7, v5
	;; [unrolled: 1-line block ×3, first 2 shown]
	v_add_co_ci_u32_e64 v19, null, s35, v4, vcc_lo
	v_add_co_u32 v20, vcc_lo, s34, v1
	v_add_co_ci_u32_e64 v21, null, s35, v2, vcc_lo
	v_add_co_u32 v35, vcc_lo, s7, v11
	v_mov_b32_e32 v1, v5
	v_cmp_eq_u32_e64 s4, 0, v10
	v_lshlrev_b32_e32 v33, 2, v10
	v_and_b32_e32 v34, 28, v25
	v_cmp_eq_u32_e64 s5, 0, v0
	v_add_co_ci_u32_e64 v36, null, s8, v12, vcc_lo
	v_mov_b32_e32 v2, v6
	v_mov_b32_e32 v3, v7
	;; [unrolled: 1-line block ×3, first 2 shown]
	s_mov_b32 s11, s23
	s_mul_i32 s42, s10, 3
	s_mov_b32 s43, s23
	s_mov_b32 s24, s23
	s_mov_b64 s[26:27], s[22:23]
	s_mov_b64 s[28:29], s[10:11]
	s_mov_b32 s11, 0
	s_branch .LBB20_9
.LBB20_8:                               ;   in Loop: Header=BB20_9 Depth=1
	s_or_b32 exec_lo, exec_lo, s7
	s_add_i32 s11, s11, 4
	s_add_u32 s28, s28, s41
	s_addc_u32 s29, s29, 0
	s_add_u32 s26, s26, s41
	s_addc_u32 s27, s27, 0
	;; [unrolled: 2-line block ×3, first 2 shown]
	s_add_i32 s24, s24, s41
	s_cmp_ge_i32 s11, s39
	s_cbranch_scc1 .LBB20_56
.LBB20_9:                               ; =>This Loop Header: Depth=1
                                        ;     Child Loop BB20_40 Depth 2
                                        ;     Child Loop BB20_43 Depth 2
                                        ; implicit-def: $vgpr8
                                        ; implicit-def: $vgpr37
                                        ; implicit-def: $vgpr38
                                        ; implicit-def: $vgpr39
	s_and_saveexec_b32 s7, s2
	s_xor_b32 s7, exec_lo, s7
	s_cbranch_execnz .LBB20_36
; %bb.10:                               ;   in Loop: Header=BB20_9 Depth=1
	s_andn2_saveexec_b32 s22, s7
	s_cbranch_execnz .LBB20_37
.LBB20_11:                              ;   in Loop: Header=BB20_9 Depth=1
	s_or_b32 exec_lo, exec_lo, s22
	s_and_saveexec_b32 s7, s0
.LBB20_12:                              ;   in Loop: Header=BB20_9 Depth=1
	ds_write_b32 v33, v5
.LBB20_13:                              ;   in Loop: Header=BB20_9 Depth=1
	s_or_b32 exec_lo, exec_lo, s7
	ds_bpermute_b32 v6, v28, v39
	s_waitcnt lgkmcnt(0)
	s_waitcnt_vscnt null, 0x0
	s_barrier
	buffer_gl0_inv
	v_add_f32_e32 v6, v39, v6
	ds_bpermute_b32 v7, v29, v6
	s_waitcnt lgkmcnt(0)
	v_add_f32_e32 v6, v6, v7
	ds_bpermute_b32 v7, v30, v6
	s_waitcnt lgkmcnt(0)
	;; [unrolled: 3-line block ×3, first 2 shown]
	v_add_f32_e32 v6, v6, v7
	ds_bpermute_b32 v7, v32, v6
	s_and_saveexec_b32 s7, s4
	s_cbranch_execz .LBB20_15
; %bb.14:                               ;   in Loop: Header=BB20_9 Depth=1
	s_waitcnt lgkmcnt(0)
	v_add_f32_e32 v6, v6, v7
	ds_write_b32 v34, v6
.LBB20_15:                              ;   in Loop: Header=BB20_9 Depth=1
	s_or_b32 exec_lo, exec_lo, s7
	v_mov_b32_e32 v6, 0
	s_waitcnt lgkmcnt(0)
	s_barrier
	buffer_gl0_inv
	s_and_saveexec_b32 s7, s1
	s_cbranch_execnz .LBB20_44
; %bb.16:                               ;   in Loop: Header=BB20_9 Depth=1
	s_or_b32 exec_lo, exec_lo, s7
	s_and_saveexec_b32 s7, s0
	s_cbranch_execnz .LBB20_45
.LBB20_17:                              ;   in Loop: Header=BB20_9 Depth=1
	s_or_b32 exec_lo, exec_lo, s7
	s_and_saveexec_b32 s7, s0
.LBB20_18:                              ;   in Loop: Header=BB20_9 Depth=1
	ds_write_b32 v33, v5
.LBB20_19:                              ;   in Loop: Header=BB20_9 Depth=1
	s_or_b32 exec_lo, exec_lo, s7
	ds_bpermute_b32 v7, v28, v38
	s_waitcnt lgkmcnt(0)
	s_barrier
	buffer_gl0_inv
	v_add_f32_e32 v7, v38, v7
	ds_bpermute_b32 v38, v29, v7
	s_waitcnt lgkmcnt(0)
	v_add_f32_e32 v7, v7, v38
	ds_bpermute_b32 v38, v30, v7
	s_waitcnt lgkmcnt(0)
	;; [unrolled: 3-line block ×3, first 2 shown]
	v_add_f32_e32 v7, v7, v38
	ds_bpermute_b32 v38, v32, v7
	s_and_saveexec_b32 s7, s4
	s_cbranch_execz .LBB20_21
; %bb.20:                               ;   in Loop: Header=BB20_9 Depth=1
	s_waitcnt lgkmcnt(0)
	v_add_f32_e32 v7, v7, v38
	ds_write_b32 v34, v7
.LBB20_21:                              ;   in Loop: Header=BB20_9 Depth=1
	s_or_b32 exec_lo, exec_lo, s7
	v_mov_b32_e32 v7, 0
	s_waitcnt lgkmcnt(0)
	s_barrier
	buffer_gl0_inv
	s_and_saveexec_b32 s7, s1
	s_cbranch_execnz .LBB20_46
; %bb.22:                               ;   in Loop: Header=BB20_9 Depth=1
	s_or_b32 exec_lo, exec_lo, s7
	s_and_saveexec_b32 s7, s0
	s_cbranch_execnz .LBB20_47
.LBB20_23:                              ;   in Loop: Header=BB20_9 Depth=1
	s_or_b32 exec_lo, exec_lo, s7
	s_and_saveexec_b32 s7, s0
.LBB20_24:                              ;   in Loop: Header=BB20_9 Depth=1
	ds_write_b32 v33, v5
.LBB20_25:                              ;   in Loop: Header=BB20_9 Depth=1
	s_or_b32 exec_lo, exec_lo, s7
	ds_bpermute_b32 v38, v28, v37
	s_waitcnt lgkmcnt(0)
	s_barrier
	buffer_gl0_inv
	v_add_f32_e32 v37, v37, v38
	ds_bpermute_b32 v38, v29, v37
	s_waitcnt lgkmcnt(0)
	v_add_f32_e32 v37, v37, v38
	ds_bpermute_b32 v38, v30, v37
	s_waitcnt lgkmcnt(0)
	;; [unrolled: 3-line block ×3, first 2 shown]
	v_add_f32_e32 v37, v37, v38
	ds_bpermute_b32 v38, v32, v37
	s_and_saveexec_b32 s7, s4
	s_cbranch_execz .LBB20_27
; %bb.26:                               ;   in Loop: Header=BB20_9 Depth=1
	s_waitcnt lgkmcnt(0)
	v_add_f32_e32 v37, v37, v38
	ds_write_b32 v34, v37
.LBB20_27:                              ;   in Loop: Header=BB20_9 Depth=1
	s_or_b32 exec_lo, exec_lo, s7
	v_mov_b32_e32 v37, 0
	s_waitcnt lgkmcnt(0)
	s_barrier
	buffer_gl0_inv
	s_and_saveexec_b32 s7, s1
	s_cbranch_execnz .LBB20_48
; %bb.28:                               ;   in Loop: Header=BB20_9 Depth=1
	s_or_b32 exec_lo, exec_lo, s7
	s_and_saveexec_b32 s7, s0
	s_cbranch_execnz .LBB20_49
.LBB20_29:                              ;   in Loop: Header=BB20_9 Depth=1
	s_or_b32 exec_lo, exec_lo, s7
	s_and_saveexec_b32 s7, s0
.LBB20_30:                              ;   in Loop: Header=BB20_9 Depth=1
	ds_write_b32 v33, v5
.LBB20_31:                              ;   in Loop: Header=BB20_9 Depth=1
	s_or_b32 exec_lo, exec_lo, s7
	ds_bpermute_b32 v38, v28, v8
	s_waitcnt lgkmcnt(0)
	s_barrier
	buffer_gl0_inv
	v_add_f32_e32 v8, v8, v38
	ds_bpermute_b32 v38, v29, v8
	s_waitcnt lgkmcnt(0)
	v_add_f32_e32 v8, v8, v38
	ds_bpermute_b32 v38, v30, v8
	s_waitcnt lgkmcnt(0)
	;; [unrolled: 3-line block ×3, first 2 shown]
	v_add_f32_e32 v8, v8, v38
	ds_bpermute_b32 v38, v32, v8
	s_and_saveexec_b32 s7, s4
	s_cbranch_execz .LBB20_33
; %bb.32:                               ;   in Loop: Header=BB20_9 Depth=1
	s_waitcnt lgkmcnt(0)
	v_add_f32_e32 v8, v8, v38
	ds_write_b32 v34, v8
.LBB20_33:                              ;   in Loop: Header=BB20_9 Depth=1
	s_or_b32 exec_lo, exec_lo, s7
	v_mov_b32_e32 v8, 0
	s_waitcnt lgkmcnt(0)
	s_barrier
	buffer_gl0_inv
	s_and_saveexec_b32 s7, s1
	s_cbranch_execnz .LBB20_50
; %bb.34:                               ;   in Loop: Header=BB20_9 Depth=1
	s_or_b32 exec_lo, exec_lo, s7
	s_and_saveexec_b32 s7, s0
	s_cbranch_execnz .LBB20_51
.LBB20_35:                              ;   in Loop: Header=BB20_9 Depth=1
	s_or_b32 exec_lo, exec_lo, s7
	s_and_saveexec_b32 s7, s5
	s_cbranch_execz .LBB20_8
	s_branch .LBB20_52
.LBB20_36:                              ;   in Loop: Header=BB20_9 Depth=1
	s_mul_i32 s8, s11, s10
	s_ashr_i32 s9, s8, 31
	s_add_i32 s30, s8, s10
	s_lshl_b64 s[8:9], s[8:9], 2
	s_ashr_i32 s31, s30, 31
	v_add_co_u32 v2, vcc_lo, v22, s8
	v_add_co_ci_u32_e64 v3, null, s9, v23, vcc_lo
	s_lshl_b64 s[8:9], s[30:31], 2
	s_add_i32 s30, s30, s10
	v_add_co_u32 v6, vcc_lo, v22, s8
	s_ashr_i32 s31, s30, 31
	s_add_i32 s8, s30, s10
	v_add_co_ci_u32_e64 v7, null, s9, v23, vcc_lo
	s_lshl_b64 s[30:31], s[30:31], 2
	s_ashr_i32 s9, s8, 31
	v_add_co_u32 v37, vcc_lo, v22, s30
	s_lshl_b64 s[8:9], s[8:9], 2
	v_add_co_ci_u32_e64 v38, null, s31, v23, vcc_lo
	v_add_co_u32 v51, vcc_lo, v22, s8
	v_add_co_ci_u32_e64 v52, null, s9, v23, vcc_lo
	global_load_dword v1, v[14:15], off
	s_clause 0x3
	global_load_dwordx4 v[39:42], v[2:3], off
	global_load_dwordx4 v[43:46], v[6:7], off
	;; [unrolled: 1-line block ×4, first 2 shown]
	s_clause 0x2
	global_load_dword v2, v[16:17], off
	global_load_dword v3, v[18:19], off
	;; [unrolled: 1-line block ×3, first 2 shown]
	s_waitcnt vmcnt(6)
	v_fma_f32 v39, v1, v39, 0
	s_waitcnt vmcnt(5)
	v_fma_f32 v38, v1, v43, 0
	;; [unrolled: 2-line block ×3, first 2 shown]
	s_waitcnt vmcnt(3) lgkmcnt(0)
	v_fma_f32 v8, v1, v51, 0
	s_waitcnt vmcnt(2)
	v_fmac_f32_e32 v39, v2, v40
	v_fmac_f32_e32 v38, v2, v44
	v_fmac_f32_e32 v37, v2, v48
	v_fmac_f32_e32 v8, v2, v52
	s_waitcnt vmcnt(1)
	v_fmac_f32_e32 v39, v3, v41
	v_fmac_f32_e32 v38, v3, v45
	v_fmac_f32_e32 v37, v3, v49
	v_fmac_f32_e32 v8, v3, v53
	;; [unrolled: 5-line block ×3, first 2 shown]
	s_andn2_saveexec_b32 s22, s7
	s_cbranch_execz .LBB20_11
.LBB20_37:                              ;   in Loop: Header=BB20_9 Depth=1
	s_waitcnt lgkmcnt(0)
	v_mov_b32_e32 v8, 0
	v_mov_b32_e32 v37, 0
	;; [unrolled: 1-line block ×4, first 2 shown]
	s_and_saveexec_b32 s44, s3
	s_cbranch_execz .LBB20_54
; %bb.38:                               ;   in Loop: Header=BB20_9 Depth=1
	s_andn2_b32 vcc_lo, exec_lo, s40
	s_cbranch_vccnz .LBB20_41
; %bb.39:                               ;   in Loop: Header=BB20_9 Depth=1
	v_mov_b32_e32 v6, v13
	s_mov_b64 s[30:31], 0
	.p2align	6
.LBB20_40:                              ;   Parent Loop BB20_9 Depth=1
                                        ; =>  This Inner Loop Header: Depth=2
	v_ashrrev_i32_e32 v7, 31, v6
	s_cmp_eq_u32 s30, 3
	v_lshlrev_b64 v[7:8], 2, v[6:7]
	v_add_nc_u32_e32 v6, s19, v6
	v_add_co_u32 v7, vcc_lo, s34, v7
	v_add_co_ci_u32_e64 v8, null, s35, v8, vcc_lo
	s_cselect_b32 vcc_lo, -1, 0
	s_cmp_eq_u32 s30, 2
	s_cselect_b32 s7, -1, 0
	global_load_dword v7, v[7:8], off
	s_cmp_eq_u32 s30, 1
	s_cselect_b32 s8, -1, 0
	s_cmp_eq_u32 s30, 0
	s_cselect_b32 s9, -1, 0
	s_add_u32 s30, s30, 1
	s_addc_u32 s31, s31, 0
	s_cmp_eq_u32 s36, s30
	s_waitcnt vmcnt(0)
	v_cndmask_b32_e32 v4, v4, v7, vcc_lo
	v_cndmask_b32_e64 v3, v3, v7, s7
	v_cndmask_b32_e64 v2, v2, v7, s8
	v_cndmask_b32_e64 v1, v1, v7, s9
	s_cbranch_scc0 .LBB20_40
.LBB20_41:                              ;   in Loop: Header=BB20_9 Depth=1
	s_andn2_b32 vcc_lo, exec_lo, s40
	s_cbranch_vccnz .LBB20_53
; %bb.42:                               ;   in Loop: Header=BB20_9 Depth=1
	s_ashr_i32 s25, s24, 31
	v_mov_b32_e32 v39, 0
	s_lshl_b64 s[8:9], s[24:25], 2
	v_mov_b32_e32 v38, 0
	v_add_co_u32 v6, vcc_lo, v35, s8
	v_add_co_ci_u32_e64 v7, null, s9, v36, vcc_lo
	v_mov_b32_e32 v37, 0
	v_mov_b32_e32 v8, 0
	s_mov_b64 s[8:9], 0
.LBB20_43:                              ;   Parent Loop BB20_9 Depth=1
                                        ; =>  This Inner Loop Header: Depth=2
	s_cmp_eq_u32 s8, 1
	s_cselect_b32 vcc_lo, -1, 0
	s_cmp_eq_u32 s8, 2
	v_cndmask_b32_e32 v40, v1, v2, vcc_lo
	s_cselect_b32 vcc_lo, -1, 0
	s_cmp_eq_u32 s8, 3
	v_cndmask_b32_e32 v46, v40, v3, vcc_lo
	s_cselect_b32 vcc_lo, -1, 0
	s_add_i32 s30, s28, s8
	s_add_i32 s46, s26, s8
	s_ashr_i32 s31, s30, 31
	s_add_i32 s48, s42, s8
	s_ashr_i32 s47, s46, 31
	s_lshl_b64 s[30:31], s[30:31], 2
	s_ashr_i32 s49, s48, 31
	s_lshl_b64 s[46:47], s[46:47], 2
	v_add_co_u32 v40, s7, v22, s30
	s_lshl_b64 s[48:49], s[48:49], 2
	v_add_co_ci_u32_e64 v41, null, s31, v23, s7
	v_add_co_u32 v42, s7, v22, s46
	v_add_co_ci_u32_e64 v43, null, s47, v23, s7
	v_add_co_u32 v44, s7, v22, s48
	v_add_co_ci_u32_e64 v45, null, s49, v23, s7
	global_load_dword v47, v[6:7], off
	s_clause 0x2
	global_load_dword v40, v[40:41], off
	global_load_dword v41, v[42:43], off
	;; [unrolled: 1-line block ×3, first 2 shown]
	v_cndmask_b32_e32 v43, v46, v4, vcc_lo
	v_add_co_u32 v6, s7, v6, 4
	v_add_co_ci_u32_e64 v7, null, 0, v7, s7
	s_add_u32 s8, s8, 1
	s_addc_u32 s9, s9, 0
	s_cmp_lg_u32 s36, s8
	s_waitcnt vmcnt(3)
	v_fmac_f32_e32 v39, v43, v47
	s_waitcnt vmcnt(2)
	v_fmac_f32_e32 v38, v43, v40
	;; [unrolled: 2-line block ×4, first 2 shown]
	s_cbranch_scc1 .LBB20_43
	s_branch .LBB20_54
.LBB20_44:                              ;   in Loop: Header=BB20_9 Depth=1
	ds_read_b32 v6, v33
	s_or_b32 exec_lo, exec_lo, s7
	s_and_saveexec_b32 s7, s0
	s_cbranch_execz .LBB20_17
.LBB20_45:                              ;   in Loop: Header=BB20_9 Depth=1
	s_waitcnt lgkmcnt(0)
	ds_bpermute_b32 v7, v30, v6
	s_waitcnt lgkmcnt(0)
	v_add_f32_e32 v6, v6, v7
	ds_bpermute_b32 v7, v31, v6
	s_waitcnt lgkmcnt(0)
	v_add_f32_e32 v6, v6, v7
	ds_bpermute_b32 v7, v32, v6
	s_waitcnt lgkmcnt(0)
	v_add_f32_e32 v6, v6, v7
	s_or_b32 exec_lo, exec_lo, s7
	s_and_saveexec_b32 s7, s0
	s_cbranch_execnz .LBB20_18
	s_branch .LBB20_19
.LBB20_46:                              ;   in Loop: Header=BB20_9 Depth=1
	ds_read_b32 v7, v33
	s_or_b32 exec_lo, exec_lo, s7
	s_and_saveexec_b32 s7, s0
	s_cbranch_execz .LBB20_23
.LBB20_47:                              ;   in Loop: Header=BB20_9 Depth=1
	s_waitcnt lgkmcnt(0)
	ds_bpermute_b32 v38, v30, v7
	s_waitcnt lgkmcnt(0)
	v_add_f32_e32 v7, v7, v38
	ds_bpermute_b32 v38, v31, v7
	s_waitcnt lgkmcnt(0)
	v_add_f32_e32 v7, v7, v38
	;; [unrolled: 3-line block ×3, first 2 shown]
	s_or_b32 exec_lo, exec_lo, s7
	s_and_saveexec_b32 s7, s0
	s_cbranch_execnz .LBB20_24
	s_branch .LBB20_25
.LBB20_48:                              ;   in Loop: Header=BB20_9 Depth=1
	ds_read_b32 v37, v33
	s_or_b32 exec_lo, exec_lo, s7
	s_and_saveexec_b32 s7, s0
	s_cbranch_execz .LBB20_29
.LBB20_49:                              ;   in Loop: Header=BB20_9 Depth=1
	s_waitcnt lgkmcnt(0)
	ds_bpermute_b32 v38, v30, v37
	s_waitcnt lgkmcnt(0)
	v_add_f32_e32 v37, v37, v38
	ds_bpermute_b32 v38, v31, v37
	s_waitcnt lgkmcnt(0)
	v_add_f32_e32 v37, v37, v38
	;; [unrolled: 3-line block ×3, first 2 shown]
	s_or_b32 exec_lo, exec_lo, s7
	s_and_saveexec_b32 s7, s0
	s_cbranch_execnz .LBB20_30
	s_branch .LBB20_31
.LBB20_50:                              ;   in Loop: Header=BB20_9 Depth=1
	ds_read_b32 v8, v33
	s_or_b32 exec_lo, exec_lo, s7
	s_and_saveexec_b32 s7, s0
	s_cbranch_execz .LBB20_35
.LBB20_51:                              ;   in Loop: Header=BB20_9 Depth=1
	s_waitcnt lgkmcnt(0)
	ds_bpermute_b32 v38, v30, v8
	s_waitcnt lgkmcnt(0)
	v_add_f32_e32 v8, v8, v38
	ds_bpermute_b32 v38, v31, v8
	s_waitcnt lgkmcnt(0)
	v_add_f32_e32 v8, v8, v38
	;; [unrolled: 3-line block ×3, first 2 shown]
	s_or_b32 exec_lo, exec_lo, s7
	s_and_saveexec_b32 s7, s5
	s_cbranch_execz .LBB20_8
.LBB20_52:                              ;   in Loop: Header=BB20_9 Depth=1
	s_mul_i32 s8, s11, s18
	v_mul_f32_e32 v6, s33, v6
	s_add_i32 s22, s8, s6
	v_mul_f32_e32 v7, s33, v7
	s_lshl_b64 s[8:9], s[22:23], 2
	v_mul_f32_e32 v37, s33, v37
	s_add_u32 s8, s38, s8
	s_addc_u32 s9, s37, s9
	s_add_i32 s22, s22, s18
	global_store_dword v5, v6, s[8:9]
	s_lshl_b64 s[30:31], s[22:23], 2
	s_waitcnt lgkmcnt(0)
	v_mul_f32_e32 v6, s33, v8
	s_add_u32 s30, s38, s30
	s_addc_u32 s31, s37, s31
	s_add_i32 s22, s22, s18
	global_store_dword v5, v7, s[30:31]
	s_lshl_b64 s[44:45], s[22:23], 2
	s_add_u32 s8, s38, s44
	s_addc_u32 s9, s37, s45
	s_add_i32 s22, s22, s18
	s_lshl_b64 s[44:45], s[22:23], 2
	s_add_u32 s30, s38, s44
	s_addc_u32 s31, s37, s45
	global_store_dword v5, v37, s[8:9]
	global_store_dword v5, v6, s[30:31]
	s_branch .LBB20_8
.LBB20_53:                              ;   in Loop: Header=BB20_9 Depth=1
	v_mov_b32_e32 v8, 0
	v_mov_b32_e32 v37, 0
	;; [unrolled: 1-line block ×4, first 2 shown]
.LBB20_54:                              ;   in Loop: Header=BB20_9 Depth=1
	s_or_b32 exec_lo, exec_lo, s44
	s_or_b32 exec_lo, exec_lo, s22
	s_and_saveexec_b32 s7, s0
	s_cbranch_execnz .LBB20_12
	s_branch .LBB20_13
.LBB20_55:
	v_mov_b32_e32 v1, 0
	s_mov_b32 s11, 0
	v_mov_b32_e32 v2, v1
	v_mov_b32_e32 v3, v1
	;; [unrolled: 1-line block ×3, first 2 shown]
.LBB20_56:
	s_cmp_ge_i32 s11, s17
	s_cbranch_scc1 .LBB20_80
; %bb.57:
	v_cmp_gt_u32_e32 vcc_lo, 24, v24
	v_lshlrev_b32_e32 v17, 2, v10
	v_cmp_eq_u32_e64 s3, 0, v10
	v_ashrrev_i32_e32 v10, 31, v9
	v_cmp_ge_i32_e64 s0, s16, v26
	v_cndmask_b32_e64 v5, 0, 8, vcc_lo
	v_cmp_gt_u32_e32 vcc_lo, 28, v24
	v_lshl_or_b32 v18, v24, 2, 64
	v_lshlrev_b64 v[13:14], 2, v[9:10]
	v_cmp_ge_i32_e64 s1, s16, v27
	v_add_lshl_u32 v19, v5, v24, 2
	v_cndmask_b32_e64 v6, 0, 4, vcc_lo
	v_cmp_gt_u32_e32 vcc_lo, 30, v24
	v_add_nc_u32_e32 v5, s19, v9
	s_cmp_gt_i32 s36, 0
	s_mov_b32 s7, 0
	v_add_lshl_u32 v20, v6, v24, 2
	v_cndmask_b32_e64 v7, 0, 2, vcc_lo
	v_cmp_ne_u32_e32 vcc_lo, 31, v24
	v_ashrrev_i32_e32 v6, 31, v5
	s_cselect_b32 s16, -1, 0
	s_lshl_b64 s[8:9], s[6:7], 2
	v_add_lshl_u32 v21, v7, v24, 2
	v_add_nc_u32_e32 v7, s19, v5
	s_waitcnt lgkmcnt(0)
	v_add_co_ci_u32_e64 v8, null, 0, v24, vcc_lo
	v_lshlrev_b64 v[15:16], 2, v[5:6]
	v_add_co_u32 v5, vcc_lo, s34, v13
	v_add_nc_u32_e32 v26, s19, v7
	v_lshlrev_b32_e32 v24, 2, v8
	v_ashrrev_i32_e32 v8, 31, v7
	v_add_co_ci_u32_e64 v6, null, s35, v14, vcc_lo
	v_ashrrev_i32_e32 v27, 31, v26
	s_add_u32 s22, s38, s8
	v_lshlrev_b64 v[13:14], 2, v[7:8]
	v_add_co_u32 v7, vcc_lo, s34, v15
	v_add_co_ci_u32_e64 v8, null, s35, v16, vcc_lo
	v_lshlrev_b64 v[15:16], 2, v[26:27]
	s_addc_u32 s23, s37, s9
	v_add_co_u32 v13, vcc_lo, s34, v13
	s_add_u32 s6, s20, s14
	s_addc_u32 s8, s21, s15
	v_add_co_ci_u32_e64 v14, null, s35, v14, vcc_lo
	v_add_co_u32 v15, vcc_lo, s34, v15
	s_add_u32 s6, s12, s6
	v_cmp_gt_u32_e64 s2, 32, v0
	v_cmp_gt_u32_e64 s4, 8, v0
	v_cmp_eq_u32_e64 s5, 0, v0
	v_add_co_ci_u32_e64 v16, null, s35, v16, vcc_lo
	s_addc_u32 s8, s13, s8
	v_add_co_u32 v0, vcc_lo, s6, v11
	v_and_b32_e32 v25, 28, v25
	v_add_co_ci_u32_e64 v12, null, s8, v12, vcc_lo
	v_mov_b32_e32 v26, 0
	s_mul_i32 s12, s11, s10
	s_branch .LBB20_59
.LBB20_58:                              ;   in Loop: Header=BB20_59 Depth=1
	s_or_b32 exec_lo, exec_lo, s6
	s_add_i32 s11, s11, 1
	s_add_i32 s12, s12, s10
	s_cmp_ge_i32 s11, s17
	s_cbranch_scc1 .LBB20_80
.LBB20_59:                              ; =>This Loop Header: Depth=1
                                        ;     Child Loop BB20_72 Depth 2
                                        ;     Child Loop BB20_75 Depth 2
	v_mov_b32_e32 v27, s7
	s_and_saveexec_b32 s6, s0
	s_xor_b32 s6, exec_lo, s6
	s_cbranch_execnz .LBB20_68
; %bb.60:                               ;   in Loop: Header=BB20_59 Depth=1
	s_andn2_saveexec_b32 s20, s6
	s_cbranch_execnz .LBB20_69
.LBB20_61:                              ;   in Loop: Header=BB20_59 Depth=1
	s_or_b32 exec_lo, exec_lo, s20
	s_and_saveexec_b32 s6, s2
.LBB20_62:                              ;   in Loop: Header=BB20_59 Depth=1
	ds_write_b32 v17, v26
.LBB20_63:                              ;   in Loop: Header=BB20_59 Depth=1
	s_or_b32 exec_lo, exec_lo, s6
	s_waitcnt lgkmcnt(0)
	ds_bpermute_b32 v10, v18, v27
	s_waitcnt lgkmcnt(0)
	s_waitcnt_vscnt null, 0x0
	s_barrier
	buffer_gl0_inv
	v_add_f32_e32 v10, v27, v10
	ds_bpermute_b32 v11, v19, v10
	s_waitcnt lgkmcnt(0)
	v_add_f32_e32 v10, v10, v11
	ds_bpermute_b32 v11, v20, v10
	s_waitcnt lgkmcnt(0)
	;; [unrolled: 3-line block ×3, first 2 shown]
	v_add_f32_e32 v10, v10, v11
	ds_bpermute_b32 v11, v24, v10
	s_and_saveexec_b32 s6, s3
	s_cbranch_execz .LBB20_65
; %bb.64:                               ;   in Loop: Header=BB20_59 Depth=1
	s_waitcnt lgkmcnt(0)
	v_add_f32_e32 v10, v10, v11
	ds_write_b32 v25, v10
.LBB20_65:                              ;   in Loop: Header=BB20_59 Depth=1
	s_or_b32 exec_lo, exec_lo, s6
	v_mov_b32_e32 v10, 0
	s_waitcnt lgkmcnt(0)
	s_barrier
	buffer_gl0_inv
	s_and_saveexec_b32 s6, s4
	s_cbranch_execnz .LBB20_77
; %bb.66:                               ;   in Loop: Header=BB20_59 Depth=1
	s_or_b32 exec_lo, exec_lo, s6
	s_and_saveexec_b32 s6, s2
	s_cbranch_execnz .LBB20_78
.LBB20_67:                              ;   in Loop: Header=BB20_59 Depth=1
	s_or_b32 exec_lo, exec_lo, s6
	s_and_saveexec_b32 s6, s5
	s_cbranch_execz .LBB20_58
	s_branch .LBB20_79
.LBB20_68:                              ;   in Loop: Header=BB20_59 Depth=1
	s_mul_i32 s8, s11, s10
	s_ashr_i32 s9, s8, 31
	s_lshl_b64 s[8:9], s[8:9], 2
	v_add_co_u32 v1, vcc_lo, v22, s8
	v_add_co_ci_u32_e64 v2, null, s9, v23, vcc_lo
	global_load_dwordx4 v[27:30], v[1:2], off
	s_clause 0x3
	global_load_dword v1, v[5:6], off
	global_load_dword v2, v[7:8], off
	;; [unrolled: 1-line block ×4, first 2 shown]
	s_waitcnt vmcnt(3)
	v_fma_f32 v27, v1, v27, 0
	s_waitcnt vmcnt(2)
	v_fmac_f32_e32 v27, v2, v28
	s_waitcnt vmcnt(1)
	v_fmac_f32_e32 v27, v3, v29
	;; [unrolled: 2-line block ×3, first 2 shown]
	s_andn2_saveexec_b32 s20, s6
	s_cbranch_execz .LBB20_61
.LBB20_69:                              ;   in Loop: Header=BB20_59 Depth=1
	s_and_saveexec_b32 s21, s1
	s_cbranch_execz .LBB20_76
; %bb.70:                               ;   in Loop: Header=BB20_59 Depth=1
	s_andn2_b32 vcc_lo, exec_lo, s16
	s_cbranch_vccnz .LBB20_73
; %bb.71:                               ;   in Loop: Header=BB20_59 Depth=1
	s_waitcnt lgkmcnt(0)
	v_mov_b32_e32 v10, v9
	s_mov_b64 s[14:15], 0
	.p2align	6
.LBB20_72:                              ;   Parent Loop BB20_59 Depth=1
                                        ; =>  This Inner Loop Header: Depth=2
	v_ashrrev_i32_e32 v11, 31, v10
	s_cmp_eq_u32 s14, 3
	v_lshlrev_b64 v[28:29], 2, v[10:11]
	v_add_nc_u32_e32 v10, s19, v10
	v_add_co_u32 v28, vcc_lo, s34, v28
	v_add_co_ci_u32_e64 v29, null, s35, v29, vcc_lo
	s_cselect_b32 vcc_lo, -1, 0
	s_cmp_eq_u32 s14, 2
	s_cselect_b32 s6, -1, 0
	global_load_dword v11, v[28:29], off
	s_cmp_eq_u32 s14, 1
	s_cselect_b32 s8, -1, 0
	s_cmp_eq_u32 s14, 0
	s_cselect_b32 s9, -1, 0
	s_add_u32 s14, s14, 1
	s_addc_u32 s15, s15, 0
	s_cmp_eq_u32 s36, s14
	s_waitcnt vmcnt(0)
	v_cndmask_b32_e32 v4, v4, v11, vcc_lo
	v_cndmask_b32_e64 v3, v3, v11, s6
	v_cndmask_b32_e64 v2, v2, v11, s8
	;; [unrolled: 1-line block ×3, first 2 shown]
	s_cbranch_scc0 .LBB20_72
.LBB20_73:                              ;   in Loop: Header=BB20_59 Depth=1
	s_andn2_b32 vcc_lo, exec_lo, s16
	s_cbranch_vccnz .LBB20_76
; %bb.74:                               ;   in Loop: Header=BB20_59 Depth=1
	s_ashr_i32 s13, s12, 31
	s_lshl_b64 s[8:9], s[12:13], 2
	s_waitcnt lgkmcnt(0)
	v_add_co_u32 v10, vcc_lo, v0, s8
	v_add_co_ci_u32_e64 v11, null, s9, v12, vcc_lo
	s_mov_b64 s[8:9], 0
	.p2align	6
.LBB20_75:                              ;   Parent Loop BB20_59 Depth=1
                                        ; =>  This Inner Loop Header: Depth=2
	global_load_dword v28, v[10:11], off
	s_cmp_eq_u32 s8, 1
	s_cselect_b32 vcc_lo, -1, 0
	s_cmp_eq_u32 s8, 2
	v_cndmask_b32_e32 v29, v1, v2, vcc_lo
	s_cselect_b32 vcc_lo, -1, 0
	s_cmp_eq_u32 s8, 3
	v_cndmask_b32_e32 v29, v29, v3, vcc_lo
	s_cselect_b32 vcc_lo, -1, 0
	s_add_u32 s8, s8, 1
	s_addc_u32 s9, s9, 0
	s_cmp_lg_u32 s36, s8
	v_cndmask_b32_e32 v29, v29, v4, vcc_lo
	v_add_co_u32 v10, vcc_lo, v10, 4
	v_add_co_ci_u32_e64 v11, null, 0, v11, vcc_lo
	s_waitcnt vmcnt(0)
	v_fmac_f32_e32 v27, v29, v28
	s_cbranch_scc1 .LBB20_75
.LBB20_76:                              ;   in Loop: Header=BB20_59 Depth=1
	s_or_b32 exec_lo, exec_lo, s21
	s_or_b32 exec_lo, exec_lo, s20
	s_and_saveexec_b32 s6, s2
	s_cbranch_execnz .LBB20_62
	s_branch .LBB20_63
.LBB20_77:                              ;   in Loop: Header=BB20_59 Depth=1
	ds_read_b32 v10, v17
	s_or_b32 exec_lo, exec_lo, s6
	s_and_saveexec_b32 s6, s2
	s_cbranch_execz .LBB20_67
.LBB20_78:                              ;   in Loop: Header=BB20_59 Depth=1
	s_waitcnt lgkmcnt(0)
	ds_bpermute_b32 v11, v20, v10
	s_waitcnt lgkmcnt(0)
	v_add_f32_e32 v10, v10, v11
	ds_bpermute_b32 v11, v21, v10
	s_waitcnt lgkmcnt(0)
	v_add_f32_e32 v10, v10, v11
	;; [unrolled: 3-line block ×3, first 2 shown]
	s_or_b32 exec_lo, exec_lo, s6
	s_and_saveexec_b32 s6, s5
	s_cbranch_execz .LBB20_58
.LBB20_79:                              ;   in Loop: Header=BB20_59 Depth=1
	s_mul_hi_u32 s9, s11, s18
	s_mul_i32 s8, s11, s18
	s_waitcnt lgkmcnt(0)
	v_mul_f32_e32 v10, s33, v10
	s_lshl_b64 s[8:9], s[8:9], 2
	s_add_u32 s8, s22, s8
	s_addc_u32 s9, s23, s9
	global_store_dword v26, v10, s[8:9]
	s_branch .LBB20_58
.LBB20_80:
	s_endpgm
	.section	.rodata,"a",@progbits
	.p2align	6, 0x0
	.amdhsa_kernel _ZL23rocblas_gemvt_sn_kernelILb0ELi256ELi4EifPKffEviiT4_lPKT3_lilS5_lilPT5_i
		.amdhsa_group_segment_fixed_size 128
		.amdhsa_private_segment_fixed_size 0
		.amdhsa_kernarg_size 360
		.amdhsa_user_sgpr_count 6
		.amdhsa_user_sgpr_private_segment_buffer 1
		.amdhsa_user_sgpr_dispatch_ptr 0
		.amdhsa_user_sgpr_queue_ptr 0
		.amdhsa_user_sgpr_kernarg_segment_ptr 1
		.amdhsa_user_sgpr_dispatch_id 0
		.amdhsa_user_sgpr_flat_scratch_init 0
		.amdhsa_user_sgpr_private_segment_size 0
		.amdhsa_wavefront_size32 1
		.amdhsa_uses_dynamic_stack 0
		.amdhsa_system_sgpr_private_segment_wavefront_offset 0
		.amdhsa_system_sgpr_workgroup_id_x 1
		.amdhsa_system_sgpr_workgroup_id_y 0
		.amdhsa_system_sgpr_workgroup_id_z 1
		.amdhsa_system_sgpr_workgroup_info 0
		.amdhsa_system_vgpr_workitem_id 0
		.amdhsa_next_free_vgpr 55
		.amdhsa_next_free_sgpr 50
		.amdhsa_reserve_vcc 1
		.amdhsa_reserve_flat_scratch 0
		.amdhsa_float_round_mode_32 0
		.amdhsa_float_round_mode_16_64 0
		.amdhsa_float_denorm_mode_32 3
		.amdhsa_float_denorm_mode_16_64 3
		.amdhsa_dx10_clamp 1
		.amdhsa_ieee_mode 1
		.amdhsa_fp16_overflow 0
		.amdhsa_workgroup_processor_mode 1
		.amdhsa_memory_ordered 1
		.amdhsa_forward_progress 1
		.amdhsa_shared_vgpr_count 0
		.amdhsa_exception_fp_ieee_invalid_op 0
		.amdhsa_exception_fp_denorm_src 0
		.amdhsa_exception_fp_ieee_div_zero 0
		.amdhsa_exception_fp_ieee_overflow 0
		.amdhsa_exception_fp_ieee_underflow 0
		.amdhsa_exception_fp_ieee_inexact 0
		.amdhsa_exception_int_div_zero 0
	.end_amdhsa_kernel
	.section	.text._ZL23rocblas_gemvt_sn_kernelILb0ELi256ELi4EifPKffEviiT4_lPKT3_lilS5_lilPT5_i,"axG",@progbits,_ZL23rocblas_gemvt_sn_kernelILb0ELi256ELi4EifPKffEviiT4_lPKT3_lilS5_lilPT5_i,comdat
.Lfunc_end20:
	.size	_ZL23rocblas_gemvt_sn_kernelILb0ELi256ELi4EifPKffEviiT4_lPKT3_lilS5_lilPT5_i, .Lfunc_end20-_ZL23rocblas_gemvt_sn_kernelILb0ELi256ELi4EifPKffEviiT4_lPKT3_lilS5_lilPT5_i
                                        ; -- End function
	.set _ZL23rocblas_gemvt_sn_kernelILb0ELi256ELi4EifPKffEviiT4_lPKT3_lilS5_lilPT5_i.num_vgpr, 55
	.set _ZL23rocblas_gemvt_sn_kernelILb0ELi256ELi4EifPKffEviiT4_lPKT3_lilS5_lilPT5_i.num_agpr, 0
	.set _ZL23rocblas_gemvt_sn_kernelILb0ELi256ELi4EifPKffEviiT4_lPKT3_lilS5_lilPT5_i.numbered_sgpr, 50
	.set _ZL23rocblas_gemvt_sn_kernelILb0ELi256ELi4EifPKffEviiT4_lPKT3_lilS5_lilPT5_i.num_named_barrier, 0
	.set _ZL23rocblas_gemvt_sn_kernelILb0ELi256ELi4EifPKffEviiT4_lPKT3_lilS5_lilPT5_i.private_seg_size, 0
	.set _ZL23rocblas_gemvt_sn_kernelILb0ELi256ELi4EifPKffEviiT4_lPKT3_lilS5_lilPT5_i.uses_vcc, 1
	.set _ZL23rocblas_gemvt_sn_kernelILb0ELi256ELi4EifPKffEviiT4_lPKT3_lilS5_lilPT5_i.uses_flat_scratch, 0
	.set _ZL23rocblas_gemvt_sn_kernelILb0ELi256ELi4EifPKffEviiT4_lPKT3_lilS5_lilPT5_i.has_dyn_sized_stack, 0
	.set _ZL23rocblas_gemvt_sn_kernelILb0ELi256ELi4EifPKffEviiT4_lPKT3_lilS5_lilPT5_i.has_recursion, 0
	.set _ZL23rocblas_gemvt_sn_kernelILb0ELi256ELi4EifPKffEviiT4_lPKT3_lilS5_lilPT5_i.has_indirect_call, 0
	.section	.AMDGPU.csdata,"",@progbits
; Kernel info:
; codeLenInByte = 4136
; TotalNumSgprs: 52
; NumVgprs: 55
; ScratchSize: 0
; MemoryBound: 0
; FloatMode: 240
; IeeeMode: 1
; LDSByteSize: 128 bytes/workgroup (compile time only)
; SGPRBlocks: 0
; VGPRBlocks: 6
; NumSGPRsForWavesPerEU: 52
; NumVGPRsForWavesPerEU: 55
; Occupancy: 16
; WaveLimiterHint : 1
; COMPUTE_PGM_RSRC2:SCRATCH_EN: 0
; COMPUTE_PGM_RSRC2:USER_SGPR: 6
; COMPUTE_PGM_RSRC2:TRAP_HANDLER: 0
; COMPUTE_PGM_RSRC2:TGID_X_EN: 1
; COMPUTE_PGM_RSRC2:TGID_Y_EN: 0
; COMPUTE_PGM_RSRC2:TGID_Z_EN: 1
; COMPUTE_PGM_RSRC2:TIDIG_COMP_CNT: 0
	.section	.text._ZL23rocblas_gemvt_sn_kernelILb0ELi256ELi4ElfPKffEviiT4_lPKT3_lilS5_lilPT5_i,"axG",@progbits,_ZL23rocblas_gemvt_sn_kernelILb0ELi256ELi4ElfPKffEviiT4_lPKT3_lilS5_lilPT5_i,comdat
	.globl	_ZL23rocblas_gemvt_sn_kernelILb0ELi256ELi4ElfPKffEviiT4_lPKT3_lilS5_lilPT5_i ; -- Begin function _ZL23rocblas_gemvt_sn_kernelILb0ELi256ELi4ElfPKffEviiT4_lPKT3_lilS5_lilPT5_i
	.p2align	8
	.type	_ZL23rocblas_gemvt_sn_kernelILb0ELi256ELi4ElfPKffEviiT4_lPKT3_lilS5_lilPT5_i,@function
_ZL23rocblas_gemvt_sn_kernelILb0ELi256ELi4ElfPKffEviiT4_lPKT3_lilS5_lilPT5_i: ; @_ZL23rocblas_gemvt_sn_kernelILb0ELi256ELi4ElfPKffEviiT4_lPKT3_lilS5_lilPT5_i
; %bb.0:
	s_clause 0x2
	s_load_dwordx8 s[8:15], s[4:5], 0x8
	s_load_dwordx2 s[20:21], s[4:5], 0x0
	s_load_dword s22, s[4:5], 0x68
	s_mov_b32 s23, 0
	s_waitcnt lgkmcnt(0)
	s_mul_i32 s1, s11, s7
	s_mul_hi_u32 s2, s10, s7
	s_mul_i32 s0, s10, s7
	s_add_i32 s1, s2, s1
	s_mul_i32 s2, s21, s7
	s_lshl_b64 s[0:1], s[0:1], 2
	s_add_u32 s0, s8, s0
	s_addc_u32 s1, s9, s1
	s_load_dword s33, s[0:1], 0x0
	s_load_dwordx4 s[8:11], s[4:5], 0x50
	s_ashr_i32 s34, s21, 31
	s_mul_hi_u32 s0, s21, s7
	s_mul_i32 s1, s34, s7
	s_add_i32 s0, s0, s1
	s_mul_hi_u32 s1, s2, s22
	s_mul_i32 s3, s0, s22
	s_mul_i32 s0, s2, s22
	s_add_i32 s1, s1, s3
	s_lshl_b64 s[0:1], s[0:1], 2
	s_waitcnt lgkmcnt(0)
	v_cmp_neq_f32_e64 s2, s33, 0
	s_add_u32 s44, s10, s0
	v_cmp_eq_u32_e64 s0, 0, v0
	s_addc_u32 s45, s11, s1
	s_and_b32 vcc_lo, exec_lo, s2
	s_cbranch_vccnz .LBB21_5
; %bb.1:
	s_cmp_gt_i32 s21, 0
	s_cselect_b32 s1, -1, 0
	s_and_b32 s0, s0, s1
	s_and_saveexec_b32 s10, s0
	s_cbranch_execz .LBB21_4
; %bb.2:
	s_mov_b32 s0, s7
	s_mov_b32 s7, 0
	v_mov_b32_e32 v1, 0
	s_lshl_b64 s[2:3], s[6:7], 2
	s_mov_b32 s7, s0
	s_add_u32 s0, s44, s2
	s_addc_u32 s1, s45, s3
	s_lshl_b64 s[2:3], s[22:23], 2
	s_mov_b32 s11, s21
.LBB21_3:                               ; =>This Inner Loop Header: Depth=1
	s_add_i32 s11, s11, -1
	global_store_dword v1, v1, s[0:1]
	s_add_u32 s0, s0, s2
	s_addc_u32 s1, s1, s3
	s_cmp_eq_u32 s11, 0
	s_cbranch_scc0 .LBB21_3
.LBB21_4:
	s_or_b32 exec_lo, exec_lo, s10
	s_cbranch_execz .LBB21_6
	s_branch .LBB21_80
.LBB21_5:
.LBB21_6:
	s_clause 0x3
	s_load_dword s24, s[4:5], 0x28
	s_load_dword s26, s[4:5], 0x48
	s_load_dwordx4 s[16:19], s[4:5], 0x30
	s_load_dwordx2 s[0:1], s[4:5], 0x40
	s_mul_i32 s3, s9, s7
	s_mul_hi_u32 s4, s8, s7
	s_mul_i32 s2, s8, s7
	s_add_i32 s3, s4, s3
	v_and_b32_e32 v26, 31, v0
	s_lshl_b64 s[28:29], s[2:3], 2
	v_mbcnt_lo_u32_b32 v29, -1, 0
	v_lshrrev_b32_e32 v31, 3, v0
	s_waitcnt lgkmcnt(0)
	s_ashr_i32 s25, s24, 31
	s_ashr_i32 s27, s26, 31
	s_add_u32 s5, s18, s28
	s_addc_u32 s8, s19, s29
	s_lshl_b64 s[30:31], s[0:1], 2
	s_mul_i32 s3, s17, s7
	s_mul_hi_u32 s4, s16, s7
	s_add_u32 s46, s5, s30
	s_mul_i32 s2, s16, s7
	s_addc_u32 s47, s8, s31
	s_add_i32 s3, s4, s3
	v_cmp_gt_u32_e64 s0, 32, v0
	s_lshl_b64 s[16:17], s[2:3], 2
	v_cmp_gt_u32_e64 s1, 8, v0
	s_add_u32 s2, s12, s16
	s_addc_u32 s3, s13, s17
	s_lshl_b64 s[14:15], s[14:15], 2
	s_add_u32 s2, s2, s14
	s_addc_u32 s3, s3, s15
	s_lshl_b32 s4, s6, 10
	s_ashr_i32 s5, s20, 31
	v_lshl_or_b32 v13, v0, 2, s4
	s_lshr_b32 s4, s34, 30
	s_lshr_b32 s5, s5, 30
	s_add_i32 s4, s21, s4
	s_add_i32 s5, s20, s5
	v_ashrrev_i32_e32 v14, 31, v13
	s_and_b32 s48, s4, -4
	s_and_b32 s4, s5, -4
	v_add_nc_u32_e32 v32, 4, v13
	s_sub_i32 s23, s20, s4
	v_lshlrev_b64 v[11:12], 2, v[13:14]
	v_or_b32_e32 v30, 1, v13
	v_or_b32_e32 v28, 2, v13
	v_add_nc_u32_e32 v33, s23, v13
	v_or_b32_e32 v27, 3, v13
	s_cmp_lt_i32 s48, 1
	v_add_co_u32 v9, vcc_lo, s2, v11
	v_add_co_ci_u32_e64 v10, null, s3, v12, vcc_lo
	s_cbranch_scc1 .LBB21_55
; %bb.7:
	v_cmp_gt_u32_e32 vcc_lo, 24, v29
	v_mad_i64_i32 v[5:6], null, s26, v28, 0
	v_mad_i64_i32 v[7:8], null, s26, v27, 0
	v_cndmask_b32_e64 v1, 0, 8, vcc_lo
	v_cmp_gt_u32_e32 vcc_lo, 28, v29
	s_cmp_gt_i32 s23, 0
	s_mov_b32 s7, 0
	v_lshlrev_b64 v[5:6], 2, v[5:6]
	v_add_lshl_u32 v35, v1, v29, 2
	v_cndmask_b32_e64 v2, 0, 4, vcc_lo
	v_cmp_gt_u32_e32 vcc_lo, 30, v29
	s_cselect_b32 s49, -1, 0
	s_lshl_b64 s[8:9], s[6:7], 2
	v_mov_b32_e32 v25, v10
	v_add_lshl_u32 v36, v2, v29, 2
	v_cndmask_b32_e64 v3, 0, 2, vcc_lo
	v_cmp_ne_u32_e32 vcc_lo, 31, v29
	v_mad_i64_i32 v[1:2], null, s26, v13, 0
	s_add_u32 s50, s44, s8
	v_add_lshl_u32 v37, v3, v29, 2
	v_add_co_ci_u32_e64 v4, null, 0, v29, vcc_lo
	s_addc_u32 s51, s45, s9
	s_add_u32 s8, s18, s30
	v_lshlrev_b64 v[1:2], 2, v[1:2]
	v_lshlrev_b32_e32 v38, 2, v4
	v_mad_i64_i32 v[3:4], null, s26, v30, 0
	s_addc_u32 s9, s19, s31
	s_add_u32 s8, s8, s28
	v_add_co_u32 v14, vcc_lo, s46, v1
	v_add_co_ci_u32_e64 v15, null, s47, v2, vcc_lo
	v_lshlrev_b64 v[3:4], 2, v[3:4]
	s_addc_u32 s9, s9, s29
	v_cmp_ge_i32_e64 s2, s20, v32
	v_cmp_ge_i32_e64 s3, s20, v33
	v_lshl_or_b32 v34, v29, 2, 64
	v_cmp_eq_u32_e64 s4, 0, v26
	v_add_co_u32 v16, vcc_lo, s46, v3
	v_add_co_ci_u32_e64 v17, null, s47, v4, vcc_lo
	v_lshlrev_b64 v[3:4], 2, v[7:8]
	v_add_co_u32 v18, vcc_lo, s46, v5
	v_mov_b32_e32 v5, 0
	v_add_co_ci_u32_e64 v19, null, s47, v6, vcc_lo
	v_add_co_u32 v20, vcc_lo, s46, v3
	v_mov_b32_e32 v6, v5
	v_mov_b32_e32 v7, v5
	;; [unrolled: 1-line block ×3, first 2 shown]
	v_add_co_ci_u32_e64 v21, null, s47, v4, vcc_lo
	v_add_co_u32 v22, vcc_lo, s8, v1
	v_add_co_ci_u32_e64 v23, null, s9, v2, vcc_lo
	v_mov_b32_e32 v1, v5
	v_lshlrev_b32_e32 v39, 2, v26
	v_and_b32_e32 v40, 28, v31
	v_cmp_eq_u32_e64 s5, 0, v0
	v_mov_b32_e32 v24, v9
	v_mov_b32_e32 v2, v6
	;; [unrolled: 1-line block ×4, first 2 shown]
	s_lshl_b64 s[34:35], s[26:27], 2
	s_lshl_b64 s[36:37], s[24:25], 4
	;; [unrolled: 1-line block ×4, first 2 shown]
	s_mul_hi_i32 s52, s24, 12
	s_mul_i32 s53, s24, 12
	s_branch .LBB21_9
.LBB21_8:                               ;   in Loop: Header=BB21_9 Depth=1
	s_or_b32 exec_lo, exec_lo, s8
	v_add_co_u32 v24, vcc_lo, v24, s36
	v_add_co_ci_u32_e64 v25, null, s37, v25, vcc_lo
	s_add_i32 s7, s7, 4
	s_cmp_ge_i32 s7, s48
	s_cbranch_scc1 .LBB21_56
.LBB21_9:                               ; =>This Loop Header: Depth=1
                                        ;     Child Loop BB21_40 Depth 2
                                        ;     Child Loop BB21_43 Depth 2
                                        ; implicit-def: $vgpr8
                                        ; implicit-def: $vgpr41
                                        ; implicit-def: $vgpr42
                                        ; implicit-def: $vgpr43
	s_and_saveexec_b32 s8, s2
	s_xor_b32 s8, exec_lo, s8
	s_cbranch_execnz .LBB21_36
; %bb.10:                               ;   in Loop: Header=BB21_9 Depth=1
	s_andn2_saveexec_b32 s54, s8
	s_cbranch_execnz .LBB21_37
.LBB21_11:                              ;   in Loop: Header=BB21_9 Depth=1
	s_or_b32 exec_lo, exec_lo, s54
	s_and_saveexec_b32 s8, s0
.LBB21_12:                              ;   in Loop: Header=BB21_9 Depth=1
	ds_write_b32 v39, v5
.LBB21_13:                              ;   in Loop: Header=BB21_9 Depth=1
	s_or_b32 exec_lo, exec_lo, s8
	ds_bpermute_b32 v6, v34, v43
	s_waitcnt lgkmcnt(0)
	s_waitcnt_vscnt null, 0x0
	s_barrier
	buffer_gl0_inv
	v_add_f32_e32 v6, v43, v6
	ds_bpermute_b32 v7, v35, v6
	s_waitcnt lgkmcnt(0)
	v_add_f32_e32 v6, v6, v7
	ds_bpermute_b32 v7, v36, v6
	s_waitcnt lgkmcnt(0)
	;; [unrolled: 3-line block ×3, first 2 shown]
	v_add_f32_e32 v6, v6, v7
	ds_bpermute_b32 v7, v38, v6
	s_and_saveexec_b32 s8, s4
	s_cbranch_execz .LBB21_15
; %bb.14:                               ;   in Loop: Header=BB21_9 Depth=1
	s_waitcnt lgkmcnt(0)
	v_add_f32_e32 v6, v6, v7
	ds_write_b32 v40, v6
.LBB21_15:                              ;   in Loop: Header=BB21_9 Depth=1
	s_or_b32 exec_lo, exec_lo, s8
	v_mov_b32_e32 v6, 0
	s_waitcnt lgkmcnt(0)
	s_barrier
	buffer_gl0_inv
	s_and_saveexec_b32 s8, s1
	s_cbranch_execnz .LBB21_44
; %bb.16:                               ;   in Loop: Header=BB21_9 Depth=1
	s_or_b32 exec_lo, exec_lo, s8
	s_and_saveexec_b32 s8, s0
	s_cbranch_execnz .LBB21_45
.LBB21_17:                              ;   in Loop: Header=BB21_9 Depth=1
	s_or_b32 exec_lo, exec_lo, s8
	s_and_saveexec_b32 s8, s0
.LBB21_18:                              ;   in Loop: Header=BB21_9 Depth=1
	ds_write_b32 v39, v5
.LBB21_19:                              ;   in Loop: Header=BB21_9 Depth=1
	s_or_b32 exec_lo, exec_lo, s8
	ds_bpermute_b32 v7, v34, v42
	s_waitcnt lgkmcnt(0)
	s_barrier
	buffer_gl0_inv
	v_add_f32_e32 v7, v42, v7
	ds_bpermute_b32 v42, v35, v7
	s_waitcnt lgkmcnt(0)
	v_add_f32_e32 v7, v7, v42
	ds_bpermute_b32 v42, v36, v7
	s_waitcnt lgkmcnt(0)
	;; [unrolled: 3-line block ×3, first 2 shown]
	v_add_f32_e32 v7, v7, v42
	ds_bpermute_b32 v42, v38, v7
	s_and_saveexec_b32 s8, s4
	s_cbranch_execz .LBB21_21
; %bb.20:                               ;   in Loop: Header=BB21_9 Depth=1
	s_waitcnt lgkmcnt(0)
	v_add_f32_e32 v7, v7, v42
	ds_write_b32 v40, v7
.LBB21_21:                              ;   in Loop: Header=BB21_9 Depth=1
	s_or_b32 exec_lo, exec_lo, s8
	v_mov_b32_e32 v7, 0
	s_waitcnt lgkmcnt(0)
	s_barrier
	buffer_gl0_inv
	s_and_saveexec_b32 s8, s1
	s_cbranch_execnz .LBB21_46
; %bb.22:                               ;   in Loop: Header=BB21_9 Depth=1
	s_or_b32 exec_lo, exec_lo, s8
	s_and_saveexec_b32 s8, s0
	s_cbranch_execnz .LBB21_47
.LBB21_23:                              ;   in Loop: Header=BB21_9 Depth=1
	s_or_b32 exec_lo, exec_lo, s8
	s_and_saveexec_b32 s8, s0
.LBB21_24:                              ;   in Loop: Header=BB21_9 Depth=1
	ds_write_b32 v39, v5
.LBB21_25:                              ;   in Loop: Header=BB21_9 Depth=1
	s_or_b32 exec_lo, exec_lo, s8
	ds_bpermute_b32 v42, v34, v41
	s_waitcnt lgkmcnt(0)
	s_barrier
	buffer_gl0_inv
	v_add_f32_e32 v41, v41, v42
	ds_bpermute_b32 v42, v35, v41
	s_waitcnt lgkmcnt(0)
	v_add_f32_e32 v41, v41, v42
	ds_bpermute_b32 v42, v36, v41
	s_waitcnt lgkmcnt(0)
	v_add_f32_e32 v41, v41, v42
	ds_bpermute_b32 v42, v37, v41
	s_waitcnt lgkmcnt(0)
	v_add_f32_e32 v41, v41, v42
	ds_bpermute_b32 v42, v38, v41
	s_and_saveexec_b32 s8, s4
	s_cbranch_execz .LBB21_27
; %bb.26:                               ;   in Loop: Header=BB21_9 Depth=1
	s_waitcnt lgkmcnt(0)
	v_add_f32_e32 v41, v41, v42
	ds_write_b32 v40, v41
.LBB21_27:                              ;   in Loop: Header=BB21_9 Depth=1
	s_or_b32 exec_lo, exec_lo, s8
	v_mov_b32_e32 v41, 0
	s_waitcnt lgkmcnt(0)
	s_barrier
	buffer_gl0_inv
	s_and_saveexec_b32 s8, s1
	s_cbranch_execnz .LBB21_48
; %bb.28:                               ;   in Loop: Header=BB21_9 Depth=1
	s_or_b32 exec_lo, exec_lo, s8
	s_and_saveexec_b32 s8, s0
	s_cbranch_execnz .LBB21_49
.LBB21_29:                              ;   in Loop: Header=BB21_9 Depth=1
	s_or_b32 exec_lo, exec_lo, s8
	s_and_saveexec_b32 s8, s0
.LBB21_30:                              ;   in Loop: Header=BB21_9 Depth=1
	ds_write_b32 v39, v5
.LBB21_31:                              ;   in Loop: Header=BB21_9 Depth=1
	s_or_b32 exec_lo, exec_lo, s8
	ds_bpermute_b32 v42, v34, v8
	s_waitcnt lgkmcnt(0)
	s_barrier
	buffer_gl0_inv
	v_add_f32_e32 v8, v8, v42
	ds_bpermute_b32 v42, v35, v8
	s_waitcnt lgkmcnt(0)
	v_add_f32_e32 v8, v8, v42
	ds_bpermute_b32 v42, v36, v8
	s_waitcnt lgkmcnt(0)
	;; [unrolled: 3-line block ×3, first 2 shown]
	v_add_f32_e32 v8, v8, v42
	ds_bpermute_b32 v42, v38, v8
	s_and_saveexec_b32 s8, s4
	s_cbranch_execz .LBB21_33
; %bb.32:                               ;   in Loop: Header=BB21_9 Depth=1
	s_waitcnt lgkmcnt(0)
	v_add_f32_e32 v8, v8, v42
	ds_write_b32 v40, v8
.LBB21_33:                              ;   in Loop: Header=BB21_9 Depth=1
	s_or_b32 exec_lo, exec_lo, s8
	v_mov_b32_e32 v8, 0
	s_waitcnt lgkmcnt(0)
	s_barrier
	buffer_gl0_inv
	s_and_saveexec_b32 s8, s1
	s_cbranch_execnz .LBB21_50
; %bb.34:                               ;   in Loop: Header=BB21_9 Depth=1
	s_or_b32 exec_lo, exec_lo, s8
	s_and_saveexec_b32 s8, s0
	s_cbranch_execnz .LBB21_51
.LBB21_35:                              ;   in Loop: Header=BB21_9 Depth=1
	s_or_b32 exec_lo, exec_lo, s8
	s_and_saveexec_b32 s8, s5
	s_cbranch_execz .LBB21_8
	s_branch .LBB21_52
.LBB21_36:                              ;   in Loop: Header=BB21_9 Depth=1
	s_mul_i32 s9, s7, s25
	s_mul_hi_u32 s10, s7, s24
	s_add_i32 s11, s10, s9
	s_mul_i32 s10, s7, s24
	s_or_b32 s9, s7, 1
	s_lshl_b64 s[10:11], s[10:11], 2
	s_mul_i32 s42, s9, s25
	s_mul_hi_u32 s43, s9, s24
	v_add_co_u32 v2, vcc_lo, v9, s10
	v_add_co_ci_u32_e64 v3, null, s11, v10, vcc_lo
	s_add_i32 s11, s43, s42
	s_mul_i32 s10, s9, s24
	s_or_b32 s9, s7, 2
	s_lshl_b64 s[10:11], s[10:11], 2
	s_mul_i32 s42, s9, s25
	s_mul_hi_u32 s43, s9, s24
	v_add_co_u32 v6, vcc_lo, v9, s10
	v_add_co_ci_u32_e64 v7, null, s11, v10, vcc_lo
	s_add_i32 s11, s43, s42
	s_or_b32 s42, s7, 3
	s_mul_i32 s10, s9, s24
	s_mul_i32 s9, s42, s25
	s_mul_hi_u32 s43, s42, s24
	s_lshl_b64 s[10:11], s[10:11], 2
	s_add_i32 s43, s43, s9
	s_mul_i32 s42, s42, s24
	v_add_co_u32 v41, vcc_lo, v9, s10
	v_add_co_ci_u32_e64 v42, null, s11, v10, vcc_lo
	s_lshl_b64 s[10:11], s[42:43], 2
	v_add_co_u32 v55, vcc_lo, v9, s10
	v_add_co_ci_u32_e64 v56, null, s11, v10, vcc_lo
	global_load_dword v1, v[14:15], off
	s_clause 0x3
	global_load_dwordx4 v[43:46], v[2:3], off
	global_load_dwordx4 v[47:50], v[6:7], off
	;; [unrolled: 1-line block ×4, first 2 shown]
	s_clause 0x2
	global_load_dword v2, v[16:17], off
	global_load_dword v3, v[18:19], off
	;; [unrolled: 1-line block ×3, first 2 shown]
	s_waitcnt vmcnt(6)
	v_fma_f32 v43, v1, v43, 0
	s_waitcnt vmcnt(5)
	v_fma_f32 v42, v1, v47, 0
	;; [unrolled: 2-line block ×3, first 2 shown]
	s_waitcnt vmcnt(3) lgkmcnt(0)
	v_fma_f32 v8, v1, v55, 0
	s_waitcnt vmcnt(2)
	v_fmac_f32_e32 v43, v2, v44
	v_fmac_f32_e32 v42, v2, v48
	v_fmac_f32_e32 v41, v2, v52
	v_fmac_f32_e32 v8, v2, v56
	s_waitcnt vmcnt(1)
	v_fmac_f32_e32 v43, v3, v45
	v_fmac_f32_e32 v42, v3, v49
	v_fmac_f32_e32 v41, v3, v53
	v_fmac_f32_e32 v8, v3, v57
	s_waitcnt vmcnt(0)
	v_fmac_f32_e32 v43, v4, v46
	v_fmac_f32_e32 v42, v4, v50
	v_fmac_f32_e32 v41, v4, v54
	v_fmac_f32_e32 v8, v4, v58
	s_andn2_saveexec_b32 s54, s8
	s_cbranch_execz .LBB21_11
.LBB21_37:                              ;   in Loop: Header=BB21_9 Depth=1
	s_waitcnt lgkmcnt(0)
	v_mov_b32_e32 v8, 0
	v_mov_b32_e32 v41, 0
	;; [unrolled: 1-line block ×4, first 2 shown]
	s_and_saveexec_b32 s55, s3
	s_cbranch_execz .LBB21_54
; %bb.38:                               ;   in Loop: Header=BB21_9 Depth=1
	s_andn2_b32 vcc_lo, exec_lo, s49
	s_cbranch_vccnz .LBB21_41
; %bb.39:                               ;   in Loop: Header=BB21_9 Depth=1
	v_mov_b32_e32 v6, v22
	v_mov_b32_e32 v7, v23
	s_mov_b64 s[42:43], 0
	.p2align	6
.LBB21_40:                              ;   Parent Loop BB21_9 Depth=1
                                        ; =>  This Inner Loop Header: Depth=2
	global_load_dword v8, v[6:7], off
	s_cmp_eq_u32 s42, 3
	v_add_co_u32 v6, vcc_lo, v6, s34
	v_add_co_ci_u32_e64 v7, null, s35, v7, vcc_lo
	s_cselect_b32 vcc_lo, -1, 0
	s_cmp_eq_u32 s42, 2
	s_cselect_b32 s8, -1, 0
	s_cmp_eq_u32 s42, 1
	s_cselect_b32 s9, -1, 0
	;; [unrolled: 2-line block ×3, first 2 shown]
	s_add_u32 s42, s42, 1
	s_addc_u32 s43, s43, 0
	s_cmp_eq_u32 s23, s42
	s_waitcnt vmcnt(0)
	v_cndmask_b32_e32 v4, v4, v8, vcc_lo
	v_cndmask_b32_e64 v3, v3, v8, s8
	v_cndmask_b32_e64 v2, v2, v8, s9
	;; [unrolled: 1-line block ×3, first 2 shown]
	s_cbranch_scc0 .LBB21_40
.LBB21_41:                              ;   in Loop: Header=BB21_9 Depth=1
	s_andn2_b32 vcc_lo, exec_lo, s49
	s_cbranch_vccnz .LBB21_53
; %bb.42:                               ;   in Loop: Header=BB21_9 Depth=1
	v_mov_b32_e32 v6, v24
	v_mov_b32_e32 v43, 0
	;; [unrolled: 1-line block ×6, first 2 shown]
	s_mov_b64 s[10:11], 0
	s_inst_prefetch 0x1
	.p2align	6
.LBB21_43:                              ;   Parent Loop BB21_9 Depth=1
                                        ; =>  This Inner Loop Header: Depth=2
	v_add_co_u32 v44, vcc_lo, v6, s38
	v_add_co_ci_u32_e64 v45, null, s39, v7, vcc_lo
	v_add_co_u32 v46, vcc_lo, v6, s40
	v_add_co_ci_u32_e64 v47, null, s41, v7, vcc_lo
	;; [unrolled: 2-line block ×3, first 2 shown]
	s_clause 0x3
	global_load_dword v50, v[6:7], off
	global_load_dword v44, v[44:45], off
	;; [unrolled: 1-line block ×4, first 2 shown]
	s_cmp_eq_u32 s10, 1
	v_add_co_u32 v6, s8, v6, 4
	s_cselect_b32 vcc_lo, -1, 0
	s_cmp_eq_u32 s10, 2
	v_cndmask_b32_e32 v47, v1, v2, vcc_lo
	s_cselect_b32 vcc_lo, -1, 0
	s_cmp_eq_u32 s10, 3
	v_add_co_ci_u32_e64 v7, null, 0, v7, s8
	v_cndmask_b32_e32 v47, v47, v3, vcc_lo
	s_cselect_b32 vcc_lo, -1, 0
	s_add_u32 s10, s10, 1
	s_addc_u32 s11, s11, 0
	s_cmp_lg_u32 s23, s10
	v_cndmask_b32_e32 v47, v47, v4, vcc_lo
	s_waitcnt vmcnt(3)
	v_fmac_f32_e32 v43, v47, v50
	s_waitcnt vmcnt(2)
	v_fmac_f32_e32 v42, v47, v44
	s_waitcnt vmcnt(1)
	v_fmac_f32_e32 v41, v47, v45
	s_waitcnt vmcnt(0)
	v_fmac_f32_e32 v8, v47, v46
	s_cbranch_scc1 .LBB21_43
	s_branch .LBB21_54
.LBB21_44:                              ;   in Loop: Header=BB21_9 Depth=1
	ds_read_b32 v6, v39
	s_or_b32 exec_lo, exec_lo, s8
	s_and_saveexec_b32 s8, s0
	s_cbranch_execz .LBB21_17
.LBB21_45:                              ;   in Loop: Header=BB21_9 Depth=1
	s_waitcnt lgkmcnt(0)
	ds_bpermute_b32 v7, v36, v6
	s_waitcnt lgkmcnt(0)
	v_add_f32_e32 v6, v6, v7
	ds_bpermute_b32 v7, v37, v6
	s_waitcnt lgkmcnt(0)
	v_add_f32_e32 v6, v6, v7
	;; [unrolled: 3-line block ×3, first 2 shown]
	s_or_b32 exec_lo, exec_lo, s8
	s_and_saveexec_b32 s8, s0
	s_cbranch_execnz .LBB21_18
	s_branch .LBB21_19
.LBB21_46:                              ;   in Loop: Header=BB21_9 Depth=1
	ds_read_b32 v7, v39
	s_or_b32 exec_lo, exec_lo, s8
	s_and_saveexec_b32 s8, s0
	s_cbranch_execz .LBB21_23
.LBB21_47:                              ;   in Loop: Header=BB21_9 Depth=1
	s_waitcnt lgkmcnt(0)
	ds_bpermute_b32 v42, v36, v7
	s_waitcnt lgkmcnt(0)
	v_add_f32_e32 v7, v7, v42
	ds_bpermute_b32 v42, v37, v7
	s_waitcnt lgkmcnt(0)
	v_add_f32_e32 v7, v7, v42
	;; [unrolled: 3-line block ×3, first 2 shown]
	s_or_b32 exec_lo, exec_lo, s8
	s_and_saveexec_b32 s8, s0
	s_cbranch_execnz .LBB21_24
	s_branch .LBB21_25
.LBB21_48:                              ;   in Loop: Header=BB21_9 Depth=1
	ds_read_b32 v41, v39
	s_or_b32 exec_lo, exec_lo, s8
	s_and_saveexec_b32 s8, s0
	s_cbranch_execz .LBB21_29
.LBB21_49:                              ;   in Loop: Header=BB21_9 Depth=1
	s_waitcnt lgkmcnt(0)
	ds_bpermute_b32 v42, v36, v41
	s_waitcnt lgkmcnt(0)
	v_add_f32_e32 v41, v41, v42
	ds_bpermute_b32 v42, v37, v41
	s_waitcnt lgkmcnt(0)
	v_add_f32_e32 v41, v41, v42
	;; [unrolled: 3-line block ×3, first 2 shown]
	s_or_b32 exec_lo, exec_lo, s8
	s_and_saveexec_b32 s8, s0
	s_cbranch_execnz .LBB21_30
	s_branch .LBB21_31
.LBB21_50:                              ;   in Loop: Header=BB21_9 Depth=1
	ds_read_b32 v8, v39
	s_or_b32 exec_lo, exec_lo, s8
	s_and_saveexec_b32 s8, s0
	s_cbranch_execz .LBB21_35
.LBB21_51:                              ;   in Loop: Header=BB21_9 Depth=1
	s_waitcnt lgkmcnt(0)
	ds_bpermute_b32 v42, v36, v8
	s_waitcnt lgkmcnt(0)
	v_add_f32_e32 v8, v8, v42
	ds_bpermute_b32 v42, v37, v8
	s_waitcnt lgkmcnt(0)
	v_add_f32_e32 v8, v8, v42
	;; [unrolled: 3-line block ×3, first 2 shown]
	s_or_b32 exec_lo, exec_lo, s8
	s_and_saveexec_b32 s8, s5
	s_cbranch_execz .LBB21_8
.LBB21_52:                              ;   in Loop: Header=BB21_9 Depth=1
	s_mul_hi_u32 s11, s7, s22
	s_mul_i32 s10, s7, s22
	v_mul_f32_e32 v6, s33, v6
	s_lshl_b64 s[10:11], s[10:11], 2
	v_mul_f32_e32 v7, s33, v7
	s_add_u32 s10, s50, s10
	s_addc_u32 s11, s51, s11
	s_or_b32 s9, s7, 1
	global_store_dword v5, v6, s[10:11]
	s_mul_hi_u32 s43, s9, s22
	s_mul_i32 s42, s9, s22
	v_mul_f32_e32 v6, s33, v41
	s_lshl_b64 s[42:43], s[42:43], 2
	s_waitcnt lgkmcnt(0)
	v_mul_f32_e32 v8, s33, v8
	s_add_u32 s42, s50, s42
	s_addc_u32 s43, s51, s43
	s_or_b32 s9, s7, 2
	global_store_dword v5, v7, s[42:43]
	s_mul_hi_u32 s55, s9, s22
	s_mul_i32 s54, s9, s22
	s_lshl_b64 s[54:55], s[54:55], 2
	s_add_u32 s10, s50, s54
	s_addc_u32 s11, s51, s55
	s_or_b32 s9, s7, 3
	s_mul_hi_u32 s55, s9, s22
	s_mul_i32 s54, s9, s22
	s_lshl_b64 s[54:55], s[54:55], 2
	s_add_u32 s42, s50, s54
	s_addc_u32 s43, s51, s55
	global_store_dword v5, v6, s[10:11]
	global_store_dword v5, v8, s[42:43]
	s_branch .LBB21_8
.LBB21_53:                              ;   in Loop: Header=BB21_9 Depth=1
	v_mov_b32_e32 v8, 0
	v_mov_b32_e32 v41, 0
	;; [unrolled: 1-line block ×4, first 2 shown]
.LBB21_54:                              ;   in Loop: Header=BB21_9 Depth=1
	s_inst_prefetch 0x2
	s_or_b32 exec_lo, exec_lo, s55
	s_or_b32 exec_lo, exec_lo, s54
	s_and_saveexec_b32 s8, s0
	s_cbranch_execnz .LBB21_12
	s_branch .LBB21_13
.LBB21_55:
	v_mov_b32_e32 v1, 0
	s_mov_b32 s7, 0
	v_mov_b32_e32 v2, v1
	v_mov_b32_e32 v3, v1
	;; [unrolled: 1-line block ×3, first 2 shown]
.LBB21_56:
	s_cmp_ge_i32 s7, s21
	s_cbranch_scc1 .LBB21_80
; %bb.57:
	v_cmp_gt_u32_e32 vcc_lo, 24, v29
	v_lshl_or_b32 v22, v29, 2, 64
	v_mad_i64_i32 v[15:16], null, s26, v27, 0
	s_cmp_gt_i32 s23, 0
	v_cndmask_b32_e64 v5, 0, 8, vcc_lo
	v_cmp_gt_u32_e32 vcc_lo, 28, v29
	s_mov_b32 s11, 0
	s_mov_b32 s10, s6
	v_cmp_ge_i32_e64 s0, s20, v32
	v_add_lshl_u32 v23, v5, v29, 2
	v_cndmask_b32_e64 v6, 0, 4, vcc_lo
	v_cmp_gt_u32_e32 vcc_lo, 30, v29
	v_cmp_ge_i32_e64 s1, s20, v33
	s_cselect_b32 s20, -1, 0
	s_lshl_b64 s[8:9], s[10:11], 2
	v_add_lshl_u32 v24, v6, v29, 2
	v_cndmask_b32_e64 v7, 0, 2, vcc_lo
	v_cmp_ne_u32_e32 vcc_lo, 31, v29
	v_mad_i64_i32 v[5:6], null, s26, v13, 0
	v_mad_i64_i32 v[13:14], null, s26, v28, 0
	s_waitcnt lgkmcnt(0)
	v_add_co_ci_u32_e64 v8, null, 0, v29, vcc_lo
	v_add_lshl_u32 v25, v7, v29, 2
	v_lshlrev_b64 v[15:16], 2, v[15:16]
	v_lshlrev_b64 v[17:18], 2, v[5:6]
	v_lshlrev_b32_e32 v29, 2, v8
	v_mad_i64_i32 v[7:8], null, s26, v30, 0
	v_lshlrev_b64 v[13:14], 2, v[13:14]
	s_add_u32 s10, s44, s8
	v_add_co_u32 v5, vcc_lo, s46, v17
	v_add_co_ci_u32_e64 v6, null, s47, v18, vcc_lo
	v_lshlrev_b64 v[7:8], 2, v[7:8]
	s_addc_u32 s34, s45, s9
	s_add_u32 s6, s18, s30
	s_addc_u32 s8, s19, s31
	s_mul_i32 s9, s25, s7
	s_mul_hi_u32 s18, s24, s7
	v_add_co_u32 v7, vcc_lo, s46, v7
	v_add_co_ci_u32_e64 v8, null, s47, v8, vcc_lo
	v_add_co_u32 v13, vcc_lo, s46, v13
	v_add_co_ci_u32_e64 v14, null, s47, v14, vcc_lo
	v_add_co_u32 v15, vcc_lo, s46, v15
	s_add_u32 s6, s6, s28
	s_addc_u32 s19, s8, s29
	s_add_i32 s9, s18, s9
	s_mul_i32 s8, s24, s7
	v_add_co_ci_u32_e64 v16, null, s47, v16, vcc_lo
	v_add_co_u32 v17, vcc_lo, s6, v17
	s_lshl_b64 s[8:9], s[8:9], 2
	v_add_co_ci_u32_e64 v18, null, s19, v18, vcc_lo
	s_lshl_b64 s[18:19], s[26:27], 2
	s_add_u32 s6, s16, s8
	s_addc_u32 s8, s17, s9
	s_add_u32 s6, s6, s14
	s_addc_u32 s8, s8, s15
	;; [unrolled: 2-line block ×3, first 2 shown]
	v_add_co_u32 v11, vcc_lo, s6, v11
	v_cmp_gt_u32_e64 s2, 32, v0
	v_lshlrev_b32_e32 v21, 2, v26
	v_cmp_eq_u32_e64 s3, 0, v26
	v_and_b32_e32 v26, 28, v31
	v_cmp_gt_u32_e64 s4, 8, v0
	v_cmp_eq_u32_e64 s5, 0, v0
	v_add_co_ci_u32_e64 v12, null, s8, v12, vcc_lo
	v_mov_b32_e32 v0, 0
	s_lshl_b64 s[12:13], s[24:25], 2
	s_branch .LBB21_59
.LBB21_58:                              ;   in Loop: Header=BB21_59 Depth=1
	s_or_b32 exec_lo, exec_lo, s6
	v_add_co_u32 v11, vcc_lo, v11, s12
	v_add_co_ci_u32_e64 v12, null, s13, v12, vcc_lo
	s_add_i32 s7, s7, 1
	s_cmp_ge_i32 s7, s21
	s_cbranch_scc1 .LBB21_80
.LBB21_59:                              ; =>This Loop Header: Depth=1
                                        ;     Child Loop BB21_72 Depth 2
                                        ;     Child Loop BB21_75 Depth 2
	v_mov_b32_e32 v27, s11
	s_and_saveexec_b32 s6, s0
	s_xor_b32 s6, exec_lo, s6
	s_cbranch_execnz .LBB21_68
; %bb.60:                               ;   in Loop: Header=BB21_59 Depth=1
	s_andn2_saveexec_b32 s16, s6
	s_cbranch_execnz .LBB21_69
.LBB21_61:                              ;   in Loop: Header=BB21_59 Depth=1
	s_or_b32 exec_lo, exec_lo, s16
	s_and_saveexec_b32 s6, s2
.LBB21_62:                              ;   in Loop: Header=BB21_59 Depth=1
	ds_write_b32 v21, v0
.LBB21_63:                              ;   in Loop: Header=BB21_59 Depth=1
	s_or_b32 exec_lo, exec_lo, s6
	s_waitcnt lgkmcnt(0)
	ds_bpermute_b32 v19, v22, v27
	s_waitcnt lgkmcnt(0)
	s_waitcnt_vscnt null, 0x0
	s_barrier
	buffer_gl0_inv
	v_add_f32_e32 v19, v27, v19
	ds_bpermute_b32 v20, v23, v19
	s_waitcnt lgkmcnt(0)
	v_add_f32_e32 v19, v19, v20
	ds_bpermute_b32 v20, v24, v19
	s_waitcnt lgkmcnt(0)
	v_add_f32_e32 v19, v19, v20
	ds_bpermute_b32 v20, v25, v19
	s_waitcnt lgkmcnt(0)
	v_add_f32_e32 v19, v19, v20
	ds_bpermute_b32 v20, v29, v19
	s_and_saveexec_b32 s6, s3
	s_cbranch_execz .LBB21_65
; %bb.64:                               ;   in Loop: Header=BB21_59 Depth=1
	s_waitcnt lgkmcnt(0)
	v_add_f32_e32 v19, v19, v20
	ds_write_b32 v26, v19
.LBB21_65:                              ;   in Loop: Header=BB21_59 Depth=1
	s_or_b32 exec_lo, exec_lo, s6
	v_mov_b32_e32 v19, 0
	s_waitcnt lgkmcnt(0)
	s_barrier
	buffer_gl0_inv
	s_and_saveexec_b32 s6, s4
	s_cbranch_execnz .LBB21_77
; %bb.66:                               ;   in Loop: Header=BB21_59 Depth=1
	s_or_b32 exec_lo, exec_lo, s6
	s_and_saveexec_b32 s6, s2
	s_cbranch_execnz .LBB21_78
.LBB21_67:                              ;   in Loop: Header=BB21_59 Depth=1
	s_or_b32 exec_lo, exec_lo, s6
	s_and_saveexec_b32 s6, s5
	s_cbranch_execz .LBB21_58
	s_branch .LBB21_79
.LBB21_68:                              ;   in Loop: Header=BB21_59 Depth=1
	s_mul_i32 s9, s7, s25
	s_mul_hi_u32 s14, s7, s24
	s_mul_i32 s8, s7, s24
	s_add_i32 s9, s14, s9
	s_lshl_b64 s[8:9], s[8:9], 2
	v_add_co_u32 v1, vcc_lo, v9, s8
	v_add_co_ci_u32_e64 v2, null, s9, v10, vcc_lo
	global_load_dwordx4 v[30:33], v[1:2], off
	s_clause 0x3
	global_load_dword v1, v[5:6], off
	global_load_dword v2, v[7:8], off
	;; [unrolled: 1-line block ×4, first 2 shown]
	s_waitcnt vmcnt(3)
	v_fma_f32 v27, v1, v30, 0
	s_waitcnt vmcnt(2)
	v_fmac_f32_e32 v27, v2, v31
	s_waitcnt vmcnt(1)
	v_fmac_f32_e32 v27, v3, v32
	;; [unrolled: 2-line block ×3, first 2 shown]
	s_andn2_saveexec_b32 s16, s6
	s_cbranch_execz .LBB21_61
.LBB21_69:                              ;   in Loop: Header=BB21_59 Depth=1
	s_and_saveexec_b32 s17, s1
	s_cbranch_execz .LBB21_76
; %bb.70:                               ;   in Loop: Header=BB21_59 Depth=1
	s_andn2_b32 vcc_lo, exec_lo, s20
	s_cbranch_vccnz .LBB21_73
; %bb.71:                               ;   in Loop: Header=BB21_59 Depth=1
	s_waitcnt lgkmcnt(0)
	v_mov_b32_e32 v20, v18
	v_mov_b32_e32 v19, v17
	s_mov_b64 s[14:15], 0
	.p2align	6
.LBB21_72:                              ;   Parent Loop BB21_59 Depth=1
                                        ; =>  This Inner Loop Header: Depth=2
	global_load_dword v28, v[19:20], off
	s_cmp_eq_u32 s14, 3
	v_add_co_u32 v19, vcc_lo, v19, s18
	v_add_co_ci_u32_e64 v20, null, s19, v20, vcc_lo
	s_cselect_b32 vcc_lo, -1, 0
	s_cmp_eq_u32 s14, 2
	s_cselect_b32 s6, -1, 0
	s_cmp_eq_u32 s14, 1
	s_cselect_b32 s8, -1, 0
	;; [unrolled: 2-line block ×3, first 2 shown]
	s_add_u32 s14, s14, 1
	s_addc_u32 s15, s15, 0
	s_cmp_eq_u32 s23, s14
	s_waitcnt vmcnt(0)
	v_cndmask_b32_e32 v4, v4, v28, vcc_lo
	v_cndmask_b32_e64 v3, v3, v28, s6
	v_cndmask_b32_e64 v2, v2, v28, s8
	;; [unrolled: 1-line block ×3, first 2 shown]
	s_cbranch_scc0 .LBB21_72
.LBB21_73:                              ;   in Loop: Header=BB21_59 Depth=1
	s_andn2_b32 vcc_lo, exec_lo, s20
	s_cbranch_vccnz .LBB21_76
; %bb.74:                               ;   in Loop: Header=BB21_59 Depth=1
	s_waitcnt lgkmcnt(0)
	v_mov_b32_e32 v20, v12
	v_mov_b32_e32 v19, v11
	s_mov_b64 s[8:9], 0
	.p2align	6
.LBB21_75:                              ;   Parent Loop BB21_59 Depth=1
                                        ; =>  This Inner Loop Header: Depth=2
	global_load_dword v28, v[19:20], off
	s_cmp_eq_u32 s8, 1
	s_cselect_b32 vcc_lo, -1, 0
	s_cmp_eq_u32 s8, 2
	v_cndmask_b32_e32 v30, v1, v2, vcc_lo
	s_cselect_b32 vcc_lo, -1, 0
	s_cmp_eq_u32 s8, 3
	v_cndmask_b32_e32 v30, v30, v3, vcc_lo
	s_cselect_b32 vcc_lo, -1, 0
	s_add_u32 s8, s8, 1
	s_addc_u32 s9, s9, 0
	s_cmp_lg_u32 s23, s8
	v_cndmask_b32_e32 v30, v30, v4, vcc_lo
	v_add_co_u32 v19, vcc_lo, v19, 4
	v_add_co_ci_u32_e64 v20, null, 0, v20, vcc_lo
	s_waitcnt vmcnt(0)
	v_fmac_f32_e32 v27, v30, v28
	s_cbranch_scc1 .LBB21_75
.LBB21_76:                              ;   in Loop: Header=BB21_59 Depth=1
	s_or_b32 exec_lo, exec_lo, s17
	s_or_b32 exec_lo, exec_lo, s16
	s_and_saveexec_b32 s6, s2
	s_cbranch_execnz .LBB21_62
	s_branch .LBB21_63
.LBB21_77:                              ;   in Loop: Header=BB21_59 Depth=1
	ds_read_b32 v19, v21
	s_or_b32 exec_lo, exec_lo, s6
	s_and_saveexec_b32 s6, s2
	s_cbranch_execz .LBB21_67
.LBB21_78:                              ;   in Loop: Header=BB21_59 Depth=1
	s_waitcnt lgkmcnt(0)
	ds_bpermute_b32 v20, v24, v19
	s_waitcnt lgkmcnt(0)
	v_add_f32_e32 v19, v19, v20
	ds_bpermute_b32 v20, v25, v19
	s_waitcnt lgkmcnt(0)
	v_add_f32_e32 v19, v19, v20
	;; [unrolled: 3-line block ×3, first 2 shown]
	s_or_b32 exec_lo, exec_lo, s6
	s_and_saveexec_b32 s6, s5
	s_cbranch_execz .LBB21_58
.LBB21_79:                              ;   in Loop: Header=BB21_59 Depth=1
	s_mul_hi_u32 s9, s7, s22
	s_mul_i32 s8, s7, s22
	s_waitcnt lgkmcnt(0)
	v_mul_f32_e32 v19, s33, v19
	s_lshl_b64 s[8:9], s[8:9], 2
	s_add_u32 s8, s10, s8
	s_addc_u32 s9, s34, s9
	global_store_dword v0, v19, s[8:9]
	s_branch .LBB21_58
.LBB21_80:
	s_endpgm
	.section	.rodata,"a",@progbits
	.p2align	6, 0x0
	.amdhsa_kernel _ZL23rocblas_gemvt_sn_kernelILb0ELi256ELi4ElfPKffEviiT4_lPKT3_lilS5_lilPT5_i
		.amdhsa_group_segment_fixed_size 128
		.amdhsa_private_segment_fixed_size 0
		.amdhsa_kernarg_size 360
		.amdhsa_user_sgpr_count 6
		.amdhsa_user_sgpr_private_segment_buffer 1
		.amdhsa_user_sgpr_dispatch_ptr 0
		.amdhsa_user_sgpr_queue_ptr 0
		.amdhsa_user_sgpr_kernarg_segment_ptr 1
		.amdhsa_user_sgpr_dispatch_id 0
		.amdhsa_user_sgpr_flat_scratch_init 0
		.amdhsa_user_sgpr_private_segment_size 0
		.amdhsa_wavefront_size32 1
		.amdhsa_uses_dynamic_stack 0
		.amdhsa_system_sgpr_private_segment_wavefront_offset 0
		.amdhsa_system_sgpr_workgroup_id_x 1
		.amdhsa_system_sgpr_workgroup_id_y 0
		.amdhsa_system_sgpr_workgroup_id_z 1
		.amdhsa_system_sgpr_workgroup_info 0
		.amdhsa_system_vgpr_workitem_id 0
		.amdhsa_next_free_vgpr 59
		.amdhsa_next_free_sgpr 56
		.amdhsa_reserve_vcc 1
		.amdhsa_reserve_flat_scratch 0
		.amdhsa_float_round_mode_32 0
		.amdhsa_float_round_mode_16_64 0
		.amdhsa_float_denorm_mode_32 3
		.amdhsa_float_denorm_mode_16_64 3
		.amdhsa_dx10_clamp 1
		.amdhsa_ieee_mode 1
		.amdhsa_fp16_overflow 0
		.amdhsa_workgroup_processor_mode 1
		.amdhsa_memory_ordered 1
		.amdhsa_forward_progress 1
		.amdhsa_shared_vgpr_count 0
		.amdhsa_exception_fp_ieee_invalid_op 0
		.amdhsa_exception_fp_denorm_src 0
		.amdhsa_exception_fp_ieee_div_zero 0
		.amdhsa_exception_fp_ieee_overflow 0
		.amdhsa_exception_fp_ieee_underflow 0
		.amdhsa_exception_fp_ieee_inexact 0
		.amdhsa_exception_int_div_zero 0
	.end_amdhsa_kernel
	.section	.text._ZL23rocblas_gemvt_sn_kernelILb0ELi256ELi4ElfPKffEviiT4_lPKT3_lilS5_lilPT5_i,"axG",@progbits,_ZL23rocblas_gemvt_sn_kernelILb0ELi256ELi4ElfPKffEviiT4_lPKT3_lilS5_lilPT5_i,comdat
.Lfunc_end21:
	.size	_ZL23rocblas_gemvt_sn_kernelILb0ELi256ELi4ElfPKffEviiT4_lPKT3_lilS5_lilPT5_i, .Lfunc_end21-_ZL23rocblas_gemvt_sn_kernelILb0ELi256ELi4ElfPKffEviiT4_lPKT3_lilS5_lilPT5_i
                                        ; -- End function
	.set _ZL23rocblas_gemvt_sn_kernelILb0ELi256ELi4ElfPKffEviiT4_lPKT3_lilS5_lilPT5_i.num_vgpr, 59
	.set _ZL23rocblas_gemvt_sn_kernelILb0ELi256ELi4ElfPKffEviiT4_lPKT3_lilS5_lilPT5_i.num_agpr, 0
	.set _ZL23rocblas_gemvt_sn_kernelILb0ELi256ELi4ElfPKffEviiT4_lPKT3_lilS5_lilPT5_i.numbered_sgpr, 56
	.set _ZL23rocblas_gemvt_sn_kernelILb0ELi256ELi4ElfPKffEviiT4_lPKT3_lilS5_lilPT5_i.num_named_barrier, 0
	.set _ZL23rocblas_gemvt_sn_kernelILb0ELi256ELi4ElfPKffEviiT4_lPKT3_lilS5_lilPT5_i.private_seg_size, 0
	.set _ZL23rocblas_gemvt_sn_kernelILb0ELi256ELi4ElfPKffEviiT4_lPKT3_lilS5_lilPT5_i.uses_vcc, 1
	.set _ZL23rocblas_gemvt_sn_kernelILb0ELi256ELi4ElfPKffEviiT4_lPKT3_lilS5_lilPT5_i.uses_flat_scratch, 0
	.set _ZL23rocblas_gemvt_sn_kernelILb0ELi256ELi4ElfPKffEviiT4_lPKT3_lilS5_lilPT5_i.has_dyn_sized_stack, 0
	.set _ZL23rocblas_gemvt_sn_kernelILb0ELi256ELi4ElfPKffEviiT4_lPKT3_lilS5_lilPT5_i.has_recursion, 0
	.set _ZL23rocblas_gemvt_sn_kernelILb0ELi256ELi4ElfPKffEviiT4_lPKT3_lilS5_lilPT5_i.has_indirect_call, 0
	.section	.AMDGPU.csdata,"",@progbits
; Kernel info:
; codeLenInByte = 4200
; TotalNumSgprs: 58
; NumVgprs: 59
; ScratchSize: 0
; MemoryBound: 0
; FloatMode: 240
; IeeeMode: 1
; LDSByteSize: 128 bytes/workgroup (compile time only)
; SGPRBlocks: 0
; VGPRBlocks: 7
; NumSGPRsForWavesPerEU: 58
; NumVGPRsForWavesPerEU: 59
; Occupancy: 16
; WaveLimiterHint : 1
; COMPUTE_PGM_RSRC2:SCRATCH_EN: 0
; COMPUTE_PGM_RSRC2:USER_SGPR: 6
; COMPUTE_PGM_RSRC2:TRAP_HANDLER: 0
; COMPUTE_PGM_RSRC2:TGID_X_EN: 1
; COMPUTE_PGM_RSRC2:TGID_Y_EN: 0
; COMPUTE_PGM_RSRC2:TGID_Z_EN: 1
; COMPUTE_PGM_RSRC2:TIDIG_COMP_CNT: 0
	.section	.text._ZL23rocblas_gemvt_sn_kernelILb0ELi256ELi4EifffEviiT4_lPKT3_lilS3_lilPT5_i,"axG",@progbits,_ZL23rocblas_gemvt_sn_kernelILb0ELi256ELi4EifffEviiT4_lPKT3_lilS3_lilPT5_i,comdat
	.globl	_ZL23rocblas_gemvt_sn_kernelILb0ELi256ELi4EifffEviiT4_lPKT3_lilS3_lilPT5_i ; -- Begin function _ZL23rocblas_gemvt_sn_kernelILb0ELi256ELi4EifffEviiT4_lPKT3_lilS3_lilPT5_i
	.p2align	8
	.type	_ZL23rocblas_gemvt_sn_kernelILb0ELi256ELi4EifffEviiT4_lPKT3_lilS3_lilPT5_i,@function
_ZL23rocblas_gemvt_sn_kernelILb0ELi256ELi4EifffEviiT4_lPKT3_lilS3_lilPT5_i: ; @_ZL23rocblas_gemvt_sn_kernelILb0ELi256ELi4EifffEviiT4_lPKT3_lilS3_lilPT5_i
; %bb.0:
	s_clause 0x2
	s_load_dwordx4 s[12:15], s[4:5], 0x0
	s_load_dword s20, s[4:5], 0x68
	s_load_dwordx4 s[8:11], s[4:5], 0x50
	s_mov_b32 s21, 0
	s_waitcnt lgkmcnt(0)
	s_ashr_i32 s24, s13, 31
	s_mul_hi_u32 s0, s13, s7
	s_mul_i32 s1, s24, s7
	s_mul_i32 s2, s13, s7
	s_add_i32 s0, s0, s1
	s_mul_hi_u32 s1, s2, s20
	s_mul_i32 s3, s0, s20
	s_mul_i32 s0, s2, s20
	s_add_i32 s1, s1, s3
	v_cmp_neq_f32_e64 s2, s14, 0
	s_lshl_b64 s[0:1], s[0:1], 2
	s_add_u32 s38, s10, s0
	v_cmp_eq_u32_e64 s0, 0, v0
	s_addc_u32 s37, s11, s1
	s_and_b32 vcc_lo, exec_lo, s2
	s_cbranch_vccnz .LBB22_5
; %bb.1:
	s_cmp_gt_i32 s13, 0
	s_cselect_b32 s1, -1, 0
	s_and_b32 s0, s0, s1
	s_and_saveexec_b32 s10, s0
	s_cbranch_execz .LBB22_4
; %bb.2:
	s_mov_b32 s0, s7
	s_mov_b32 s7, 0
	v_mov_b32_e32 v1, 0
	s_lshl_b64 s[2:3], s[6:7], 2
	s_mov_b32 s7, s0
	s_add_u32 s0, s38, s2
	s_addc_u32 s1, s37, s3
	s_lshl_b64 s[2:3], s[20:21], 2
	s_mov_b32 s11, s13
.LBB22_3:                               ; =>This Inner Loop Header: Depth=1
	s_add_i32 s11, s11, -1
	global_store_dword v1, v1, s[0:1]
	s_add_u32 s0, s0, s2
	s_addc_u32 s1, s1, s3
	s_cmp_eq_u32 s11, 0
	s_cbranch_scc0 .LBB22_3
.LBB22_4:
	s_or_b32 exec_lo, exec_lo, s10
	s_cbranch_execz .LBB22_6
	s_branch .LBB22_80
.LBB22_5:
.LBB22_6:
	s_clause 0x2
	s_load_dwordx4 s[0:3], s[4:5], 0x30
	s_load_dwordx2 s[22:23], s[4:5], 0x40
	s_load_dwordx4 s[16:19], s[4:5], 0x18
	s_mul_i32 s9, s9, s7
	s_mul_hi_u32 s10, s8, s7
	s_mul_i32 s8, s8, s7
	s_add_i32 s9, s10, s9
	s_clause 0x1
	s_load_dword s10, s[4:5], 0x28
	s_load_dword s33, s[4:5], 0x48
	s_lshl_b64 s[8:9], s[8:9], 2
	v_and_b32_e32 v10, 31, v0
	v_mbcnt_lo_u32_b32 v24, -1, 0
	v_lshrrev_b32_e32 v25, 3, v0
	s_waitcnt lgkmcnt(0)
	s_add_u32 s8, s2, s8
	s_addc_u32 s9, s3, s9
	s_lshl_b64 s[2:3], s[22:23], 2
	s_mul_i32 s1, s1, s7
	s_mul_hi_u32 s11, s0, s7
	s_add_u32 s15, s8, s2
	s_mul_i32 s0, s0, s7
	s_addc_u32 s21, s9, s3
	s_add_i32 s1, s11, s1
	s_lshl_b64 s[22:23], s[0:1], 2
	v_cmp_gt_u32_e64 s0, 32, v0
	s_add_u32 s1, s16, s22
	s_addc_u32 s2, s17, s23
	s_lshl_b64 s[18:19], s[18:19], 2
	s_add_u32 s3, s1, s18
	s_addc_u32 s2, s2, s19
	s_lshl_b32 s1, s6, 10
	s_ashr_i32 s4, s12, 31
	v_lshl_or_b32 v1, v0, 2, s1
	s_lshr_b32 s4, s4, 30
	s_lshr_b32 s5, s24, 30
	s_add_i32 s4, s12, s4
	s_add_i32 s5, s13, s5
	v_ashrrev_i32_e32 v2, 31, v1
	s_and_b32 s4, s4, -4
	v_mul_lo_u32 v9, s33, v1
	s_sub_i32 s36, s12, s4
	v_cmp_gt_u32_e64 s1, 8, v0
	v_lshlrev_b64 v[11:12], 2, v[1:2]
	v_add_nc_u32_e32 v26, 4, v1
	v_add_nc_u32_e32 v27, s36, v1
	s_and_b32 s39, s5, -4
	s_cmp_lt_i32 s39, 1
	v_add_co_u32 v22, vcc_lo, s3, v11
	v_add_co_ci_u32_e64 v23, null, s2, v12, vcc_lo
	s_cbranch_scc1 .LBB22_55
; %bb.7:
	v_cmp_gt_u32_e32 vcc_lo, 24, v24
	v_mul_lo_u32 v13, s33, v1
	s_cmp_gt_i32 s36, 0
	s_mov_b32 s25, 0
	s_cselect_b32 s40, -1, 0
	v_cndmask_b32_e64 v2, 0, 8, vcc_lo
	v_cmp_gt_u32_e32 vcc_lo, 28, v24
	s_lshl_b32 s41, s10, 2
	s_lshl_b32 s24, s10, 1
	v_ashrrev_i32_e32 v14, 31, v13
	v_add_lshl_u32 v29, v2, v24, 2
	v_cndmask_b32_e64 v3, 0, 4, vcc_lo
	v_cmp_gt_u32_e32 vcc_lo, 30, v24
	s_add_u32 s7, s22, s18
	v_lshlrev_b64 v[5:6], 2, v[13:14]
	s_addc_u32 s8, s23, s19
	v_add_lshl_u32 v30, v3, v24, 2
	v_cndmask_b32_e64 v1, 0, 2, vcc_lo
	v_cmp_ne_u32_e32 vcc_lo, 31, v24
	s_add_u32 s7, s16, s7
	s_addc_u32 s8, s17, s8
	v_cmp_ge_i32_e64 s2, s12, v26
	v_add_lshl_u32 v31, v1, v24, 2
	v_add_nc_u32_e32 v1, s33, v13
	v_add_co_ci_u32_e64 v4, null, 0, v24, vcc_lo
	v_add_co_u32 v14, vcc_lo, s15, v5
	v_add_nc_u32_e32 v3, s33, v1
	v_ashrrev_i32_e32 v2, 31, v1
	v_lshlrev_b32_e32 v32, 2, v4
	v_add_co_ci_u32_e64 v15, null, s21, v6, vcc_lo
	v_add_nc_u32_e32 v7, s33, v3
	v_lshlrev_b64 v[1:2], 2, v[1:2]
	v_ashrrev_i32_e32 v4, 31, v3
	v_mov_b32_e32 v5, 0
	v_cmp_ge_i32_e64 s3, s12, v27
	v_ashrrev_i32_e32 v8, 31, v7
	v_lshl_or_b32 v28, v24, 2, 64
	v_lshlrev_b64 v[3:4], 2, v[3:4]
	v_add_co_u32 v16, vcc_lo, s15, v1
	v_add_co_ci_u32_e64 v17, null, s21, v2, vcc_lo
	v_lshlrev_b64 v[1:2], 2, v[7:8]
	v_add_co_u32 v18, vcc_lo, s15, v3
	v_mov_b32_e32 v6, v5
	v_mov_b32_e32 v7, v5
	;; [unrolled: 1-line block ×3, first 2 shown]
	v_add_co_ci_u32_e64 v19, null, s21, v4, vcc_lo
	v_add_co_u32 v20, vcc_lo, s15, v1
	v_add_co_ci_u32_e64 v21, null, s21, v2, vcc_lo
	v_add_co_u32 v35, vcc_lo, s7, v11
	v_mov_b32_e32 v1, v5
	v_cmp_eq_u32_e64 s4, 0, v10
	v_lshlrev_b32_e32 v33, 2, v10
	v_and_b32_e32 v34, 28, v25
	v_cmp_eq_u32_e64 s5, 0, v0
	v_add_co_ci_u32_e64 v36, null, s8, v12, vcc_lo
	v_mov_b32_e32 v2, v6
	v_mov_b32_e32 v3, v7
	;; [unrolled: 1-line block ×3, first 2 shown]
	s_mov_b32 s11, s25
	s_mul_i32 s42, s10, 3
	s_mov_b32 s43, s25
	s_mov_b32 s26, s25
	s_mov_b64 s[28:29], s[24:25]
	s_mov_b64 s[30:31], s[10:11]
	s_mov_b32 s11, 0
	s_branch .LBB22_9
.LBB22_8:                               ;   in Loop: Header=BB22_9 Depth=1
	s_or_b32 exec_lo, exec_lo, s7
	s_add_i32 s11, s11, 4
	s_add_u32 s30, s30, s41
	s_addc_u32 s31, s31, 0
	s_add_u32 s28, s28, s41
	s_addc_u32 s29, s29, 0
	;; [unrolled: 2-line block ×3, first 2 shown]
	s_add_i32 s26, s26, s41
	s_cmp_ge_i32 s11, s39
	s_cbranch_scc1 .LBB22_56
.LBB22_9:                               ; =>This Loop Header: Depth=1
                                        ;     Child Loop BB22_40 Depth 2
                                        ;     Child Loop BB22_43 Depth 2
                                        ; implicit-def: $vgpr8
                                        ; implicit-def: $vgpr37
                                        ; implicit-def: $vgpr38
                                        ; implicit-def: $vgpr39
	s_and_saveexec_b32 s7, s2
	s_xor_b32 s7, exec_lo, s7
	s_cbranch_execnz .LBB22_36
; %bb.10:                               ;   in Loop: Header=BB22_9 Depth=1
	s_andn2_saveexec_b32 s24, s7
	s_cbranch_execnz .LBB22_37
.LBB22_11:                              ;   in Loop: Header=BB22_9 Depth=1
	s_or_b32 exec_lo, exec_lo, s24
	s_and_saveexec_b32 s7, s0
.LBB22_12:                              ;   in Loop: Header=BB22_9 Depth=1
	ds_write_b32 v33, v5
.LBB22_13:                              ;   in Loop: Header=BB22_9 Depth=1
	s_or_b32 exec_lo, exec_lo, s7
	ds_bpermute_b32 v6, v28, v39
	s_waitcnt lgkmcnt(0)
	s_waitcnt_vscnt null, 0x0
	s_barrier
	buffer_gl0_inv
	v_add_f32_e32 v6, v39, v6
	ds_bpermute_b32 v7, v29, v6
	s_waitcnt lgkmcnt(0)
	v_add_f32_e32 v6, v6, v7
	ds_bpermute_b32 v7, v30, v6
	s_waitcnt lgkmcnt(0)
	;; [unrolled: 3-line block ×3, first 2 shown]
	v_add_f32_e32 v6, v6, v7
	ds_bpermute_b32 v7, v32, v6
	s_and_saveexec_b32 s7, s4
	s_cbranch_execz .LBB22_15
; %bb.14:                               ;   in Loop: Header=BB22_9 Depth=1
	s_waitcnt lgkmcnt(0)
	v_add_f32_e32 v6, v6, v7
	ds_write_b32 v34, v6
.LBB22_15:                              ;   in Loop: Header=BB22_9 Depth=1
	s_or_b32 exec_lo, exec_lo, s7
	v_mov_b32_e32 v6, 0
	s_waitcnt lgkmcnt(0)
	s_barrier
	buffer_gl0_inv
	s_and_saveexec_b32 s7, s1
	s_cbranch_execnz .LBB22_44
; %bb.16:                               ;   in Loop: Header=BB22_9 Depth=1
	s_or_b32 exec_lo, exec_lo, s7
	s_and_saveexec_b32 s7, s0
	s_cbranch_execnz .LBB22_45
.LBB22_17:                              ;   in Loop: Header=BB22_9 Depth=1
	s_or_b32 exec_lo, exec_lo, s7
	s_and_saveexec_b32 s7, s0
.LBB22_18:                              ;   in Loop: Header=BB22_9 Depth=1
	ds_write_b32 v33, v5
.LBB22_19:                              ;   in Loop: Header=BB22_9 Depth=1
	s_or_b32 exec_lo, exec_lo, s7
	ds_bpermute_b32 v7, v28, v38
	s_waitcnt lgkmcnt(0)
	s_barrier
	buffer_gl0_inv
	v_add_f32_e32 v7, v38, v7
	ds_bpermute_b32 v38, v29, v7
	s_waitcnt lgkmcnt(0)
	v_add_f32_e32 v7, v7, v38
	ds_bpermute_b32 v38, v30, v7
	s_waitcnt lgkmcnt(0)
	v_add_f32_e32 v7, v7, v38
	ds_bpermute_b32 v38, v31, v7
	s_waitcnt lgkmcnt(0)
	v_add_f32_e32 v7, v7, v38
	ds_bpermute_b32 v38, v32, v7
	s_and_saveexec_b32 s7, s4
	s_cbranch_execz .LBB22_21
; %bb.20:                               ;   in Loop: Header=BB22_9 Depth=1
	s_waitcnt lgkmcnt(0)
	v_add_f32_e32 v7, v7, v38
	ds_write_b32 v34, v7
.LBB22_21:                              ;   in Loop: Header=BB22_9 Depth=1
	s_or_b32 exec_lo, exec_lo, s7
	v_mov_b32_e32 v7, 0
	s_waitcnt lgkmcnt(0)
	s_barrier
	buffer_gl0_inv
	s_and_saveexec_b32 s7, s1
	s_cbranch_execnz .LBB22_46
; %bb.22:                               ;   in Loop: Header=BB22_9 Depth=1
	s_or_b32 exec_lo, exec_lo, s7
	s_and_saveexec_b32 s7, s0
	s_cbranch_execnz .LBB22_47
.LBB22_23:                              ;   in Loop: Header=BB22_9 Depth=1
	s_or_b32 exec_lo, exec_lo, s7
	s_and_saveexec_b32 s7, s0
.LBB22_24:                              ;   in Loop: Header=BB22_9 Depth=1
	ds_write_b32 v33, v5
.LBB22_25:                              ;   in Loop: Header=BB22_9 Depth=1
	s_or_b32 exec_lo, exec_lo, s7
	ds_bpermute_b32 v38, v28, v37
	s_waitcnt lgkmcnt(0)
	s_barrier
	buffer_gl0_inv
	v_add_f32_e32 v37, v37, v38
	ds_bpermute_b32 v38, v29, v37
	s_waitcnt lgkmcnt(0)
	v_add_f32_e32 v37, v37, v38
	ds_bpermute_b32 v38, v30, v37
	s_waitcnt lgkmcnt(0)
	;; [unrolled: 3-line block ×3, first 2 shown]
	v_add_f32_e32 v37, v37, v38
	ds_bpermute_b32 v38, v32, v37
	s_and_saveexec_b32 s7, s4
	s_cbranch_execz .LBB22_27
; %bb.26:                               ;   in Loop: Header=BB22_9 Depth=1
	s_waitcnt lgkmcnt(0)
	v_add_f32_e32 v37, v37, v38
	ds_write_b32 v34, v37
.LBB22_27:                              ;   in Loop: Header=BB22_9 Depth=1
	s_or_b32 exec_lo, exec_lo, s7
	v_mov_b32_e32 v37, 0
	s_waitcnt lgkmcnt(0)
	s_barrier
	buffer_gl0_inv
	s_and_saveexec_b32 s7, s1
	s_cbranch_execnz .LBB22_48
; %bb.28:                               ;   in Loop: Header=BB22_9 Depth=1
	s_or_b32 exec_lo, exec_lo, s7
	s_and_saveexec_b32 s7, s0
	s_cbranch_execnz .LBB22_49
.LBB22_29:                              ;   in Loop: Header=BB22_9 Depth=1
	s_or_b32 exec_lo, exec_lo, s7
	s_and_saveexec_b32 s7, s0
.LBB22_30:                              ;   in Loop: Header=BB22_9 Depth=1
	ds_write_b32 v33, v5
.LBB22_31:                              ;   in Loop: Header=BB22_9 Depth=1
	s_or_b32 exec_lo, exec_lo, s7
	ds_bpermute_b32 v38, v28, v8
	s_waitcnt lgkmcnt(0)
	s_barrier
	buffer_gl0_inv
	v_add_f32_e32 v8, v8, v38
	ds_bpermute_b32 v38, v29, v8
	s_waitcnt lgkmcnt(0)
	v_add_f32_e32 v8, v8, v38
	ds_bpermute_b32 v38, v30, v8
	s_waitcnt lgkmcnt(0)
	v_add_f32_e32 v8, v8, v38
	ds_bpermute_b32 v38, v31, v8
	s_waitcnt lgkmcnt(0)
	v_add_f32_e32 v8, v8, v38
	ds_bpermute_b32 v38, v32, v8
	s_and_saveexec_b32 s7, s4
	s_cbranch_execz .LBB22_33
; %bb.32:                               ;   in Loop: Header=BB22_9 Depth=1
	s_waitcnt lgkmcnt(0)
	v_add_f32_e32 v8, v8, v38
	ds_write_b32 v34, v8
.LBB22_33:                              ;   in Loop: Header=BB22_9 Depth=1
	s_or_b32 exec_lo, exec_lo, s7
	v_mov_b32_e32 v8, 0
	s_waitcnt lgkmcnt(0)
	s_barrier
	buffer_gl0_inv
	s_and_saveexec_b32 s7, s1
	s_cbranch_execnz .LBB22_50
; %bb.34:                               ;   in Loop: Header=BB22_9 Depth=1
	s_or_b32 exec_lo, exec_lo, s7
	s_and_saveexec_b32 s7, s0
	s_cbranch_execnz .LBB22_51
.LBB22_35:                              ;   in Loop: Header=BB22_9 Depth=1
	s_or_b32 exec_lo, exec_lo, s7
	s_and_saveexec_b32 s7, s5
	s_cbranch_execz .LBB22_8
	s_branch .LBB22_52
.LBB22_36:                              ;   in Loop: Header=BB22_9 Depth=1
	s_mul_i32 s8, s11, s10
	s_ashr_i32 s9, s8, 31
	s_add_i32 s34, s8, s10
	s_lshl_b64 s[8:9], s[8:9], 2
	s_ashr_i32 s35, s34, 31
	v_add_co_u32 v2, vcc_lo, v22, s8
	v_add_co_ci_u32_e64 v3, null, s9, v23, vcc_lo
	s_lshl_b64 s[8:9], s[34:35], 2
	s_add_i32 s34, s34, s10
	v_add_co_u32 v6, vcc_lo, v22, s8
	s_ashr_i32 s35, s34, 31
	s_add_i32 s8, s34, s10
	v_add_co_ci_u32_e64 v7, null, s9, v23, vcc_lo
	s_lshl_b64 s[34:35], s[34:35], 2
	s_ashr_i32 s9, s8, 31
	v_add_co_u32 v37, vcc_lo, v22, s34
	s_lshl_b64 s[8:9], s[8:9], 2
	v_add_co_ci_u32_e64 v38, null, s35, v23, vcc_lo
	v_add_co_u32 v51, vcc_lo, v22, s8
	v_add_co_ci_u32_e64 v52, null, s9, v23, vcc_lo
	global_load_dword v1, v[14:15], off
	s_clause 0x3
	global_load_dwordx4 v[39:42], v[2:3], off
	global_load_dwordx4 v[43:46], v[6:7], off
	global_load_dwordx4 v[47:50], v[37:38], off
	global_load_dwordx4 v[51:54], v[51:52], off
	s_clause 0x2
	global_load_dword v2, v[16:17], off
	global_load_dword v3, v[18:19], off
	global_load_dword v4, v[20:21], off
	s_waitcnt vmcnt(6)
	v_fma_f32 v39, v1, v39, 0
	s_waitcnt vmcnt(5)
	v_fma_f32 v38, v1, v43, 0
	;; [unrolled: 2-line block ×3, first 2 shown]
	s_waitcnt vmcnt(3) lgkmcnt(0)
	v_fma_f32 v8, v1, v51, 0
	s_waitcnt vmcnt(2)
	v_fmac_f32_e32 v39, v2, v40
	v_fmac_f32_e32 v38, v2, v44
	v_fmac_f32_e32 v37, v2, v48
	v_fmac_f32_e32 v8, v2, v52
	s_waitcnt vmcnt(1)
	v_fmac_f32_e32 v39, v3, v41
	v_fmac_f32_e32 v38, v3, v45
	v_fmac_f32_e32 v37, v3, v49
	v_fmac_f32_e32 v8, v3, v53
	;; [unrolled: 5-line block ×3, first 2 shown]
	s_andn2_saveexec_b32 s24, s7
	s_cbranch_execz .LBB22_11
.LBB22_37:                              ;   in Loop: Header=BB22_9 Depth=1
	s_waitcnt lgkmcnt(0)
	v_mov_b32_e32 v8, 0
	v_mov_b32_e32 v37, 0
	;; [unrolled: 1-line block ×4, first 2 shown]
	s_and_saveexec_b32 s44, s3
	s_cbranch_execz .LBB22_54
; %bb.38:                               ;   in Loop: Header=BB22_9 Depth=1
	s_andn2_b32 vcc_lo, exec_lo, s40
	s_cbranch_vccnz .LBB22_41
; %bb.39:                               ;   in Loop: Header=BB22_9 Depth=1
	v_mov_b32_e32 v6, v13
	s_mov_b64 s[34:35], 0
	.p2align	6
.LBB22_40:                              ;   Parent Loop BB22_9 Depth=1
                                        ; =>  This Inner Loop Header: Depth=2
	v_ashrrev_i32_e32 v7, 31, v6
	s_cmp_eq_u32 s34, 3
	v_lshlrev_b64 v[7:8], 2, v[6:7]
	v_add_nc_u32_e32 v6, s33, v6
	v_add_co_u32 v7, vcc_lo, s15, v7
	v_add_co_ci_u32_e64 v8, null, s21, v8, vcc_lo
	s_cselect_b32 vcc_lo, -1, 0
	s_cmp_eq_u32 s34, 2
	s_cselect_b32 s7, -1, 0
	global_load_dword v7, v[7:8], off
	s_cmp_eq_u32 s34, 1
	s_cselect_b32 s8, -1, 0
	s_cmp_eq_u32 s34, 0
	s_cselect_b32 s9, -1, 0
	s_add_u32 s34, s34, 1
	s_addc_u32 s35, s35, 0
	s_cmp_eq_u32 s36, s34
	s_waitcnt vmcnt(0)
	v_cndmask_b32_e32 v4, v4, v7, vcc_lo
	v_cndmask_b32_e64 v3, v3, v7, s7
	v_cndmask_b32_e64 v2, v2, v7, s8
	;; [unrolled: 1-line block ×3, first 2 shown]
	s_cbranch_scc0 .LBB22_40
.LBB22_41:                              ;   in Loop: Header=BB22_9 Depth=1
	s_andn2_b32 vcc_lo, exec_lo, s40
	s_cbranch_vccnz .LBB22_53
; %bb.42:                               ;   in Loop: Header=BB22_9 Depth=1
	s_ashr_i32 s27, s26, 31
	v_mov_b32_e32 v39, 0
	s_lshl_b64 s[8:9], s[26:27], 2
	v_mov_b32_e32 v38, 0
	v_add_co_u32 v6, vcc_lo, v35, s8
	v_add_co_ci_u32_e64 v7, null, s9, v36, vcc_lo
	v_mov_b32_e32 v37, 0
	v_mov_b32_e32 v8, 0
	s_mov_b64 s[8:9], 0
.LBB22_43:                              ;   Parent Loop BB22_9 Depth=1
                                        ; =>  This Inner Loop Header: Depth=2
	s_cmp_eq_u32 s8, 1
	s_cselect_b32 vcc_lo, -1, 0
	s_cmp_eq_u32 s8, 2
	v_cndmask_b32_e32 v40, v1, v2, vcc_lo
	s_cselect_b32 vcc_lo, -1, 0
	s_cmp_eq_u32 s8, 3
	v_cndmask_b32_e32 v46, v40, v3, vcc_lo
	s_cselect_b32 vcc_lo, -1, 0
	s_add_i32 s34, s30, s8
	s_add_i32 s46, s28, s8
	s_ashr_i32 s35, s34, 31
	s_add_i32 s48, s42, s8
	s_ashr_i32 s47, s46, 31
	s_lshl_b64 s[34:35], s[34:35], 2
	s_ashr_i32 s49, s48, 31
	s_lshl_b64 s[46:47], s[46:47], 2
	v_add_co_u32 v40, s7, v22, s34
	s_lshl_b64 s[48:49], s[48:49], 2
	v_add_co_ci_u32_e64 v41, null, s35, v23, s7
	v_add_co_u32 v42, s7, v22, s46
	v_add_co_ci_u32_e64 v43, null, s47, v23, s7
	v_add_co_u32 v44, s7, v22, s48
	v_add_co_ci_u32_e64 v45, null, s49, v23, s7
	global_load_dword v47, v[6:7], off
	s_clause 0x2
	global_load_dword v40, v[40:41], off
	global_load_dword v41, v[42:43], off
	;; [unrolled: 1-line block ×3, first 2 shown]
	v_cndmask_b32_e32 v43, v46, v4, vcc_lo
	v_add_co_u32 v6, s7, v6, 4
	v_add_co_ci_u32_e64 v7, null, 0, v7, s7
	s_add_u32 s8, s8, 1
	s_addc_u32 s9, s9, 0
	s_cmp_lg_u32 s36, s8
	s_waitcnt vmcnt(3)
	v_fmac_f32_e32 v39, v43, v47
	s_waitcnt vmcnt(2)
	v_fmac_f32_e32 v38, v43, v40
	;; [unrolled: 2-line block ×4, first 2 shown]
	s_cbranch_scc1 .LBB22_43
	s_branch .LBB22_54
.LBB22_44:                              ;   in Loop: Header=BB22_9 Depth=1
	ds_read_b32 v6, v33
	s_or_b32 exec_lo, exec_lo, s7
	s_and_saveexec_b32 s7, s0
	s_cbranch_execz .LBB22_17
.LBB22_45:                              ;   in Loop: Header=BB22_9 Depth=1
	s_waitcnt lgkmcnt(0)
	ds_bpermute_b32 v7, v30, v6
	s_waitcnt lgkmcnt(0)
	v_add_f32_e32 v6, v6, v7
	ds_bpermute_b32 v7, v31, v6
	s_waitcnt lgkmcnt(0)
	v_add_f32_e32 v6, v6, v7
	;; [unrolled: 3-line block ×3, first 2 shown]
	s_or_b32 exec_lo, exec_lo, s7
	s_and_saveexec_b32 s7, s0
	s_cbranch_execnz .LBB22_18
	s_branch .LBB22_19
.LBB22_46:                              ;   in Loop: Header=BB22_9 Depth=1
	ds_read_b32 v7, v33
	s_or_b32 exec_lo, exec_lo, s7
	s_and_saveexec_b32 s7, s0
	s_cbranch_execz .LBB22_23
.LBB22_47:                              ;   in Loop: Header=BB22_9 Depth=1
	s_waitcnt lgkmcnt(0)
	ds_bpermute_b32 v38, v30, v7
	s_waitcnt lgkmcnt(0)
	v_add_f32_e32 v7, v7, v38
	ds_bpermute_b32 v38, v31, v7
	s_waitcnt lgkmcnt(0)
	v_add_f32_e32 v7, v7, v38
	;; [unrolled: 3-line block ×3, first 2 shown]
	s_or_b32 exec_lo, exec_lo, s7
	s_and_saveexec_b32 s7, s0
	s_cbranch_execnz .LBB22_24
	s_branch .LBB22_25
.LBB22_48:                              ;   in Loop: Header=BB22_9 Depth=1
	ds_read_b32 v37, v33
	s_or_b32 exec_lo, exec_lo, s7
	s_and_saveexec_b32 s7, s0
	s_cbranch_execz .LBB22_29
.LBB22_49:                              ;   in Loop: Header=BB22_9 Depth=1
	s_waitcnt lgkmcnt(0)
	ds_bpermute_b32 v38, v30, v37
	s_waitcnt lgkmcnt(0)
	v_add_f32_e32 v37, v37, v38
	ds_bpermute_b32 v38, v31, v37
	s_waitcnt lgkmcnt(0)
	v_add_f32_e32 v37, v37, v38
	;; [unrolled: 3-line block ×3, first 2 shown]
	s_or_b32 exec_lo, exec_lo, s7
	s_and_saveexec_b32 s7, s0
	s_cbranch_execnz .LBB22_30
	s_branch .LBB22_31
.LBB22_50:                              ;   in Loop: Header=BB22_9 Depth=1
	ds_read_b32 v8, v33
	s_or_b32 exec_lo, exec_lo, s7
	s_and_saveexec_b32 s7, s0
	s_cbranch_execz .LBB22_35
.LBB22_51:                              ;   in Loop: Header=BB22_9 Depth=1
	s_waitcnt lgkmcnt(0)
	ds_bpermute_b32 v38, v30, v8
	s_waitcnt lgkmcnt(0)
	v_add_f32_e32 v8, v8, v38
	ds_bpermute_b32 v38, v31, v8
	s_waitcnt lgkmcnt(0)
	v_add_f32_e32 v8, v8, v38
	;; [unrolled: 3-line block ×3, first 2 shown]
	s_or_b32 exec_lo, exec_lo, s7
	s_and_saveexec_b32 s7, s5
	s_cbranch_execz .LBB22_8
.LBB22_52:                              ;   in Loop: Header=BB22_9 Depth=1
	s_mul_i32 s8, s11, s20
	v_mul_f32_e32 v6, s14, v6
	s_add_i32 s24, s8, s6
	v_mul_f32_e32 v7, s14, v7
	s_lshl_b64 s[8:9], s[24:25], 2
	v_mul_f32_e32 v37, s14, v37
	s_add_u32 s8, s38, s8
	s_addc_u32 s9, s37, s9
	s_add_i32 s24, s24, s20
	global_store_dword v5, v6, s[8:9]
	s_lshl_b64 s[34:35], s[24:25], 2
	s_waitcnt lgkmcnt(0)
	v_mul_f32_e32 v6, s14, v8
	s_add_u32 s34, s38, s34
	s_addc_u32 s35, s37, s35
	s_add_i32 s24, s24, s20
	global_store_dword v5, v7, s[34:35]
	s_lshl_b64 s[44:45], s[24:25], 2
	s_add_u32 s8, s38, s44
	s_addc_u32 s9, s37, s45
	s_add_i32 s24, s24, s20
	s_lshl_b64 s[44:45], s[24:25], 2
	s_add_u32 s34, s38, s44
	s_addc_u32 s35, s37, s45
	global_store_dword v5, v37, s[8:9]
	global_store_dword v5, v6, s[34:35]
	s_branch .LBB22_8
.LBB22_53:                              ;   in Loop: Header=BB22_9 Depth=1
	v_mov_b32_e32 v8, 0
	v_mov_b32_e32 v37, 0
	;; [unrolled: 1-line block ×4, first 2 shown]
.LBB22_54:                              ;   in Loop: Header=BB22_9 Depth=1
	s_or_b32 exec_lo, exec_lo, s44
	s_or_b32 exec_lo, exec_lo, s24
	s_and_saveexec_b32 s7, s0
	s_cbranch_execnz .LBB22_12
	s_branch .LBB22_13
.LBB22_55:
	v_mov_b32_e32 v1, 0
	s_mov_b32 s11, 0
	v_mov_b32_e32 v2, v1
	v_mov_b32_e32 v3, v1
	;; [unrolled: 1-line block ×3, first 2 shown]
.LBB22_56:
	s_cmp_ge_i32 s11, s13
	s_cbranch_scc1 .LBB22_80
; %bb.57:
	v_cmp_gt_u32_e32 vcc_lo, 24, v24
	v_lshlrev_b32_e32 v17, 2, v10
	v_cmp_eq_u32_e64 s3, 0, v10
	v_ashrrev_i32_e32 v10, 31, v9
	v_cmp_ge_i32_e64 s0, s12, v26
	v_cndmask_b32_e64 v5, 0, 8, vcc_lo
	v_cmp_gt_u32_e32 vcc_lo, 28, v24
	v_lshl_or_b32 v18, v24, 2, 64
	v_lshlrev_b64 v[13:14], 2, v[9:10]
	v_cmp_ge_i32_e64 s1, s12, v27
	v_add_lshl_u32 v19, v5, v24, 2
	v_cndmask_b32_e64 v6, 0, 4, vcc_lo
	v_cmp_gt_u32_e32 vcc_lo, 30, v24
	v_add_nc_u32_e32 v5, s33, v9
	s_cmp_gt_i32 s36, 0
	s_mov_b32 s7, 0
	v_add_lshl_u32 v20, v6, v24, 2
	v_cndmask_b32_e64 v7, 0, 2, vcc_lo
	v_cmp_ne_u32_e32 vcc_lo, 31, v24
	v_ashrrev_i32_e32 v6, 31, v5
	s_cselect_b32 s12, -1, 0
	s_lshl_b64 s[8:9], s[6:7], 2
	v_add_lshl_u32 v21, v7, v24, 2
	v_add_nc_u32_e32 v7, s33, v5
	s_waitcnt lgkmcnt(0)
	v_add_co_ci_u32_e64 v8, null, 0, v24, vcc_lo
	v_lshlrev_b64 v[15:16], 2, v[5:6]
	v_add_co_u32 v5, vcc_lo, s15, v13
	v_add_nc_u32_e32 v26, s33, v7
	v_lshlrev_b32_e32 v24, 2, v8
	v_ashrrev_i32_e32 v8, 31, v7
	v_add_co_ci_u32_e64 v6, null, s21, v14, vcc_lo
	v_ashrrev_i32_e32 v27, 31, v26
	s_add_u32 s24, s38, s8
	v_lshlrev_b64 v[13:14], 2, v[7:8]
	v_add_co_u32 v7, vcc_lo, s15, v15
	v_add_co_ci_u32_e64 v8, null, s21, v16, vcc_lo
	v_lshlrev_b64 v[15:16], 2, v[26:27]
	s_addc_u32 s25, s37, s9
	v_add_co_u32 v13, vcc_lo, s15, v13
	s_add_u32 s6, s22, s18
	s_addc_u32 s8, s23, s19
	v_add_co_ci_u32_e64 v14, null, s21, v14, vcc_lo
	v_add_co_u32 v15, vcc_lo, s15, v15
	s_add_u32 s6, s16, s6
	v_cmp_gt_u32_e64 s2, 32, v0
	v_cmp_gt_u32_e64 s4, 8, v0
	v_cmp_eq_u32_e64 s5, 0, v0
	v_add_co_ci_u32_e64 v16, null, s21, v16, vcc_lo
	s_addc_u32 s8, s17, s8
	v_add_co_u32 v0, vcc_lo, s6, v11
	v_and_b32_e32 v25, 28, v25
	v_add_co_ci_u32_e64 v12, null, s8, v12, vcc_lo
	v_mov_b32_e32 v26, 0
	s_mul_i32 s16, s11, s10
	s_branch .LBB22_59
.LBB22_58:                              ;   in Loop: Header=BB22_59 Depth=1
	s_or_b32 exec_lo, exec_lo, s6
	s_add_i32 s11, s11, 1
	s_add_i32 s16, s16, s10
	s_cmp_ge_i32 s11, s13
	s_cbranch_scc1 .LBB22_80
.LBB22_59:                              ; =>This Loop Header: Depth=1
                                        ;     Child Loop BB22_72 Depth 2
                                        ;     Child Loop BB22_75 Depth 2
	v_mov_b32_e32 v27, s7
	s_and_saveexec_b32 s6, s0
	s_xor_b32 s6, exec_lo, s6
	s_cbranch_execnz .LBB22_68
; %bb.60:                               ;   in Loop: Header=BB22_59 Depth=1
	s_andn2_saveexec_b32 s22, s6
	s_cbranch_execnz .LBB22_69
.LBB22_61:                              ;   in Loop: Header=BB22_59 Depth=1
	s_or_b32 exec_lo, exec_lo, s22
	s_and_saveexec_b32 s6, s2
.LBB22_62:                              ;   in Loop: Header=BB22_59 Depth=1
	ds_write_b32 v17, v26
.LBB22_63:                              ;   in Loop: Header=BB22_59 Depth=1
	s_or_b32 exec_lo, exec_lo, s6
	s_waitcnt lgkmcnt(0)
	ds_bpermute_b32 v10, v18, v27
	s_waitcnt lgkmcnt(0)
	s_waitcnt_vscnt null, 0x0
	s_barrier
	buffer_gl0_inv
	v_add_f32_e32 v10, v27, v10
	ds_bpermute_b32 v11, v19, v10
	s_waitcnt lgkmcnt(0)
	v_add_f32_e32 v10, v10, v11
	ds_bpermute_b32 v11, v20, v10
	s_waitcnt lgkmcnt(0)
	;; [unrolled: 3-line block ×3, first 2 shown]
	v_add_f32_e32 v10, v10, v11
	ds_bpermute_b32 v11, v24, v10
	s_and_saveexec_b32 s6, s3
	s_cbranch_execz .LBB22_65
; %bb.64:                               ;   in Loop: Header=BB22_59 Depth=1
	s_waitcnt lgkmcnt(0)
	v_add_f32_e32 v10, v10, v11
	ds_write_b32 v25, v10
.LBB22_65:                              ;   in Loop: Header=BB22_59 Depth=1
	s_or_b32 exec_lo, exec_lo, s6
	v_mov_b32_e32 v10, 0
	s_waitcnt lgkmcnt(0)
	s_barrier
	buffer_gl0_inv
	s_and_saveexec_b32 s6, s4
	s_cbranch_execnz .LBB22_77
; %bb.66:                               ;   in Loop: Header=BB22_59 Depth=1
	s_or_b32 exec_lo, exec_lo, s6
	s_and_saveexec_b32 s6, s2
	s_cbranch_execnz .LBB22_78
.LBB22_67:                              ;   in Loop: Header=BB22_59 Depth=1
	s_or_b32 exec_lo, exec_lo, s6
	s_and_saveexec_b32 s6, s5
	s_cbranch_execz .LBB22_58
	s_branch .LBB22_79
.LBB22_68:                              ;   in Loop: Header=BB22_59 Depth=1
	s_mul_i32 s8, s11, s10
	s_ashr_i32 s9, s8, 31
	s_lshl_b64 s[8:9], s[8:9], 2
	v_add_co_u32 v1, vcc_lo, v22, s8
	v_add_co_ci_u32_e64 v2, null, s9, v23, vcc_lo
	global_load_dwordx4 v[27:30], v[1:2], off
	s_clause 0x3
	global_load_dword v1, v[5:6], off
	global_load_dword v2, v[7:8], off
	;; [unrolled: 1-line block ×4, first 2 shown]
	s_waitcnt vmcnt(3)
	v_fma_f32 v27, v1, v27, 0
	s_waitcnt vmcnt(2)
	v_fmac_f32_e32 v27, v2, v28
	s_waitcnt vmcnt(1)
	v_fmac_f32_e32 v27, v3, v29
	;; [unrolled: 2-line block ×3, first 2 shown]
	s_andn2_saveexec_b32 s22, s6
	s_cbranch_execz .LBB22_61
.LBB22_69:                              ;   in Loop: Header=BB22_59 Depth=1
	s_and_saveexec_b32 s23, s1
	s_cbranch_execz .LBB22_76
; %bb.70:                               ;   in Loop: Header=BB22_59 Depth=1
	s_andn2_b32 vcc_lo, exec_lo, s12
	s_cbranch_vccnz .LBB22_73
; %bb.71:                               ;   in Loop: Header=BB22_59 Depth=1
	s_waitcnt lgkmcnt(0)
	v_mov_b32_e32 v10, v9
	s_mov_b64 s[18:19], 0
	.p2align	6
.LBB22_72:                              ;   Parent Loop BB22_59 Depth=1
                                        ; =>  This Inner Loop Header: Depth=2
	v_ashrrev_i32_e32 v11, 31, v10
	s_cmp_eq_u32 s18, 3
	v_lshlrev_b64 v[28:29], 2, v[10:11]
	v_add_nc_u32_e32 v10, s33, v10
	v_add_co_u32 v28, vcc_lo, s15, v28
	v_add_co_ci_u32_e64 v29, null, s21, v29, vcc_lo
	s_cselect_b32 vcc_lo, -1, 0
	s_cmp_eq_u32 s18, 2
	s_cselect_b32 s6, -1, 0
	global_load_dword v11, v[28:29], off
	s_cmp_eq_u32 s18, 1
	s_cselect_b32 s8, -1, 0
	s_cmp_eq_u32 s18, 0
	s_cselect_b32 s9, -1, 0
	s_add_u32 s18, s18, 1
	s_addc_u32 s19, s19, 0
	s_cmp_eq_u32 s36, s18
	s_waitcnt vmcnt(0)
	v_cndmask_b32_e32 v4, v4, v11, vcc_lo
	v_cndmask_b32_e64 v3, v3, v11, s6
	v_cndmask_b32_e64 v2, v2, v11, s8
	;; [unrolled: 1-line block ×3, first 2 shown]
	s_cbranch_scc0 .LBB22_72
.LBB22_73:                              ;   in Loop: Header=BB22_59 Depth=1
	s_andn2_b32 vcc_lo, exec_lo, s12
	s_cbranch_vccnz .LBB22_76
; %bb.74:                               ;   in Loop: Header=BB22_59 Depth=1
	s_ashr_i32 s17, s16, 31
	s_lshl_b64 s[8:9], s[16:17], 2
	s_waitcnt lgkmcnt(0)
	v_add_co_u32 v10, vcc_lo, v0, s8
	v_add_co_ci_u32_e64 v11, null, s9, v12, vcc_lo
	s_mov_b64 s[8:9], 0
	.p2align	6
.LBB22_75:                              ;   Parent Loop BB22_59 Depth=1
                                        ; =>  This Inner Loop Header: Depth=2
	global_load_dword v28, v[10:11], off
	s_cmp_eq_u32 s8, 1
	s_cselect_b32 vcc_lo, -1, 0
	s_cmp_eq_u32 s8, 2
	v_cndmask_b32_e32 v29, v1, v2, vcc_lo
	s_cselect_b32 vcc_lo, -1, 0
	s_cmp_eq_u32 s8, 3
	v_cndmask_b32_e32 v29, v29, v3, vcc_lo
	s_cselect_b32 vcc_lo, -1, 0
	s_add_u32 s8, s8, 1
	s_addc_u32 s9, s9, 0
	s_cmp_lg_u32 s36, s8
	v_cndmask_b32_e32 v29, v29, v4, vcc_lo
	v_add_co_u32 v10, vcc_lo, v10, 4
	v_add_co_ci_u32_e64 v11, null, 0, v11, vcc_lo
	s_waitcnt vmcnt(0)
	v_fmac_f32_e32 v27, v29, v28
	s_cbranch_scc1 .LBB22_75
.LBB22_76:                              ;   in Loop: Header=BB22_59 Depth=1
	s_or_b32 exec_lo, exec_lo, s23
	s_or_b32 exec_lo, exec_lo, s22
	s_and_saveexec_b32 s6, s2
	s_cbranch_execnz .LBB22_62
	s_branch .LBB22_63
.LBB22_77:                              ;   in Loop: Header=BB22_59 Depth=1
	ds_read_b32 v10, v17
	s_or_b32 exec_lo, exec_lo, s6
	s_and_saveexec_b32 s6, s2
	s_cbranch_execz .LBB22_67
.LBB22_78:                              ;   in Loop: Header=BB22_59 Depth=1
	s_waitcnt lgkmcnt(0)
	ds_bpermute_b32 v11, v20, v10
	s_waitcnt lgkmcnt(0)
	v_add_f32_e32 v10, v10, v11
	ds_bpermute_b32 v11, v21, v10
	s_waitcnt lgkmcnt(0)
	v_add_f32_e32 v10, v10, v11
	;; [unrolled: 3-line block ×3, first 2 shown]
	s_or_b32 exec_lo, exec_lo, s6
	s_and_saveexec_b32 s6, s5
	s_cbranch_execz .LBB22_58
.LBB22_79:                              ;   in Loop: Header=BB22_59 Depth=1
	s_mul_hi_u32 s9, s11, s20
	s_mul_i32 s8, s11, s20
	s_waitcnt lgkmcnt(0)
	v_mul_f32_e32 v10, s14, v10
	s_lshl_b64 s[8:9], s[8:9], 2
	s_add_u32 s8, s24, s8
	s_addc_u32 s9, s25, s9
	global_store_dword v26, v10, s[8:9]
	s_branch .LBB22_58
.LBB22_80:
	s_endpgm
	.section	.rodata,"a",@progbits
	.p2align	6, 0x0
	.amdhsa_kernel _ZL23rocblas_gemvt_sn_kernelILb0ELi256ELi4EifffEviiT4_lPKT3_lilS3_lilPT5_i
		.amdhsa_group_segment_fixed_size 128
		.amdhsa_private_segment_fixed_size 0
		.amdhsa_kernarg_size 360
		.amdhsa_user_sgpr_count 6
		.amdhsa_user_sgpr_private_segment_buffer 1
		.amdhsa_user_sgpr_dispatch_ptr 0
		.amdhsa_user_sgpr_queue_ptr 0
		.amdhsa_user_sgpr_kernarg_segment_ptr 1
		.amdhsa_user_sgpr_dispatch_id 0
		.amdhsa_user_sgpr_flat_scratch_init 0
		.amdhsa_user_sgpr_private_segment_size 0
		.amdhsa_wavefront_size32 1
		.amdhsa_uses_dynamic_stack 0
		.amdhsa_system_sgpr_private_segment_wavefront_offset 0
		.amdhsa_system_sgpr_workgroup_id_x 1
		.amdhsa_system_sgpr_workgroup_id_y 0
		.amdhsa_system_sgpr_workgroup_id_z 1
		.amdhsa_system_sgpr_workgroup_info 0
		.amdhsa_system_vgpr_workitem_id 0
		.amdhsa_next_free_vgpr 55
		.amdhsa_next_free_sgpr 50
		.amdhsa_reserve_vcc 1
		.amdhsa_reserve_flat_scratch 0
		.amdhsa_float_round_mode_32 0
		.amdhsa_float_round_mode_16_64 0
		.amdhsa_float_denorm_mode_32 3
		.amdhsa_float_denorm_mode_16_64 3
		.amdhsa_dx10_clamp 1
		.amdhsa_ieee_mode 1
		.amdhsa_fp16_overflow 0
		.amdhsa_workgroup_processor_mode 1
		.amdhsa_memory_ordered 1
		.amdhsa_forward_progress 1
		.amdhsa_shared_vgpr_count 0
		.amdhsa_exception_fp_ieee_invalid_op 0
		.amdhsa_exception_fp_denorm_src 0
		.amdhsa_exception_fp_ieee_div_zero 0
		.amdhsa_exception_fp_ieee_overflow 0
		.amdhsa_exception_fp_ieee_underflow 0
		.amdhsa_exception_fp_ieee_inexact 0
		.amdhsa_exception_int_div_zero 0
	.end_amdhsa_kernel
	.section	.text._ZL23rocblas_gemvt_sn_kernelILb0ELi256ELi4EifffEviiT4_lPKT3_lilS3_lilPT5_i,"axG",@progbits,_ZL23rocblas_gemvt_sn_kernelILb0ELi256ELi4EifffEviiT4_lPKT3_lilS3_lilPT5_i,comdat
.Lfunc_end22:
	.size	_ZL23rocblas_gemvt_sn_kernelILb0ELi256ELi4EifffEviiT4_lPKT3_lilS3_lilPT5_i, .Lfunc_end22-_ZL23rocblas_gemvt_sn_kernelILb0ELi256ELi4EifffEviiT4_lPKT3_lilS3_lilPT5_i
                                        ; -- End function
	.set _ZL23rocblas_gemvt_sn_kernelILb0ELi256ELi4EifffEviiT4_lPKT3_lilS3_lilPT5_i.num_vgpr, 55
	.set _ZL23rocblas_gemvt_sn_kernelILb0ELi256ELi4EifffEviiT4_lPKT3_lilS3_lilPT5_i.num_agpr, 0
	.set _ZL23rocblas_gemvt_sn_kernelILb0ELi256ELi4EifffEviiT4_lPKT3_lilS3_lilPT5_i.numbered_sgpr, 50
	.set _ZL23rocblas_gemvt_sn_kernelILb0ELi256ELi4EifffEviiT4_lPKT3_lilS3_lilPT5_i.num_named_barrier, 0
	.set _ZL23rocblas_gemvt_sn_kernelILb0ELi256ELi4EifffEviiT4_lPKT3_lilS3_lilPT5_i.private_seg_size, 0
	.set _ZL23rocblas_gemvt_sn_kernelILb0ELi256ELi4EifffEviiT4_lPKT3_lilS3_lilPT5_i.uses_vcc, 1
	.set _ZL23rocblas_gemvt_sn_kernelILb0ELi256ELi4EifffEviiT4_lPKT3_lilS3_lilPT5_i.uses_flat_scratch, 0
	.set _ZL23rocblas_gemvt_sn_kernelILb0ELi256ELi4EifffEviiT4_lPKT3_lilS3_lilPT5_i.has_dyn_sized_stack, 0
	.set _ZL23rocblas_gemvt_sn_kernelILb0ELi256ELi4EifffEviiT4_lPKT3_lilS3_lilPT5_i.has_recursion, 0
	.set _ZL23rocblas_gemvt_sn_kernelILb0ELi256ELi4EifffEviiT4_lPKT3_lilS3_lilPT5_i.has_indirect_call, 0
	.section	.AMDGPU.csdata,"",@progbits
; Kernel info:
; codeLenInByte = 4072
; TotalNumSgprs: 52
; NumVgprs: 55
; ScratchSize: 0
; MemoryBound: 0
; FloatMode: 240
; IeeeMode: 1
; LDSByteSize: 128 bytes/workgroup (compile time only)
; SGPRBlocks: 0
; VGPRBlocks: 6
; NumSGPRsForWavesPerEU: 52
; NumVGPRsForWavesPerEU: 55
; Occupancy: 16
; WaveLimiterHint : 1
; COMPUTE_PGM_RSRC2:SCRATCH_EN: 0
; COMPUTE_PGM_RSRC2:USER_SGPR: 6
; COMPUTE_PGM_RSRC2:TRAP_HANDLER: 0
; COMPUTE_PGM_RSRC2:TGID_X_EN: 1
; COMPUTE_PGM_RSRC2:TGID_Y_EN: 0
; COMPUTE_PGM_RSRC2:TGID_Z_EN: 1
; COMPUTE_PGM_RSRC2:TIDIG_COMP_CNT: 0
	.section	.text._ZL23rocblas_gemvt_sn_kernelILb0ELi256ELi4ElfffEviiT4_lPKT3_lilS3_lilPT5_i,"axG",@progbits,_ZL23rocblas_gemvt_sn_kernelILb0ELi256ELi4ElfffEviiT4_lPKT3_lilS3_lilPT5_i,comdat
	.globl	_ZL23rocblas_gemvt_sn_kernelILb0ELi256ELi4ElfffEviiT4_lPKT3_lilS3_lilPT5_i ; -- Begin function _ZL23rocblas_gemvt_sn_kernelILb0ELi256ELi4ElfffEviiT4_lPKT3_lilS3_lilPT5_i
	.p2align	8
	.type	_ZL23rocblas_gemvt_sn_kernelILb0ELi256ELi4ElfffEviiT4_lPKT3_lilS3_lilPT5_i,@function
_ZL23rocblas_gemvt_sn_kernelILb0ELi256ELi4ElfffEviiT4_lPKT3_lilS3_lilPT5_i: ; @_ZL23rocblas_gemvt_sn_kernelILb0ELi256ELi4ElfffEviiT4_lPKT3_lilS3_lilPT5_i
; %bb.0:
	s_clause 0x2
	s_load_dwordx4 s[12:15], s[4:5], 0x0
	s_load_dword s24, s[4:5], 0x68
	s_load_dwordx4 s[8:11], s[4:5], 0x50
	s_mov_b32 s25, 0
	s_waitcnt lgkmcnt(0)
	s_ashr_i32 s15, s13, 31
	s_mul_hi_u32 s0, s13, s7
	s_mul_i32 s1, s15, s7
	s_mul_i32 s2, s13, s7
	s_add_i32 s0, s0, s1
	s_mul_hi_u32 s1, s2, s24
	s_mul_i32 s3, s0, s24
	s_mul_i32 s0, s2, s24
	s_add_i32 s1, s1, s3
	v_cmp_neq_f32_e64 s2, s14, 0
	s_lshl_b64 s[0:1], s[0:1], 2
	s_add_u32 s33, s10, s0
	v_cmp_eq_u32_e64 s0, 0, v0
	s_addc_u32 s46, s11, s1
	s_and_b32 vcc_lo, exec_lo, s2
	s_cbranch_vccnz .LBB23_5
; %bb.1:
	s_cmp_gt_i32 s13, 0
	s_cselect_b32 s1, -1, 0
	s_and_b32 s0, s0, s1
	s_and_saveexec_b32 s10, s0
	s_cbranch_execz .LBB23_4
; %bb.2:
	s_mov_b32 s0, s7
	s_mov_b32 s7, 0
	v_mov_b32_e32 v1, 0
	s_lshl_b64 s[2:3], s[6:7], 2
	s_mov_b32 s7, s0
	s_add_u32 s0, s33, s2
	s_addc_u32 s1, s46, s3
	s_lshl_b64 s[2:3], s[24:25], 2
	s_mov_b32 s11, s13
.LBB23_3:                               ; =>This Inner Loop Header: Depth=1
	s_add_i32 s11, s11, -1
	global_store_dword v1, v1, s[0:1]
	s_add_u32 s0, s0, s2
	s_addc_u32 s1, s1, s3
	s_cmp_eq_u32 s11, 0
	s_cbranch_scc0 .LBB23_3
.LBB23_4:
	s_or_b32 exec_lo, exec_lo, s10
	s_cbranch_execz .LBB23_6
	s_branch .LBB23_80
.LBB23_5:
.LBB23_6:
	s_clause 0x4
	s_load_dword s26, s[4:5], 0x28
	s_load_dword s28, s[4:5], 0x48
	s_load_dwordx4 s[20:23], s[4:5], 0x30
	s_load_dwordx2 s[0:1], s[4:5], 0x40
	s_load_dwordx4 s[16:19], s[4:5], 0x18
	s_mul_i32 s3, s9, s7
	s_mul_hi_u32 s4, s8, s7
	s_mul_i32 s2, s8, s7
	s_add_i32 s3, s4, s3
	v_and_b32_e32 v26, 31, v0
	s_lshl_b64 s[30:31], s[2:3], 2
	v_mbcnt_lo_u32_b32 v29, -1, 0
	v_lshrrev_b32_e32 v31, 3, v0
	s_waitcnt lgkmcnt(0)
	s_ashr_i32 s27, s26, 31
	s_ashr_i32 s29, s28, 31
	s_add_u32 s5, s22, s30
	s_addc_u32 s8, s23, s31
	s_lshl_b64 s[34:35], s[0:1], 2
	s_mul_i32 s3, s21, s7
	s_mul_hi_u32 s4, s20, s7
	s_add_u32 s25, s5, s34
	s_mul_i32 s2, s20, s7
	s_addc_u32 s47, s8, s35
	s_add_i32 s3, s4, s3
	v_cmp_gt_u32_e64 s0, 32, v0
	s_lshl_b64 s[20:21], s[2:3], 2
	v_cmp_gt_u32_e64 s1, 8, v0
	s_add_u32 s2, s16, s20
	s_addc_u32 s3, s17, s21
	s_lshl_b64 s[18:19], s[18:19], 2
	s_add_u32 s2, s2, s18
	s_addc_u32 s3, s3, s19
	s_lshl_b32 s4, s6, 10
	s_ashr_i32 s5, s12, 31
	v_lshl_or_b32 v13, v0, 2, s4
	s_lshr_b32 s4, s15, 30
	s_lshr_b32 s5, s5, 30
	s_add_i32 s4, s13, s4
	s_add_i32 s5, s12, s5
	v_ashrrev_i32_e32 v14, 31, v13
	s_and_b32 s48, s4, -4
	s_and_b32 s4, s5, -4
	v_add_nc_u32_e32 v32, 4, v13
	s_sub_i32 s15, s12, s4
	v_lshlrev_b64 v[11:12], 2, v[13:14]
	v_or_b32_e32 v30, 1, v13
	v_or_b32_e32 v28, 2, v13
	v_add_nc_u32_e32 v33, s15, v13
	v_or_b32_e32 v27, 3, v13
	s_cmp_lt_i32 s48, 1
	v_add_co_u32 v9, vcc_lo, s2, v11
	v_add_co_ci_u32_e64 v10, null, s3, v12, vcc_lo
	s_cbranch_scc1 .LBB23_55
; %bb.7:
	v_cmp_gt_u32_e32 vcc_lo, 24, v29
	v_mad_i64_i32 v[5:6], null, s28, v28, 0
	v_mad_i64_i32 v[7:8], null, s28, v27, 0
	v_cndmask_b32_e64 v1, 0, 8, vcc_lo
	v_cmp_gt_u32_e32 vcc_lo, 28, v29
	s_cmp_gt_i32 s15, 0
	s_mov_b32 s7, 0
	v_lshlrev_b64 v[5:6], 2, v[5:6]
	v_add_lshl_u32 v35, v1, v29, 2
	v_cndmask_b32_e64 v2, 0, 4, vcc_lo
	v_cmp_gt_u32_e32 vcc_lo, 30, v29
	s_cselect_b32 s49, -1, 0
	s_lshl_b64 s[8:9], s[6:7], 2
	v_mov_b32_e32 v25, v10
	v_add_lshl_u32 v36, v2, v29, 2
	v_cndmask_b32_e64 v3, 0, 2, vcc_lo
	v_cmp_ne_u32_e32 vcc_lo, 31, v29
	v_mad_i64_i32 v[1:2], null, s28, v13, 0
	s_add_u32 s50, s33, s8
	v_add_lshl_u32 v37, v3, v29, 2
	v_add_co_ci_u32_e64 v4, null, 0, v29, vcc_lo
	s_addc_u32 s51, s46, s9
	s_add_u32 s8, s22, s34
	v_lshlrev_b64 v[1:2], 2, v[1:2]
	v_lshlrev_b32_e32 v38, 2, v4
	v_mad_i64_i32 v[3:4], null, s28, v30, 0
	s_addc_u32 s9, s23, s35
	s_add_u32 s8, s8, s30
	v_add_co_u32 v14, vcc_lo, s25, v1
	v_add_co_ci_u32_e64 v15, null, s47, v2, vcc_lo
	v_lshlrev_b64 v[3:4], 2, v[3:4]
	s_addc_u32 s9, s9, s31
	v_cmp_ge_i32_e64 s2, s12, v32
	v_cmp_ge_i32_e64 s3, s12, v33
	v_lshl_or_b32 v34, v29, 2, 64
	v_cmp_eq_u32_e64 s4, 0, v26
	v_add_co_u32 v16, vcc_lo, s25, v3
	v_add_co_ci_u32_e64 v17, null, s47, v4, vcc_lo
	v_lshlrev_b64 v[3:4], 2, v[7:8]
	v_add_co_u32 v18, vcc_lo, s25, v5
	v_mov_b32_e32 v5, 0
	v_add_co_ci_u32_e64 v19, null, s47, v6, vcc_lo
	v_add_co_u32 v20, vcc_lo, s25, v3
	v_mov_b32_e32 v6, v5
	v_mov_b32_e32 v7, v5
	;; [unrolled: 1-line block ×3, first 2 shown]
	v_add_co_ci_u32_e64 v21, null, s47, v4, vcc_lo
	v_add_co_u32 v22, vcc_lo, s8, v1
	v_add_co_ci_u32_e64 v23, null, s9, v2, vcc_lo
	v_mov_b32_e32 v1, v5
	v_lshlrev_b32_e32 v39, 2, v26
	v_and_b32_e32 v40, 28, v31
	v_cmp_eq_u32_e64 s5, 0, v0
	v_mov_b32_e32 v24, v9
	v_mov_b32_e32 v2, v6
	;; [unrolled: 1-line block ×4, first 2 shown]
	s_lshl_b64 s[36:37], s[28:29], 2
	s_lshl_b64 s[38:39], s[26:27], 4
	;; [unrolled: 1-line block ×4, first 2 shown]
	s_mul_hi_i32 s52, s26, 12
	s_mul_i32 s53, s26, 12
	s_branch .LBB23_9
.LBB23_8:                               ;   in Loop: Header=BB23_9 Depth=1
	s_or_b32 exec_lo, exec_lo, s8
	v_add_co_u32 v24, vcc_lo, v24, s38
	v_add_co_ci_u32_e64 v25, null, s39, v25, vcc_lo
	s_add_i32 s7, s7, 4
	s_cmp_ge_i32 s7, s48
	s_cbranch_scc1 .LBB23_56
.LBB23_9:                               ; =>This Loop Header: Depth=1
                                        ;     Child Loop BB23_40 Depth 2
                                        ;     Child Loop BB23_43 Depth 2
                                        ; implicit-def: $vgpr8
                                        ; implicit-def: $vgpr41
                                        ; implicit-def: $vgpr42
                                        ; implicit-def: $vgpr43
	s_and_saveexec_b32 s8, s2
	s_xor_b32 s8, exec_lo, s8
	s_cbranch_execnz .LBB23_36
; %bb.10:                               ;   in Loop: Header=BB23_9 Depth=1
	s_andn2_saveexec_b32 s54, s8
	s_cbranch_execnz .LBB23_37
.LBB23_11:                              ;   in Loop: Header=BB23_9 Depth=1
	s_or_b32 exec_lo, exec_lo, s54
	s_and_saveexec_b32 s8, s0
.LBB23_12:                              ;   in Loop: Header=BB23_9 Depth=1
	ds_write_b32 v39, v5
.LBB23_13:                              ;   in Loop: Header=BB23_9 Depth=1
	s_or_b32 exec_lo, exec_lo, s8
	ds_bpermute_b32 v6, v34, v43
	s_waitcnt lgkmcnt(0)
	s_waitcnt_vscnt null, 0x0
	s_barrier
	buffer_gl0_inv
	v_add_f32_e32 v6, v43, v6
	ds_bpermute_b32 v7, v35, v6
	s_waitcnt lgkmcnt(0)
	v_add_f32_e32 v6, v6, v7
	ds_bpermute_b32 v7, v36, v6
	s_waitcnt lgkmcnt(0)
	;; [unrolled: 3-line block ×3, first 2 shown]
	v_add_f32_e32 v6, v6, v7
	ds_bpermute_b32 v7, v38, v6
	s_and_saveexec_b32 s8, s4
	s_cbranch_execz .LBB23_15
; %bb.14:                               ;   in Loop: Header=BB23_9 Depth=1
	s_waitcnt lgkmcnt(0)
	v_add_f32_e32 v6, v6, v7
	ds_write_b32 v40, v6
.LBB23_15:                              ;   in Loop: Header=BB23_9 Depth=1
	s_or_b32 exec_lo, exec_lo, s8
	v_mov_b32_e32 v6, 0
	s_waitcnt lgkmcnt(0)
	s_barrier
	buffer_gl0_inv
	s_and_saveexec_b32 s8, s1
	s_cbranch_execnz .LBB23_44
; %bb.16:                               ;   in Loop: Header=BB23_9 Depth=1
	s_or_b32 exec_lo, exec_lo, s8
	s_and_saveexec_b32 s8, s0
	s_cbranch_execnz .LBB23_45
.LBB23_17:                              ;   in Loop: Header=BB23_9 Depth=1
	s_or_b32 exec_lo, exec_lo, s8
	s_and_saveexec_b32 s8, s0
.LBB23_18:                              ;   in Loop: Header=BB23_9 Depth=1
	ds_write_b32 v39, v5
.LBB23_19:                              ;   in Loop: Header=BB23_9 Depth=1
	s_or_b32 exec_lo, exec_lo, s8
	ds_bpermute_b32 v7, v34, v42
	s_waitcnt lgkmcnt(0)
	s_barrier
	buffer_gl0_inv
	v_add_f32_e32 v7, v42, v7
	ds_bpermute_b32 v42, v35, v7
	s_waitcnt lgkmcnt(0)
	v_add_f32_e32 v7, v7, v42
	ds_bpermute_b32 v42, v36, v7
	s_waitcnt lgkmcnt(0)
	;; [unrolled: 3-line block ×3, first 2 shown]
	v_add_f32_e32 v7, v7, v42
	ds_bpermute_b32 v42, v38, v7
	s_and_saveexec_b32 s8, s4
	s_cbranch_execz .LBB23_21
; %bb.20:                               ;   in Loop: Header=BB23_9 Depth=1
	s_waitcnt lgkmcnt(0)
	v_add_f32_e32 v7, v7, v42
	ds_write_b32 v40, v7
.LBB23_21:                              ;   in Loop: Header=BB23_9 Depth=1
	s_or_b32 exec_lo, exec_lo, s8
	v_mov_b32_e32 v7, 0
	s_waitcnt lgkmcnt(0)
	s_barrier
	buffer_gl0_inv
	s_and_saveexec_b32 s8, s1
	s_cbranch_execnz .LBB23_46
; %bb.22:                               ;   in Loop: Header=BB23_9 Depth=1
	s_or_b32 exec_lo, exec_lo, s8
	s_and_saveexec_b32 s8, s0
	s_cbranch_execnz .LBB23_47
.LBB23_23:                              ;   in Loop: Header=BB23_9 Depth=1
	s_or_b32 exec_lo, exec_lo, s8
	s_and_saveexec_b32 s8, s0
.LBB23_24:                              ;   in Loop: Header=BB23_9 Depth=1
	ds_write_b32 v39, v5
.LBB23_25:                              ;   in Loop: Header=BB23_9 Depth=1
	s_or_b32 exec_lo, exec_lo, s8
	ds_bpermute_b32 v42, v34, v41
	s_waitcnt lgkmcnt(0)
	s_barrier
	buffer_gl0_inv
	v_add_f32_e32 v41, v41, v42
	ds_bpermute_b32 v42, v35, v41
	s_waitcnt lgkmcnt(0)
	v_add_f32_e32 v41, v41, v42
	ds_bpermute_b32 v42, v36, v41
	s_waitcnt lgkmcnt(0)
	;; [unrolled: 3-line block ×3, first 2 shown]
	v_add_f32_e32 v41, v41, v42
	ds_bpermute_b32 v42, v38, v41
	s_and_saveexec_b32 s8, s4
	s_cbranch_execz .LBB23_27
; %bb.26:                               ;   in Loop: Header=BB23_9 Depth=1
	s_waitcnt lgkmcnt(0)
	v_add_f32_e32 v41, v41, v42
	ds_write_b32 v40, v41
.LBB23_27:                              ;   in Loop: Header=BB23_9 Depth=1
	s_or_b32 exec_lo, exec_lo, s8
	v_mov_b32_e32 v41, 0
	s_waitcnt lgkmcnt(0)
	s_barrier
	buffer_gl0_inv
	s_and_saveexec_b32 s8, s1
	s_cbranch_execnz .LBB23_48
; %bb.28:                               ;   in Loop: Header=BB23_9 Depth=1
	s_or_b32 exec_lo, exec_lo, s8
	s_and_saveexec_b32 s8, s0
	s_cbranch_execnz .LBB23_49
.LBB23_29:                              ;   in Loop: Header=BB23_9 Depth=1
	s_or_b32 exec_lo, exec_lo, s8
	s_and_saveexec_b32 s8, s0
.LBB23_30:                              ;   in Loop: Header=BB23_9 Depth=1
	ds_write_b32 v39, v5
.LBB23_31:                              ;   in Loop: Header=BB23_9 Depth=1
	s_or_b32 exec_lo, exec_lo, s8
	ds_bpermute_b32 v42, v34, v8
	s_waitcnt lgkmcnt(0)
	s_barrier
	buffer_gl0_inv
	v_add_f32_e32 v8, v8, v42
	ds_bpermute_b32 v42, v35, v8
	s_waitcnt lgkmcnt(0)
	v_add_f32_e32 v8, v8, v42
	ds_bpermute_b32 v42, v36, v8
	s_waitcnt lgkmcnt(0)
	;; [unrolled: 3-line block ×3, first 2 shown]
	v_add_f32_e32 v8, v8, v42
	ds_bpermute_b32 v42, v38, v8
	s_and_saveexec_b32 s8, s4
	s_cbranch_execz .LBB23_33
; %bb.32:                               ;   in Loop: Header=BB23_9 Depth=1
	s_waitcnt lgkmcnt(0)
	v_add_f32_e32 v8, v8, v42
	ds_write_b32 v40, v8
.LBB23_33:                              ;   in Loop: Header=BB23_9 Depth=1
	s_or_b32 exec_lo, exec_lo, s8
	v_mov_b32_e32 v8, 0
	s_waitcnt lgkmcnt(0)
	s_barrier
	buffer_gl0_inv
	s_and_saveexec_b32 s8, s1
	s_cbranch_execnz .LBB23_50
; %bb.34:                               ;   in Loop: Header=BB23_9 Depth=1
	s_or_b32 exec_lo, exec_lo, s8
	s_and_saveexec_b32 s8, s0
	s_cbranch_execnz .LBB23_51
.LBB23_35:                              ;   in Loop: Header=BB23_9 Depth=1
	s_or_b32 exec_lo, exec_lo, s8
	s_and_saveexec_b32 s8, s5
	s_cbranch_execz .LBB23_8
	s_branch .LBB23_52
.LBB23_36:                              ;   in Loop: Header=BB23_9 Depth=1
	s_mul_i32 s9, s7, s27
	s_mul_hi_u32 s10, s7, s26
	s_add_i32 s11, s10, s9
	s_mul_i32 s10, s7, s26
	s_or_b32 s9, s7, 1
	s_lshl_b64 s[10:11], s[10:11], 2
	s_mul_i32 s44, s9, s27
	s_mul_hi_u32 s45, s9, s26
	v_add_co_u32 v2, vcc_lo, v9, s10
	v_add_co_ci_u32_e64 v3, null, s11, v10, vcc_lo
	s_add_i32 s11, s45, s44
	s_mul_i32 s10, s9, s26
	s_or_b32 s9, s7, 2
	s_lshl_b64 s[10:11], s[10:11], 2
	s_mul_i32 s44, s9, s27
	s_mul_hi_u32 s45, s9, s26
	v_add_co_u32 v6, vcc_lo, v9, s10
	v_add_co_ci_u32_e64 v7, null, s11, v10, vcc_lo
	s_add_i32 s11, s45, s44
	s_or_b32 s44, s7, 3
	s_mul_i32 s10, s9, s26
	s_mul_i32 s9, s44, s27
	s_mul_hi_u32 s45, s44, s26
	s_lshl_b64 s[10:11], s[10:11], 2
	s_add_i32 s45, s45, s9
	s_mul_i32 s44, s44, s26
	v_add_co_u32 v41, vcc_lo, v9, s10
	v_add_co_ci_u32_e64 v42, null, s11, v10, vcc_lo
	s_lshl_b64 s[10:11], s[44:45], 2
	v_add_co_u32 v55, vcc_lo, v9, s10
	v_add_co_ci_u32_e64 v56, null, s11, v10, vcc_lo
	global_load_dword v1, v[14:15], off
	s_clause 0x3
	global_load_dwordx4 v[43:46], v[2:3], off
	global_load_dwordx4 v[47:50], v[6:7], off
	;; [unrolled: 1-line block ×4, first 2 shown]
	s_clause 0x2
	global_load_dword v2, v[16:17], off
	global_load_dword v3, v[18:19], off
	;; [unrolled: 1-line block ×3, first 2 shown]
	s_waitcnt vmcnt(6)
	v_fma_f32 v43, v1, v43, 0
	s_waitcnt vmcnt(5)
	v_fma_f32 v42, v1, v47, 0
	;; [unrolled: 2-line block ×3, first 2 shown]
	s_waitcnt vmcnt(3) lgkmcnt(0)
	v_fma_f32 v8, v1, v55, 0
	s_waitcnt vmcnt(2)
	v_fmac_f32_e32 v43, v2, v44
	v_fmac_f32_e32 v42, v2, v48
	v_fmac_f32_e32 v41, v2, v52
	v_fmac_f32_e32 v8, v2, v56
	s_waitcnt vmcnt(1)
	v_fmac_f32_e32 v43, v3, v45
	v_fmac_f32_e32 v42, v3, v49
	v_fmac_f32_e32 v41, v3, v53
	v_fmac_f32_e32 v8, v3, v57
	;; [unrolled: 5-line block ×3, first 2 shown]
	s_andn2_saveexec_b32 s54, s8
	s_cbranch_execz .LBB23_11
.LBB23_37:                              ;   in Loop: Header=BB23_9 Depth=1
	s_waitcnt lgkmcnt(0)
	v_mov_b32_e32 v8, 0
	v_mov_b32_e32 v41, 0
	;; [unrolled: 1-line block ×4, first 2 shown]
	s_and_saveexec_b32 s55, s3
	s_cbranch_execz .LBB23_54
; %bb.38:                               ;   in Loop: Header=BB23_9 Depth=1
	s_andn2_b32 vcc_lo, exec_lo, s49
	s_cbranch_vccnz .LBB23_41
; %bb.39:                               ;   in Loop: Header=BB23_9 Depth=1
	v_mov_b32_e32 v6, v22
	v_mov_b32_e32 v7, v23
	s_mov_b64 s[44:45], 0
	.p2align	6
.LBB23_40:                              ;   Parent Loop BB23_9 Depth=1
                                        ; =>  This Inner Loop Header: Depth=2
	global_load_dword v8, v[6:7], off
	s_cmp_eq_u32 s44, 3
	v_add_co_u32 v6, vcc_lo, v6, s36
	v_add_co_ci_u32_e64 v7, null, s37, v7, vcc_lo
	s_cselect_b32 vcc_lo, -1, 0
	s_cmp_eq_u32 s44, 2
	s_cselect_b32 s8, -1, 0
	s_cmp_eq_u32 s44, 1
	s_cselect_b32 s9, -1, 0
	;; [unrolled: 2-line block ×3, first 2 shown]
	s_add_u32 s44, s44, 1
	s_addc_u32 s45, s45, 0
	s_cmp_eq_u32 s15, s44
	s_waitcnt vmcnt(0)
	v_cndmask_b32_e32 v4, v4, v8, vcc_lo
	v_cndmask_b32_e64 v3, v3, v8, s8
	v_cndmask_b32_e64 v2, v2, v8, s9
	;; [unrolled: 1-line block ×3, first 2 shown]
	s_cbranch_scc0 .LBB23_40
.LBB23_41:                              ;   in Loop: Header=BB23_9 Depth=1
	s_andn2_b32 vcc_lo, exec_lo, s49
	s_cbranch_vccnz .LBB23_53
; %bb.42:                               ;   in Loop: Header=BB23_9 Depth=1
	v_mov_b32_e32 v6, v24
	v_mov_b32_e32 v43, 0
	;; [unrolled: 1-line block ×6, first 2 shown]
	s_mov_b64 s[10:11], 0
	s_inst_prefetch 0x1
	.p2align	6
.LBB23_43:                              ;   Parent Loop BB23_9 Depth=1
                                        ; =>  This Inner Loop Header: Depth=2
	v_add_co_u32 v44, vcc_lo, v6, s40
	v_add_co_ci_u32_e64 v45, null, s41, v7, vcc_lo
	v_add_co_u32 v46, vcc_lo, v6, s42
	v_add_co_ci_u32_e64 v47, null, s43, v7, vcc_lo
	;; [unrolled: 2-line block ×3, first 2 shown]
	s_clause 0x3
	global_load_dword v50, v[6:7], off
	global_load_dword v44, v[44:45], off
	;; [unrolled: 1-line block ×4, first 2 shown]
	s_cmp_eq_u32 s10, 1
	v_add_co_u32 v6, s8, v6, 4
	s_cselect_b32 vcc_lo, -1, 0
	s_cmp_eq_u32 s10, 2
	v_cndmask_b32_e32 v47, v1, v2, vcc_lo
	s_cselect_b32 vcc_lo, -1, 0
	s_cmp_eq_u32 s10, 3
	v_add_co_ci_u32_e64 v7, null, 0, v7, s8
	v_cndmask_b32_e32 v47, v47, v3, vcc_lo
	s_cselect_b32 vcc_lo, -1, 0
	s_add_u32 s10, s10, 1
	s_addc_u32 s11, s11, 0
	s_cmp_lg_u32 s15, s10
	v_cndmask_b32_e32 v47, v47, v4, vcc_lo
	s_waitcnt vmcnt(3)
	v_fmac_f32_e32 v43, v47, v50
	s_waitcnt vmcnt(2)
	v_fmac_f32_e32 v42, v47, v44
	;; [unrolled: 2-line block ×4, first 2 shown]
	s_cbranch_scc1 .LBB23_43
	s_branch .LBB23_54
.LBB23_44:                              ;   in Loop: Header=BB23_9 Depth=1
	ds_read_b32 v6, v39
	s_or_b32 exec_lo, exec_lo, s8
	s_and_saveexec_b32 s8, s0
	s_cbranch_execz .LBB23_17
.LBB23_45:                              ;   in Loop: Header=BB23_9 Depth=1
	s_waitcnt lgkmcnt(0)
	ds_bpermute_b32 v7, v36, v6
	s_waitcnt lgkmcnt(0)
	v_add_f32_e32 v6, v6, v7
	ds_bpermute_b32 v7, v37, v6
	s_waitcnt lgkmcnt(0)
	v_add_f32_e32 v6, v6, v7
	ds_bpermute_b32 v7, v38, v6
	s_waitcnt lgkmcnt(0)
	v_add_f32_e32 v6, v6, v7
	s_or_b32 exec_lo, exec_lo, s8
	s_and_saveexec_b32 s8, s0
	s_cbranch_execnz .LBB23_18
	s_branch .LBB23_19
.LBB23_46:                              ;   in Loop: Header=BB23_9 Depth=1
	ds_read_b32 v7, v39
	s_or_b32 exec_lo, exec_lo, s8
	s_and_saveexec_b32 s8, s0
	s_cbranch_execz .LBB23_23
.LBB23_47:                              ;   in Loop: Header=BB23_9 Depth=1
	s_waitcnt lgkmcnt(0)
	ds_bpermute_b32 v42, v36, v7
	s_waitcnt lgkmcnt(0)
	v_add_f32_e32 v7, v7, v42
	ds_bpermute_b32 v42, v37, v7
	s_waitcnt lgkmcnt(0)
	v_add_f32_e32 v7, v7, v42
	;; [unrolled: 3-line block ×3, first 2 shown]
	s_or_b32 exec_lo, exec_lo, s8
	s_and_saveexec_b32 s8, s0
	s_cbranch_execnz .LBB23_24
	s_branch .LBB23_25
.LBB23_48:                              ;   in Loop: Header=BB23_9 Depth=1
	ds_read_b32 v41, v39
	s_or_b32 exec_lo, exec_lo, s8
	s_and_saveexec_b32 s8, s0
	s_cbranch_execz .LBB23_29
.LBB23_49:                              ;   in Loop: Header=BB23_9 Depth=1
	s_waitcnt lgkmcnt(0)
	ds_bpermute_b32 v42, v36, v41
	s_waitcnt lgkmcnt(0)
	v_add_f32_e32 v41, v41, v42
	ds_bpermute_b32 v42, v37, v41
	s_waitcnt lgkmcnt(0)
	v_add_f32_e32 v41, v41, v42
	;; [unrolled: 3-line block ×3, first 2 shown]
	s_or_b32 exec_lo, exec_lo, s8
	s_and_saveexec_b32 s8, s0
	s_cbranch_execnz .LBB23_30
	s_branch .LBB23_31
.LBB23_50:                              ;   in Loop: Header=BB23_9 Depth=1
	ds_read_b32 v8, v39
	s_or_b32 exec_lo, exec_lo, s8
	s_and_saveexec_b32 s8, s0
	s_cbranch_execz .LBB23_35
.LBB23_51:                              ;   in Loop: Header=BB23_9 Depth=1
	s_waitcnt lgkmcnt(0)
	ds_bpermute_b32 v42, v36, v8
	s_waitcnt lgkmcnt(0)
	v_add_f32_e32 v8, v8, v42
	ds_bpermute_b32 v42, v37, v8
	s_waitcnt lgkmcnt(0)
	v_add_f32_e32 v8, v8, v42
	;; [unrolled: 3-line block ×3, first 2 shown]
	s_or_b32 exec_lo, exec_lo, s8
	s_and_saveexec_b32 s8, s5
	s_cbranch_execz .LBB23_8
.LBB23_52:                              ;   in Loop: Header=BB23_9 Depth=1
	s_mul_hi_u32 s11, s7, s24
	s_mul_i32 s10, s7, s24
	v_mul_f32_e32 v6, s14, v6
	s_lshl_b64 s[10:11], s[10:11], 2
	v_mul_f32_e32 v7, s14, v7
	s_add_u32 s10, s50, s10
	s_addc_u32 s11, s51, s11
	s_or_b32 s9, s7, 1
	global_store_dword v5, v6, s[10:11]
	s_mul_hi_u32 s45, s9, s24
	s_mul_i32 s44, s9, s24
	v_mul_f32_e32 v6, s14, v41
	s_lshl_b64 s[44:45], s[44:45], 2
	s_waitcnt lgkmcnt(0)
	v_mul_f32_e32 v8, s14, v8
	s_add_u32 s44, s50, s44
	s_addc_u32 s45, s51, s45
	s_or_b32 s9, s7, 2
	global_store_dword v5, v7, s[44:45]
	s_mul_hi_u32 s55, s9, s24
	s_mul_i32 s54, s9, s24
	s_lshl_b64 s[54:55], s[54:55], 2
	s_add_u32 s10, s50, s54
	s_addc_u32 s11, s51, s55
	s_or_b32 s9, s7, 3
	s_mul_hi_u32 s55, s9, s24
	s_mul_i32 s54, s9, s24
	s_lshl_b64 s[54:55], s[54:55], 2
	s_add_u32 s44, s50, s54
	s_addc_u32 s45, s51, s55
	global_store_dword v5, v6, s[10:11]
	global_store_dword v5, v8, s[44:45]
	s_branch .LBB23_8
.LBB23_53:                              ;   in Loop: Header=BB23_9 Depth=1
	v_mov_b32_e32 v8, 0
	v_mov_b32_e32 v41, 0
	;; [unrolled: 1-line block ×4, first 2 shown]
.LBB23_54:                              ;   in Loop: Header=BB23_9 Depth=1
	s_inst_prefetch 0x2
	s_or_b32 exec_lo, exec_lo, s55
	s_or_b32 exec_lo, exec_lo, s54
	s_and_saveexec_b32 s8, s0
	s_cbranch_execnz .LBB23_12
	s_branch .LBB23_13
.LBB23_55:
	v_mov_b32_e32 v1, 0
	s_mov_b32 s7, 0
	v_mov_b32_e32 v2, v1
	v_mov_b32_e32 v3, v1
	;; [unrolled: 1-line block ×3, first 2 shown]
.LBB23_56:
	s_cmp_ge_i32 s7, s13
	s_cbranch_scc1 .LBB23_80
; %bb.57:
	v_cmp_gt_u32_e32 vcc_lo, 24, v29
	v_lshl_or_b32 v22, v29, 2, 64
	v_mad_i64_i32 v[15:16], null, s28, v27, 0
	s_cmp_gt_i32 s15, 0
	v_cndmask_b32_e64 v5, 0, 8, vcc_lo
	v_cmp_gt_u32_e32 vcc_lo, 28, v29
	s_mov_b32 s11, 0
	s_mov_b32 s10, s6
	v_cmp_ge_i32_e64 s0, s12, v32
	v_add_lshl_u32 v23, v5, v29, 2
	v_cndmask_b32_e64 v6, 0, 4, vcc_lo
	v_cmp_gt_u32_e32 vcc_lo, 30, v29
	v_cmp_ge_i32_e64 s1, s12, v33
	s_cselect_b32 s12, -1, 0
	s_lshl_b64 s[8:9], s[10:11], 2
	v_add_lshl_u32 v24, v6, v29, 2
	v_cndmask_b32_e64 v7, 0, 2, vcc_lo
	v_cmp_ne_u32_e32 vcc_lo, 31, v29
	v_mad_i64_i32 v[5:6], null, s28, v13, 0
	v_mad_i64_i32 v[13:14], null, s28, v28, 0
	s_waitcnt lgkmcnt(0)
	v_add_co_ci_u32_e64 v8, null, 0, v29, vcc_lo
	v_add_lshl_u32 v25, v7, v29, 2
	v_lshlrev_b64 v[15:16], 2, v[15:16]
	v_lshlrev_b64 v[17:18], 2, v[5:6]
	v_lshlrev_b32_e32 v29, 2, v8
	v_mad_i64_i32 v[7:8], null, s28, v30, 0
	v_lshlrev_b64 v[13:14], 2, v[13:14]
	s_add_u32 s10, s33, s8
	v_add_co_u32 v5, vcc_lo, s25, v17
	v_add_co_ci_u32_e64 v6, null, s47, v18, vcc_lo
	v_lshlrev_b64 v[7:8], 2, v[7:8]
	s_addc_u32 s33, s46, s9
	s_add_u32 s6, s22, s34
	s_addc_u32 s8, s23, s35
	s_mul_i32 s9, s27, s7
	s_mul_hi_u32 s22, s26, s7
	v_add_co_u32 v7, vcc_lo, s25, v7
	v_add_co_ci_u32_e64 v8, null, s47, v8, vcc_lo
	v_add_co_u32 v13, vcc_lo, s25, v13
	v_add_co_ci_u32_e64 v14, null, s47, v14, vcc_lo
	v_add_co_u32 v15, vcc_lo, s25, v15
	s_add_u32 s6, s6, s30
	s_addc_u32 s23, s8, s31
	s_add_i32 s9, s22, s9
	s_mul_i32 s8, s26, s7
	v_add_co_ci_u32_e64 v16, null, s47, v16, vcc_lo
	v_add_co_u32 v17, vcc_lo, s6, v17
	s_lshl_b64 s[8:9], s[8:9], 2
	v_add_co_ci_u32_e64 v18, null, s23, v18, vcc_lo
	s_lshl_b64 s[22:23], s[28:29], 2
	s_add_u32 s6, s20, s8
	s_addc_u32 s8, s21, s9
	s_add_u32 s6, s6, s18
	s_addc_u32 s8, s8, s19
	;; [unrolled: 2-line block ×3, first 2 shown]
	v_add_co_u32 v11, vcc_lo, s6, v11
	v_cmp_gt_u32_e64 s2, 32, v0
	v_lshlrev_b32_e32 v21, 2, v26
	v_cmp_eq_u32_e64 s3, 0, v26
	v_and_b32_e32 v26, 28, v31
	v_cmp_gt_u32_e64 s4, 8, v0
	v_cmp_eq_u32_e64 s5, 0, v0
	v_add_co_ci_u32_e64 v12, null, s8, v12, vcc_lo
	v_mov_b32_e32 v0, 0
	s_lshl_b64 s[16:17], s[26:27], 2
	s_branch .LBB23_59
.LBB23_58:                              ;   in Loop: Header=BB23_59 Depth=1
	s_or_b32 exec_lo, exec_lo, s6
	v_add_co_u32 v11, vcc_lo, v11, s16
	v_add_co_ci_u32_e64 v12, null, s17, v12, vcc_lo
	s_add_i32 s7, s7, 1
	s_cmp_ge_i32 s7, s13
	s_cbranch_scc1 .LBB23_80
.LBB23_59:                              ; =>This Loop Header: Depth=1
                                        ;     Child Loop BB23_72 Depth 2
                                        ;     Child Loop BB23_75 Depth 2
	v_mov_b32_e32 v27, s11
	s_and_saveexec_b32 s6, s0
	s_xor_b32 s6, exec_lo, s6
	s_cbranch_execnz .LBB23_68
; %bb.60:                               ;   in Loop: Header=BB23_59 Depth=1
	s_andn2_saveexec_b32 s20, s6
	s_cbranch_execnz .LBB23_69
.LBB23_61:                              ;   in Loop: Header=BB23_59 Depth=1
	s_or_b32 exec_lo, exec_lo, s20
	s_and_saveexec_b32 s6, s2
.LBB23_62:                              ;   in Loop: Header=BB23_59 Depth=1
	ds_write_b32 v21, v0
.LBB23_63:                              ;   in Loop: Header=BB23_59 Depth=1
	s_or_b32 exec_lo, exec_lo, s6
	s_waitcnt lgkmcnt(0)
	ds_bpermute_b32 v19, v22, v27
	s_waitcnt lgkmcnt(0)
	s_waitcnt_vscnt null, 0x0
	s_barrier
	buffer_gl0_inv
	v_add_f32_e32 v19, v27, v19
	ds_bpermute_b32 v20, v23, v19
	s_waitcnt lgkmcnt(0)
	v_add_f32_e32 v19, v19, v20
	ds_bpermute_b32 v20, v24, v19
	s_waitcnt lgkmcnt(0)
	v_add_f32_e32 v19, v19, v20
	ds_bpermute_b32 v20, v25, v19
	s_waitcnt lgkmcnt(0)
	v_add_f32_e32 v19, v19, v20
	ds_bpermute_b32 v20, v29, v19
	s_and_saveexec_b32 s6, s3
	s_cbranch_execz .LBB23_65
; %bb.64:                               ;   in Loop: Header=BB23_59 Depth=1
	s_waitcnt lgkmcnt(0)
	v_add_f32_e32 v19, v19, v20
	ds_write_b32 v26, v19
.LBB23_65:                              ;   in Loop: Header=BB23_59 Depth=1
	s_or_b32 exec_lo, exec_lo, s6
	v_mov_b32_e32 v19, 0
	s_waitcnt lgkmcnt(0)
	s_barrier
	buffer_gl0_inv
	s_and_saveexec_b32 s6, s4
	s_cbranch_execnz .LBB23_77
; %bb.66:                               ;   in Loop: Header=BB23_59 Depth=1
	s_or_b32 exec_lo, exec_lo, s6
	s_and_saveexec_b32 s6, s2
	s_cbranch_execnz .LBB23_78
.LBB23_67:                              ;   in Loop: Header=BB23_59 Depth=1
	s_or_b32 exec_lo, exec_lo, s6
	s_and_saveexec_b32 s6, s5
	s_cbranch_execz .LBB23_58
	s_branch .LBB23_79
.LBB23_68:                              ;   in Loop: Header=BB23_59 Depth=1
	s_mul_i32 s9, s7, s27
	s_mul_hi_u32 s18, s7, s26
	s_mul_i32 s8, s7, s26
	s_add_i32 s9, s18, s9
	s_lshl_b64 s[8:9], s[8:9], 2
	v_add_co_u32 v1, vcc_lo, v9, s8
	v_add_co_ci_u32_e64 v2, null, s9, v10, vcc_lo
	global_load_dwordx4 v[30:33], v[1:2], off
	s_clause 0x3
	global_load_dword v1, v[5:6], off
	global_load_dword v2, v[7:8], off
	;; [unrolled: 1-line block ×4, first 2 shown]
	s_waitcnt vmcnt(3)
	v_fma_f32 v27, v1, v30, 0
	s_waitcnt vmcnt(2)
	v_fmac_f32_e32 v27, v2, v31
	s_waitcnt vmcnt(1)
	v_fmac_f32_e32 v27, v3, v32
	;; [unrolled: 2-line block ×3, first 2 shown]
	s_andn2_saveexec_b32 s20, s6
	s_cbranch_execz .LBB23_61
.LBB23_69:                              ;   in Loop: Header=BB23_59 Depth=1
	s_and_saveexec_b32 s21, s1
	s_cbranch_execz .LBB23_76
; %bb.70:                               ;   in Loop: Header=BB23_59 Depth=1
	s_andn2_b32 vcc_lo, exec_lo, s12
	s_cbranch_vccnz .LBB23_73
; %bb.71:                               ;   in Loop: Header=BB23_59 Depth=1
	s_waitcnt lgkmcnt(0)
	v_mov_b32_e32 v20, v18
	v_mov_b32_e32 v19, v17
	s_mov_b64 s[18:19], 0
	.p2align	6
.LBB23_72:                              ;   Parent Loop BB23_59 Depth=1
                                        ; =>  This Inner Loop Header: Depth=2
	global_load_dword v28, v[19:20], off
	s_cmp_eq_u32 s18, 3
	v_add_co_u32 v19, vcc_lo, v19, s22
	v_add_co_ci_u32_e64 v20, null, s23, v20, vcc_lo
	s_cselect_b32 vcc_lo, -1, 0
	s_cmp_eq_u32 s18, 2
	s_cselect_b32 s6, -1, 0
	s_cmp_eq_u32 s18, 1
	s_cselect_b32 s8, -1, 0
	;; [unrolled: 2-line block ×3, first 2 shown]
	s_add_u32 s18, s18, 1
	s_addc_u32 s19, s19, 0
	s_cmp_eq_u32 s15, s18
	s_waitcnt vmcnt(0)
	v_cndmask_b32_e32 v4, v4, v28, vcc_lo
	v_cndmask_b32_e64 v3, v3, v28, s6
	v_cndmask_b32_e64 v2, v2, v28, s8
	;; [unrolled: 1-line block ×3, first 2 shown]
	s_cbranch_scc0 .LBB23_72
.LBB23_73:                              ;   in Loop: Header=BB23_59 Depth=1
	s_andn2_b32 vcc_lo, exec_lo, s12
	s_cbranch_vccnz .LBB23_76
; %bb.74:                               ;   in Loop: Header=BB23_59 Depth=1
	s_waitcnt lgkmcnt(0)
	v_mov_b32_e32 v20, v12
	v_mov_b32_e32 v19, v11
	s_mov_b64 s[8:9], 0
	.p2align	6
.LBB23_75:                              ;   Parent Loop BB23_59 Depth=1
                                        ; =>  This Inner Loop Header: Depth=2
	global_load_dword v28, v[19:20], off
	s_cmp_eq_u32 s8, 1
	s_cselect_b32 vcc_lo, -1, 0
	s_cmp_eq_u32 s8, 2
	v_cndmask_b32_e32 v30, v1, v2, vcc_lo
	s_cselect_b32 vcc_lo, -1, 0
	s_cmp_eq_u32 s8, 3
	v_cndmask_b32_e32 v30, v30, v3, vcc_lo
	s_cselect_b32 vcc_lo, -1, 0
	s_add_u32 s8, s8, 1
	s_addc_u32 s9, s9, 0
	s_cmp_lg_u32 s15, s8
	v_cndmask_b32_e32 v30, v30, v4, vcc_lo
	v_add_co_u32 v19, vcc_lo, v19, 4
	v_add_co_ci_u32_e64 v20, null, 0, v20, vcc_lo
	s_waitcnt vmcnt(0)
	v_fmac_f32_e32 v27, v30, v28
	s_cbranch_scc1 .LBB23_75
.LBB23_76:                              ;   in Loop: Header=BB23_59 Depth=1
	s_or_b32 exec_lo, exec_lo, s21
	s_or_b32 exec_lo, exec_lo, s20
	s_and_saveexec_b32 s6, s2
	s_cbranch_execnz .LBB23_62
	s_branch .LBB23_63
.LBB23_77:                              ;   in Loop: Header=BB23_59 Depth=1
	ds_read_b32 v19, v21
	s_or_b32 exec_lo, exec_lo, s6
	s_and_saveexec_b32 s6, s2
	s_cbranch_execz .LBB23_67
.LBB23_78:                              ;   in Loop: Header=BB23_59 Depth=1
	s_waitcnt lgkmcnt(0)
	ds_bpermute_b32 v20, v24, v19
	s_waitcnt lgkmcnt(0)
	v_add_f32_e32 v19, v19, v20
	ds_bpermute_b32 v20, v25, v19
	s_waitcnt lgkmcnt(0)
	v_add_f32_e32 v19, v19, v20
	;; [unrolled: 3-line block ×3, first 2 shown]
	s_or_b32 exec_lo, exec_lo, s6
	s_and_saveexec_b32 s6, s5
	s_cbranch_execz .LBB23_58
.LBB23_79:                              ;   in Loop: Header=BB23_59 Depth=1
	s_mul_hi_u32 s9, s7, s24
	s_mul_i32 s8, s7, s24
	s_waitcnt lgkmcnt(0)
	v_mul_f32_e32 v19, s14, v19
	s_lshl_b64 s[8:9], s[8:9], 2
	s_add_u32 s8, s10, s8
	s_addc_u32 s9, s33, s9
	global_store_dword v0, v19, s[8:9]
	s_branch .LBB23_58
.LBB23_80:
	s_endpgm
	.section	.rodata,"a",@progbits
	.p2align	6, 0x0
	.amdhsa_kernel _ZL23rocblas_gemvt_sn_kernelILb0ELi256ELi4ElfffEviiT4_lPKT3_lilS3_lilPT5_i
		.amdhsa_group_segment_fixed_size 128
		.amdhsa_private_segment_fixed_size 0
		.amdhsa_kernarg_size 360
		.amdhsa_user_sgpr_count 6
		.amdhsa_user_sgpr_private_segment_buffer 1
		.amdhsa_user_sgpr_dispatch_ptr 0
		.amdhsa_user_sgpr_queue_ptr 0
		.amdhsa_user_sgpr_kernarg_segment_ptr 1
		.amdhsa_user_sgpr_dispatch_id 0
		.amdhsa_user_sgpr_flat_scratch_init 0
		.amdhsa_user_sgpr_private_segment_size 0
		.amdhsa_wavefront_size32 1
		.amdhsa_uses_dynamic_stack 0
		.amdhsa_system_sgpr_private_segment_wavefront_offset 0
		.amdhsa_system_sgpr_workgroup_id_x 1
		.amdhsa_system_sgpr_workgroup_id_y 0
		.amdhsa_system_sgpr_workgroup_id_z 1
		.amdhsa_system_sgpr_workgroup_info 0
		.amdhsa_system_vgpr_workitem_id 0
		.amdhsa_next_free_vgpr 59
		.amdhsa_next_free_sgpr 56
		.amdhsa_reserve_vcc 1
		.amdhsa_reserve_flat_scratch 0
		.amdhsa_float_round_mode_32 0
		.amdhsa_float_round_mode_16_64 0
		.amdhsa_float_denorm_mode_32 3
		.amdhsa_float_denorm_mode_16_64 3
		.amdhsa_dx10_clamp 1
		.amdhsa_ieee_mode 1
		.amdhsa_fp16_overflow 0
		.amdhsa_workgroup_processor_mode 1
		.amdhsa_memory_ordered 1
		.amdhsa_forward_progress 1
		.amdhsa_shared_vgpr_count 0
		.amdhsa_exception_fp_ieee_invalid_op 0
		.amdhsa_exception_fp_denorm_src 0
		.amdhsa_exception_fp_ieee_div_zero 0
		.amdhsa_exception_fp_ieee_overflow 0
		.amdhsa_exception_fp_ieee_underflow 0
		.amdhsa_exception_fp_ieee_inexact 0
		.amdhsa_exception_int_div_zero 0
	.end_amdhsa_kernel
	.section	.text._ZL23rocblas_gemvt_sn_kernelILb0ELi256ELi4ElfffEviiT4_lPKT3_lilS3_lilPT5_i,"axG",@progbits,_ZL23rocblas_gemvt_sn_kernelILb0ELi256ELi4ElfffEviiT4_lPKT3_lilS3_lilPT5_i,comdat
.Lfunc_end23:
	.size	_ZL23rocblas_gemvt_sn_kernelILb0ELi256ELi4ElfffEviiT4_lPKT3_lilS3_lilPT5_i, .Lfunc_end23-_ZL23rocblas_gemvt_sn_kernelILb0ELi256ELi4ElfffEviiT4_lPKT3_lilS3_lilPT5_i
                                        ; -- End function
	.set _ZL23rocblas_gemvt_sn_kernelILb0ELi256ELi4ElfffEviiT4_lPKT3_lilS3_lilPT5_i.num_vgpr, 59
	.set _ZL23rocblas_gemvt_sn_kernelILb0ELi256ELi4ElfffEviiT4_lPKT3_lilS3_lilPT5_i.num_agpr, 0
	.set _ZL23rocblas_gemvt_sn_kernelILb0ELi256ELi4ElfffEviiT4_lPKT3_lilS3_lilPT5_i.numbered_sgpr, 56
	.set _ZL23rocblas_gemvt_sn_kernelILb0ELi256ELi4ElfffEviiT4_lPKT3_lilS3_lilPT5_i.num_named_barrier, 0
	.set _ZL23rocblas_gemvt_sn_kernelILb0ELi256ELi4ElfffEviiT4_lPKT3_lilS3_lilPT5_i.private_seg_size, 0
	.set _ZL23rocblas_gemvt_sn_kernelILb0ELi256ELi4ElfffEviiT4_lPKT3_lilS3_lilPT5_i.uses_vcc, 1
	.set _ZL23rocblas_gemvt_sn_kernelILb0ELi256ELi4ElfffEviiT4_lPKT3_lilS3_lilPT5_i.uses_flat_scratch, 0
	.set _ZL23rocblas_gemvt_sn_kernelILb0ELi256ELi4ElfffEviiT4_lPKT3_lilS3_lilPT5_i.has_dyn_sized_stack, 0
	.set _ZL23rocblas_gemvt_sn_kernelILb0ELi256ELi4ElfffEviiT4_lPKT3_lilS3_lilPT5_i.has_recursion, 0
	.set _ZL23rocblas_gemvt_sn_kernelILb0ELi256ELi4ElfffEviiT4_lPKT3_lilS3_lilPT5_i.has_indirect_call, 0
	.section	.AMDGPU.csdata,"",@progbits
; Kernel info:
; codeLenInByte = 4200
; TotalNumSgprs: 58
; NumVgprs: 59
; ScratchSize: 0
; MemoryBound: 0
; FloatMode: 240
; IeeeMode: 1
; LDSByteSize: 128 bytes/workgroup (compile time only)
; SGPRBlocks: 0
; VGPRBlocks: 7
; NumSGPRsForWavesPerEU: 58
; NumVGPRsForWavesPerEU: 59
; Occupancy: 16
; WaveLimiterHint : 1
; COMPUTE_PGM_RSRC2:SCRATCH_EN: 0
; COMPUTE_PGM_RSRC2:USER_SGPR: 6
; COMPUTE_PGM_RSRC2:TRAP_HANDLER: 0
; COMPUTE_PGM_RSRC2:TGID_X_EN: 1
; COMPUTE_PGM_RSRC2:TGID_Y_EN: 0
; COMPUTE_PGM_RSRC2:TGID_Z_EN: 1
; COMPUTE_PGM_RSRC2:TIDIG_COMP_CNT: 0
	.section	.text._ZL36rocblas_gemvt_double_buffered_kernelILb0ELi128ELi8ELi8EfPKffEviiT4_lPKT3_lilS5_lilPT5_lili,"axG",@progbits,_ZL36rocblas_gemvt_double_buffered_kernelILb0ELi128ELi8ELi8EfPKffEviiT4_lPKT3_lilS5_lilPT5_lili,comdat
	.globl	_ZL36rocblas_gemvt_double_buffered_kernelILb0ELi128ELi8ELi8EfPKffEviiT4_lPKT3_lilS5_lilPT5_lili ; -- Begin function _ZL36rocblas_gemvt_double_buffered_kernelILb0ELi128ELi8ELi8EfPKffEviiT4_lPKT3_lilS5_lilPT5_lili
	.p2align	8
	.type	_ZL36rocblas_gemvt_double_buffered_kernelILb0ELi128ELi8ELi8EfPKffEviiT4_lPKT3_lilS5_lilPT5_lili,@function
_ZL36rocblas_gemvt_double_buffered_kernelILb0ELi128ELi8ELi8EfPKffEviiT4_lPKT3_lilS5_lilPT5_lili: ; @_ZL36rocblas_gemvt_double_buffered_kernelILb0ELi128ELi8ELi8EfPKffEviiT4_lPKT3_lilS5_lilPT5_lili
; %bb.0:
	s_load_dwordx8 s[12:19], s[4:5], 0x8
	s_waitcnt lgkmcnt(0)
	s_mul_i32 s0, s15, s8
	s_mul_hi_u32 s1, s14, s8
	s_add_i32 s1, s1, s0
	s_mul_i32 s0, s14, s8
	s_lshl_b64 s[0:1], s[0:1], 2
	s_add_u32 s0, s12, s0
	s_addc_u32 s1, s13, s1
	s_load_dword s9, s[0:1], 0x0
	s_waitcnt lgkmcnt(0)
	v_cmp_eq_f32_e64 s0, s9, 0
	s_and_b32 vcc_lo, exec_lo, s0
	s_cbranch_vccnz .LBB24_12
; %bb.1:
	s_clause 0x1
	s_load_dword s0, s[4:5], 0x84
	s_load_dword s1, s[4:5], 0x0
	s_waitcnt lgkmcnt(0)
	v_cvt_f32_u32_e32 v2, s0
	s_ashr_i32 s3, s1, 31
	s_sub_i32 s10, 0, s0
	s_lshr_b32 s3, s3, 25
	s_add_i32 s1, s1, s3
	v_rcp_iflag_f32_e32 v2, v2
	s_ashr_i32 s1, s1, 7
	v_mul_f32_e32 v2, 0x4f7ffffe, v2
	v_cvt_u32_f32_e32 v2, v2
	v_readfirstlane_b32 s2, v2
	s_mul_i32 s10, s10, s2
	s_mul_hi_u32 s3, s2, s10
	s_add_i32 s2, s2, s3
	s_mul_hi_u32 s2, s1, s2
	s_mul_i32 s3, s2, s0
	s_add_i32 s10, s2, 1
	s_sub_i32 s3, s1, s3
	s_sub_i32 s11, s3, s0
	s_cmp_ge_u32 s3, s0
	s_cselect_b32 s2, s10, s2
	s_cselect_b32 s3, s11, s3
	s_add_i32 s10, s2, 1
	s_cmp_ge_u32 s3, s0
	s_cselect_b32 s14, s10, s2
	s_mul_i32 s0, s14, s0
	s_sub_i32 s15, s1, s0
	s_cmp_lt_u32 s7, s15
	s_cselect_b32 s0, -1, 0
	s_cmp_lg_u32 s0, 0
	s_addc_u32 s24, s14, 0
	s_cmp_eq_u32 s24, 0
	s_cbranch_scc1 .LBB24_12
; %bb.2:
	s_clause 0x1
	s_load_dwordx4 s[0:3], s[4:5], 0x50
	s_load_dwordx2 s[12:13], s[4:5], 0x60
	v_lshl_add_u32 v4, v1, 7, v0
	v_and_b32_e32 v2, 63, v0
	s_lshl_b32 s10, s6, 7
	s_ashr_i32 s11, s10, 31
	v_lshrrev_b32_e32 v13, 3, v4
	v_lshlrev_b32_e32 v12, 2, v2
	s_cmp_lt_i32 s24, 1
	v_and_b32_e32 v14, 0x7ff8, v13
	s_cbranch_scc1 .LBB24_8
; %bb.3:
	v_cvt_f64_i32_e32 v[5:6], s7
	v_cvt_f64_u32_e32 v[7:8], s15
	s_mul_i32 s14, s14, s7
	s_load_dwordx4 s[28:31], s[4:5], 0x30
	v_cvt_f64_u32_e32 v[9:10], s14
	s_clause 0x2
	s_load_dword s20, s[4:5], 0x28
	s_load_dword s14, s[4:5], 0x48
	s_load_dwordx2 s[6:7], s[4:5], 0x40
	s_waitcnt lgkmcnt(0)
	s_mul_i32 s1, s1, s8
	s_mul_hi_u32 s25, s0, s8
	v_mov_b32_e32 v3, 0
	s_mul_i32 s0, s0, s8
	v_lshrrev_b32_e32 v4, 1, v4
	v_mov_b32_e32 v39, v3
	v_mov_b32_e32 v37, v3
	v_and_b32_e32 v4, 0x1ffe0, v4
	v_mov_b32_e32 v38, v3
	s_mul_i32 s15, s29, s8
	v_min_f64 v[5:6], v[5:6], v[7:8]
	s_mul_hi_u32 s21, s28, s8
	s_mul_i32 s22, s28, s8
	s_add_i32 s23, s21, s15
	s_ashr_i32 s21, s20, 31
	s_lshl_b64 s[22:23], s[22:23], 2
	s_ashr_i32 s15, s14, 31
	s_add_u32 s26, s16, s22
	s_addc_u32 s27, s17, s23
	s_lshl_b64 s[28:29], s[18:19], 2
	s_mul_hi_i32 s19, s20, s10
	s_add_u32 s33, s26, s28
	s_addc_u32 s27, s27, s29
	s_add_i32 s1, s25, s1
	s_mul_i32 s18, s20, s10
	s_lshl_b64 s[0:1], s[0:1], 2
	s_add_u32 s25, s30, s0
	s_addc_u32 s26, s31, s1
	s_lshl_b64 s[0:1], s[6:7], 2
	s_add_u32 s25, s25, s0
	v_add_f64 v[5:6], v[5:6], v[9:10]
	s_addc_u32 s26, s26, s1
	s_lshl_b64 s[0:1], s[18:19], 2
	s_add_u32 s7, s33, s0
	s_addc_u32 s27, s27, s1
	v_cvt_i32_f64_e32 v7, v[5:6]
	v_mad_i64_i32 v[5:6], null, s20, v14, v[2:3]
	v_lshlrev_b64 v[5:6], 2, v[5:6]
	v_readfirstlane_b32 s6, v7
	s_lshl_b32 s0, s6, 7
	s_ashr_i32 s1, s0, 31
	s_lshl_b64 s[18:19], s[0:1], 2
	s_add_u32 s0, s7, s18
	s_addc_u32 s1, s27, s19
	v_add_co_u32 v5, vcc_lo, s0, v5
	v_add_co_ci_u32_e64 v6, null, s1, v6, vcc_lo
	s_lshl_b64 s[0:1], s[20:21], 2
	s_lshl_b64 s[30:31], s[10:11], 2
	v_add_co_u32 v7, vcc_lo, v5, s0
	v_add_co_ci_u32_e64 v8, null, s1, v6, vcc_lo
	v_add_co_u32 v33, s11, v4, s30
	v_add_co_u32 v9, vcc_lo, v7, s0
	v_add_co_ci_u32_e64 v10, null, s1, v8, vcc_lo
	s_add_i32 s27, s24, -1
	v_add_co_u32 v15, vcc_lo, v9, s0
	v_add_co_ci_u32_e64 v16, null, s1, v10, vcc_lo
	s_lshl_b64 s[6:7], s[14:15], 9
	v_add_co_u32 v17, vcc_lo, v15, s0
	v_add_co_ci_u32_e64 v18, null, s1, v16, vcc_lo
	v_add_co_ci_u32_e64 v34, null, 0, s31, s11
	v_add_co_u32 v26, vcc_lo, v17, s0
	v_add_co_ci_u32_e64 v27, null, s1, v18, vcc_lo
	s_add_u32 s11, s16, s18
	v_add_co_u32 v28, vcc_lo, v26, s0
	v_add_co_ci_u32_e64 v29, null, s1, v27, vcc_lo
	s_addc_u32 s16, s17, s19
	v_add_co_u32 v30, vcc_lo, v28, s0
	v_add_co_ci_u32_e64 v31, null, s1, v29, vcc_lo
	s_clause 0x5
	global_load_dword v19, v[5:6], off
	global_load_dword v21, v[7:8], off
	;; [unrolled: 1-line block ×8, first 2 shown]
	s_add_u32 s11, s11, s28
	v_add_co_u32 v8, vcc_lo, v33, 4
	s_addc_u32 s17, s16, s29
	s_add_u32 s16, s11, s22
	v_add_co_ci_u32_e64 v9, null, 0, v34, vcc_lo
	s_addc_u32 s17, s17, s23
	v_mul_lo_u32 v10, v33, s21
	v_mad_u64_u32 v[4:5], null, v33, s20, s[16:17]
	v_mul_lo_u32 v11, v34, s20
	v_add_co_u32 v17, vcc_lo, v33, 8
	v_mad_u64_u32 v[6:7], null, v8, s20, s[16:17]
	v_mul_lo_u32 v15, v8, s21
	v_mul_lo_u32 v16, v9, s20
	v_add_co_ci_u32_e64 v18, null, 0, v34, vcc_lo
	v_mad_u64_u32 v[8:9], null, v17, s20, s[16:17]
	v_mul_lo_u32 v17, v17, s21
	v_mul_lo_u32 v18, v18, s20
	v_add3_u32 v5, v11, v5, v10
	v_add_co_u32 v11, vcc_lo, v33, 12
	v_add3_u32 v7, v16, v7, v15
	v_add_co_ci_u32_e64 v15, null, 0, v34, vcc_lo
	s_mul_i32 s11, s19, s14
	v_add3_u32 v18, v18, v9, v17
	v_mad_u64_u32 v[9:10], null, v11, s20, s[16:17]
	v_mul_lo_u32 v11, v11, s21
	v_mul_lo_u32 v20, v15, s20
	v_add_co_u32 v15, vcc_lo, 0x200, v6
	v_add_co_ci_u32_e64 v16, null, 0, v7, vcc_lo
	v_add_co_u32 v17, vcc_lo, 0x200, v8
	v_add_co_ci_u32_e64 v18, null, 0, v18, vcc_lo
	v_add_co_u32 v8, vcc_lo, v33, 16
	v_add3_u32 v22, v20, v10, v11
	v_add_co_ci_u32_e64 v10, null, 0, v34, vcc_lo
	v_mad_u64_u32 v[6:7], null, v8, s20, s[16:17]
	v_mul_lo_u32 v8, v8, s21
	v_mul_lo_u32 v30, v10, s20
	v_add_co_u32 v20, vcc_lo, v33, 20
	v_add_co_ci_u32_e64 v29, null, 0, v34, vcc_lo
	v_mad_u64_u32 v[10:11], null, v20, s20, s[16:17]
	v_mul_lo_u32 v31, v20, s21
	v_add_co_u32 v20, vcc_lo, 0x200, v9
	v_add_co_ci_u32_e64 v22, null, 0, v22, vcc_lo
	v_add3_u32 v9, v30, v7, v8
	v_add_co_u32 v30, vcc_lo, v33, 24
	v_mul_lo_u32 v29, v29, s20
	v_add_co_ci_u32_e64 v32, null, 0, v34, vcc_lo
	v_mad_u64_u32 v[7:8], null, v30, s20, s[16:17]
	v_mul_lo_u32 v35, v30, s21
	v_mul_lo_u32 v36, v32, s20
	v_add3_u32 v11, v29, v11, v31
	v_add_co_u32 v29, vcc_lo, 0x200, v6
	v_add_co_ci_u32_e64 v30, null, 0, v9, vcc_lo
	v_add_co_u32 v31, vcc_lo, 0x200, v10
	v_add_co_ci_u32_e64 v32, null, 0, v11, vcc_lo
	v_add3_u32 v6, v36, v8, v35
	v_add_co_u32 v8, vcc_lo, v33, 28
	v_add_co_ci_u32_e64 v9, null, 0, v34, vcc_lo
	v_or_b32_e32 v33, s18, v12
	v_mad_u64_u32 v[10:11], null, v8, s20, s[16:17]
	v_mul_lo_u32 v34, v8, s21
	v_mul_lo_u32 v35, v9, s20
	v_or_b32_e32 v8, 0x100, v33
	v_add_co_u32 v40, vcc_lo, 0x200, v7
	v_add_co_ci_u32_e64 v41, null, 0, v6, vcc_lo
	v_mul_lo_u32 v36, v33, s15
	v_mad_u64_u32 v[6:7], null, v33, s14, 0
	v_mul_lo_u32 v33, v8, s15
	v_mad_u64_u32 v[8:9], null, v8, s14, 0
	v_add3_u32 v11, v35, v11, v34
	v_add_co_u32 v42, vcc_lo, 0x200, v10
	v_add3_u32 v7, v7, v36, s11
	v_mov_b32_e32 v35, v3
	v_add_co_ci_u32_e64 v43, null, 0, v11, vcc_lo
	v_add3_u32 v9, v9, v33, s11
	v_mov_b32_e32 v36, v3
	v_mov_b32_e32 v34, v3
	;; [unrolled: 1-line block ×3, first 2 shown]
	s_mov_b32 s11, 0
	s_waitcnt vmcnt(7)
	v_mov_b32_e32 v44, v19
	s_waitcnt vmcnt(6)
	v_mov_b32_e32 v45, v21
	;; [unrolled: 2-line block ×8, first 2 shown]
.LBB24_4:                               ; =>This Inner Loop Header: Depth=1
	v_add_co_u32 v10, vcc_lo, v4, v12
	v_add_co_ci_u32_e64 v11, null, 0, v5, vcc_lo
	s_cmp_lg_u32 s27, s11
	v_add_co_u32 v53, vcc_lo, 0x100, v10
	v_add_co_ci_u32_e64 v55, null, 0, v11, vcc_lo
	global_load_dword v52, v[10:11], off offset:256
	v_add_co_u32 v54, vcc_lo, v53, s0
	v_add_co_ci_u32_e64 v55, null, s1, v55, vcc_lo
	v_add_co_u32 v56, vcc_lo, v54, s0
	v_add_co_ci_u32_e64 v57, null, s1, v55, vcc_lo
	s_clause 0x1
	global_load_dword v53, v[54:55], off
	global_load_dword v54, v[56:57], off
	v_add_co_u32 v56, vcc_lo, v56, s0
	v_add_co_ci_u32_e64 v57, null, s1, v57, vcc_lo
	v_add_co_u32 v58, vcc_lo, v56, s0
	v_add_co_ci_u32_e64 v59, null, s1, v57, vcc_lo
	s_clause 0x1
	global_load_dword v55, v[56:57], off
	global_load_dword v56, v[58:59], off
	v_add_co_u32 v58, vcc_lo, v58, s0
	v_add_co_ci_u32_e64 v59, null, s1, v59, vcc_lo
	v_add_co_u32 v60, vcc_lo, v58, s0
	v_add_co_ci_u32_e64 v61, null, s1, v59, vcc_lo
	global_load_dword v57, v[58:59], off
	v_add_co_u32 v59, vcc_lo, v60, s0
	global_load_dword v58, v[60:61], off
	v_add_co_ci_u32_e64 v60, null, s1, v61, vcc_lo
	global_load_dword v59, v[59:60], off
	v_add_co_u32 v60, vcc_lo, s25, v6
	v_add_co_ci_u32_e64 v61, null, s26, v7, vcc_lo
	global_load_dword v60, v[60:61], off
	s_cbranch_scc0 .LBB24_6
; %bb.5:                                ;   in Loop: Header=BB24_4 Depth=1
	global_load_dword v44, v[10:11], off offset:512
	v_add_co_u32 v10, vcc_lo, v15, v12
	v_add_co_ci_u32_e64 v11, null, 0, v16, vcc_lo
	global_load_dword v45, v[10:11], off
	v_add_co_u32 v10, vcc_lo, v17, v12
	v_add_co_ci_u32_e64 v11, null, 0, v18, vcc_lo
	global_load_dword v46, v[10:11], off
	;; [unrolled: 3-line block ×7, first 2 shown]
.LBB24_6:                               ;   in Loop: Header=BB24_4 Depth=1
	v_add_co_u32 v10, vcc_lo, s25, v8
	v_add_co_ci_u32_e64 v11, null, s26, v9, vcc_lo
	v_add_co_u32 v4, vcc_lo, 0x200, v4
	v_add_co_ci_u32_e64 v5, null, 0, v5, vcc_lo
	global_load_dword v10, v[10:11], off
	v_add_co_u32 v15, vcc_lo, 0x200, v15
	v_add_co_ci_u32_e64 v16, null, 0, v16, vcc_lo
	v_add_co_u32 v17, vcc_lo, 0x200, v17
	v_add_co_ci_u32_e64 v18, null, 0, v18, vcc_lo
	;; [unrolled: 2-line block ×4, first 2 shown]
	v_add_co_u32 v31, vcc_lo, 0x200, v31
	s_waitcnt vmcnt(1)
	v_fmac_f32_e32 v3, v19, v60
	v_fmac_f32_e32 v39, v21, v60
	;; [unrolled: 1-line block ×8, first 2 shown]
	v_add_co_ci_u32_e64 v32, null, 0, v32, vcc_lo
	v_add_co_u32 v40, vcc_lo, 0x200, v40
	v_add_co_ci_u32_e64 v41, null, 0, v41, vcc_lo
	v_add_co_u32 v42, vcc_lo, 0x200, v42
	s_add_i32 s11, s11, 1
	v_add_co_ci_u32_e64 v43, null, 0, v43, vcc_lo
	s_add_u32 s25, s25, s6
	s_addc_u32 s26, s26, s7
	s_cmp_ge_i32 s11, s24
	s_waitcnt vmcnt(0)
	v_fmac_f32_e32 v3, v52, v10
	v_fmac_f32_e32 v39, v53, v10
	;; [unrolled: 1-line block ×8, first 2 shown]
	s_cbranch_scc1 .LBB24_9
; %bb.7:                                ;   in Loop: Header=BB24_4 Depth=1
	v_mov_b32_e32 v19, v44
	v_mov_b32_e32 v21, v45
	;; [unrolled: 1-line block ×8, first 2 shown]
	s_branch .LBB24_4
.LBB24_8:
	v_mov_b32_e32 v33, 0
	v_mov_b32_e32 v34, 0
	;; [unrolled: 1-line block ×8, first 2 shown]
.LBB24_9:
	v_lshlrev_b32_e32 v4, 8, v13
	v_lshl_or_b32 v5, v14, 8, v12
	v_cmp_eq_u32_e32 vcc_lo, 0, v1
	s_mov_b32 s6, 0
	v_or3_b32 v1, v4, v12, 0x700
	ds_write2st64_b32 v5, v3, v39 offset1:1
	ds_write2st64_b32 v5, v37, v38 offset0:2 offset1:3
	ds_write2st64_b32 v5, v35, v36 offset0:4 offset1:5
	ds_write_b32 v5, v34 offset:1536
	ds_write_b32 v1, v33
	s_waitcnt lgkmcnt(0)
	s_barrier
	buffer_gl0_inv
	s_and_saveexec_b32 s0, vcc_lo
	s_cbranch_execz .LBB24_12
; %bb.10:
	v_lshlrev_b32_e32 v5, 8, v0
	v_add_nc_u32_e32 v1, 1, v0
	v_add_nc_u32_e32 v3, 2, v0
	;; [unrolled: 1-line block ×4, first 2 shown]
	v_lshl_or_b32 v6, v2, 2, v5
	v_and_b32_e32 v1, 63, v1
	v_and_b32_e32 v3, 63, v3
	v_add_nc_u32_e32 v8, 5, v0
	v_add_nc_u32_e32 v9, 6, v0
	ds_read_b32 v6, v6
	v_lshl_or_b32 v1, v1, 2, v5
	v_lshl_or_b32 v3, v3, 2, v5
	v_add_nc_u32_e32 v10, 7, v0
	v_and_b32_e32 v4, 63, v4
	ds_read_b32 v1, v1
	ds_read_b32 v3, v3
	v_and_b32_e32 v7, 63, v7
	v_and_b32_e32 v8, 63, v8
	;; [unrolled: 1-line block ×4, first 2 shown]
	v_lshl_or_b32 v4, v4, 2, v5
	v_lshl_or_b32 v7, v7, 2, v5
	;; [unrolled: 1-line block ×5, first 2 shown]
	ds_read_b32 v4, v4
	ds_read_b32 v7, v7
	;; [unrolled: 1-line block ×5, first 2 shown]
	v_add_nc_u32_e32 v11, 8, v0
	v_add_nc_u32_e32 v12, 9, v0
	;; [unrolled: 1-line block ×3, first 2 shown]
	s_waitcnt lgkmcnt(7)
	v_add_f32_e32 v6, 0, v6
	v_add_nc_u32_e32 v14, 12, v0
	v_add_nc_u32_e32 v15, 13, v0
	v_and_b32_e32 v12, 63, v12
	v_and_b32_e32 v13, 63, v13
	s_waitcnt lgkmcnt(6)
	v_add_f32_e32 v1, v6, v1
	v_add_nc_u32_e32 v6, 11, v0
	v_add_nc_u32_e32 v16, 14, v0
	v_lshl_or_b32 v12, v12, 2, v5
	v_lshl_or_b32 v13, v13, 2, v5
	s_waitcnt lgkmcnt(5)
	v_add_f32_e32 v1, v1, v3
	v_and_b32_e32 v3, 63, v11
	v_add_nc_u32_e32 v11, 15, v0
	v_xor_b32_e32 v2, 32, v2
	s_waitcnt lgkmcnt(4)
	v_add_f32_e32 v1, v1, v4
	v_lshl_or_b32 v3, v3, 2, v5
	v_and_b32_e32 v4, 63, v6
	v_and_b32_e32 v6, 63, v14
	;; [unrolled: 1-line block ×3, first 2 shown]
	s_waitcnt lgkmcnt(3)
	v_add_f32_e32 v1, v1, v7
	ds_read_b32 v3, v3
	v_and_b32_e32 v7, 63, v15
	v_and_b32_e32 v11, 63, v11
	v_lshl_or_b32 v4, v4, 2, v5
	s_waitcnt lgkmcnt(3)
	v_add_f32_e32 v1, v1, v8
	ds_read_b32 v8, v12
	v_lshl_or_b32 v6, v6, 2, v5
	v_lshl_or_b32 v7, v7, 2, v5
	;; [unrolled: 1-line block ×3, first 2 shown]
	s_waitcnt lgkmcnt(3)
	v_add_f32_e32 v1, v1, v9
	ds_read_b32 v9, v13
	v_lshl_or_b32 v12, v14, 2, v5
	v_add_nc_u32_e32 v13, 19, v0
	v_add_nc_u32_e32 v14, 21, v0
	s_waitcnt lgkmcnt(3)
	v_add_f32_e32 v1, v1, v10
	ds_read_b32 v4, v4
	ds_read_b32 v6, v6
	;; [unrolled: 1-line block ×5, first 2 shown]
	v_add_nc_u32_e32 v12, 18, v0
	s_clause 0x1
	s_load_dwordx2 s[0:1], s[4:5], 0x70
	s_load_dword s4, s[4:5], 0x68
	v_add_nc_u32_e32 v15, 22, v0
	v_add_nc_u32_e32 v16, 23, v0
	s_waitcnt lgkmcnt(0)
	v_add_f32_e32 v1, v1, v3
	v_add_nc_u32_e32 v3, 16, v0
	v_lshl_or_b32 v2, v2, 2, v5
	v_add_f32_e32 v1, v1, v8
	v_add_nc_u32_e32 v8, 17, v0
	v_and_b32_e32 v3, 63, v3
	v_add_f32_e32 v1, v1, v9
	v_add_nc_u32_e32 v9, 20, v0
	v_lshl_or_b32 v3, v3, 2, v5
	v_add_f32_e32 v1, v1, v4
	v_and_b32_e32 v4, 63, v8
	v_and_b32_e32 v8, 63, v12
	;; [unrolled: 1-line block ×3, first 2 shown]
	s_mul_i32 s1, s1, s8
	v_add_f32_e32 v1, v1, v6
	v_lshl_or_b32 v4, v4, 2, v5
	v_lshl_or_b32 v6, v8, 2, v5
	v_and_b32_e32 v8, 63, v14
	s_mul_hi_u32 s5, s0, s8
	v_add_f32_e32 v1, v1, v7
	ds_read_b32 v3, v3
	ds_read_b32 v7, v4
	;; [unrolled: 1-line block ×3, first 2 shown]
	v_and_b32_e32 v4, 63, v9
	v_and_b32_e32 v9, 63, v15
	v_lshl_or_b32 v8, v8, 2, v5
	v_add_f32_e32 v1, v1, v10
	v_and_b32_e32 v10, 63, v16
	v_lshl_or_b32 v4, v4, 2, v5
	v_lshl_or_b32 v9, v9, 2, v5
	s_mul_i32 s0, s0, s8
	v_add_f32_e32 v1, v1, v11
	v_lshl_or_b32 v11, v12, 2, v5
	v_lshl_or_b32 v10, v10, 2, v5
	s_add_i32 s1, s5, s1
	ds_read_b32 v11, v11
	ds_read_b32 v12, v4
	ds_read_b32 v8, v8
	ds_read_b32 v9, v9
	ds_read_b32 v10, v10
	s_lshl_b64 s[0:1], s[0:1], 2
	v_add_nc_u32_e32 v13, 30, v0
	s_waitcnt lgkmcnt(7)
	v_add_f32_e32 v1, v1, v3
	v_mad_i64_i32 v[3:4], null, s4, v0, 0
	s_add_u32 s5, s2, s0
	s_addc_u32 s2, s3, s1
	s_lshl_b64 s[0:1], s[12:13], 2
	s_waitcnt lgkmcnt(6)
	v_add_f32_e32 v1, v1, v7
	s_add_u32 s3, s5, s0
	s_mul_hi_i32 s5, s4, s10
	s_mul_i32 s4, s4, s10
	v_lshlrev_b64 v[3:4], 2, v[3:4]
	s_addc_u32 s2, s2, s1
	s_lshl_b64 s[0:1], s[4:5], 2
	s_waitcnt lgkmcnt(5)
	v_add_f32_e32 v1, v1, v6
	s_add_u32 s0, s3, s0
	s_addc_u32 s1, s2, s1
	v_add_co_u32 v3, vcc_lo, s0, v3
	s_waitcnt lgkmcnt(4)
	v_add_f32_e32 v1, v1, v11
	v_add_co_ci_u32_e64 v4, null, s1, v4, vcc_lo
	v_add_nc_u32_e32 v7, 24, v0
	v_add_nc_u32_e32 v11, 25, v0
	s_waitcnt lgkmcnt(3)
	v_add_f32_e32 v6, v1, v12
	global_load_dword v1, v[3:4], off
	v_add_nc_u32_e32 v12, 26, v0
	v_and_b32_e32 v7, 63, v7
	v_add_nc_u32_e32 v14, 31, v0
	s_waitcnt lgkmcnt(2)
	v_add_f32_e32 v6, v6, v8
	v_and_b32_e32 v8, 63, v11
	v_and_b32_e32 v11, 63, v12
	v_lshl_or_b32 v7, v7, 2, v5
	v_add_nc_u32_e32 v12, 29, v0
	s_waitcnt lgkmcnt(1)
	v_add_f32_e32 v6, v6, v9
	v_lshl_or_b32 v8, v8, 2, v5
	v_lshl_or_b32 v9, v11, 2, v5
	ds_read_b32 v7, v7
	ds_read_b32 v8, v8
	;; [unrolled: 1-line block ×3, first 2 shown]
	s_waitcnt lgkmcnt(3)
	v_add_f32_e32 v6, v6, v10
	v_add_nc_u32_e32 v10, 27, v0
	v_add_nc_u32_e32 v11, 28, v0
	v_and_b32_e32 v12, 63, v12
	v_and_b32_e32 v13, 63, v13
	;; [unrolled: 1-line block ×5, first 2 shown]
	v_lshl_or_b32 v12, v12, 2, v5
	v_lshl_or_b32 v13, v13, 2, v5
	v_lshl_or_b32 v14, v14, 2, v5
	v_lshl_or_b32 v10, v10, 2, v5
	v_lshl_or_b32 v11, v11, 2, v5
	ds_read_b32 v10, v10
	ds_read_b32 v11, v11
	;; [unrolled: 1-line block ×5, first 2 shown]
	s_waitcnt lgkmcnt(7)
	v_add_f32_e32 v6, v6, v7
	v_add_nc_u32_e32 v7, 33, v0
	s_waitcnt lgkmcnt(6)
	v_add_f32_e32 v6, v6, v8
	v_add_nc_u32_e32 v8, 34, v0
	v_and_b32_e32 v7, 63, v7
	s_waitcnt lgkmcnt(5)
	v_add_f32_e32 v6, v6, v9
	v_and_b32_e32 v8, 63, v8
	v_lshl_or_b32 v7, v7, 2, v5
	v_add_nc_u32_e32 v9, 35, v0
	s_waitcnt lgkmcnt(4)
	v_add_f32_e32 v6, v6, v10
	v_lshl_or_b32 v8, v8, 2, v5
	ds_read_b32 v2, v2
	ds_read_b32 v7, v7
	;; [unrolled: 1-line block ×3, first 2 shown]
	s_waitcnt lgkmcnt(6)
	v_add_f32_e32 v6, v6, v11
	v_add_nc_u32_e32 v10, 36, v0
	v_add_nc_u32_e32 v11, 37, v0
	v_and_b32_e32 v9, 63, v9
	s_waitcnt lgkmcnt(5)
	v_add_f32_e32 v6, v6, v12
	v_add_nc_u32_e32 v12, 38, v0
	v_and_b32_e32 v10, 63, v10
	v_and_b32_e32 v11, 63, v11
	v_lshl_or_b32 v9, v9, 2, v5
	s_waitcnt lgkmcnt(4)
	v_add_f32_e32 v6, v6, v13
	v_add_nc_u32_e32 v13, 39, v0
	v_and_b32_e32 v12, 63, v12
	v_lshl_or_b32 v10, v10, 2, v5
	v_lshl_or_b32 v11, v11, 2, v5
	s_waitcnt lgkmcnt(3)
	v_add_f32_e32 v6, v6, v14
	v_and_b32_e32 v13, 63, v13
	v_lshl_or_b32 v12, v12, 2, v5
	s_waitcnt lgkmcnt(2)
	v_add_f32_e32 v2, v6, v2
	v_lshl_or_b32 v13, v13, 2, v5
	ds_read_b32 v9, v9
	ds_read_b32 v10, v10
	ds_read_b32 v11, v11
	ds_read_b32 v12, v12
	ds_read_b32 v13, v13
	v_add_nc_u32_e32 v6, 40, v0
	s_waitcnt lgkmcnt(6)
	v_add_f32_e32 v2, v2, v7
	v_add_nc_u32_e32 v7, 41, v0
	v_and_b32_e32 v6, 63, v6
	s_waitcnt lgkmcnt(5)
	v_add_f32_e32 v2, v2, v8
	v_add_nc_u32_e32 v8, 42, v0
	v_and_b32_e32 v7, 63, v7
	v_lshl_or_b32 v6, v6, 2, v5
	v_and_b32_e32 v8, 63, v8
	v_lshl_or_b32 v7, v7, 2, v5
	s_waitcnt lgkmcnt(4)
	v_add_f32_e32 v2, v2, v9
	v_add_nc_u32_e32 v9, 43, v0
	v_lshl_or_b32 v8, v8, 2, v5
	ds_read_b32 v6, v6
	ds_read_b32 v7, v7
	;; [unrolled: 1-line block ×3, first 2 shown]
	s_waitcnt lgkmcnt(6)
	v_add_f32_e32 v2, v2, v10
	v_add_nc_u32_e32 v10, 44, v0
	v_and_b32_e32 v9, 63, v9
	s_waitcnt lgkmcnt(5)
	v_add_f32_e32 v2, v2, v11
	v_add_nc_u32_e32 v11, 45, v0
	v_and_b32_e32 v10, 63, v10
	v_lshl_or_b32 v9, v9, 2, v5
	s_waitcnt lgkmcnt(4)
	v_add_f32_e32 v2, v2, v12
	v_add_nc_u32_e32 v12, 46, v0
	v_and_b32_e32 v11, 63, v11
	v_lshl_or_b32 v10, v10, 2, v5
	;; [unrolled: 5-line block ×3, first 2 shown]
	s_waitcnt lgkmcnt(2)
	v_add_f32_e32 v2, v2, v6
	v_and_b32_e32 v13, 63, v13
	v_lshl_or_b32 v12, v12, 2, v5
	v_add_nc_u32_e32 v6, 48, v0
	s_waitcnt lgkmcnt(1)
	v_add_f32_e32 v2, v2, v7
	v_lshl_or_b32 v13, v13, 2, v5
	ds_read_b32 v9, v9
	ds_read_b32 v10, v10
	;; [unrolled: 1-line block ×5, first 2 shown]
	v_add_nc_u32_e32 v7, 49, v0
	v_and_b32_e32 v6, 63, v6
	s_waitcnt lgkmcnt(5)
	v_add_f32_e32 v2, v2, v8
	v_add_nc_u32_e32 v8, 50, v0
	v_and_b32_e32 v7, 63, v7
	v_lshl_or_b32 v6, v6, 2, v5
	v_and_b32_e32 v8, 63, v8
	v_lshl_or_b32 v7, v7, 2, v5
	v_lshl_or_b32 v8, v8, 2, v5
	ds_read_b32 v6, v6
	ds_read_b32 v7, v7
	;; [unrolled: 1-line block ×3, first 2 shown]
	s_waitcnt lgkmcnt(7)
	v_add_f32_e32 v2, v2, v9
	v_add_nc_u32_e32 v9, 51, v0
	s_waitcnt lgkmcnt(6)
	v_add_f32_e32 v2, v2, v10
	v_add_nc_u32_e32 v10, 52, v0
	v_and_b32_e32 v9, 63, v9
	s_waitcnt lgkmcnt(5)
	v_add_f32_e32 v2, v2, v11
	v_add_nc_u32_e32 v11, 53, v0
	v_and_b32_e32 v10, 63, v10
	v_lshl_or_b32 v9, v9, 2, v5
	s_waitcnt lgkmcnt(4)
	v_add_f32_e32 v2, v2, v12
	v_add_nc_u32_e32 v12, 54, v0
	v_and_b32_e32 v11, 63, v11
	v_lshl_or_b32 v10, v10, 2, v5
	;; [unrolled: 5-line block ×3, first 2 shown]
	s_waitcnt lgkmcnt(2)
	v_add_f32_e32 v2, v2, v6
	v_and_b32_e32 v13, 63, v13
	v_lshl_or_b32 v12, v12, 2, v5
	v_add_nc_u32_e32 v6, 56, v0
	s_waitcnt lgkmcnt(1)
	v_add_f32_e32 v2, v2, v7
	v_lshl_or_b32 v13, v13, 2, v5
	ds_read_b32 v9, v9
	ds_read_b32 v10, v10
	;; [unrolled: 1-line block ×5, first 2 shown]
	v_add_nc_u32_e32 v7, 57, v0
	v_and_b32_e32 v6, 63, v6
	s_waitcnt lgkmcnt(5)
	v_add_f32_e32 v2, v2, v8
	v_add_nc_u32_e32 v8, 58, v0
	v_and_b32_e32 v7, 63, v7
	v_lshl_or_b32 v6, v6, 2, v5
	v_and_b32_e32 v8, 63, v8
	v_lshl_or_b32 v7, v7, 2, v5
	v_lshl_or_b32 v8, v8, 2, v5
	ds_read_b32 v6, v6
	ds_read_b32 v7, v7
	;; [unrolled: 1-line block ×3, first 2 shown]
	s_waitcnt lgkmcnt(7)
	v_add_f32_e32 v2, v2, v9
	v_add_nc_u32_e32 v9, 59, v0
	s_waitcnt lgkmcnt(6)
	v_add_f32_e32 v2, v2, v10
	v_add_nc_u32_e32 v10, 60, v0
	v_and_b32_e32 v9, 63, v9
	s_waitcnt lgkmcnt(5)
	v_add_f32_e32 v2, v2, v11
	v_add_nc_u32_e32 v11, 61, v0
	v_and_b32_e32 v10, 63, v10
	v_lshl_or_b32 v9, v9, 2, v5
	s_waitcnt lgkmcnt(4)
	v_add_f32_e32 v2, v2, v12
	v_add_nc_u32_e32 v12, 62, v0
	v_add_nc_u32_e32 v0, -1, v0
	v_and_b32_e32 v11, 63, v11
	v_lshl_or_b32 v10, v10, 2, v5
	s_waitcnt lgkmcnt(3)
	v_add_f32_e32 v2, v2, v13
	v_and_b32_e32 v12, 63, v12
	v_and_b32_e32 v0, 63, v0
	v_lshl_or_b32 v11, v11, 2, v5
	s_waitcnt lgkmcnt(2)
	v_add_f32_e32 v2, v2, v6
	v_lshl_or_b32 v12, v12, 2, v5
	v_lshl_or_b32 v0, v0, 2, v5
	ds_read_b32 v5, v9
	ds_read_b32 v9, v10
	;; [unrolled: 1-line block ×5, first 2 shown]
	s_waitcnt lgkmcnt(6)
	v_add_f32_e32 v2, v2, v7
	s_waitcnt lgkmcnt(5)
	v_add_f32_e32 v2, v2, v8
	;; [unrolled: 2-line block ×7, first 2 shown]
	v_mul_f32_e32 v2, s9, v0
.LBB24_11:                              ; =>This Inner Loop Header: Depth=1
	s_waitcnt vmcnt(0)
	v_add_f32_e32 v0, v1, v2
	global_atomic_cmpswap v0, v[3:4], v[0:1], off glc
	s_waitcnt vmcnt(0)
	v_cmp_eq_u32_e32 vcc_lo, v0, v1
	v_mov_b32_e32 v1, v0
	s_or_b32 s6, vcc_lo, s6
	s_andn2_b32 exec_lo, exec_lo, s6
	s_cbranch_execnz .LBB24_11
.LBB24_12:
	s_endpgm
	.section	.rodata,"a",@progbits
	.p2align	6, 0x0
	.amdhsa_kernel _ZL36rocblas_gemvt_double_buffered_kernelILb0ELi128ELi8ELi8EfPKffEviiT4_lPKT3_lilS5_lilPT5_lili
		.amdhsa_group_segment_fixed_size 32768
		.amdhsa_private_segment_fixed_size 0
		.amdhsa_kernarg_size 384
		.amdhsa_user_sgpr_count 6
		.amdhsa_user_sgpr_private_segment_buffer 1
		.amdhsa_user_sgpr_dispatch_ptr 0
		.amdhsa_user_sgpr_queue_ptr 0
		.amdhsa_user_sgpr_kernarg_segment_ptr 1
		.amdhsa_user_sgpr_dispatch_id 0
		.amdhsa_user_sgpr_flat_scratch_init 0
		.amdhsa_user_sgpr_private_segment_size 0
		.amdhsa_wavefront_size32 1
		.amdhsa_uses_dynamic_stack 0
		.amdhsa_system_sgpr_private_segment_wavefront_offset 0
		.amdhsa_system_sgpr_workgroup_id_x 1
		.amdhsa_system_sgpr_workgroup_id_y 1
		.amdhsa_system_sgpr_workgroup_id_z 1
		.amdhsa_system_sgpr_workgroup_info 0
		.amdhsa_system_vgpr_workitem_id 1
		.amdhsa_next_free_vgpr 62
		.amdhsa_next_free_sgpr 34
		.amdhsa_reserve_vcc 1
		.amdhsa_reserve_flat_scratch 0
		.amdhsa_float_round_mode_32 0
		.amdhsa_float_round_mode_16_64 0
		.amdhsa_float_denorm_mode_32 3
		.amdhsa_float_denorm_mode_16_64 3
		.amdhsa_dx10_clamp 1
		.amdhsa_ieee_mode 1
		.amdhsa_fp16_overflow 0
		.amdhsa_workgroup_processor_mode 1
		.amdhsa_memory_ordered 1
		.amdhsa_forward_progress 1
		.amdhsa_shared_vgpr_count 0
		.amdhsa_exception_fp_ieee_invalid_op 0
		.amdhsa_exception_fp_denorm_src 0
		.amdhsa_exception_fp_ieee_div_zero 0
		.amdhsa_exception_fp_ieee_overflow 0
		.amdhsa_exception_fp_ieee_underflow 0
		.amdhsa_exception_fp_ieee_inexact 0
		.amdhsa_exception_int_div_zero 0
	.end_amdhsa_kernel
	.section	.text._ZL36rocblas_gemvt_double_buffered_kernelILb0ELi128ELi8ELi8EfPKffEviiT4_lPKT3_lilS5_lilPT5_lili,"axG",@progbits,_ZL36rocblas_gemvt_double_buffered_kernelILb0ELi128ELi8ELi8EfPKffEviiT4_lPKT3_lilS5_lilPT5_lili,comdat
.Lfunc_end24:
	.size	_ZL36rocblas_gemvt_double_buffered_kernelILb0ELi128ELi8ELi8EfPKffEviiT4_lPKT3_lilS5_lilPT5_lili, .Lfunc_end24-_ZL36rocblas_gemvt_double_buffered_kernelILb0ELi128ELi8ELi8EfPKffEviiT4_lPKT3_lilS5_lilPT5_lili
                                        ; -- End function
	.set _ZL36rocblas_gemvt_double_buffered_kernelILb0ELi128ELi8ELi8EfPKffEviiT4_lPKT3_lilS5_lilPT5_lili.num_vgpr, 62
	.set _ZL36rocblas_gemvt_double_buffered_kernelILb0ELi128ELi8ELi8EfPKffEviiT4_lPKT3_lilS5_lilPT5_lili.num_agpr, 0
	.set _ZL36rocblas_gemvt_double_buffered_kernelILb0ELi128ELi8ELi8EfPKffEviiT4_lPKT3_lilS5_lilPT5_lili.numbered_sgpr, 34
	.set _ZL36rocblas_gemvt_double_buffered_kernelILb0ELi128ELi8ELi8EfPKffEviiT4_lPKT3_lilS5_lilPT5_lili.num_named_barrier, 0
	.set _ZL36rocblas_gemvt_double_buffered_kernelILb0ELi128ELi8ELi8EfPKffEviiT4_lPKT3_lilS5_lilPT5_lili.private_seg_size, 0
	.set _ZL36rocblas_gemvt_double_buffered_kernelILb0ELi128ELi8ELi8EfPKffEviiT4_lPKT3_lilS5_lilPT5_lili.uses_vcc, 1
	.set _ZL36rocblas_gemvt_double_buffered_kernelILb0ELi128ELi8ELi8EfPKffEviiT4_lPKT3_lilS5_lilPT5_lili.uses_flat_scratch, 0
	.set _ZL36rocblas_gemvt_double_buffered_kernelILb0ELi128ELi8ELi8EfPKffEviiT4_lPKT3_lilS5_lilPT5_lili.has_dyn_sized_stack, 0
	.set _ZL36rocblas_gemvt_double_buffered_kernelILb0ELi128ELi8ELi8EfPKffEviiT4_lPKT3_lilS5_lilPT5_lili.has_recursion, 0
	.set _ZL36rocblas_gemvt_double_buffered_kernelILb0ELi128ELi8ELi8EfPKffEviiT4_lPKT3_lilS5_lilPT5_lili.has_indirect_call, 0
	.section	.AMDGPU.csdata,"",@progbits
; Kernel info:
; codeLenInByte = 4496
; TotalNumSgprs: 36
; NumVgprs: 62
; ScratchSize: 0
; MemoryBound: 0
; FloatMode: 240
; IeeeMode: 1
; LDSByteSize: 32768 bytes/workgroup (compile time only)
; SGPRBlocks: 0
; VGPRBlocks: 7
; NumSGPRsForWavesPerEU: 36
; NumVGPRsForWavesPerEU: 62
; Occupancy: 16
; WaveLimiterHint : 0
; COMPUTE_PGM_RSRC2:SCRATCH_EN: 0
; COMPUTE_PGM_RSRC2:USER_SGPR: 6
; COMPUTE_PGM_RSRC2:TRAP_HANDLER: 0
; COMPUTE_PGM_RSRC2:TGID_X_EN: 1
; COMPUTE_PGM_RSRC2:TGID_Y_EN: 1
; COMPUTE_PGM_RSRC2:TGID_Z_EN: 1
; COMPUTE_PGM_RSRC2:TIDIG_COMP_CNT: 1
	.section	.text._ZL36rocblas_gemvt_double_buffered_kernelILb0ELi128ELi8ELi8EfffEviiT4_lPKT3_lilS3_lilPT5_lili,"axG",@progbits,_ZL36rocblas_gemvt_double_buffered_kernelILb0ELi128ELi8ELi8EfffEviiT4_lPKT3_lilS3_lilPT5_lili,comdat
	.globl	_ZL36rocblas_gemvt_double_buffered_kernelILb0ELi128ELi8ELi8EfffEviiT4_lPKT3_lilS3_lilPT5_lili ; -- Begin function _ZL36rocblas_gemvt_double_buffered_kernelILb0ELi128ELi8ELi8EfffEviiT4_lPKT3_lilS3_lilPT5_lili
	.p2align	8
	.type	_ZL36rocblas_gemvt_double_buffered_kernelILb0ELi128ELi8ELi8EfffEviiT4_lPKT3_lilS3_lilPT5_lili,@function
_ZL36rocblas_gemvt_double_buffered_kernelILb0ELi128ELi8ELi8EfffEviiT4_lPKT3_lilS3_lilPT5_lili: ; @_ZL36rocblas_gemvt_double_buffered_kernelILb0ELi128ELi8ELi8EfffEviiT4_lPKT3_lilS3_lilPT5_lili
; %bb.0:
	s_load_dword s9, s[4:5], 0x8
	s_waitcnt lgkmcnt(0)
	v_cmp_eq_f32_e64 s0, s9, 0
	s_and_b32 vcc_lo, exec_lo, s0
	s_cbranch_vccnz .LBB25_12
; %bb.1:
	s_clause 0x1
	s_load_dword s0, s[4:5], 0x84
	s_load_dword s1, s[4:5], 0x0
	s_waitcnt lgkmcnt(0)
	v_cvt_f32_u32_e32 v2, s0
	s_ashr_i32 s3, s1, 31
	s_sub_i32 s10, 0, s0
	s_lshr_b32 s3, s3, 25
	s_add_i32 s1, s1, s3
	v_rcp_iflag_f32_e32 v2, v2
	s_ashr_i32 s1, s1, 7
	v_mul_f32_e32 v2, 0x4f7ffffe, v2
	v_cvt_u32_f32_e32 v2, v2
	v_readfirstlane_b32 s2, v2
	s_mul_i32 s10, s10, s2
	s_mul_hi_u32 s3, s2, s10
	s_add_i32 s2, s2, s3
	s_mul_hi_u32 s2, s1, s2
	s_mul_i32 s3, s2, s0
	s_add_i32 s10, s2, 1
	s_sub_i32 s3, s1, s3
	s_sub_i32 s11, s3, s0
	s_cmp_ge_u32 s3, s0
	s_cselect_b32 s2, s10, s2
	s_cselect_b32 s3, s11, s3
	s_add_i32 s10, s2, 1
	s_cmp_ge_u32 s3, s0
	s_cselect_b32 s12, s10, s2
	s_mul_i32 s0, s12, s0
	s_sub_i32 s13, s1, s0
	s_cmp_lt_u32 s7, s13
	s_cselect_b32 s0, -1, 0
	s_cmp_lg_u32 s0, 0
	s_addc_u32 s24, s12, 0
	s_cmp_eq_u32 s24, 0
	s_cbranch_scc1 .LBB25_12
; %bb.2:
	s_clause 0x1
	s_load_dwordx4 s[0:3], s[4:5], 0x50
	s_load_dwordx2 s[16:17], s[4:5], 0x60
	v_lshl_add_u32 v4, v1, 7, v0
	v_and_b32_e32 v2, 63, v0
	s_lshl_b32 s10, s6, 7
	s_mov_b32 s25, 0
	s_ashr_i32 s11, s10, 31
	v_lshrrev_b32_e32 v13, 3, v4
	v_lshlrev_b32_e32 v12, 2, v2
	s_cmp_lt_i32 s24, 1
	v_and_b32_e32 v14, 0x7ff8, v13
	s_cbranch_scc1 .LBB25_8
; %bb.3:
	v_cvt_f64_i32_e32 v[5:6], s7
	v_cvt_f64_u32_e32 v[7:8], s13
	s_mul_i32 s12, s12, s7
	s_load_dwordx4 s[28:31], s[4:5], 0x30
	v_cvt_f64_u32_e32 v[9:10], s12
	s_clause 0x3
	s_load_dword s20, s[4:5], 0x28
	s_load_dword s18, s[4:5], 0x48
	s_load_dwordx4 s[12:15], s[4:5], 0x18
	s_load_dwordx2 s[6:7], s[4:5], 0x40
	s_waitcnt lgkmcnt(0)
	s_mul_i32 s1, s1, s8
	s_mul_hi_u32 s26, s0, s8
	v_mov_b32_e32 v3, 0
	s_mul_i32 s0, s0, s8
	v_lshrrev_b32_e32 v4, 1, v4
	v_mov_b32_e32 v39, v3
	v_mov_b32_e32 v37, v3
	v_and_b32_e32 v4, 0x1ffe0, v4
	v_mov_b32_e32 v38, v3
	s_mul_i32 s19, s29, s8
	v_min_f64 v[5:6], v[5:6], v[7:8]
	s_mul_hi_u32 s21, s28, s8
	s_mul_i32 s22, s28, s8
	s_add_i32 s23, s21, s19
	s_ashr_i32 s21, s20, 31
	s_lshl_b64 s[22:23], s[22:23], 2
	s_ashr_i32 s19, s18, 31
	s_add_u32 s27, s12, s22
	s_addc_u32 s28, s13, s23
	s_lshl_b64 s[34:35], s[14:15], 2
	s_mul_hi_i32 s15, s20, s10
	s_add_u32 s29, s27, s34
	s_addc_u32 s28, s28, s35
	s_add_i32 s1, s26, s1
	s_mul_i32 s14, s20, s10
	s_lshl_b64 s[0:1], s[0:1], 2
	s_add_u32 s26, s30, s0
	s_addc_u32 s27, s31, s1
	s_lshl_b64 s[0:1], s[6:7], 2
	s_add_u32 s26, s26, s0
	v_add_f64 v[5:6], v[5:6], v[9:10]
	s_addc_u32 s27, s27, s1
	s_lshl_b64 s[0:1], s[14:15], 2
	s_add_u32 s7, s29, s0
	s_addc_u32 s28, s28, s1
	v_cvt_i32_f64_e32 v7, v[5:6]
	v_mad_i64_i32 v[5:6], null, s20, v14, v[2:3]
	v_lshlrev_b64 v[5:6], 2, v[5:6]
	v_readfirstlane_b32 s6, v7
	s_lshl_b32 s0, s6, 7
	s_ashr_i32 s1, s0, 31
	s_lshl_b64 s[14:15], s[0:1], 2
	s_add_u32 s0, s7, s14
	s_addc_u32 s1, s28, s15
	v_add_co_u32 v5, vcc_lo, s0, v5
	v_add_co_ci_u32_e64 v6, null, s1, v6, vcc_lo
	s_lshl_b64 s[0:1], s[20:21], 2
	s_lshl_b64 s[30:31], s[10:11], 2
	v_add_co_u32 v7, vcc_lo, v5, s0
	v_add_co_ci_u32_e64 v8, null, s1, v6, vcc_lo
	v_add_co_u32 v33, s11, v4, s30
	v_add_co_u32 v9, vcc_lo, v7, s0
	v_add_co_ci_u32_e64 v10, null, s1, v8, vcc_lo
	s_add_i32 s28, s24, -1
	v_add_co_u32 v15, vcc_lo, v9, s0
	v_add_co_ci_u32_e64 v16, null, s1, v10, vcc_lo
	s_lshl_b64 s[6:7], s[18:19], 9
	v_add_co_u32 v17, vcc_lo, v15, s0
	v_add_co_ci_u32_e64 v18, null, s1, v16, vcc_lo
	v_add_co_ci_u32_e64 v34, null, 0, s31, s11
	v_add_co_u32 v26, vcc_lo, v17, s0
	v_add_co_ci_u32_e64 v27, null, s1, v18, vcc_lo
	s_add_u32 s11, s12, s14
	v_add_co_u32 v28, vcc_lo, v26, s0
	v_add_co_ci_u32_e64 v29, null, s1, v27, vcc_lo
	s_addc_u32 s12, s13, s15
	v_add_co_u32 v30, vcc_lo, v28, s0
	v_add_co_ci_u32_e64 v31, null, s1, v29, vcc_lo
	s_clause 0x5
	global_load_dword v19, v[5:6], off
	global_load_dword v21, v[7:8], off
	;; [unrolled: 1-line block ×8, first 2 shown]
	s_add_u32 s11, s11, s34
	v_add_co_u32 v8, vcc_lo, v33, 4
	s_addc_u32 s13, s12, s35
	s_add_u32 s12, s11, s22
	v_add_co_ci_u32_e64 v9, null, 0, v34, vcc_lo
	s_addc_u32 s13, s13, s23
	v_mul_lo_u32 v10, v33, s21
	v_mad_u64_u32 v[4:5], null, v33, s20, s[12:13]
	v_mul_lo_u32 v11, v34, s20
	v_add_co_u32 v17, vcc_lo, v33, 8
	v_mad_u64_u32 v[6:7], null, v8, s20, s[12:13]
	v_mul_lo_u32 v15, v8, s21
	v_mul_lo_u32 v16, v9, s20
	v_add_co_ci_u32_e64 v18, null, 0, v34, vcc_lo
	v_mad_u64_u32 v[8:9], null, v17, s20, s[12:13]
	v_mul_lo_u32 v17, v17, s21
	v_mul_lo_u32 v18, v18, s20
	v_add3_u32 v5, v11, v5, v10
	v_add_co_u32 v11, vcc_lo, v33, 12
	v_add3_u32 v7, v16, v7, v15
	v_add_co_ci_u32_e64 v15, null, 0, v34, vcc_lo
	s_mul_i32 s11, s15, s18
	v_add3_u32 v18, v18, v9, v17
	v_mad_u64_u32 v[9:10], null, v11, s20, s[12:13]
	v_mul_lo_u32 v11, v11, s21
	v_mul_lo_u32 v20, v15, s20
	v_add_co_u32 v15, vcc_lo, 0x200, v6
	v_add_co_ci_u32_e64 v16, null, 0, v7, vcc_lo
	v_add_co_u32 v17, vcc_lo, 0x200, v8
	v_add_co_ci_u32_e64 v18, null, 0, v18, vcc_lo
	v_add_co_u32 v8, vcc_lo, v33, 16
	v_add3_u32 v22, v20, v10, v11
	v_add_co_ci_u32_e64 v10, null, 0, v34, vcc_lo
	v_mad_u64_u32 v[6:7], null, v8, s20, s[12:13]
	v_mul_lo_u32 v8, v8, s21
	v_mul_lo_u32 v30, v10, s20
	v_add_co_u32 v20, vcc_lo, v33, 20
	v_add_co_ci_u32_e64 v29, null, 0, v34, vcc_lo
	v_mad_u64_u32 v[10:11], null, v20, s20, s[12:13]
	v_mul_lo_u32 v31, v20, s21
	v_add_co_u32 v20, vcc_lo, 0x200, v9
	v_add_co_ci_u32_e64 v22, null, 0, v22, vcc_lo
	v_add3_u32 v9, v30, v7, v8
	v_add_co_u32 v30, vcc_lo, v33, 24
	v_mul_lo_u32 v29, v29, s20
	v_add_co_ci_u32_e64 v32, null, 0, v34, vcc_lo
	v_mad_u64_u32 v[7:8], null, v30, s20, s[12:13]
	v_mul_lo_u32 v35, v30, s21
	v_mul_lo_u32 v36, v32, s20
	v_add3_u32 v11, v29, v11, v31
	v_add_co_u32 v29, vcc_lo, 0x200, v6
	v_add_co_ci_u32_e64 v30, null, 0, v9, vcc_lo
	v_add_co_u32 v31, vcc_lo, 0x200, v10
	v_add_co_ci_u32_e64 v32, null, 0, v11, vcc_lo
	v_add3_u32 v6, v36, v8, v35
	v_add_co_u32 v8, vcc_lo, v33, 28
	v_add_co_ci_u32_e64 v9, null, 0, v34, vcc_lo
	v_or_b32_e32 v33, s14, v12
	v_mad_u64_u32 v[10:11], null, v8, s20, s[12:13]
	v_mul_lo_u32 v34, v8, s21
	v_mul_lo_u32 v35, v9, s20
	v_or_b32_e32 v8, 0x100, v33
	v_add_co_u32 v40, vcc_lo, 0x200, v7
	v_add_co_ci_u32_e64 v41, null, 0, v6, vcc_lo
	v_mul_lo_u32 v36, v33, s19
	v_mad_u64_u32 v[6:7], null, v33, s18, 0
	v_mul_lo_u32 v33, v8, s19
	v_mad_u64_u32 v[8:9], null, v8, s18, 0
	v_add3_u32 v11, v35, v11, v34
	v_add_co_u32 v42, vcc_lo, 0x200, v10
	v_add3_u32 v7, v7, v36, s11
	v_mov_b32_e32 v35, v3
	v_add_co_ci_u32_e64 v43, null, 0, v11, vcc_lo
	v_add3_u32 v9, v9, v33, s11
	v_mov_b32_e32 v36, v3
	v_mov_b32_e32 v34, v3
	;; [unrolled: 1-line block ×3, first 2 shown]
	s_waitcnt vmcnt(7)
	v_mov_b32_e32 v44, v19
	s_waitcnt vmcnt(6)
	v_mov_b32_e32 v45, v21
	;; [unrolled: 2-line block ×8, first 2 shown]
.LBB25_4:                               ; =>This Inner Loop Header: Depth=1
	v_add_co_u32 v10, vcc_lo, v4, v12
	v_add_co_ci_u32_e64 v11, null, 0, v5, vcc_lo
	s_cmp_lg_u32 s28, s25
	v_add_co_u32 v53, vcc_lo, 0x100, v10
	v_add_co_ci_u32_e64 v55, null, 0, v11, vcc_lo
	global_load_dword v52, v[10:11], off offset:256
	v_add_co_u32 v54, vcc_lo, v53, s0
	v_add_co_ci_u32_e64 v55, null, s1, v55, vcc_lo
	v_add_co_u32 v56, vcc_lo, v54, s0
	v_add_co_ci_u32_e64 v57, null, s1, v55, vcc_lo
	s_clause 0x1
	global_load_dword v53, v[54:55], off
	global_load_dword v54, v[56:57], off
	v_add_co_u32 v56, vcc_lo, v56, s0
	v_add_co_ci_u32_e64 v57, null, s1, v57, vcc_lo
	v_add_co_u32 v58, vcc_lo, v56, s0
	v_add_co_ci_u32_e64 v59, null, s1, v57, vcc_lo
	s_clause 0x1
	global_load_dword v55, v[56:57], off
	global_load_dword v56, v[58:59], off
	v_add_co_u32 v58, vcc_lo, v58, s0
	v_add_co_ci_u32_e64 v59, null, s1, v59, vcc_lo
	v_add_co_u32 v60, vcc_lo, v58, s0
	v_add_co_ci_u32_e64 v61, null, s1, v59, vcc_lo
	global_load_dword v57, v[58:59], off
	v_add_co_u32 v59, vcc_lo, v60, s0
	global_load_dword v58, v[60:61], off
	v_add_co_ci_u32_e64 v60, null, s1, v61, vcc_lo
	global_load_dword v59, v[59:60], off
	v_add_co_u32 v60, vcc_lo, s26, v6
	v_add_co_ci_u32_e64 v61, null, s27, v7, vcc_lo
	global_load_dword v60, v[60:61], off
	s_cbranch_scc0 .LBB25_6
; %bb.5:                                ;   in Loop: Header=BB25_4 Depth=1
	global_load_dword v44, v[10:11], off offset:512
	v_add_co_u32 v10, vcc_lo, v15, v12
	v_add_co_ci_u32_e64 v11, null, 0, v16, vcc_lo
	global_load_dword v45, v[10:11], off
	v_add_co_u32 v10, vcc_lo, v17, v12
	v_add_co_ci_u32_e64 v11, null, 0, v18, vcc_lo
	global_load_dword v46, v[10:11], off
	;; [unrolled: 3-line block ×7, first 2 shown]
.LBB25_6:                               ;   in Loop: Header=BB25_4 Depth=1
	v_add_co_u32 v10, vcc_lo, s26, v8
	v_add_co_ci_u32_e64 v11, null, s27, v9, vcc_lo
	v_add_co_u32 v4, vcc_lo, 0x200, v4
	v_add_co_ci_u32_e64 v5, null, 0, v5, vcc_lo
	global_load_dword v10, v[10:11], off
	v_add_co_u32 v15, vcc_lo, 0x200, v15
	v_add_co_ci_u32_e64 v16, null, 0, v16, vcc_lo
	v_add_co_u32 v17, vcc_lo, 0x200, v17
	v_add_co_ci_u32_e64 v18, null, 0, v18, vcc_lo
	;; [unrolled: 2-line block ×4, first 2 shown]
	v_add_co_u32 v31, vcc_lo, 0x200, v31
	s_waitcnt vmcnt(1)
	v_fmac_f32_e32 v3, v19, v60
	v_fmac_f32_e32 v39, v21, v60
	;; [unrolled: 1-line block ×8, first 2 shown]
	v_add_co_ci_u32_e64 v32, null, 0, v32, vcc_lo
	v_add_co_u32 v40, vcc_lo, 0x200, v40
	v_add_co_ci_u32_e64 v41, null, 0, v41, vcc_lo
	v_add_co_u32 v42, vcc_lo, 0x200, v42
	s_add_i32 s25, s25, 1
	v_add_co_ci_u32_e64 v43, null, 0, v43, vcc_lo
	s_add_u32 s26, s26, s6
	s_addc_u32 s27, s27, s7
	s_cmp_ge_i32 s25, s24
	s_waitcnt vmcnt(0)
	v_fmac_f32_e32 v3, v52, v10
	v_fmac_f32_e32 v39, v53, v10
	v_fmac_f32_e32 v37, v54, v10
	v_fmac_f32_e32 v38, v55, v10
	v_fmac_f32_e32 v35, v56, v10
	v_fmac_f32_e32 v36, v57, v10
	v_fmac_f32_e32 v34, v58, v10
	v_fmac_f32_e32 v33, v59, v10
	s_cbranch_scc1 .LBB25_9
; %bb.7:                                ;   in Loop: Header=BB25_4 Depth=1
	v_mov_b32_e32 v19, v44
	v_mov_b32_e32 v21, v45
	;; [unrolled: 1-line block ×8, first 2 shown]
	s_branch .LBB25_4
.LBB25_8:
	v_mov_b32_e32 v33, 0
	v_mov_b32_e32 v34, 0
	;; [unrolled: 1-line block ×8, first 2 shown]
.LBB25_9:
	v_lshlrev_b32_e32 v4, 8, v13
	v_lshl_or_b32 v5, v14, 8, v12
	v_cmp_eq_u32_e32 vcc_lo, 0, v1
	s_mov_b32 s6, 0
	v_or3_b32 v1, v4, v12, 0x700
	ds_write2st64_b32 v5, v3, v39 offset1:1
	ds_write2st64_b32 v5, v37, v38 offset0:2 offset1:3
	ds_write2st64_b32 v5, v35, v36 offset0:4 offset1:5
	ds_write_b32 v5, v34 offset:1536
	ds_write_b32 v1, v33
	s_waitcnt lgkmcnt(0)
	s_barrier
	buffer_gl0_inv
	s_and_saveexec_b32 s0, vcc_lo
	s_cbranch_execz .LBB25_12
; %bb.10:
	v_lshlrev_b32_e32 v5, 8, v0
	v_add_nc_u32_e32 v1, 1, v0
	v_add_nc_u32_e32 v3, 2, v0
	;; [unrolled: 1-line block ×4, first 2 shown]
	v_lshl_or_b32 v6, v2, 2, v5
	v_and_b32_e32 v1, 63, v1
	v_and_b32_e32 v3, 63, v3
	v_add_nc_u32_e32 v8, 5, v0
	v_add_nc_u32_e32 v9, 6, v0
	ds_read_b32 v6, v6
	v_lshl_or_b32 v1, v1, 2, v5
	v_lshl_or_b32 v3, v3, 2, v5
	v_add_nc_u32_e32 v10, 7, v0
	v_and_b32_e32 v4, 63, v4
	ds_read_b32 v1, v1
	ds_read_b32 v3, v3
	v_and_b32_e32 v7, 63, v7
	v_and_b32_e32 v8, 63, v8
	;; [unrolled: 1-line block ×4, first 2 shown]
	v_lshl_or_b32 v4, v4, 2, v5
	v_lshl_or_b32 v7, v7, 2, v5
	;; [unrolled: 1-line block ×5, first 2 shown]
	ds_read_b32 v4, v4
	ds_read_b32 v7, v7
	;; [unrolled: 1-line block ×5, first 2 shown]
	v_add_nc_u32_e32 v11, 8, v0
	v_add_nc_u32_e32 v12, 9, v0
	;; [unrolled: 1-line block ×3, first 2 shown]
	s_waitcnt lgkmcnt(7)
	v_add_f32_e32 v6, 0, v6
	v_add_nc_u32_e32 v14, 12, v0
	v_add_nc_u32_e32 v15, 13, v0
	v_and_b32_e32 v12, 63, v12
	v_and_b32_e32 v13, 63, v13
	s_waitcnt lgkmcnt(6)
	v_add_f32_e32 v1, v6, v1
	v_add_nc_u32_e32 v6, 11, v0
	v_add_nc_u32_e32 v16, 14, v0
	v_lshl_or_b32 v12, v12, 2, v5
	v_lshl_or_b32 v13, v13, 2, v5
	s_waitcnt lgkmcnt(5)
	v_add_f32_e32 v1, v1, v3
	v_and_b32_e32 v3, 63, v11
	v_add_nc_u32_e32 v11, 15, v0
	v_xor_b32_e32 v2, 32, v2
	s_waitcnt lgkmcnt(4)
	v_add_f32_e32 v1, v1, v4
	v_lshl_or_b32 v3, v3, 2, v5
	v_and_b32_e32 v4, 63, v6
	v_and_b32_e32 v6, 63, v14
	;; [unrolled: 1-line block ×3, first 2 shown]
	s_waitcnt lgkmcnt(3)
	v_add_f32_e32 v1, v1, v7
	ds_read_b32 v3, v3
	v_and_b32_e32 v7, 63, v15
	v_and_b32_e32 v11, 63, v11
	v_lshl_or_b32 v4, v4, 2, v5
	s_waitcnt lgkmcnt(3)
	v_add_f32_e32 v1, v1, v8
	ds_read_b32 v8, v12
	v_lshl_or_b32 v6, v6, 2, v5
	v_lshl_or_b32 v7, v7, 2, v5
	;; [unrolled: 1-line block ×3, first 2 shown]
	s_waitcnt lgkmcnt(3)
	v_add_f32_e32 v1, v1, v9
	ds_read_b32 v9, v13
	v_lshl_or_b32 v12, v14, 2, v5
	v_add_nc_u32_e32 v13, 19, v0
	v_add_nc_u32_e32 v14, 21, v0
	s_waitcnt lgkmcnt(3)
	v_add_f32_e32 v1, v1, v10
	ds_read_b32 v4, v4
	ds_read_b32 v6, v6
	;; [unrolled: 1-line block ×5, first 2 shown]
	v_add_nc_u32_e32 v12, 18, v0
	s_clause 0x1
	s_load_dwordx2 s[0:1], s[4:5], 0x70
	s_load_dword s4, s[4:5], 0x68
	v_add_nc_u32_e32 v15, 22, v0
	v_add_nc_u32_e32 v16, 23, v0
	s_waitcnt lgkmcnt(0)
	v_add_f32_e32 v1, v1, v3
	v_add_nc_u32_e32 v3, 16, v0
	v_lshl_or_b32 v2, v2, 2, v5
	v_add_f32_e32 v1, v1, v8
	v_add_nc_u32_e32 v8, 17, v0
	v_and_b32_e32 v3, 63, v3
	v_add_f32_e32 v1, v1, v9
	v_add_nc_u32_e32 v9, 20, v0
	v_lshl_or_b32 v3, v3, 2, v5
	v_add_f32_e32 v1, v1, v4
	v_and_b32_e32 v4, 63, v8
	v_and_b32_e32 v8, 63, v12
	;; [unrolled: 1-line block ×3, first 2 shown]
	s_mul_i32 s1, s1, s8
	v_add_f32_e32 v1, v1, v6
	v_lshl_or_b32 v4, v4, 2, v5
	v_lshl_or_b32 v6, v8, 2, v5
	v_and_b32_e32 v8, 63, v14
	s_mul_hi_u32 s5, s0, s8
	v_add_f32_e32 v1, v1, v7
	ds_read_b32 v3, v3
	ds_read_b32 v7, v4
	;; [unrolled: 1-line block ×3, first 2 shown]
	v_and_b32_e32 v4, 63, v9
	v_and_b32_e32 v9, 63, v15
	v_lshl_or_b32 v8, v8, 2, v5
	v_add_f32_e32 v1, v1, v10
	v_and_b32_e32 v10, 63, v16
	v_lshl_or_b32 v4, v4, 2, v5
	v_lshl_or_b32 v9, v9, 2, v5
	s_mul_i32 s0, s0, s8
	v_add_f32_e32 v1, v1, v11
	v_lshl_or_b32 v11, v12, 2, v5
	v_lshl_or_b32 v10, v10, 2, v5
	s_add_i32 s1, s5, s1
	ds_read_b32 v11, v11
	ds_read_b32 v12, v4
	;; [unrolled: 1-line block ×5, first 2 shown]
	s_lshl_b64 s[0:1], s[0:1], 2
	v_add_nc_u32_e32 v13, 30, v0
	s_waitcnt lgkmcnt(7)
	v_add_f32_e32 v1, v1, v3
	v_mad_i64_i32 v[3:4], null, s4, v0, 0
	s_add_u32 s5, s2, s0
	s_addc_u32 s2, s3, s1
	s_lshl_b64 s[0:1], s[16:17], 2
	s_waitcnt lgkmcnt(6)
	v_add_f32_e32 v1, v1, v7
	s_add_u32 s3, s5, s0
	s_mul_hi_i32 s5, s4, s10
	s_mul_i32 s4, s4, s10
	v_lshlrev_b64 v[3:4], 2, v[3:4]
	s_addc_u32 s2, s2, s1
	s_lshl_b64 s[0:1], s[4:5], 2
	s_waitcnt lgkmcnt(5)
	v_add_f32_e32 v1, v1, v6
	s_add_u32 s0, s3, s0
	s_addc_u32 s1, s2, s1
	v_add_co_u32 v3, vcc_lo, s0, v3
	s_waitcnt lgkmcnt(4)
	v_add_f32_e32 v1, v1, v11
	v_add_co_ci_u32_e64 v4, null, s1, v4, vcc_lo
	v_add_nc_u32_e32 v7, 24, v0
	v_add_nc_u32_e32 v11, 25, v0
	s_waitcnt lgkmcnt(3)
	v_add_f32_e32 v6, v1, v12
	global_load_dword v1, v[3:4], off
	v_add_nc_u32_e32 v12, 26, v0
	v_and_b32_e32 v7, 63, v7
	v_add_nc_u32_e32 v14, 31, v0
	s_waitcnt lgkmcnt(2)
	v_add_f32_e32 v6, v6, v8
	v_and_b32_e32 v8, 63, v11
	v_and_b32_e32 v11, 63, v12
	v_lshl_or_b32 v7, v7, 2, v5
	v_add_nc_u32_e32 v12, 29, v0
	s_waitcnt lgkmcnt(1)
	v_add_f32_e32 v6, v6, v9
	v_lshl_or_b32 v8, v8, 2, v5
	v_lshl_or_b32 v9, v11, 2, v5
	ds_read_b32 v7, v7
	ds_read_b32 v8, v8
	;; [unrolled: 1-line block ×3, first 2 shown]
	s_waitcnt lgkmcnt(3)
	v_add_f32_e32 v6, v6, v10
	v_add_nc_u32_e32 v10, 27, v0
	v_add_nc_u32_e32 v11, 28, v0
	v_and_b32_e32 v12, 63, v12
	v_and_b32_e32 v13, 63, v13
	;; [unrolled: 1-line block ×5, first 2 shown]
	v_lshl_or_b32 v12, v12, 2, v5
	v_lshl_or_b32 v13, v13, 2, v5
	;; [unrolled: 1-line block ×5, first 2 shown]
	ds_read_b32 v10, v10
	ds_read_b32 v11, v11
	;; [unrolled: 1-line block ×5, first 2 shown]
	s_waitcnt lgkmcnt(7)
	v_add_f32_e32 v6, v6, v7
	v_add_nc_u32_e32 v7, 33, v0
	s_waitcnt lgkmcnt(6)
	v_add_f32_e32 v6, v6, v8
	v_add_nc_u32_e32 v8, 34, v0
	v_and_b32_e32 v7, 63, v7
	s_waitcnt lgkmcnt(5)
	v_add_f32_e32 v6, v6, v9
	v_and_b32_e32 v8, 63, v8
	v_lshl_or_b32 v7, v7, 2, v5
	v_add_nc_u32_e32 v9, 35, v0
	s_waitcnt lgkmcnt(4)
	v_add_f32_e32 v6, v6, v10
	v_lshl_or_b32 v8, v8, 2, v5
	ds_read_b32 v2, v2
	ds_read_b32 v7, v7
	;; [unrolled: 1-line block ×3, first 2 shown]
	s_waitcnt lgkmcnt(6)
	v_add_f32_e32 v6, v6, v11
	v_add_nc_u32_e32 v10, 36, v0
	v_add_nc_u32_e32 v11, 37, v0
	v_and_b32_e32 v9, 63, v9
	s_waitcnt lgkmcnt(5)
	v_add_f32_e32 v6, v6, v12
	v_add_nc_u32_e32 v12, 38, v0
	v_and_b32_e32 v10, 63, v10
	v_and_b32_e32 v11, 63, v11
	v_lshl_or_b32 v9, v9, 2, v5
	s_waitcnt lgkmcnt(4)
	v_add_f32_e32 v6, v6, v13
	v_add_nc_u32_e32 v13, 39, v0
	v_and_b32_e32 v12, 63, v12
	v_lshl_or_b32 v10, v10, 2, v5
	v_lshl_or_b32 v11, v11, 2, v5
	s_waitcnt lgkmcnt(3)
	v_add_f32_e32 v6, v6, v14
	v_and_b32_e32 v13, 63, v13
	v_lshl_or_b32 v12, v12, 2, v5
	s_waitcnt lgkmcnt(2)
	v_add_f32_e32 v2, v6, v2
	v_lshl_or_b32 v13, v13, 2, v5
	ds_read_b32 v9, v9
	ds_read_b32 v10, v10
	ds_read_b32 v11, v11
	ds_read_b32 v12, v12
	ds_read_b32 v13, v13
	v_add_nc_u32_e32 v6, 40, v0
	s_waitcnt lgkmcnt(6)
	v_add_f32_e32 v2, v2, v7
	v_add_nc_u32_e32 v7, 41, v0
	v_and_b32_e32 v6, 63, v6
	s_waitcnt lgkmcnt(5)
	v_add_f32_e32 v2, v2, v8
	v_add_nc_u32_e32 v8, 42, v0
	v_and_b32_e32 v7, 63, v7
	v_lshl_or_b32 v6, v6, 2, v5
	v_and_b32_e32 v8, 63, v8
	v_lshl_or_b32 v7, v7, 2, v5
	s_waitcnt lgkmcnt(4)
	v_add_f32_e32 v2, v2, v9
	v_add_nc_u32_e32 v9, 43, v0
	v_lshl_or_b32 v8, v8, 2, v5
	ds_read_b32 v6, v6
	ds_read_b32 v7, v7
	;; [unrolled: 1-line block ×3, first 2 shown]
	s_waitcnt lgkmcnt(6)
	v_add_f32_e32 v2, v2, v10
	v_add_nc_u32_e32 v10, 44, v0
	v_and_b32_e32 v9, 63, v9
	s_waitcnt lgkmcnt(5)
	v_add_f32_e32 v2, v2, v11
	v_add_nc_u32_e32 v11, 45, v0
	v_and_b32_e32 v10, 63, v10
	v_lshl_or_b32 v9, v9, 2, v5
	s_waitcnt lgkmcnt(4)
	v_add_f32_e32 v2, v2, v12
	v_add_nc_u32_e32 v12, 46, v0
	v_and_b32_e32 v11, 63, v11
	v_lshl_or_b32 v10, v10, 2, v5
	;; [unrolled: 5-line block ×3, first 2 shown]
	s_waitcnt lgkmcnt(2)
	v_add_f32_e32 v2, v2, v6
	v_and_b32_e32 v13, 63, v13
	v_lshl_or_b32 v12, v12, 2, v5
	v_add_nc_u32_e32 v6, 48, v0
	s_waitcnt lgkmcnt(1)
	v_add_f32_e32 v2, v2, v7
	v_lshl_or_b32 v13, v13, 2, v5
	ds_read_b32 v9, v9
	ds_read_b32 v10, v10
	;; [unrolled: 1-line block ×5, first 2 shown]
	v_add_nc_u32_e32 v7, 49, v0
	v_and_b32_e32 v6, 63, v6
	s_waitcnt lgkmcnt(5)
	v_add_f32_e32 v2, v2, v8
	v_add_nc_u32_e32 v8, 50, v0
	v_and_b32_e32 v7, 63, v7
	v_lshl_or_b32 v6, v6, 2, v5
	v_and_b32_e32 v8, 63, v8
	v_lshl_or_b32 v7, v7, 2, v5
	v_lshl_or_b32 v8, v8, 2, v5
	ds_read_b32 v6, v6
	ds_read_b32 v7, v7
	;; [unrolled: 1-line block ×3, first 2 shown]
	s_waitcnt lgkmcnt(7)
	v_add_f32_e32 v2, v2, v9
	v_add_nc_u32_e32 v9, 51, v0
	s_waitcnt lgkmcnt(6)
	v_add_f32_e32 v2, v2, v10
	v_add_nc_u32_e32 v10, 52, v0
	v_and_b32_e32 v9, 63, v9
	s_waitcnt lgkmcnt(5)
	v_add_f32_e32 v2, v2, v11
	v_add_nc_u32_e32 v11, 53, v0
	v_and_b32_e32 v10, 63, v10
	v_lshl_or_b32 v9, v9, 2, v5
	s_waitcnt lgkmcnt(4)
	v_add_f32_e32 v2, v2, v12
	v_add_nc_u32_e32 v12, 54, v0
	v_and_b32_e32 v11, 63, v11
	v_lshl_or_b32 v10, v10, 2, v5
	s_waitcnt lgkmcnt(3)
	v_add_f32_e32 v2, v2, v13
	v_add_nc_u32_e32 v13, 55, v0
	v_and_b32_e32 v12, 63, v12
	v_lshl_or_b32 v11, v11, 2, v5
	s_waitcnt lgkmcnt(2)
	v_add_f32_e32 v2, v2, v6
	v_and_b32_e32 v13, 63, v13
	v_lshl_or_b32 v12, v12, 2, v5
	v_add_nc_u32_e32 v6, 56, v0
	s_waitcnt lgkmcnt(1)
	v_add_f32_e32 v2, v2, v7
	v_lshl_or_b32 v13, v13, 2, v5
	ds_read_b32 v9, v9
	ds_read_b32 v10, v10
	;; [unrolled: 1-line block ×5, first 2 shown]
	v_add_nc_u32_e32 v7, 57, v0
	v_and_b32_e32 v6, 63, v6
	s_waitcnt lgkmcnt(5)
	v_add_f32_e32 v2, v2, v8
	v_add_nc_u32_e32 v8, 58, v0
	v_and_b32_e32 v7, 63, v7
	v_lshl_or_b32 v6, v6, 2, v5
	v_and_b32_e32 v8, 63, v8
	v_lshl_or_b32 v7, v7, 2, v5
	v_lshl_or_b32 v8, v8, 2, v5
	ds_read_b32 v6, v6
	ds_read_b32 v7, v7
	;; [unrolled: 1-line block ×3, first 2 shown]
	s_waitcnt lgkmcnt(7)
	v_add_f32_e32 v2, v2, v9
	v_add_nc_u32_e32 v9, 59, v0
	s_waitcnt lgkmcnt(6)
	v_add_f32_e32 v2, v2, v10
	v_add_nc_u32_e32 v10, 60, v0
	v_and_b32_e32 v9, 63, v9
	s_waitcnt lgkmcnt(5)
	v_add_f32_e32 v2, v2, v11
	v_add_nc_u32_e32 v11, 61, v0
	v_and_b32_e32 v10, 63, v10
	v_lshl_or_b32 v9, v9, 2, v5
	s_waitcnt lgkmcnt(4)
	v_add_f32_e32 v2, v2, v12
	v_add_nc_u32_e32 v12, 62, v0
	v_add_nc_u32_e32 v0, -1, v0
	v_and_b32_e32 v11, 63, v11
	v_lshl_or_b32 v10, v10, 2, v5
	s_waitcnt lgkmcnt(3)
	v_add_f32_e32 v2, v2, v13
	v_and_b32_e32 v12, 63, v12
	v_and_b32_e32 v0, 63, v0
	v_lshl_or_b32 v11, v11, 2, v5
	s_waitcnt lgkmcnt(2)
	v_add_f32_e32 v2, v2, v6
	v_lshl_or_b32 v12, v12, 2, v5
	v_lshl_or_b32 v0, v0, 2, v5
	ds_read_b32 v5, v9
	ds_read_b32 v9, v10
	;; [unrolled: 1-line block ×5, first 2 shown]
	s_waitcnt lgkmcnt(6)
	v_add_f32_e32 v2, v2, v7
	s_waitcnt lgkmcnt(5)
	v_add_f32_e32 v2, v2, v8
	s_waitcnt lgkmcnt(4)
	v_add_f32_e32 v2, v2, v5
	s_waitcnt lgkmcnt(3)
	v_add_f32_e32 v2, v2, v9
	s_waitcnt lgkmcnt(2)
	v_add_f32_e32 v2, v2, v10
	s_waitcnt lgkmcnt(1)
	v_add_f32_e32 v2, v2, v11
	s_waitcnt lgkmcnt(0)
	v_add_f32_e32 v0, v2, v0
	v_mul_f32_e32 v2, s9, v0
.LBB25_11:                              ; =>This Inner Loop Header: Depth=1
	s_waitcnt vmcnt(0)
	v_add_f32_e32 v0, v1, v2
	global_atomic_cmpswap v0, v[3:4], v[0:1], off glc
	s_waitcnt vmcnt(0)
	v_cmp_eq_u32_e32 vcc_lo, v0, v1
	v_mov_b32_e32 v1, v0
	s_or_b32 s6, vcc_lo, s6
	s_andn2_b32 exec_lo, exec_lo, s6
	s_cbranch_execnz .LBB25_11
.LBB25_12:
	s_endpgm
	.section	.rodata,"a",@progbits
	.p2align	6, 0x0
	.amdhsa_kernel _ZL36rocblas_gemvt_double_buffered_kernelILb0ELi128ELi8ELi8EfffEviiT4_lPKT3_lilS3_lilPT5_lili
		.amdhsa_group_segment_fixed_size 32768
		.amdhsa_private_segment_fixed_size 0
		.amdhsa_kernarg_size 384
		.amdhsa_user_sgpr_count 6
		.amdhsa_user_sgpr_private_segment_buffer 1
		.amdhsa_user_sgpr_dispatch_ptr 0
		.amdhsa_user_sgpr_queue_ptr 0
		.amdhsa_user_sgpr_kernarg_segment_ptr 1
		.amdhsa_user_sgpr_dispatch_id 0
		.amdhsa_user_sgpr_flat_scratch_init 0
		.amdhsa_user_sgpr_private_segment_size 0
		.amdhsa_wavefront_size32 1
		.amdhsa_uses_dynamic_stack 0
		.amdhsa_system_sgpr_private_segment_wavefront_offset 0
		.amdhsa_system_sgpr_workgroup_id_x 1
		.amdhsa_system_sgpr_workgroup_id_y 1
		.amdhsa_system_sgpr_workgroup_id_z 1
		.amdhsa_system_sgpr_workgroup_info 0
		.amdhsa_system_vgpr_workitem_id 1
		.amdhsa_next_free_vgpr 62
		.amdhsa_next_free_sgpr 36
		.amdhsa_reserve_vcc 1
		.amdhsa_reserve_flat_scratch 0
		.amdhsa_float_round_mode_32 0
		.amdhsa_float_round_mode_16_64 0
		.amdhsa_float_denorm_mode_32 3
		.amdhsa_float_denorm_mode_16_64 3
		.amdhsa_dx10_clamp 1
		.amdhsa_ieee_mode 1
		.amdhsa_fp16_overflow 0
		.amdhsa_workgroup_processor_mode 1
		.amdhsa_memory_ordered 1
		.amdhsa_forward_progress 1
		.amdhsa_shared_vgpr_count 0
		.amdhsa_exception_fp_ieee_invalid_op 0
		.amdhsa_exception_fp_denorm_src 0
		.amdhsa_exception_fp_ieee_div_zero 0
		.amdhsa_exception_fp_ieee_overflow 0
		.amdhsa_exception_fp_ieee_underflow 0
		.amdhsa_exception_fp_ieee_inexact 0
		.amdhsa_exception_int_div_zero 0
	.end_amdhsa_kernel
	.section	.text._ZL36rocblas_gemvt_double_buffered_kernelILb0ELi128ELi8ELi8EfffEviiT4_lPKT3_lilS3_lilPT5_lili,"axG",@progbits,_ZL36rocblas_gemvt_double_buffered_kernelILb0ELi128ELi8ELi8EfffEviiT4_lPKT3_lilS3_lilPT5_lili,comdat
.Lfunc_end25:
	.size	_ZL36rocblas_gemvt_double_buffered_kernelILb0ELi128ELi8ELi8EfffEviiT4_lPKT3_lilS3_lilPT5_lili, .Lfunc_end25-_ZL36rocblas_gemvt_double_buffered_kernelILb0ELi128ELi8ELi8EfffEviiT4_lPKT3_lilS3_lilPT5_lili
                                        ; -- End function
	.set _ZL36rocblas_gemvt_double_buffered_kernelILb0ELi128ELi8ELi8EfffEviiT4_lPKT3_lilS3_lilPT5_lili.num_vgpr, 62
	.set _ZL36rocblas_gemvt_double_buffered_kernelILb0ELi128ELi8ELi8EfffEviiT4_lPKT3_lilS3_lilPT5_lili.num_agpr, 0
	.set _ZL36rocblas_gemvt_double_buffered_kernelILb0ELi128ELi8ELi8EfffEviiT4_lPKT3_lilS3_lilPT5_lili.numbered_sgpr, 36
	.set _ZL36rocblas_gemvt_double_buffered_kernelILb0ELi128ELi8ELi8EfffEviiT4_lPKT3_lilS3_lilPT5_lili.num_named_barrier, 0
	.set _ZL36rocblas_gemvt_double_buffered_kernelILb0ELi128ELi8ELi8EfffEviiT4_lPKT3_lilS3_lilPT5_lili.private_seg_size, 0
	.set _ZL36rocblas_gemvt_double_buffered_kernelILb0ELi128ELi8ELi8EfffEviiT4_lPKT3_lilS3_lilPT5_lili.uses_vcc, 1
	.set _ZL36rocblas_gemvt_double_buffered_kernelILb0ELi128ELi8ELi8EfffEviiT4_lPKT3_lilS3_lilPT5_lili.uses_flat_scratch, 0
	.set _ZL36rocblas_gemvt_double_buffered_kernelILb0ELi128ELi8ELi8EfffEviiT4_lPKT3_lilS3_lilPT5_lili.has_dyn_sized_stack, 0
	.set _ZL36rocblas_gemvt_double_buffered_kernelILb0ELi128ELi8ELi8EfffEviiT4_lPKT3_lilS3_lilPT5_lili.has_recursion, 0
	.set _ZL36rocblas_gemvt_double_buffered_kernelILb0ELi128ELi8ELi8EfffEviiT4_lPKT3_lilS3_lilPT5_lili.has_indirect_call, 0
	.section	.AMDGPU.csdata,"",@progbits
; Kernel info:
; codeLenInByte = 4464
; TotalNumSgprs: 38
; NumVgprs: 62
; ScratchSize: 0
; MemoryBound: 0
; FloatMode: 240
; IeeeMode: 1
; LDSByteSize: 32768 bytes/workgroup (compile time only)
; SGPRBlocks: 0
; VGPRBlocks: 7
; NumSGPRsForWavesPerEU: 38
; NumVGPRsForWavesPerEU: 62
; Occupancy: 16
; WaveLimiterHint : 0
; COMPUTE_PGM_RSRC2:SCRATCH_EN: 0
; COMPUTE_PGM_RSRC2:USER_SGPR: 6
; COMPUTE_PGM_RSRC2:TRAP_HANDLER: 0
; COMPUTE_PGM_RSRC2:TGID_X_EN: 1
; COMPUTE_PGM_RSRC2:TGID_Y_EN: 1
; COMPUTE_PGM_RSRC2:TGID_Z_EN: 1
; COMPUTE_PGM_RSRC2:TIDIG_COMP_CNT: 1
	.section	.text._ZL32rocblas_gemvt_warp_reduce_kernelILb0ELi256EifPKffEviiT3_lPKT2_lT1_lS5_lS6_lS2_lPT4_lS6_li,"axG",@progbits,_ZL32rocblas_gemvt_warp_reduce_kernelILb0ELi256EifPKffEviiT3_lPKT2_lT1_lS5_lS6_lS2_lPT4_lS6_li,comdat
	.globl	_ZL32rocblas_gemvt_warp_reduce_kernelILb0ELi256EifPKffEviiT3_lPKT2_lT1_lS5_lS6_lS2_lPT4_lS6_li ; -- Begin function _ZL32rocblas_gemvt_warp_reduce_kernelILb0ELi256EifPKffEviiT3_lPKT2_lT1_lS5_lS6_lS2_lPT4_lS6_li
	.p2align	8
	.type	_ZL32rocblas_gemvt_warp_reduce_kernelILb0ELi256EifPKffEviiT3_lPKT2_lT1_lS5_lS6_lS2_lPT4_lS6_li,@function
_ZL32rocblas_gemvt_warp_reduce_kernelILb0ELi256EifPKffEviiT3_lPKT2_lT1_lS5_lS6_lS2_lPT4_lS6_li: ; @_ZL32rocblas_gemvt_warp_reduce_kernelILb0ELi256EifPKffEviiT3_lPKT2_lT1_lS5_lS6_lS2_lPT4_lS6_li
; %bb.0:
	s_clause 0x1
	s_load_dwordx8 s[8:15], s[4:5], 0x8
	s_load_dwordx8 s[16:23], s[4:5], 0x50
	s_waitcnt lgkmcnt(0)
	s_mul_i32 s1, s11, s7
	s_mul_hi_u32 s2, s10, s7
	s_mul_i32 s0, s10, s7
	s_add_i32 s1, s2, s1
	s_mul_i32 s2, s21, s7
	s_lshl_b64 s[0:1], s[0:1], 2
	s_mul_hi_u32 s3, s20, s7
	s_add_u32 s0, s8, s0
	s_addc_u32 s1, s9, s1
	s_add_i32 s3, s3, s2
	s_mul_i32 s2, s20, s7
	s_mov_b32 s10, 0
	s_lshl_b64 s[2:3], s[2:3], 2
	s_add_u32 s2, s18, s2
	s_addc_u32 s3, s19, s3
	s_load_dword s11, s[0:1], 0x0
	s_load_dword s9, s[2:3], 0x0
	s_waitcnt lgkmcnt(0)
	v_cmp_eq_f32_e64 s0, s11, 0
	v_cmp_eq_f32_e64 s1, s9, 1.0
	s_and_b32 s0, s0, s1
	s_and_b32 vcc_lo, exec_lo, s0
	s_cbranch_vccnz .LBB26_30
; %bb.1:
	s_clause 0x2
	s_load_dwordx2 s[0:1], s[4:5], 0x80
	s_load_dwordx2 s[2:3], s[4:5], 0x70
	s_load_dword s18, s[4:5], 0x78
	v_cmp_neq_f32_e64 s19, s11, 0
	s_waitcnt lgkmcnt(0)
	s_mul_i32 s1, s1, s7
	s_mul_hi_u32 s8, s0, s7
	s_mul_i32 s0, s0, s7
	s_add_i32 s1, s8, s1
	s_lshl_b64 s[0:1], s[0:1], 2
	s_add_u32 s0, s22, s0
	s_addc_u32 s8, s23, s1
	s_lshl_b64 s[2:3], s[2:3], 2
	s_add_u32 s1, s0, s2
	v_cmp_eq_u32_e64 s0, 0, v0
	s_addc_u32 s8, s8, s3
	s_and_b32 vcc_lo, exec_lo, s19
	s_cbranch_vccnz .LBB26_5
; %bb.2:
	s_mov_b32 s19, 0
                                        ; implicit-def: $vgpr1
                                        ; implicit-def: $sgpr2_sgpr3
	s_and_saveexec_b32 s20, s0
	s_cbranch_execz .LBB26_6
; %bb.3:
	v_cmp_eq_f32_e64 s0, s9, 0
	s_mul_i32 s2, s18, s6
	s_ashr_i32 s3, s2, 31
	s_and_b32 vcc_lo, exec_lo, s0
	s_cbranch_vccnz .LBB26_7
; %bb.4:
	s_lshl_b64 s[22:23], s[2:3], 2
	s_add_u32 s22, s1, s22
	s_addc_u32 s23, s8, s23
	s_load_dword s0, s[22:23], 0x0
	s_waitcnt lgkmcnt(0)
	v_mul_f32_e64 v1, s9, s0
	s_branch .LBB26_8
.LBB26_5:
                                        ; implicit-def: $vgpr1
                                        ; implicit-def: $sgpr2_sgpr3
	s_cbranch_execnz .LBB26_9
	s_branch .LBB26_28
.LBB26_6:
	s_or_b32 exec_lo, exec_lo, s20
	s_and_b32 vcc_lo, exec_lo, s19
	s_cbranch_vccnz .LBB26_9
	s_branch .LBB26_28
.LBB26_7:
	v_mov_b32_e32 v1, 0
.LBB26_8:
	s_mov_b32 s10, exec_lo
	s_or_b32 exec_lo, exec_lo, s20
	s_and_b32 vcc_lo, exec_lo, s19
	s_cbranch_vccz .LBB26_28
.LBB26_9:
	s_clause 0x3
	s_load_dwordx4 s[20:23], s[4:5], 0x30
	s_load_dwordx2 s[24:25], s[4:5], 0x40
	s_load_dword s3, s[4:5], 0x0
	s_load_dword s0, s[4:5], 0x28
	s_mul_i32 s2, s17, s7
	s_mul_hi_u32 s17, s16, s7
	s_mul_i32 s16, s16, s7
	s_add_i32 s17, s17, s2
	s_load_dword s4, s[4:5], 0x48
	s_lshl_b64 s[16:17], s[16:17], 2
	v_mov_b32_e32 v7, 0
	s_waitcnt lgkmcnt(0)
	s_add_u32 s2, s22, s16
	s_addc_u32 s22, s23, s17
	v_cmp_gt_i32_e32 vcc_lo, s3, v0
	s_lshl_b64 s[16:17], s[24:25], 2
	s_mul_i32 s19, s21, s7
	s_mul_hi_u32 s21, s20, s7
	s_add_u32 s5, s2, s16
	v_cndmask_b32_e32 v1, 0, v0, vcc_lo
	s_mul_i32 s20, s20, s7
	s_addc_u32 s7, s22, s17
	s_add_i32 s21, s21, s19
	s_lshl_b64 s[16:17], s[20:21], 2
	s_mul_i32 s20, s0, s6
	s_add_u32 s0, s12, s16
	v_lshlrev_b32_e32 v1, 2, v1
	s_addc_u32 s2, s13, s17
	s_lshl_b64 s[12:13], s[14:15], 2
	s_add_u32 s0, s0, s12
	s_addc_u32 s2, s2, s13
	v_add_co_u32 v1, s0, s0, v1
	s_ashr_i32 s12, s3, 31
	s_ashr_i32 s21, s20, 31
	v_add_co_ci_u32_e64 v2, null, s2, 0, s0
	s_lshr_b32 s0, s12, 24
	s_lshl_b64 s[12:13], s[20:21], 2
	s_add_i32 s0, s3, s0
	v_add_co_u32 v1, vcc_lo, v1, s12
	v_add_co_ci_u32_e64 v2, null, s13, v2, vcc_lo
	s_and_b32 s2, s0, 0xffffff00
	s_mov_b32 s13, 0
	s_mov_b32 s12, exec_lo
	v_cmpx_gt_i32_e64 s2, v0
	s_cbranch_execz .LBB26_13
; %bb.10:
	v_mul_lo_u32 v3, v0, s4
	v_mov_b32_e32 v6, v2
	v_mov_b32_e32 v7, 0
	;; [unrolled: 1-line block ×4, first 2 shown]
	s_lshl_b32 s14, s4, 8
	.p2align	6
.LBB26_11:                              ; =>This Inner Loop Header: Depth=1
	v_ashrrev_i32_e32 v4, 31, v3
	v_add_nc_u32_e32 v8, 0x100, v8
	v_lshlrev_b64 v[9:10], 2, v[3:4]
	v_cmp_le_i32_e64 s0, s2, v8
	v_add_nc_u32_e32 v3, s14, v3
	s_or_b32 s13, s0, s13
	v_add_co_u32 v9, vcc_lo, s5, v9
	v_add_co_ci_u32_e64 v10, null, s7, v10, vcc_lo
	global_load_dword v4, v[5:6], off
	global_load_dword v9, v[9:10], off
	v_add_co_u32 v5, vcc_lo, 0x400, v5
	v_add_co_ci_u32_e64 v6, null, 0, v6, vcc_lo
	s_waitcnt vmcnt(0)
	v_fmac_f32_e32 v7, v4, v9
	s_andn2_b32 exec_lo, exec_lo, s13
	s_cbranch_execnz .LBB26_11
; %bb.12:
	s_or_b32 exec_lo, exec_lo, s13
.LBB26_13:
	s_or_b32 exec_lo, exec_lo, s12
	v_add_nc_u32_e32 v3, s2, v0
	s_mov_b32 s0, exec_lo
	v_cmpx_gt_i32_e64 s3, v3
	s_cbranch_execz .LBB26_15
; %bb.14:
	v_mul_lo_u32 v3, s4, v3
	s_ashr_i32 s3, s2, 31
	s_lshl_b64 s[2:3], s[2:3], 2
	v_add_co_u32 v1, vcc_lo, v1, s2
	v_add_co_ci_u32_e64 v2, null, s3, v2, vcc_lo
	v_ashrrev_i32_e32 v4, 31, v3
	v_lshlrev_b64 v[3:4], 2, v[3:4]
	v_add_co_u32 v3, vcc_lo, s5, v3
	v_add_co_ci_u32_e64 v4, null, s7, v4, vcc_lo
	global_load_dword v1, v[1:2], off
	global_load_dword v2, v[3:4], off
	s_waitcnt vmcnt(0)
	v_fmac_f32_e32 v7, v1, v2
.LBB26_15:
	s_or_b32 exec_lo, exec_lo, s0
	v_and_b32_e32 v5, 31, v0
	v_cmp_gt_u32_e32 vcc_lo, 32, v0
	v_lshlrev_b32_e32 v1, 2, v5
	s_and_saveexec_b32 s0, vcc_lo
; %bb.16:
	v_mov_b32_e32 v2, 0
	ds_write_b32 v1, v2
; %bb.17:
	s_or_b32 exec_lo, exec_lo, s0
	v_mbcnt_lo_u32_b32 v4, -1, 0
	s_mov_b32 s2, exec_lo
	s_waitcnt lgkmcnt(0)
	s_barrier
	buffer_gl0_inv
	v_lshl_or_b32 v2, v4, 2, 64
	v_cmp_gt_u32_e64 s0, 24, v4
	ds_bpermute_b32 v2, v2, v7
	v_cndmask_b32_e64 v3, 0, 8, s0
	v_cmp_gt_u32_e64 s0, 28, v4
	v_add_lshl_u32 v3, v3, v4, 2
	s_waitcnt lgkmcnt(0)
	v_add_f32_e32 v6, v7, v2
	v_cndmask_b32_e64 v2, 0, 4, s0
	v_cmp_gt_u32_e64 s0, 30, v4
	ds_bpermute_b32 v3, v3, v6
	v_add_lshl_u32 v2, v2, v4, 2
	s_waitcnt lgkmcnt(0)
	v_add_f32_e32 v6, v6, v3
	v_cndmask_b32_e64 v3, 0, 2, s0
	v_cmp_ne_u32_e64 s0, 31, v4
	ds_bpermute_b32 v7, v2, v6
	v_add_lshl_u32 v3, v3, v4, 2
	v_add_co_ci_u32_e64 v4, null, 0, v4, s0
	v_lshlrev_b32_e32 v4, 2, v4
	s_waitcnt lgkmcnt(0)
	v_add_f32_e32 v6, v6, v7
	ds_bpermute_b32 v7, v3, v6
	s_waitcnt lgkmcnt(0)
	v_add_f32_e32 v6, v6, v7
	ds_bpermute_b32 v7, v4, v6
	v_cmpx_eq_u32_e32 0, v5
	s_cbranch_execz .LBB26_19
; %bb.18:
	v_lshrrev_b32_e32 v5, 3, v0
	s_waitcnt lgkmcnt(0)
	v_add_f32_e32 v6, v6, v7
	v_and_b32_e32 v5, 28, v5
	ds_write_b32 v5, v6
.LBB26_19:
	s_or_b32 exec_lo, exec_lo, s2
	v_mov_b32_e32 v5, 0
	s_mov_b32 s2, exec_lo
	s_waitcnt lgkmcnt(0)
	s_barrier
	buffer_gl0_inv
	v_cmpx_gt_u32_e32 8, v0
; %bb.20:
	ds_read_b32 v5, v1
; %bb.21:
	s_or_b32 exec_lo, exec_lo, s2
	s_and_saveexec_b32 s0, vcc_lo
	s_cbranch_execz .LBB26_23
; %bb.22:
	s_waitcnt lgkmcnt(0)
	ds_bpermute_b32 v1, v2, v5
	s_waitcnt lgkmcnt(0)
	v_add_f32_e32 v1, v5, v1
	ds_bpermute_b32 v2, v3, v1
	s_waitcnt lgkmcnt(0)
	v_add_f32_e32 v1, v1, v2
	;; [unrolled: 3-line block ×3, first 2 shown]
.LBB26_23:
	s_or_b32 exec_lo, exec_lo, s0
	s_mov_b32 s0, exec_lo
                                        ; implicit-def: $vgpr1
                                        ; implicit-def: $sgpr2_sgpr3
	v_cmpx_eq_u32_e32 0, v0
	s_cbranch_execz .LBB26_27
; %bb.24:
	v_cmp_eq_f32_e64 s3, s9, 0
	s_waitcnt lgkmcnt(0)
	v_mul_f32_e32 v1, s11, v5
	s_mul_i32 s2, s18, s6
	s_and_b32 vcc_lo, exec_lo, s3
	s_ashr_i32 s3, s2, 31
	s_cbranch_vccnz .LBB26_26
; %bb.25:
	s_lshl_b64 s[4:5], s[2:3], 2
	s_add_u32 s4, s1, s4
	s_addc_u32 s5, s8, s5
	s_load_dword s4, s[4:5], 0x0
	s_waitcnt lgkmcnt(0)
	v_fmac_f32_e64 v1, s9, s4
.LBB26_26:
	s_or_b32 s10, s10, exec_lo
.LBB26_27:
	s_or_b32 exec_lo, exec_lo, s0
.LBB26_28:
	s_and_saveexec_b32 s0, s10
	s_cbranch_execz .LBB26_30
; %bb.29:
	s_lshl_b64 s[2:3], s[2:3], 2
	v_mov_b32_e32 v0, 0
	s_add_u32 s0, s1, s2
	s_addc_u32 s1, s8, s3
	global_store_dword v0, v1, s[0:1]
.LBB26_30:
	s_endpgm
	.section	.rodata,"a",@progbits
	.p2align	6, 0x0
	.amdhsa_kernel _ZL32rocblas_gemvt_warp_reduce_kernelILb0ELi256EifPKffEviiT3_lPKT2_lT1_lS5_lS6_lS2_lPT4_lS6_li
		.amdhsa_group_segment_fixed_size 128
		.amdhsa_private_segment_fixed_size 0
		.amdhsa_kernarg_size 140
		.amdhsa_user_sgpr_count 6
		.amdhsa_user_sgpr_private_segment_buffer 1
		.amdhsa_user_sgpr_dispatch_ptr 0
		.amdhsa_user_sgpr_queue_ptr 0
		.amdhsa_user_sgpr_kernarg_segment_ptr 1
		.amdhsa_user_sgpr_dispatch_id 0
		.amdhsa_user_sgpr_flat_scratch_init 0
		.amdhsa_user_sgpr_private_segment_size 0
		.amdhsa_wavefront_size32 1
		.amdhsa_uses_dynamic_stack 0
		.amdhsa_system_sgpr_private_segment_wavefront_offset 0
		.amdhsa_system_sgpr_workgroup_id_x 1
		.amdhsa_system_sgpr_workgroup_id_y 0
		.amdhsa_system_sgpr_workgroup_id_z 1
		.amdhsa_system_sgpr_workgroup_info 0
		.amdhsa_system_vgpr_workitem_id 0
		.amdhsa_next_free_vgpr 11
		.amdhsa_next_free_sgpr 26
		.amdhsa_reserve_vcc 1
		.amdhsa_reserve_flat_scratch 0
		.amdhsa_float_round_mode_32 0
		.amdhsa_float_round_mode_16_64 0
		.amdhsa_float_denorm_mode_32 3
		.amdhsa_float_denorm_mode_16_64 3
		.amdhsa_dx10_clamp 1
		.amdhsa_ieee_mode 1
		.amdhsa_fp16_overflow 0
		.amdhsa_workgroup_processor_mode 1
		.amdhsa_memory_ordered 1
		.amdhsa_forward_progress 1
		.amdhsa_shared_vgpr_count 0
		.amdhsa_exception_fp_ieee_invalid_op 0
		.amdhsa_exception_fp_denorm_src 0
		.amdhsa_exception_fp_ieee_div_zero 0
		.amdhsa_exception_fp_ieee_overflow 0
		.amdhsa_exception_fp_ieee_underflow 0
		.amdhsa_exception_fp_ieee_inexact 0
		.amdhsa_exception_int_div_zero 0
	.end_amdhsa_kernel
	.section	.text._ZL32rocblas_gemvt_warp_reduce_kernelILb0ELi256EifPKffEviiT3_lPKT2_lT1_lS5_lS6_lS2_lPT4_lS6_li,"axG",@progbits,_ZL32rocblas_gemvt_warp_reduce_kernelILb0ELi256EifPKffEviiT3_lPKT2_lT1_lS5_lS6_lS2_lPT4_lS6_li,comdat
.Lfunc_end26:
	.size	_ZL32rocblas_gemvt_warp_reduce_kernelILb0ELi256EifPKffEviiT3_lPKT2_lT1_lS5_lS6_lS2_lPT4_lS6_li, .Lfunc_end26-_ZL32rocblas_gemvt_warp_reduce_kernelILb0ELi256EifPKffEviiT3_lPKT2_lT1_lS5_lS6_lS2_lPT4_lS6_li
                                        ; -- End function
	.set _ZL32rocblas_gemvt_warp_reduce_kernelILb0ELi256EifPKffEviiT3_lPKT2_lT1_lS5_lS6_lS2_lPT4_lS6_li.num_vgpr, 11
	.set _ZL32rocblas_gemvt_warp_reduce_kernelILb0ELi256EifPKffEviiT3_lPKT2_lT1_lS5_lS6_lS2_lPT4_lS6_li.num_agpr, 0
	.set _ZL32rocblas_gemvt_warp_reduce_kernelILb0ELi256EifPKffEviiT3_lPKT2_lT1_lS5_lS6_lS2_lPT4_lS6_li.numbered_sgpr, 26
	.set _ZL32rocblas_gemvt_warp_reduce_kernelILb0ELi256EifPKffEviiT3_lPKT2_lT1_lS5_lS6_lS2_lPT4_lS6_li.num_named_barrier, 0
	.set _ZL32rocblas_gemvt_warp_reduce_kernelILb0ELi256EifPKffEviiT3_lPKT2_lT1_lS5_lS6_lS2_lPT4_lS6_li.private_seg_size, 0
	.set _ZL32rocblas_gemvt_warp_reduce_kernelILb0ELi256EifPKffEviiT3_lPKT2_lT1_lS5_lS6_lS2_lPT4_lS6_li.uses_vcc, 1
	.set _ZL32rocblas_gemvt_warp_reduce_kernelILb0ELi256EifPKffEviiT3_lPKT2_lT1_lS5_lS6_lS2_lPT4_lS6_li.uses_flat_scratch, 0
	.set _ZL32rocblas_gemvt_warp_reduce_kernelILb0ELi256EifPKffEviiT3_lPKT2_lT1_lS5_lS6_lS2_lPT4_lS6_li.has_dyn_sized_stack, 0
	.set _ZL32rocblas_gemvt_warp_reduce_kernelILb0ELi256EifPKffEviiT3_lPKT2_lT1_lS5_lS6_lS2_lPT4_lS6_li.has_recursion, 0
	.set _ZL32rocblas_gemvt_warp_reduce_kernelILb0ELi256EifPKffEviiT3_lPKT2_lT1_lS5_lS6_lS2_lPT4_lS6_li.has_indirect_call, 0
	.section	.AMDGPU.csdata,"",@progbits
; Kernel info:
; codeLenInByte = 1352
; TotalNumSgprs: 28
; NumVgprs: 11
; ScratchSize: 0
; MemoryBound: 0
; FloatMode: 240
; IeeeMode: 1
; LDSByteSize: 128 bytes/workgroup (compile time only)
; SGPRBlocks: 0
; VGPRBlocks: 1
; NumSGPRsForWavesPerEU: 28
; NumVGPRsForWavesPerEU: 11
; Occupancy: 16
; WaveLimiterHint : 1
; COMPUTE_PGM_RSRC2:SCRATCH_EN: 0
; COMPUTE_PGM_RSRC2:USER_SGPR: 6
; COMPUTE_PGM_RSRC2:TRAP_HANDLER: 0
; COMPUTE_PGM_RSRC2:TGID_X_EN: 1
; COMPUTE_PGM_RSRC2:TGID_Y_EN: 0
; COMPUTE_PGM_RSRC2:TGID_Z_EN: 1
; COMPUTE_PGM_RSRC2:TIDIG_COMP_CNT: 0
	.section	.text._ZL32rocblas_gemvt_warp_reduce_kernelILb0ELi256ElfPKffEviiT3_lPKT2_lT1_lS5_lS6_lS2_lPT4_lS6_li,"axG",@progbits,_ZL32rocblas_gemvt_warp_reduce_kernelILb0ELi256ElfPKffEviiT3_lPKT2_lT1_lS5_lS6_lS2_lPT4_lS6_li,comdat
	.globl	_ZL32rocblas_gemvt_warp_reduce_kernelILb0ELi256ElfPKffEviiT3_lPKT2_lT1_lS5_lS6_lS2_lPT4_lS6_li ; -- Begin function _ZL32rocblas_gemvt_warp_reduce_kernelILb0ELi256ElfPKffEviiT3_lPKT2_lT1_lS5_lS6_lS2_lPT4_lS6_li
	.p2align	8
	.type	_ZL32rocblas_gemvt_warp_reduce_kernelILb0ELi256ElfPKffEviiT3_lPKT2_lT1_lS5_lS6_lS2_lPT4_lS6_li,@function
_ZL32rocblas_gemvt_warp_reduce_kernelILb0ELi256ElfPKffEviiT3_lPKT2_lT1_lS5_lS6_lS2_lPT4_lS6_li: ; @_ZL32rocblas_gemvt_warp_reduce_kernelILb0ELi256ElfPKffEviiT3_lPKT2_lT1_lS5_lS6_lS2_lPT4_lS6_li
; %bb.0:
	s_clause 0x1
	s_load_dwordx16 s[36:51], s[4:5], 0x8
	s_load_dwordx16 s[8:23], s[4:5], 0x48
	s_waitcnt lgkmcnt(0)
	s_mul_i32 s1, s39, s7
	s_mul_hi_u32 s2, s38, s7
	s_mul_i32 s0, s38, s7
	s_add_i32 s1, s2, s1
	s_mul_i32 s2, s15, s7
	s_lshl_b64 s[0:1], s[0:1], 2
	s_mul_hi_u32 s3, s14, s7
	s_add_u32 s0, s36, s0
	s_addc_u32 s1, s37, s1
	s_add_i32 s3, s3, s2
	s_mul_i32 s2, s14, s7
	s_mov_b32 s14, 0
	s_lshl_b64 s[2:3], s[2:3], 2
	s_add_u32 s2, s12, s2
	s_addc_u32 s3, s13, s3
	s_load_dword s15, s[0:1], 0x0
	s_load_dword s13, s[2:3], 0x0
	s_waitcnt lgkmcnt(0)
	v_cmp_eq_f32_e64 s0, s15, 0
	v_cmp_eq_f32_e64 s1, s13, 1.0
	s_and_b32 s0, s0, s1
	s_and_b32 vcc_lo, exec_lo, s0
	s_cbranch_vccnz .LBB27_30
; %bb.1:
	s_mul_i32 s1, s23, s7
	s_mul_hi_u32 s2, s22, s7
	s_mul_i32 s0, s22, s7
	s_add_i32 s1, s2, s1
	v_cmp_neq_f32_e64 s22, s15, 0
	s_lshl_b64 s[0:1], s[0:1], 2
	s_add_u32 s0, s16, s0
	s_addc_u32 s12, s17, s1
	s_lshl_b64 s[2:3], s[18:19], 2
	s_add_u32 s1, s0, s2
	v_cmp_eq_u32_e64 s0, 0, v0
	s_addc_u32 s12, s12, s3
	s_and_b32 vcc_lo, exec_lo, s22
	s_cbranch_vccnz .LBB27_5
; %bb.2:
	s_mov_b32 s16, 0
                                        ; implicit-def: $vgpr1
                                        ; implicit-def: $sgpr2_sgpr3
	s_and_saveexec_b32 s17, s0
	s_cbranch_execz .LBB27_6
; %bb.3:
	s_ashr_i32 s2, s6, 31
	v_cmp_eq_f32_e64 s0, s13, 0
	s_mul_hi_u32 s3, s20, s6
	s_mul_i32 s2, s20, s2
	s_mul_i32 s14, s21, s6
	s_add_i32 s2, s3, s2
	s_and_b32 vcc_lo, exec_lo, s0
	s_add_i32 s3, s2, s14
	s_mul_i32 s2, s20, s6
	s_cbranch_vccnz .LBB27_7
; %bb.4:
	s_lshl_b64 s[18:19], s[2:3], 2
	s_add_u32 s18, s1, s18
	s_addc_u32 s19, s12, s19
	s_load_dword s0, s[18:19], 0x0
	s_waitcnt lgkmcnt(0)
	v_mul_f32_e64 v1, s13, s0
	s_branch .LBB27_8
.LBB27_5:
                                        ; implicit-def: $vgpr1
                                        ; implicit-def: $sgpr2_sgpr3
	s_cbranch_execnz .LBB27_9
	s_branch .LBB27_28
.LBB27_6:
	s_or_b32 exec_lo, exec_lo, s17
	s_and_b32 vcc_lo, exec_lo, s16
	s_cbranch_vccnz .LBB27_9
	s_branch .LBB27_28
.LBB27_7:
	v_mov_b32_e32 v1, 0
.LBB27_8:
	s_mov_b32 s14, exec_lo
	s_or_b32 exec_lo, exec_lo, s17
	s_and_b32 vcc_lo, exec_lo, s16
	s_cbranch_vccz .LBB27_28
.LBB27_9:
	s_load_dword s5, s[4:5], 0x0
	s_mul_i32 s0, s11, s7
	s_mul_i32 s3, s47, s7
	s_mul_hi_u32 s11, s46, s7
	s_mul_i32 s2, s46, s7
	s_add_i32 s3, s11, s3
	s_mul_hi_u32 s4, s10, s7
	s_lshl_b64 s[16:17], s[2:3], 2
	s_add_i32 s3, s4, s0
	s_add_u32 s0, s40, s16
	s_addc_u32 s2, s41, s17
	s_lshl_b64 s[16:17], s[42:43], 2
	s_mul_hi_u32 s4, s44, s6
	s_add_u32 s0, s0, s16
	s_addc_u32 s2, s2, s17
	s_ashr_i32 s16, s6, 31
	s_mul_i32 s11, s45, s6
	s_mul_i32 s17, s44, s16
	;; [unrolled: 1-line block ×3, first 2 shown]
	s_add_i32 s4, s4, s17
	s_waitcnt lgkmcnt(0)
	v_cmp_gt_i32_e32 vcc_lo, s5, v0
	s_add_i32 s19, s4, s11
	s_ashr_i32 s4, s5, 31
	s_lshl_b64 s[18:19], s[18:19], 2
	s_lshr_b32 s4, s4, 24
	v_cndmask_b32_e32 v1, 0, v0, vcc_lo
	v_mov_b32_e32 v7, 0
	s_add_i32 s4, s5, s4
	s_mov_b32 s17, 0
	s_and_b32 s4, s4, 0xffffff00
	v_lshlrev_b32_e32 v1, 2, v1
	v_add_co_u32 v1, s0, s0, v1
	v_add_co_ci_u32_e64 v2, null, s2, 0, s0
	s_mul_i32 s2, s10, s7
	v_add_co_u32 v1, vcc_lo, v1, s18
	v_add_co_ci_u32_e64 v2, null, s19, v2, vcc_lo
	s_mov_b32 s7, exec_lo
	v_cmpx_gt_i32_e64 s4, v0
	s_cbranch_execz .LBB27_13
; %bb.10:
	v_mad_u64_u32 v[5:6], null, s8, v0, 0
	s_lshl_b64 s[18:19], s[50:51], 2
	s_lshl_b64 s[10:11], s[2:3], 2
	s_add_u32 s0, s48, s18
	s_addc_u32 s18, s49, s19
	s_add_u32 s0, s0, s10
	s_addc_u32 s10, s18, s11
	v_mov_b32_e32 v3, v6
	v_mov_b32_e32 v7, 0
	;; [unrolled: 1-line block ×3, first 2 shown]
	v_mad_u64_u32 v[3:4], null, s9, v0, v[3:4]
	v_mov_b32_e32 v6, v3
	v_mov_b32_e32 v4, v2
	;; [unrolled: 1-line block ×3, first 2 shown]
	v_lshlrev_b64 v[5:6], 2, v[5:6]
	v_add_co_u32 v5, vcc_lo, s0, v5
	v_add_co_ci_u32_e64 v6, null, s10, v6, vcc_lo
	s_lshl_b64 s[10:11], s[8:9], 10
	.p2align	6
.LBB27_11:                              ; =>This Inner Loop Header: Depth=1
	global_load_dword v9, v[3:4], off
	global_load_dword v10, v[5:6], off
	v_add_nc_u32_e32 v8, 0x100, v8
	v_add_co_u32 v3, vcc_lo, 0x400, v3
	v_add_co_ci_u32_e64 v4, null, 0, v4, vcc_lo
	v_add_co_u32 v5, vcc_lo, v5, s10
	v_cmp_le_i32_e64 s0, s4, v8
	v_add_co_ci_u32_e64 v6, null, s11, v6, vcc_lo
	s_or_b32 s17, s0, s17
	s_waitcnt vmcnt(0)
	v_fmac_f32_e32 v7, v9, v10
	s_andn2_b32 exec_lo, exec_lo, s17
	s_cbranch_execnz .LBB27_11
; %bb.12:
	s_or_b32 exec_lo, exec_lo, s17
.LBB27_13:
	s_or_b32 exec_lo, exec_lo, s7
	v_add_nc_u32_e32 v3, s4, v0
	s_mov_b32 s0, exec_lo
	v_cmpx_gt_i32_e64 s5, v3
	s_cbranch_execz .LBB27_15
; %bb.14:
	v_ashrrev_i32_e32 v5, 31, v3
	v_mul_lo_u32 v6, s9, v3
	v_mad_u64_u32 v[3:4], null, s8, v3, 0
	s_lshl_b64 s[2:3], s[2:3], 2
	v_mul_lo_u32 v5, s8, v5
	s_add_u32 s5, s48, s2
	s_addc_u32 s7, s49, s3
	s_lshl_b64 s[2:3], s[50:51], 2
	s_add_u32 s8, s5, s2
	s_addc_u32 s7, s7, s3
	s_ashr_i32 s5, s4, 31
	v_add3_u32 v4, v4, v5, v6
	s_lshl_b64 s[2:3], s[4:5], 2
	v_add_co_u32 v1, vcc_lo, v1, s2
	v_lshlrev_b64 v[3:4], 2, v[3:4]
	v_add_co_ci_u32_e64 v2, null, s3, v2, vcc_lo
	v_add_co_u32 v3, vcc_lo, s8, v3
	v_add_co_ci_u32_e64 v4, null, s7, v4, vcc_lo
	global_load_dword v1, v[1:2], off
	global_load_dword v2, v[3:4], off
	s_waitcnt vmcnt(0)
	v_fmac_f32_e32 v7, v1, v2
.LBB27_15:
	s_or_b32 exec_lo, exec_lo, s0
	v_and_b32_e32 v5, 31, v0
	v_cmp_gt_u32_e32 vcc_lo, 32, v0
	v_lshlrev_b32_e32 v1, 2, v5
	s_and_saveexec_b32 s0, vcc_lo
; %bb.16:
	v_mov_b32_e32 v2, 0
	ds_write_b32 v1, v2
; %bb.17:
	s_or_b32 exec_lo, exec_lo, s0
	v_mbcnt_lo_u32_b32 v4, -1, 0
	s_mov_b32 s2, exec_lo
	s_waitcnt lgkmcnt(0)
	s_barrier
	buffer_gl0_inv
	v_lshl_or_b32 v2, v4, 2, 64
	v_cmp_gt_u32_e64 s0, 24, v4
	ds_bpermute_b32 v2, v2, v7
	v_cndmask_b32_e64 v3, 0, 8, s0
	v_cmp_gt_u32_e64 s0, 28, v4
	v_add_lshl_u32 v3, v3, v4, 2
	s_waitcnt lgkmcnt(0)
	v_add_f32_e32 v6, v7, v2
	v_cndmask_b32_e64 v2, 0, 4, s0
	v_cmp_gt_u32_e64 s0, 30, v4
	ds_bpermute_b32 v3, v3, v6
	v_add_lshl_u32 v2, v2, v4, 2
	s_waitcnt lgkmcnt(0)
	v_add_f32_e32 v6, v6, v3
	v_cndmask_b32_e64 v3, 0, 2, s0
	v_cmp_ne_u32_e64 s0, 31, v4
	ds_bpermute_b32 v7, v2, v6
	v_add_lshl_u32 v3, v3, v4, 2
	v_add_co_ci_u32_e64 v4, null, 0, v4, s0
	v_lshlrev_b32_e32 v4, 2, v4
	s_waitcnt lgkmcnt(0)
	v_add_f32_e32 v6, v6, v7
	ds_bpermute_b32 v7, v3, v6
	s_waitcnt lgkmcnt(0)
	v_add_f32_e32 v6, v6, v7
	ds_bpermute_b32 v7, v4, v6
	v_cmpx_eq_u32_e32 0, v5
	s_cbranch_execz .LBB27_19
; %bb.18:
	v_lshrrev_b32_e32 v5, 3, v0
	s_waitcnt lgkmcnt(0)
	v_add_f32_e32 v6, v6, v7
	v_and_b32_e32 v5, 28, v5
	ds_write_b32 v5, v6
.LBB27_19:
	s_or_b32 exec_lo, exec_lo, s2
	v_mov_b32_e32 v5, 0
	s_mov_b32 s2, exec_lo
	s_waitcnt lgkmcnt(0)
	s_barrier
	buffer_gl0_inv
	v_cmpx_gt_u32_e32 8, v0
; %bb.20:
	ds_read_b32 v5, v1
; %bb.21:
	s_or_b32 exec_lo, exec_lo, s2
	s_and_saveexec_b32 s0, vcc_lo
	s_cbranch_execz .LBB27_23
; %bb.22:
	s_waitcnt lgkmcnt(0)
	ds_bpermute_b32 v1, v2, v5
	s_waitcnt lgkmcnt(0)
	v_add_f32_e32 v1, v5, v1
	ds_bpermute_b32 v2, v3, v1
	s_waitcnt lgkmcnt(0)
	v_add_f32_e32 v1, v1, v2
	;; [unrolled: 3-line block ×3, first 2 shown]
.LBB27_23:
	s_or_b32 exec_lo, exec_lo, s0
	s_mov_b32 s0, exec_lo
                                        ; implicit-def: $vgpr1
                                        ; implicit-def: $sgpr2_sgpr3
	v_cmpx_eq_u32_e32 0, v0
	s_cbranch_execz .LBB27_27
; %bb.24:
	v_cmp_eq_f32_e64 s4, s13, 0
	s_mul_i32 s2, s20, s16
	s_mul_hi_u32 s3, s20, s6
	s_waitcnt lgkmcnt(0)
	v_mul_f32_e32 v1, s15, v5
	s_add_i32 s2, s3, s2
	s_mul_i32 s3, s21, s6
	s_and_b32 vcc_lo, exec_lo, s4
	s_add_i32 s3, s2, s3
	s_mul_i32 s2, s20, s6
	s_cbranch_vccnz .LBB27_26
; %bb.25:
	s_lshl_b64 s[4:5], s[2:3], 2
	s_add_u32 s4, s1, s4
	s_addc_u32 s5, s12, s5
	s_load_dword s4, s[4:5], 0x0
	s_waitcnt lgkmcnt(0)
	v_fmac_f32_e64 v1, s13, s4
.LBB27_26:
	s_or_b32 s14, s14, exec_lo
.LBB27_27:
	s_or_b32 exec_lo, exec_lo, s0
.LBB27_28:
	s_and_saveexec_b32 s0, s14
	s_cbranch_execz .LBB27_30
; %bb.29:
	s_lshl_b64 s[2:3], s[2:3], 2
	v_mov_b32_e32 v0, 0
	s_add_u32 s0, s1, s2
	s_addc_u32 s1, s12, s3
	global_store_dword v0, v1, s[0:1]
.LBB27_30:
	s_endpgm
	.section	.rodata,"a",@progbits
	.p2align	6, 0x0
	.amdhsa_kernel _ZL32rocblas_gemvt_warp_reduce_kernelILb0ELi256ElfPKffEviiT3_lPKT2_lT1_lS5_lS6_lS2_lPT4_lS6_li
		.amdhsa_group_segment_fixed_size 128
		.amdhsa_private_segment_fixed_size 0
		.amdhsa_kernarg_size 140
		.amdhsa_user_sgpr_count 6
		.amdhsa_user_sgpr_private_segment_buffer 1
		.amdhsa_user_sgpr_dispatch_ptr 0
		.amdhsa_user_sgpr_queue_ptr 0
		.amdhsa_user_sgpr_kernarg_segment_ptr 1
		.amdhsa_user_sgpr_dispatch_id 0
		.amdhsa_user_sgpr_flat_scratch_init 0
		.amdhsa_user_sgpr_private_segment_size 0
		.amdhsa_wavefront_size32 1
		.amdhsa_uses_dynamic_stack 0
		.amdhsa_system_sgpr_private_segment_wavefront_offset 0
		.amdhsa_system_sgpr_workgroup_id_x 1
		.amdhsa_system_sgpr_workgroup_id_y 0
		.amdhsa_system_sgpr_workgroup_id_z 1
		.amdhsa_system_sgpr_workgroup_info 0
		.amdhsa_system_vgpr_workitem_id 0
		.amdhsa_next_free_vgpr 11
		.amdhsa_next_free_sgpr 52
		.amdhsa_reserve_vcc 1
		.amdhsa_reserve_flat_scratch 0
		.amdhsa_float_round_mode_32 0
		.amdhsa_float_round_mode_16_64 0
		.amdhsa_float_denorm_mode_32 3
		.amdhsa_float_denorm_mode_16_64 3
		.amdhsa_dx10_clamp 1
		.amdhsa_ieee_mode 1
		.amdhsa_fp16_overflow 0
		.amdhsa_workgroup_processor_mode 1
		.amdhsa_memory_ordered 1
		.amdhsa_forward_progress 1
		.amdhsa_shared_vgpr_count 0
		.amdhsa_exception_fp_ieee_invalid_op 0
		.amdhsa_exception_fp_denorm_src 0
		.amdhsa_exception_fp_ieee_div_zero 0
		.amdhsa_exception_fp_ieee_overflow 0
		.amdhsa_exception_fp_ieee_underflow 0
		.amdhsa_exception_fp_ieee_inexact 0
		.amdhsa_exception_int_div_zero 0
	.end_amdhsa_kernel
	.section	.text._ZL32rocblas_gemvt_warp_reduce_kernelILb0ELi256ElfPKffEviiT3_lPKT2_lT1_lS5_lS6_lS2_lPT4_lS6_li,"axG",@progbits,_ZL32rocblas_gemvt_warp_reduce_kernelILb0ELi256ElfPKffEviiT3_lPKT2_lT1_lS5_lS6_lS2_lPT4_lS6_li,comdat
.Lfunc_end27:
	.size	_ZL32rocblas_gemvt_warp_reduce_kernelILb0ELi256ElfPKffEviiT3_lPKT2_lT1_lS5_lS6_lS2_lPT4_lS6_li, .Lfunc_end27-_ZL32rocblas_gemvt_warp_reduce_kernelILb0ELi256ElfPKffEviiT3_lPKT2_lT1_lS5_lS6_lS2_lPT4_lS6_li
                                        ; -- End function
	.set _ZL32rocblas_gemvt_warp_reduce_kernelILb0ELi256ElfPKffEviiT3_lPKT2_lT1_lS5_lS6_lS2_lPT4_lS6_li.num_vgpr, 11
	.set _ZL32rocblas_gemvt_warp_reduce_kernelILb0ELi256ElfPKffEviiT3_lPKT2_lT1_lS5_lS6_lS2_lPT4_lS6_li.num_agpr, 0
	.set _ZL32rocblas_gemvt_warp_reduce_kernelILb0ELi256ElfPKffEviiT3_lPKT2_lT1_lS5_lS6_lS2_lPT4_lS6_li.numbered_sgpr, 52
	.set _ZL32rocblas_gemvt_warp_reduce_kernelILb0ELi256ElfPKffEviiT3_lPKT2_lT1_lS5_lS6_lS2_lPT4_lS6_li.num_named_barrier, 0
	.set _ZL32rocblas_gemvt_warp_reduce_kernelILb0ELi256ElfPKffEviiT3_lPKT2_lT1_lS5_lS6_lS2_lPT4_lS6_li.private_seg_size, 0
	.set _ZL32rocblas_gemvt_warp_reduce_kernelILb0ELi256ElfPKffEviiT3_lPKT2_lT1_lS5_lS6_lS2_lPT4_lS6_li.uses_vcc, 1
	.set _ZL32rocblas_gemvt_warp_reduce_kernelILb0ELi256ElfPKffEviiT3_lPKT2_lT1_lS5_lS6_lS2_lPT4_lS6_li.uses_flat_scratch, 0
	.set _ZL32rocblas_gemvt_warp_reduce_kernelILb0ELi256ElfPKffEviiT3_lPKT2_lT1_lS5_lS6_lS2_lPT4_lS6_li.has_dyn_sized_stack, 0
	.set _ZL32rocblas_gemvt_warp_reduce_kernelILb0ELi256ElfPKffEviiT3_lPKT2_lT1_lS5_lS6_lS2_lPT4_lS6_li.has_recursion, 0
	.set _ZL32rocblas_gemvt_warp_reduce_kernelILb0ELi256ElfPKffEviiT3_lPKT2_lT1_lS5_lS6_lS2_lPT4_lS6_li.has_indirect_call, 0
	.section	.AMDGPU.csdata,"",@progbits
; Kernel info:
; codeLenInByte = 1400
; TotalNumSgprs: 54
; NumVgprs: 11
; ScratchSize: 0
; MemoryBound: 0
; FloatMode: 240
; IeeeMode: 1
; LDSByteSize: 128 bytes/workgroup (compile time only)
; SGPRBlocks: 0
; VGPRBlocks: 1
; NumSGPRsForWavesPerEU: 54
; NumVGPRsForWavesPerEU: 11
; Occupancy: 16
; WaveLimiterHint : 0
; COMPUTE_PGM_RSRC2:SCRATCH_EN: 0
; COMPUTE_PGM_RSRC2:USER_SGPR: 6
; COMPUTE_PGM_RSRC2:TRAP_HANDLER: 0
; COMPUTE_PGM_RSRC2:TGID_X_EN: 1
; COMPUTE_PGM_RSRC2:TGID_Y_EN: 0
; COMPUTE_PGM_RSRC2:TGID_Z_EN: 1
; COMPUTE_PGM_RSRC2:TIDIG_COMP_CNT: 0
	.section	.text._ZL32rocblas_gemvt_warp_reduce_kernelILb0ELi256EifffEviiT3_lPKT2_lT1_lS3_lS4_lS0_lPT4_lS4_li,"axG",@progbits,_ZL32rocblas_gemvt_warp_reduce_kernelILb0ELi256EifffEviiT3_lPKT2_lT1_lS3_lS4_lS0_lPT4_lS4_li,comdat
	.globl	_ZL32rocblas_gemvt_warp_reduce_kernelILb0ELi256EifffEviiT3_lPKT2_lT1_lS3_lS4_lS0_lPT4_lS4_li ; -- Begin function _ZL32rocblas_gemvt_warp_reduce_kernelILb0ELi256EifffEviiT3_lPKT2_lT1_lS3_lS4_lS0_lPT4_lS4_li
	.p2align	8
	.type	_ZL32rocblas_gemvt_warp_reduce_kernelILb0ELi256EifffEviiT3_lPKT2_lT1_lS3_lS4_lS0_lPT4_lS4_li,@function
_ZL32rocblas_gemvt_warp_reduce_kernelILb0ELi256EifffEviiT3_lPKT2_lT1_lS3_lS4_lS0_lPT4_lS4_li: ; @_ZL32rocblas_gemvt_warp_reduce_kernelILb0ELi256EifffEviiT3_lPKT2_lT1_lS3_lS4_lS0_lPT4_lS4_li
; %bb.0:
	s_clause 0x1
	s_load_dword s12, s[4:5], 0x8
	s_load_dword s10, s[4:5], 0x58
	s_mov_b32 s11, 0
	s_waitcnt lgkmcnt(0)
	v_cmp_eq_f32_e64 s0, s12, 0
	v_cmp_eq_f32_e64 s1, s10, 1.0
	s_and_b32 s0, s0, s1
	s_and_b32 vcc_lo, exec_lo, s0
	s_cbranch_vccnz .LBB28_30
; %bb.1:
	s_clause 0x2
	s_load_dwordx2 s[8:9], s[4:5], 0x80
	s_load_dwordx4 s[0:3], s[4:5], 0x68
	s_load_dword s13, s[4:5], 0x78
	s_waitcnt lgkmcnt(0)
	s_mul_i32 s9, s9, s7
	s_mul_hi_u32 s14, s8, s7
	s_mul_i32 s8, s8, s7
	s_add_i32 s9, s14, s9
	v_cmp_neq_f32_e64 s14, s12, 0
	s_lshl_b64 s[8:9], s[8:9], 2
	s_add_u32 s8, s0, s8
	s_addc_u32 s9, s1, s9
	s_lshl_b64 s[0:1], s[2:3], 2
	s_add_u32 s8, s8, s0
	v_cmp_eq_u32_e64 s0, 0, v0
	s_addc_u32 s9, s9, s1
	s_and_b32 vcc_lo, exec_lo, s14
	s_cbranch_vccnz .LBB28_5
; %bb.2:
	s_mov_b32 s1, 0
                                        ; implicit-def: $vgpr1
                                        ; implicit-def: $sgpr2_sgpr3
	s_and_saveexec_b32 s14, s0
	s_cbranch_execz .LBB28_6
; %bb.3:
	v_cmp_eq_f32_e64 s0, s10, 0
	s_mul_i32 s2, s13, s6
	s_ashr_i32 s3, s2, 31
	s_and_b32 vcc_lo, exec_lo, s0
	s_cbranch_vccnz .LBB28_7
; %bb.4:
	s_lshl_b64 s[16:17], s[2:3], 2
	s_add_u32 s16, s8, s16
	s_addc_u32 s17, s9, s17
	s_load_dword s0, s[16:17], 0x0
	s_waitcnt lgkmcnt(0)
	v_mul_f32_e64 v1, s10, s0
	s_branch .LBB28_8
.LBB28_5:
                                        ; implicit-def: $vgpr1
                                        ; implicit-def: $sgpr2_sgpr3
	s_cbranch_execnz .LBB28_9
	s_branch .LBB28_28
.LBB28_6:
	s_or_b32 exec_lo, exec_lo, s14
	s_and_b32 vcc_lo, exec_lo, s1
	s_cbranch_vccnz .LBB28_9
	s_branch .LBB28_28
.LBB28_7:
	v_mov_b32_e32 v1, 0
.LBB28_8:
	s_mov_b32 s11, exec_lo
	s_or_b32 exec_lo, exec_lo, s14
	s_and_b32 vcc_lo, exec_lo, s1
	s_cbranch_vccz .LBB28_28
.LBB28_9:
	s_clause 0x6
	s_load_dwordx2 s[20:21], s[4:5], 0x50
	s_load_dwordx4 s[16:19], s[4:5], 0x30
	s_load_dwordx2 s[22:23], s[4:5], 0x40
	s_load_dword s14, s[4:5], 0x0
	s_load_dwordx4 s[0:3], s[4:5], 0x18
	s_load_dword s15, s[4:5], 0x28
	s_load_dword s4, s[4:5], 0x48
	v_mov_b32_e32 v7, 0
	s_waitcnt lgkmcnt(0)
	s_mul_i32 s5, s21, s7
	s_mul_hi_u32 s21, s20, s7
	s_mul_i32 s20, s20, s7
	s_add_i32 s21, s21, s5
	v_cmp_gt_i32_e32 vcc_lo, s14, v0
	s_lshl_b64 s[20:21], s[20:21], 2
	s_mul_i32 s17, s17, s7
	s_add_u32 s5, s18, s20
	s_addc_u32 s20, s19, s21
	s_lshl_b64 s[18:19], s[22:23], 2
	s_mul_hi_u32 s24, s16, s7
	s_add_u32 s5, s5, s18
	v_cndmask_b32_e32 v1, 0, v0, vcc_lo
	s_mul_i32 s16, s16, s7
	s_addc_u32 s7, s20, s19
	s_add_i32 s17, s24, s17
	s_mul_i32 s18, s15, s6
	s_lshl_b64 s[16:17], s[16:17], 2
	v_lshlrev_b32_e32 v1, 2, v1
	s_add_u32 s15, s0, s16
	s_addc_u32 s16, s1, s17
	s_lshl_b64 s[0:1], s[2:3], 2
	s_mov_b32 s3, 0
	s_add_u32 s0, s15, s0
	s_addc_u32 s1, s16, s1
	v_add_co_u32 v1, s0, s0, v1
	s_ashr_i32 s19, s18, 31
	v_add_co_ci_u32_e64 v2, null, s1, 0, s0
	s_lshl_b64 s[0:1], s[18:19], 2
	s_ashr_i32 s2, s14, 31
	v_add_co_u32 v1, vcc_lo, v1, s0
	s_lshr_b32 s2, s2, 24
	v_add_co_ci_u32_e64 v2, null, s1, v2, vcc_lo
	s_add_i32 s2, s14, s2
	s_mov_b32 s1, exec_lo
	s_and_b32 s2, s2, 0xffffff00
	v_cmpx_gt_i32_e64 s2, v0
	s_cbranch_execz .LBB28_13
; %bb.10:
	v_mul_lo_u32 v3, v0, s4
	v_mov_b32_e32 v6, v2
	v_mov_b32_e32 v7, 0
	;; [unrolled: 1-line block ×4, first 2 shown]
	s_lshl_b32 s15, s4, 8
	.p2align	6
.LBB28_11:                              ; =>This Inner Loop Header: Depth=1
	v_ashrrev_i32_e32 v4, 31, v3
	v_add_nc_u32_e32 v8, 0x100, v8
	v_lshlrev_b64 v[9:10], 2, v[3:4]
	v_cmp_le_i32_e64 s0, s2, v8
	v_add_nc_u32_e32 v3, s15, v3
	s_or_b32 s3, s0, s3
	v_add_co_u32 v9, vcc_lo, s5, v9
	v_add_co_ci_u32_e64 v10, null, s7, v10, vcc_lo
	global_load_dword v4, v[5:6], off
	global_load_dword v9, v[9:10], off
	v_add_co_u32 v5, vcc_lo, 0x400, v5
	v_add_co_ci_u32_e64 v6, null, 0, v6, vcc_lo
	s_waitcnt vmcnt(0)
	v_fmac_f32_e32 v7, v4, v9
	s_andn2_b32 exec_lo, exec_lo, s3
	s_cbranch_execnz .LBB28_11
; %bb.12:
	s_or_b32 exec_lo, exec_lo, s3
.LBB28_13:
	s_or_b32 exec_lo, exec_lo, s1
	v_add_nc_u32_e32 v3, s2, v0
	s_mov_b32 s0, exec_lo
	v_cmpx_gt_i32_e64 s14, v3
	s_cbranch_execz .LBB28_15
; %bb.14:
	v_mul_lo_u32 v3, s4, v3
	s_ashr_i32 s3, s2, 31
	s_lshl_b64 s[2:3], s[2:3], 2
	v_add_co_u32 v1, vcc_lo, v1, s2
	v_add_co_ci_u32_e64 v2, null, s3, v2, vcc_lo
	v_ashrrev_i32_e32 v4, 31, v3
	v_lshlrev_b64 v[3:4], 2, v[3:4]
	v_add_co_u32 v3, vcc_lo, s5, v3
	v_add_co_ci_u32_e64 v4, null, s7, v4, vcc_lo
	global_load_dword v1, v[1:2], off
	global_load_dword v2, v[3:4], off
	s_waitcnt vmcnt(0)
	v_fmac_f32_e32 v7, v1, v2
.LBB28_15:
	s_or_b32 exec_lo, exec_lo, s0
	v_and_b32_e32 v5, 31, v0
	v_cmp_gt_u32_e32 vcc_lo, 32, v0
	v_lshlrev_b32_e32 v1, 2, v5
	s_and_saveexec_b32 s0, vcc_lo
; %bb.16:
	v_mov_b32_e32 v2, 0
	ds_write_b32 v1, v2
; %bb.17:
	s_or_b32 exec_lo, exec_lo, s0
	v_mbcnt_lo_u32_b32 v4, -1, 0
	s_mov_b32 s1, exec_lo
	s_waitcnt lgkmcnt(0)
	s_barrier
	buffer_gl0_inv
	v_lshl_or_b32 v2, v4, 2, 64
	v_cmp_gt_u32_e64 s0, 24, v4
	ds_bpermute_b32 v2, v2, v7
	v_cndmask_b32_e64 v3, 0, 8, s0
	v_cmp_gt_u32_e64 s0, 28, v4
	v_add_lshl_u32 v3, v3, v4, 2
	s_waitcnt lgkmcnt(0)
	v_add_f32_e32 v6, v7, v2
	v_cndmask_b32_e64 v2, 0, 4, s0
	v_cmp_gt_u32_e64 s0, 30, v4
	ds_bpermute_b32 v3, v3, v6
	v_add_lshl_u32 v2, v2, v4, 2
	s_waitcnt lgkmcnt(0)
	v_add_f32_e32 v6, v6, v3
	v_cndmask_b32_e64 v3, 0, 2, s0
	v_cmp_ne_u32_e64 s0, 31, v4
	ds_bpermute_b32 v7, v2, v6
	v_add_lshl_u32 v3, v3, v4, 2
	v_add_co_ci_u32_e64 v4, null, 0, v4, s0
	v_lshlrev_b32_e32 v4, 2, v4
	s_waitcnt lgkmcnt(0)
	v_add_f32_e32 v6, v6, v7
	ds_bpermute_b32 v7, v3, v6
	s_waitcnt lgkmcnt(0)
	v_add_f32_e32 v6, v6, v7
	ds_bpermute_b32 v7, v4, v6
	v_cmpx_eq_u32_e32 0, v5
	s_cbranch_execz .LBB28_19
; %bb.18:
	v_lshrrev_b32_e32 v5, 3, v0
	s_waitcnt lgkmcnt(0)
	v_add_f32_e32 v6, v6, v7
	v_and_b32_e32 v5, 28, v5
	ds_write_b32 v5, v6
.LBB28_19:
	s_or_b32 exec_lo, exec_lo, s1
	v_mov_b32_e32 v5, 0
	s_mov_b32 s1, exec_lo
	s_waitcnt lgkmcnt(0)
	s_barrier
	buffer_gl0_inv
	v_cmpx_gt_u32_e32 8, v0
; %bb.20:
	ds_read_b32 v5, v1
; %bb.21:
	s_or_b32 exec_lo, exec_lo, s1
	s_and_saveexec_b32 s0, vcc_lo
	s_cbranch_execz .LBB28_23
; %bb.22:
	s_waitcnt lgkmcnt(0)
	ds_bpermute_b32 v1, v2, v5
	s_waitcnt lgkmcnt(0)
	v_add_f32_e32 v1, v5, v1
	ds_bpermute_b32 v2, v3, v1
	s_waitcnt lgkmcnt(0)
	v_add_f32_e32 v1, v1, v2
	;; [unrolled: 3-line block ×3, first 2 shown]
.LBB28_23:
	s_or_b32 exec_lo, exec_lo, s0
	s_mov_b32 s0, exec_lo
                                        ; implicit-def: $vgpr1
                                        ; implicit-def: $sgpr2_sgpr3
	v_cmpx_eq_u32_e32 0, v0
	s_cbranch_execz .LBB28_27
; %bb.24:
	v_cmp_eq_f32_e64 s1, s10, 0
	s_waitcnt lgkmcnt(0)
	v_mul_f32_e32 v1, s12, v5
	s_mul_i32 s2, s13, s6
	s_ashr_i32 s3, s2, 31
	s_and_b32 vcc_lo, exec_lo, s1
	s_cbranch_vccnz .LBB28_26
; %bb.25:
	s_lshl_b64 s[4:5], s[2:3], 2
	s_add_u32 s4, s8, s4
	s_addc_u32 s5, s9, s5
	s_load_dword s1, s[4:5], 0x0
	s_waitcnt lgkmcnt(0)
	v_fmac_f32_e64 v1, s10, s1
.LBB28_26:
	s_or_b32 s11, s11, exec_lo
.LBB28_27:
	s_or_b32 exec_lo, exec_lo, s0
.LBB28_28:
	s_and_saveexec_b32 s0, s11
	s_cbranch_execz .LBB28_30
; %bb.29:
	s_lshl_b64 s[0:1], s[2:3], 2
	v_mov_b32_e32 v0, 0
	s_add_u32 s0, s8, s0
	s_addc_u32 s1, s9, s1
	global_store_dword v0, v1, s[0:1]
.LBB28_30:
	s_endpgm
	.section	.rodata,"a",@progbits
	.p2align	6, 0x0
	.amdhsa_kernel _ZL32rocblas_gemvt_warp_reduce_kernelILb0ELi256EifffEviiT3_lPKT2_lT1_lS3_lS4_lS0_lPT4_lS4_li
		.amdhsa_group_segment_fixed_size 128
		.amdhsa_private_segment_fixed_size 0
		.amdhsa_kernarg_size 140
		.amdhsa_user_sgpr_count 6
		.amdhsa_user_sgpr_private_segment_buffer 1
		.amdhsa_user_sgpr_dispatch_ptr 0
		.amdhsa_user_sgpr_queue_ptr 0
		.amdhsa_user_sgpr_kernarg_segment_ptr 1
		.amdhsa_user_sgpr_dispatch_id 0
		.amdhsa_user_sgpr_flat_scratch_init 0
		.amdhsa_user_sgpr_private_segment_size 0
		.amdhsa_wavefront_size32 1
		.amdhsa_uses_dynamic_stack 0
		.amdhsa_system_sgpr_private_segment_wavefront_offset 0
		.amdhsa_system_sgpr_workgroup_id_x 1
		.amdhsa_system_sgpr_workgroup_id_y 0
		.amdhsa_system_sgpr_workgroup_id_z 1
		.amdhsa_system_sgpr_workgroup_info 0
		.amdhsa_system_vgpr_workitem_id 0
		.amdhsa_next_free_vgpr 11
		.amdhsa_next_free_sgpr 25
		.amdhsa_reserve_vcc 1
		.amdhsa_reserve_flat_scratch 0
		.amdhsa_float_round_mode_32 0
		.amdhsa_float_round_mode_16_64 0
		.amdhsa_float_denorm_mode_32 3
		.amdhsa_float_denorm_mode_16_64 3
		.amdhsa_dx10_clamp 1
		.amdhsa_ieee_mode 1
		.amdhsa_fp16_overflow 0
		.amdhsa_workgroup_processor_mode 1
		.amdhsa_memory_ordered 1
		.amdhsa_forward_progress 1
		.amdhsa_shared_vgpr_count 0
		.amdhsa_exception_fp_ieee_invalid_op 0
		.amdhsa_exception_fp_denorm_src 0
		.amdhsa_exception_fp_ieee_div_zero 0
		.amdhsa_exception_fp_ieee_overflow 0
		.amdhsa_exception_fp_ieee_underflow 0
		.amdhsa_exception_fp_ieee_inexact 0
		.amdhsa_exception_int_div_zero 0
	.end_amdhsa_kernel
	.section	.text._ZL32rocblas_gemvt_warp_reduce_kernelILb0ELi256EifffEviiT3_lPKT2_lT1_lS3_lS4_lS0_lPT4_lS4_li,"axG",@progbits,_ZL32rocblas_gemvt_warp_reduce_kernelILb0ELi256EifffEviiT3_lPKT2_lT1_lS3_lS4_lS0_lPT4_lS4_li,comdat
.Lfunc_end28:
	.size	_ZL32rocblas_gemvt_warp_reduce_kernelILb0ELi256EifffEviiT3_lPKT2_lT1_lS3_lS4_lS0_lPT4_lS4_li, .Lfunc_end28-_ZL32rocblas_gemvt_warp_reduce_kernelILb0ELi256EifffEviiT3_lPKT2_lT1_lS3_lS4_lS0_lPT4_lS4_li
                                        ; -- End function
	.set _ZL32rocblas_gemvt_warp_reduce_kernelILb0ELi256EifffEviiT3_lPKT2_lT1_lS3_lS4_lS0_lPT4_lS4_li.num_vgpr, 11
	.set _ZL32rocblas_gemvt_warp_reduce_kernelILb0ELi256EifffEviiT3_lPKT2_lT1_lS3_lS4_lS0_lPT4_lS4_li.num_agpr, 0
	.set _ZL32rocblas_gemvt_warp_reduce_kernelILb0ELi256EifffEviiT3_lPKT2_lT1_lS3_lS4_lS0_lPT4_lS4_li.numbered_sgpr, 25
	.set _ZL32rocblas_gemvt_warp_reduce_kernelILb0ELi256EifffEviiT3_lPKT2_lT1_lS3_lS4_lS0_lPT4_lS4_li.num_named_barrier, 0
	.set _ZL32rocblas_gemvt_warp_reduce_kernelILb0ELi256EifffEviiT3_lPKT2_lT1_lS3_lS4_lS0_lPT4_lS4_li.private_seg_size, 0
	.set _ZL32rocblas_gemvt_warp_reduce_kernelILb0ELi256EifffEviiT3_lPKT2_lT1_lS3_lS4_lS0_lPT4_lS4_li.uses_vcc, 1
	.set _ZL32rocblas_gemvt_warp_reduce_kernelILb0ELi256EifffEviiT3_lPKT2_lT1_lS3_lS4_lS0_lPT4_lS4_li.uses_flat_scratch, 0
	.set _ZL32rocblas_gemvt_warp_reduce_kernelILb0ELi256EifffEviiT3_lPKT2_lT1_lS3_lS4_lS0_lPT4_lS4_li.has_dyn_sized_stack, 0
	.set _ZL32rocblas_gemvt_warp_reduce_kernelILb0ELi256EifffEviiT3_lPKT2_lT1_lS3_lS4_lS0_lPT4_lS4_li.has_recursion, 0
	.set _ZL32rocblas_gemvt_warp_reduce_kernelILb0ELi256EifffEviiT3_lPKT2_lT1_lS3_lS4_lS0_lPT4_lS4_li.has_indirect_call, 0
	.section	.AMDGPU.csdata,"",@progbits
; Kernel info:
; codeLenInByte = 1288
; TotalNumSgprs: 27
; NumVgprs: 11
; ScratchSize: 0
; MemoryBound: 0
; FloatMode: 240
; IeeeMode: 1
; LDSByteSize: 128 bytes/workgroup (compile time only)
; SGPRBlocks: 0
; VGPRBlocks: 1
; NumSGPRsForWavesPerEU: 27
; NumVGPRsForWavesPerEU: 11
; Occupancy: 16
; WaveLimiterHint : 1
; COMPUTE_PGM_RSRC2:SCRATCH_EN: 0
; COMPUTE_PGM_RSRC2:USER_SGPR: 6
; COMPUTE_PGM_RSRC2:TRAP_HANDLER: 0
; COMPUTE_PGM_RSRC2:TGID_X_EN: 1
; COMPUTE_PGM_RSRC2:TGID_Y_EN: 0
; COMPUTE_PGM_RSRC2:TGID_Z_EN: 1
; COMPUTE_PGM_RSRC2:TIDIG_COMP_CNT: 0
	.section	.text._ZL32rocblas_gemvt_warp_reduce_kernelILb0ELi256ElfffEviiT3_lPKT2_lT1_lS3_lS4_lS0_lPT4_lS4_li,"axG",@progbits,_ZL32rocblas_gemvt_warp_reduce_kernelILb0ELi256ElfffEviiT3_lPKT2_lT1_lS3_lS4_lS0_lPT4_lS4_li,comdat
	.globl	_ZL32rocblas_gemvt_warp_reduce_kernelILb0ELi256ElfffEviiT3_lPKT2_lT1_lS3_lS4_lS0_lPT4_lS4_li ; -- Begin function _ZL32rocblas_gemvt_warp_reduce_kernelILb0ELi256ElfffEviiT3_lPKT2_lT1_lS3_lS4_lS0_lPT4_lS4_li
	.p2align	8
	.type	_ZL32rocblas_gemvt_warp_reduce_kernelILb0ELi256ElfffEviiT3_lPKT2_lT1_lS3_lS4_lS0_lPT4_lS4_li,@function
_ZL32rocblas_gemvt_warp_reduce_kernelILb0ELi256ElfffEviiT3_lPKT2_lT1_lS3_lS4_lS0_lPT4_lS4_li: ; @_ZL32rocblas_gemvt_warp_reduce_kernelILb0ELi256ElfffEviiT3_lPKT2_lT1_lS3_lS4_lS0_lPT4_lS4_li
; %bb.0:
	s_clause 0x1
	s_load_dword s30, s[4:5], 0x8
	s_load_dword s28, s[4:5], 0x58
	s_mov_b32 s29, 0
	s_waitcnt lgkmcnt(0)
	v_cmp_eq_f32_e64 s0, s30, 0
	v_cmp_eq_f32_e64 s1, s28, 1.0
	s_and_b32 s0, s0, s1
	s_and_b32 vcc_lo, exec_lo, s0
	s_cbranch_vccnz .LBB29_30
; %bb.1:
	s_load_dwordx8 s[20:27], s[4:5], 0x68
	v_cmp_neq_f32_e64 s8, s30, 0
	s_waitcnt lgkmcnt(0)
	s_mul_i32 s1, s27, s7
	s_mul_hi_u32 s2, s26, s7
	s_mul_i32 s0, s26, s7
	s_add_i32 s1, s2, s1
	s_lshl_b64 s[0:1], s[0:1], 2
	s_add_u32 s0, s20, s0
	s_addc_u32 s9, s21, s1
	s_lshl_b64 s[2:3], s[22:23], 2
	s_add_u32 s1, s0, s2
	v_cmp_eq_u32_e64 s0, 0, v0
	s_addc_u32 s26, s9, s3
	s_and_b32 vcc_lo, exec_lo, s8
	s_cbranch_vccnz .LBB29_5
; %bb.2:
	s_mov_b32 s8, 0
                                        ; implicit-def: $vgpr1
                                        ; implicit-def: $sgpr2_sgpr3
	s_and_saveexec_b32 s9, s0
	s_cbranch_execz .LBB29_6
; %bb.3:
	s_ashr_i32 s2, s6, 31
	v_cmp_eq_f32_e64 s0, s28, 0
	s_mul_hi_u32 s3, s24, s6
	s_mul_i32 s2, s24, s2
	s_mul_i32 s10, s25, s6
	s_add_i32 s2, s3, s2
	s_and_b32 vcc_lo, exec_lo, s0
	s_add_i32 s3, s2, s10
	s_mul_i32 s2, s24, s6
	s_cbranch_vccnz .LBB29_7
; %bb.4:
	s_lshl_b64 s[10:11], s[2:3], 2
	s_add_u32 s10, s1, s10
	s_addc_u32 s11, s26, s11
	s_load_dword s0, s[10:11], 0x0
	s_waitcnt lgkmcnt(0)
	v_mul_f32_e64 v1, s28, s0
	s_branch .LBB29_8
.LBB29_5:
                                        ; implicit-def: $vgpr1
                                        ; implicit-def: $sgpr2_sgpr3
	s_cbranch_execnz .LBB29_9
	s_branch .LBB29_28
.LBB29_6:
	s_or_b32 exec_lo, exec_lo, s9
	s_and_b32 vcc_lo, exec_lo, s8
	s_cbranch_vccnz .LBB29_9
	s_branch .LBB29_28
.LBB29_7:
	v_mov_b32_e32 v1, 0
.LBB29_8:
	s_mov_b32 s29, exec_lo
	s_or_b32 exec_lo, exec_lo, s9
	s_and_b32 vcc_lo, exec_lo, s8
	s_cbranch_vccz .LBB29_28
.LBB29_9:
	s_clause 0x1
	s_load_dwordx16 s[8:23], s[4:5], 0x18
	s_load_dword s5, s[4:5], 0x0
	v_mov_b32_e32 v7, 0
	s_waitcnt lgkmcnt(0)
	s_mul_i32 s3, s15, s7
	v_cmp_gt_i32_e32 vcc_lo, s5, v0
	s_mul_hi_u32 s15, s14, s7
	s_mul_i32 s2, s14, s7
	s_add_i32 s3, s15, s3
	s_mul_i32 s0, s23, s7
	v_cndmask_b32_e32 v1, 0, v0, vcc_lo
	s_mul_hi_u32 s4, s22, s7
	s_lshl_b64 s[34:35], s[2:3], 2
	s_add_i32 s3, s4, s0
	s_add_u32 s0, s8, s34
	v_lshlrev_b32_e32 v1, 2, v1
	s_addc_u32 s2, s9, s35
	s_lshl_b64 s[8:9], s[10:11], 2
	s_mul_hi_u32 s23, s12, s6
	s_add_u32 s0, s0, s8
	s_addc_u32 s2, s2, s9
	s_ashr_i32 s10, s6, 31
	v_add_co_u32 v1, s0, s0, v1
	v_add_co_ci_u32_e64 v2, null, s2, 0, s0
	s_mul_i32 s0, s12, s10
	s_mul_i32 s13, s13, s6
	s_add_i32 s0, s23, s0
	s_mul_i32 s14, s12, s6
	s_add_i32 s15, s0, s13
	s_ashr_i32 s4, s5, 31
	s_lshl_b64 s[8:9], s[14:15], 2
	s_lshr_b32 s2, s4, 24
	v_add_co_u32 v1, vcc_lo, v1, s8
	v_add_co_ci_u32_e64 v2, null, s9, v2, vcc_lo
	s_add_i32 s2, s5, s2
	s_mov_b32 s11, 0
	s_and_b32 s4, s2, 0xffffff00
	s_mul_i32 s2, s22, s7
	s_mov_b32 s7, exec_lo
	v_cmpx_gt_i32_e64 s4, v0
	s_cbranch_execz .LBB29_13
; %bb.10:
	v_mad_u64_u32 v[5:6], null, s20, v0, 0
	s_lshl_b64 s[12:13], s[18:19], 2
	s_lshl_b64 s[8:9], s[2:3], 2
	s_add_u32 s0, s16, s12
	s_addc_u32 s12, s17, s13
	s_add_u32 s0, s0, s8
	s_addc_u32 s8, s12, s9
	v_mov_b32_e32 v3, v6
	v_mov_b32_e32 v7, 0
	;; [unrolled: 1-line block ×3, first 2 shown]
	v_mad_u64_u32 v[3:4], null, s21, v0, v[3:4]
	v_mov_b32_e32 v6, v3
	v_mov_b32_e32 v4, v2
	;; [unrolled: 1-line block ×3, first 2 shown]
	v_lshlrev_b64 v[5:6], 2, v[5:6]
	v_add_co_u32 v5, vcc_lo, s0, v5
	v_add_co_ci_u32_e64 v6, null, s8, v6, vcc_lo
	s_lshl_b64 s[8:9], s[20:21], 10
	.p2align	6
.LBB29_11:                              ; =>This Inner Loop Header: Depth=1
	global_load_dword v9, v[3:4], off
	global_load_dword v10, v[5:6], off
	v_add_nc_u32_e32 v8, 0x100, v8
	v_add_co_u32 v3, vcc_lo, 0x400, v3
	v_add_co_ci_u32_e64 v4, null, 0, v4, vcc_lo
	v_add_co_u32 v5, vcc_lo, v5, s8
	v_cmp_le_i32_e64 s0, s4, v8
	v_add_co_ci_u32_e64 v6, null, s9, v6, vcc_lo
	s_or_b32 s11, s0, s11
	s_waitcnt vmcnt(0)
	v_fmac_f32_e32 v7, v9, v10
	s_andn2_b32 exec_lo, exec_lo, s11
	s_cbranch_execnz .LBB29_11
; %bb.12:
	s_or_b32 exec_lo, exec_lo, s11
.LBB29_13:
	s_or_b32 exec_lo, exec_lo, s7
	v_add_nc_u32_e32 v3, s4, v0
	s_mov_b32 s0, exec_lo
	v_cmpx_gt_i32_e64 s5, v3
	s_cbranch_execz .LBB29_15
; %bb.14:
	v_ashrrev_i32_e32 v5, 31, v3
	v_mul_lo_u32 v6, s21, v3
	v_mad_u64_u32 v[3:4], null, s20, v3, 0
	s_lshl_b64 s[2:3], s[2:3], 2
	v_mul_lo_u32 v5, s20, v5
	s_add_u32 s5, s16, s2
	s_addc_u32 s7, s17, s3
	s_lshl_b64 s[2:3], s[18:19], 2
	s_add_u32 s8, s5, s2
	s_addc_u32 s7, s7, s3
	s_ashr_i32 s5, s4, 31
	v_add3_u32 v4, v4, v5, v6
	s_lshl_b64 s[2:3], s[4:5], 2
	v_add_co_u32 v1, vcc_lo, v1, s2
	v_lshlrev_b64 v[3:4], 2, v[3:4]
	v_add_co_ci_u32_e64 v2, null, s3, v2, vcc_lo
	v_add_co_u32 v3, vcc_lo, s8, v3
	v_add_co_ci_u32_e64 v4, null, s7, v4, vcc_lo
	global_load_dword v1, v[1:2], off
	global_load_dword v2, v[3:4], off
	s_waitcnt vmcnt(0)
	v_fmac_f32_e32 v7, v1, v2
.LBB29_15:
	s_or_b32 exec_lo, exec_lo, s0
	v_and_b32_e32 v5, 31, v0
	v_cmp_gt_u32_e32 vcc_lo, 32, v0
	v_lshlrev_b32_e32 v1, 2, v5
	s_and_saveexec_b32 s0, vcc_lo
; %bb.16:
	v_mov_b32_e32 v2, 0
	ds_write_b32 v1, v2
; %bb.17:
	s_or_b32 exec_lo, exec_lo, s0
	v_mbcnt_lo_u32_b32 v4, -1, 0
	s_mov_b32 s2, exec_lo
	s_waitcnt lgkmcnt(0)
	s_barrier
	buffer_gl0_inv
	v_lshl_or_b32 v2, v4, 2, 64
	v_cmp_gt_u32_e64 s0, 24, v4
	ds_bpermute_b32 v2, v2, v7
	v_cndmask_b32_e64 v3, 0, 8, s0
	v_cmp_gt_u32_e64 s0, 28, v4
	v_add_lshl_u32 v3, v3, v4, 2
	s_waitcnt lgkmcnt(0)
	v_add_f32_e32 v6, v7, v2
	v_cndmask_b32_e64 v2, 0, 4, s0
	v_cmp_gt_u32_e64 s0, 30, v4
	ds_bpermute_b32 v3, v3, v6
	v_add_lshl_u32 v2, v2, v4, 2
	s_waitcnt lgkmcnt(0)
	v_add_f32_e32 v6, v6, v3
	v_cndmask_b32_e64 v3, 0, 2, s0
	v_cmp_ne_u32_e64 s0, 31, v4
	ds_bpermute_b32 v7, v2, v6
	v_add_lshl_u32 v3, v3, v4, 2
	v_add_co_ci_u32_e64 v4, null, 0, v4, s0
	v_lshlrev_b32_e32 v4, 2, v4
	s_waitcnt lgkmcnt(0)
	v_add_f32_e32 v6, v6, v7
	ds_bpermute_b32 v7, v3, v6
	s_waitcnt lgkmcnt(0)
	v_add_f32_e32 v6, v6, v7
	ds_bpermute_b32 v7, v4, v6
	v_cmpx_eq_u32_e32 0, v5
	s_cbranch_execz .LBB29_19
; %bb.18:
	v_lshrrev_b32_e32 v5, 3, v0
	s_waitcnt lgkmcnt(0)
	v_add_f32_e32 v6, v6, v7
	v_and_b32_e32 v5, 28, v5
	ds_write_b32 v5, v6
.LBB29_19:
	s_or_b32 exec_lo, exec_lo, s2
	v_mov_b32_e32 v5, 0
	s_mov_b32 s2, exec_lo
	s_waitcnt lgkmcnt(0)
	s_barrier
	buffer_gl0_inv
	v_cmpx_gt_u32_e32 8, v0
; %bb.20:
	ds_read_b32 v5, v1
; %bb.21:
	s_or_b32 exec_lo, exec_lo, s2
	s_and_saveexec_b32 s0, vcc_lo
	s_cbranch_execz .LBB29_23
; %bb.22:
	s_waitcnt lgkmcnt(0)
	ds_bpermute_b32 v1, v2, v5
	s_waitcnt lgkmcnt(0)
	v_add_f32_e32 v1, v5, v1
	ds_bpermute_b32 v2, v3, v1
	s_waitcnt lgkmcnt(0)
	v_add_f32_e32 v1, v1, v2
	ds_bpermute_b32 v2, v4, v1
	s_waitcnt lgkmcnt(0)
	v_add_f32_e32 v5, v1, v2
.LBB29_23:
	s_or_b32 exec_lo, exec_lo, s0
	s_mov_b32 s0, exec_lo
                                        ; implicit-def: $vgpr1
                                        ; implicit-def: $sgpr2_sgpr3
	v_cmpx_eq_u32_e32 0, v0
	s_cbranch_execz .LBB29_27
; %bb.24:
	v_cmp_eq_f32_e64 s4, s28, 0
	s_mul_i32 s2, s24, s10
	s_mul_hi_u32 s3, s24, s6
	s_waitcnt lgkmcnt(0)
	v_mul_f32_e32 v1, s30, v5
	s_add_i32 s2, s3, s2
	s_mul_i32 s3, s25, s6
	s_and_b32 vcc_lo, exec_lo, s4
	s_add_i32 s3, s2, s3
	s_mul_i32 s2, s24, s6
	s_cbranch_vccnz .LBB29_26
; %bb.25:
	s_lshl_b64 s[4:5], s[2:3], 2
	s_add_u32 s4, s1, s4
	s_addc_u32 s5, s26, s5
	s_load_dword s4, s[4:5], 0x0
	s_waitcnt lgkmcnt(0)
	v_fmac_f32_e64 v1, s28, s4
.LBB29_26:
	s_or_b32 s29, s29, exec_lo
.LBB29_27:
	s_or_b32 exec_lo, exec_lo, s0
.LBB29_28:
	s_and_saveexec_b32 s0, s29
	s_cbranch_execz .LBB29_30
; %bb.29:
	s_lshl_b64 s[2:3], s[2:3], 2
	v_mov_b32_e32 v0, 0
	s_add_u32 s0, s1, s2
	s_addc_u32 s1, s26, s3
	global_store_dword v0, v1, s[0:1]
.LBB29_30:
	s_endpgm
	.section	.rodata,"a",@progbits
	.p2align	6, 0x0
	.amdhsa_kernel _ZL32rocblas_gemvt_warp_reduce_kernelILb0ELi256ElfffEviiT3_lPKT2_lT1_lS3_lS4_lS0_lPT4_lS4_li
		.amdhsa_group_segment_fixed_size 128
		.amdhsa_private_segment_fixed_size 0
		.amdhsa_kernarg_size 140
		.amdhsa_user_sgpr_count 6
		.amdhsa_user_sgpr_private_segment_buffer 1
		.amdhsa_user_sgpr_dispatch_ptr 0
		.amdhsa_user_sgpr_queue_ptr 0
		.amdhsa_user_sgpr_kernarg_segment_ptr 1
		.amdhsa_user_sgpr_dispatch_id 0
		.amdhsa_user_sgpr_flat_scratch_init 0
		.amdhsa_user_sgpr_private_segment_size 0
		.amdhsa_wavefront_size32 1
		.amdhsa_uses_dynamic_stack 0
		.amdhsa_system_sgpr_private_segment_wavefront_offset 0
		.amdhsa_system_sgpr_workgroup_id_x 1
		.amdhsa_system_sgpr_workgroup_id_y 0
		.amdhsa_system_sgpr_workgroup_id_z 1
		.amdhsa_system_sgpr_workgroup_info 0
		.amdhsa_system_vgpr_workitem_id 0
		.amdhsa_next_free_vgpr 11
		.amdhsa_next_free_sgpr 36
		.amdhsa_reserve_vcc 1
		.amdhsa_reserve_flat_scratch 0
		.amdhsa_float_round_mode_32 0
		.amdhsa_float_round_mode_16_64 0
		.amdhsa_float_denorm_mode_32 3
		.amdhsa_float_denorm_mode_16_64 3
		.amdhsa_dx10_clamp 1
		.amdhsa_ieee_mode 1
		.amdhsa_fp16_overflow 0
		.amdhsa_workgroup_processor_mode 1
		.amdhsa_memory_ordered 1
		.amdhsa_forward_progress 1
		.amdhsa_shared_vgpr_count 0
		.amdhsa_exception_fp_ieee_invalid_op 0
		.amdhsa_exception_fp_denorm_src 0
		.amdhsa_exception_fp_ieee_div_zero 0
		.amdhsa_exception_fp_ieee_overflow 0
		.amdhsa_exception_fp_ieee_underflow 0
		.amdhsa_exception_fp_ieee_inexact 0
		.amdhsa_exception_int_div_zero 0
	.end_amdhsa_kernel
	.section	.text._ZL32rocblas_gemvt_warp_reduce_kernelILb0ELi256ElfffEviiT3_lPKT2_lT1_lS3_lS4_lS0_lPT4_lS4_li,"axG",@progbits,_ZL32rocblas_gemvt_warp_reduce_kernelILb0ELi256ElfffEviiT3_lPKT2_lT1_lS3_lS4_lS0_lPT4_lS4_li,comdat
.Lfunc_end29:
	.size	_ZL32rocblas_gemvt_warp_reduce_kernelILb0ELi256ElfffEviiT3_lPKT2_lT1_lS3_lS4_lS0_lPT4_lS4_li, .Lfunc_end29-_ZL32rocblas_gemvt_warp_reduce_kernelILb0ELi256ElfffEviiT3_lPKT2_lT1_lS3_lS4_lS0_lPT4_lS4_li
                                        ; -- End function
	.set _ZL32rocblas_gemvt_warp_reduce_kernelILb0ELi256ElfffEviiT3_lPKT2_lT1_lS3_lS4_lS0_lPT4_lS4_li.num_vgpr, 11
	.set _ZL32rocblas_gemvt_warp_reduce_kernelILb0ELi256ElfffEviiT3_lPKT2_lT1_lS3_lS4_lS0_lPT4_lS4_li.num_agpr, 0
	.set _ZL32rocblas_gemvt_warp_reduce_kernelILb0ELi256ElfffEviiT3_lPKT2_lT1_lS3_lS4_lS0_lPT4_lS4_li.numbered_sgpr, 36
	.set _ZL32rocblas_gemvt_warp_reduce_kernelILb0ELi256ElfffEviiT3_lPKT2_lT1_lS3_lS4_lS0_lPT4_lS4_li.num_named_barrier, 0
	.set _ZL32rocblas_gemvt_warp_reduce_kernelILb0ELi256ElfffEviiT3_lPKT2_lT1_lS3_lS4_lS0_lPT4_lS4_li.private_seg_size, 0
	.set _ZL32rocblas_gemvt_warp_reduce_kernelILb0ELi256ElfffEviiT3_lPKT2_lT1_lS3_lS4_lS0_lPT4_lS4_li.uses_vcc, 1
	.set _ZL32rocblas_gemvt_warp_reduce_kernelILb0ELi256ElfffEviiT3_lPKT2_lT1_lS3_lS4_lS0_lPT4_lS4_li.uses_flat_scratch, 0
	.set _ZL32rocblas_gemvt_warp_reduce_kernelILb0ELi256ElfffEviiT3_lPKT2_lT1_lS3_lS4_lS0_lPT4_lS4_li.has_dyn_sized_stack, 0
	.set _ZL32rocblas_gemvt_warp_reduce_kernelILb0ELi256ElfffEviiT3_lPKT2_lT1_lS3_lS4_lS0_lPT4_lS4_li.has_recursion, 0
	.set _ZL32rocblas_gemvt_warp_reduce_kernelILb0ELi256ElfffEviiT3_lPKT2_lT1_lS3_lS4_lS0_lPT4_lS4_li.has_indirect_call, 0
	.section	.AMDGPU.csdata,"",@progbits
; Kernel info:
; codeLenInByte = 1336
; TotalNumSgprs: 38
; NumVgprs: 11
; ScratchSize: 0
; MemoryBound: 0
; FloatMode: 240
; IeeeMode: 1
; LDSByteSize: 128 bytes/workgroup (compile time only)
; SGPRBlocks: 0
; VGPRBlocks: 1
; NumSGPRsForWavesPerEU: 38
; NumVGPRsForWavesPerEU: 11
; Occupancy: 16
; WaveLimiterHint : 1
; COMPUTE_PGM_RSRC2:SCRATCH_EN: 0
; COMPUTE_PGM_RSRC2:USER_SGPR: 6
; COMPUTE_PGM_RSRC2:TRAP_HANDLER: 0
; COMPUTE_PGM_RSRC2:TGID_X_EN: 1
; COMPUTE_PGM_RSRC2:TGID_Y_EN: 0
; COMPUTE_PGM_RSRC2:TGID_Z_EN: 1
; COMPUTE_PGM_RSRC2:TIDIG_COMP_CNT: 0
	.section	.text._ZL20rocblas_gemvt_kernelILb0ELi256EfPKffEviiT2_lPKT1_lilS5_lilS2_lPT3_lili,"axG",@progbits,_ZL20rocblas_gemvt_kernelILb0ELi256EfPKffEviiT2_lPKT1_lilS5_lilS2_lPT3_lili,comdat
	.globl	_ZL20rocblas_gemvt_kernelILb0ELi256EfPKffEviiT2_lPKT1_lilS5_lilS2_lPT3_lili ; -- Begin function _ZL20rocblas_gemvt_kernelILb0ELi256EfPKffEviiT2_lPKT1_lilS5_lilS2_lPT3_lili
	.p2align	8
	.type	_ZL20rocblas_gemvt_kernelILb0ELi256EfPKffEviiT2_lPKT1_lilS5_lilS2_lPT3_lili,@function
_ZL20rocblas_gemvt_kernelILb0ELi256EfPKffEviiT2_lPKT1_lilS5_lilS2_lPT3_lili: ; @_ZL20rocblas_gemvt_kernelILb0ELi256EfPKffEviiT2_lPKT1_lilS5_lilS2_lPT3_lili
; %bb.0:
	s_clause 0x1
	s_load_dwordx8 s[8:15], s[4:5], 0x8
	s_load_dwordx8 s[16:23], s[4:5], 0x50
	s_waitcnt lgkmcnt(0)
	s_mul_i32 s1, s11, s7
	s_mul_hi_u32 s2, s10, s7
	s_mul_i32 s0, s10, s7
	s_add_i32 s1, s2, s1
	s_mul_i32 s2, s21, s7
	s_lshl_b64 s[0:1], s[0:1], 2
	s_mul_hi_u32 s3, s20, s7
	s_add_u32 s0, s8, s0
	s_addc_u32 s1, s9, s1
	s_add_i32 s3, s3, s2
	s_mul_i32 s2, s20, s7
	s_mov_b32 s21, 0
	s_lshl_b64 s[2:3], s[2:3], 2
	s_add_u32 s2, s18, s2
	s_addc_u32 s3, s19, s3
	s_load_dword s24, s[0:1], 0x0
	s_load_dword s20, s[2:3], 0x0
	s_waitcnt lgkmcnt(0)
	v_cmp_eq_f32_e64 s0, s24, 0
	v_cmp_eq_f32_e64 s1, s20, 1.0
	s_and_b32 s0, s0, s1
	s_and_b32 vcc_lo, exec_lo, s0
	s_cbranch_vccnz .LBB30_37
; %bb.1:
	s_clause 0x2
	s_load_dwordx2 s[0:1], s[4:5], 0x80
	s_load_dwordx2 s[2:3], s[4:5], 0x70
	s_load_dword s25, s[4:5], 0x78
	s_waitcnt lgkmcnt(0)
	s_mul_i32 s1, s1, s7
	s_mul_hi_u32 s8, s0, s7
	s_mul_i32 s0, s0, s7
	s_add_i32 s1, s8, s1
	v_cmp_neq_f32_e64 s8, s24, 0
	s_lshl_b64 s[0:1], s[0:1], 2
	s_add_u32 s9, s22, s0
	s_addc_u32 s10, s23, s1
	s_lshl_b64 s[0:1], s[2:3], 2
	s_add_u32 s18, s9, s0
	v_cmp_eq_u32_e64 s0, 0, v0
	s_addc_u32 s19, s10, s1
	s_and_b32 vcc_lo, exec_lo, s8
	s_cbranch_vccnz .LBB30_5
; %bb.2:
	s_mov_b32 s1, 0
                                        ; implicit-def: $vgpr1
                                        ; implicit-def: $sgpr2_sgpr3
	s_and_saveexec_b32 s8, s0
	s_cbranch_execz .LBB30_6
; %bb.3:
	v_cmp_eq_f32_e64 s0, s20, 0
	s_mul_hi_i32 s3, s25, s6
	s_mul_i32 s2, s25, s6
	s_and_b32 vcc_lo, exec_lo, s0
	s_cbranch_vccnz .LBB30_7
; %bb.4:
	s_lshl_b64 s[10:11], s[2:3], 2
	s_add_u32 s10, s18, s10
	s_addc_u32 s11, s19, s11
	s_load_dword s0, s[10:11], 0x0
	s_waitcnt lgkmcnt(0)
	v_mul_f32_e64 v1, s20, s0
	s_branch .LBB30_8
.LBB30_5:
                                        ; implicit-def: $vgpr1
                                        ; implicit-def: $sgpr2_sgpr3
	s_cbranch_execnz .LBB30_9
	s_branch .LBB30_35
.LBB30_6:
	s_or_b32 exec_lo, exec_lo, s8
	s_and_b32 vcc_lo, exec_lo, s1
	s_cbranch_vccnz .LBB30_9
	s_branch .LBB30_35
.LBB30_7:
	v_mov_b32_e32 v1, 0
.LBB30_8:
	s_mov_b32 s21, exec_lo
	s_or_b32 exec_lo, exec_lo, s8
	s_and_b32 vcc_lo, exec_lo, s1
	s_cbranch_vccz .LBB30_35
.LBB30_9:
	s_clause 0x4
	s_load_dwordx4 s[0:3], s[4:5], 0x30
	s_load_dword s22, s[4:5], 0x0
	s_load_dword s23, s[4:5], 0x28
	s_load_dwordx2 s[8:9], s[4:5], 0x40
	s_load_dword s4, s[4:5], 0x48
	s_mul_i32 s11, s17, s7
	s_mul_hi_u32 s17, s16, s7
	s_mul_i32 s10, s16, s7
	s_add_i32 s11, s17, s11
	v_mov_b32_e32 v7, 0
	s_waitcnt lgkmcnt(0)
	s_mul_i32 s1, s1, s7
	v_cmp_gt_i32_e32 vcc_lo, s22, v0
	s_mul_hi_u32 s5, s0, s7
	s_mul_i32 s0, s0, s7
	s_add_i32 s1, s5, s1
	s_mul_hi_i32 s17, s23, s6
	v_cndmask_b32_e32 v1, 0, v0, vcc_lo
	s_lshl_b64 s[0:1], s[0:1], 2
	s_mul_i32 s16, s23, s6
	s_add_u32 s5, s12, s0
	s_addc_u32 s7, s13, s1
	v_lshlrev_b32_e32 v1, 2, v1
	s_lshl_b64 s[0:1], s[14:15], 2
	s_add_u32 s5, s5, s0
	s_addc_u32 s7, s7, s1
	v_add_co_u32 v1, s5, s5, v1
	v_add_co_ci_u32_e64 v2, null, s7, 0, s5
	s_ashr_i32 s12, s22, 31
	s_lshl_b64 s[0:1], s[16:17], 2
	s_lshr_b32 s12, s12, 24
	v_add_co_u32 v1, vcc_lo, v1, s0
	s_add_i32 s5, s22, s12
	v_add_co_ci_u32_e64 v2, null, s1, v2, vcc_lo
	s_and_b32 s0, s5, 0xffffff00
	s_cmpk_lt_i32 s22, 0x100
	s_mov_b32 s1, 0
	s_cbranch_scc1 .LBB30_12
; %bb.10:
	v_mad_i64_i32 v[3:4], null, s4, v0, 0
	s_lshl_b64 s[14:15], s[8:9], 2
	s_ashr_i32 s5, s4, 31
	s_lshl_b64 s[12:13], s[10:11], 2
	s_add_u32 s7, s2, s14
	s_addc_u32 s14, s3, s15
	s_add_u32 s7, s7, s12
	v_lshlrev_b64 v[3:4], 2, v[3:4]
	s_addc_u32 s12, s14, s13
	v_mov_b32_e32 v6, v2
	v_mov_b32_e32 v7, 0
	v_mov_b32_e32 v5, v1
	v_add_co_u32 v3, vcc_lo, s7, v3
	v_add_co_ci_u32_e64 v4, null, s12, v4, vcc_lo
	s_lshl_b64 s[12:13], s[4:5], 10
	.p2align	6
.LBB30_11:                              ; =>This Inner Loop Header: Depth=1
	global_load_dword v8, v[5:6], off
	global_load_dword v9, v[3:4], off
	v_add_co_u32 v3, vcc_lo, v3, s12
	v_add_co_ci_u32_e64 v4, null, s13, v4, vcc_lo
	v_add_co_u32 v5, vcc_lo, 0x400, v5
	v_add_co_ci_u32_e64 v6, null, 0, v6, vcc_lo
	s_addk_i32 s1, 0x100
	s_cmp_ge_i32 s1, s0
	s_waitcnt vmcnt(0)
	v_fmac_f32_e32 v7, v8, v9
	s_cbranch_scc0 .LBB30_11
.LBB30_12:
	v_add_nc_u32_e32 v3, s0, v0
	s_mov_b32 s5, exec_lo
	v_cmpx_gt_i32_e64 s22, v3
	s_cbranch_execz .LBB30_14
; %bb.13:
	v_mad_i64_i32 v[3:4], null, s4, v3, 0
	s_lshl_b64 s[10:11], s[10:11], 2
	s_add_u32 s1, s2, s10
	s_addc_u32 s7, s3, s11
	s_lshl_b64 s[2:3], s[8:9], 2
	s_add_u32 s2, s1, s2
	s_addc_u32 s3, s7, s3
	s_ashr_i32 s1, s0, 31
	v_lshlrev_b64 v[3:4], 2, v[3:4]
	s_lshl_b64 s[0:1], s[0:1], 2
	v_add_co_u32 v1, vcc_lo, v1, s0
	v_add_co_ci_u32_e64 v2, null, s1, v2, vcc_lo
	v_add_co_u32 v3, vcc_lo, s2, v3
	v_add_co_ci_u32_e64 v4, null, s3, v4, vcc_lo
	global_load_dword v1, v[1:2], off
	global_load_dword v2, v[3:4], off
	s_waitcnt vmcnt(0)
	v_fmac_f32_e32 v7, v1, v2
.LBB30_14:
	s_or_b32 exec_lo, exec_lo, s5
	v_lshlrev_b32_e32 v1, 2, v0
	s_mov_b32 s0, exec_lo
	ds_write_b32 v1, v7
	s_waitcnt lgkmcnt(0)
	s_barrier
	buffer_gl0_inv
	v_cmpx_gt_u32_e32 0x80, v0
	s_cbranch_execz .LBB30_16
; %bb.15:
	ds_read2st64_b32 v[2:3], v1 offset1:2
	s_waitcnt lgkmcnt(0)
	v_add_f32_e32 v2, v3, v2
	ds_write_b32 v1, v2
.LBB30_16:
	s_or_b32 exec_lo, exec_lo, s0
	s_mov_b32 s0, exec_lo
	s_waitcnt lgkmcnt(0)
	s_barrier
	buffer_gl0_inv
	v_cmpx_gt_u32_e32 64, v0
	s_cbranch_execz .LBB30_18
; %bb.17:
	ds_read2st64_b32 v[2:3], v1 offset1:1
	s_waitcnt lgkmcnt(0)
	v_add_f32_e32 v2, v3, v2
	ds_write_b32 v1, v2
.LBB30_18:
	s_or_b32 exec_lo, exec_lo, s0
	s_mov_b32 s0, exec_lo
	s_waitcnt lgkmcnt(0)
	s_barrier
	buffer_gl0_inv
	v_cmpx_gt_u32_e32 32, v0
	s_cbranch_execz .LBB30_20
; %bb.19:
	ds_read2_b32 v[2:3], v1 offset1:32
	s_waitcnt lgkmcnt(0)
	v_add_f32_e32 v2, v3, v2
	ds_write_b32 v1, v2
.LBB30_20:
	s_or_b32 exec_lo, exec_lo, s0
	s_mov_b32 s0, exec_lo
	s_waitcnt lgkmcnt(0)
	s_barrier
	buffer_gl0_inv
	v_cmpx_gt_u32_e32 16, v0
	s_cbranch_execz .LBB30_22
; %bb.21:
	ds_read2_b32 v[2:3], v1 offset1:16
	s_waitcnt lgkmcnt(0)
	v_add_f32_e32 v2, v3, v2
	ds_write_b32 v1, v2
.LBB30_22:
	;; [unrolled: 13-line block ×5, first 2 shown]
	s_or_b32 exec_lo, exec_lo, s0
	v_cmp_eq_u32_e32 vcc_lo, 0, v0
	s_waitcnt lgkmcnt(0)
	s_barrier
	buffer_gl0_inv
	s_and_saveexec_b32 s0, vcc_lo
	s_cbranch_execz .LBB30_30
; %bb.29:
	v_mov_b32_e32 v2, 0
	ds_read_b64 v[0:1], v2
	s_waitcnt lgkmcnt(0)
	v_add_f32_e32 v0, v1, v0
	ds_write_b32 v2, v0
.LBB30_30:
	s_or_b32 exec_lo, exec_lo, s0
	s_waitcnt lgkmcnt(0)
	s_barrier
	buffer_gl0_inv
                                        ; implicit-def: $vgpr1
                                        ; implicit-def: $sgpr2_sgpr3
	s_and_saveexec_b32 s0, vcc_lo
	s_cbranch_execz .LBB30_34
; %bb.31:
	v_mov_b32_e32 v0, 0
	v_cmp_eq_f32_e64 s1, s20, 0
	s_mul_hi_i32 s3, s25, s6
	s_mul_i32 s2, s25, s6
	ds_read_b32 v0, v0
	s_and_b32 vcc_lo, exec_lo, s1
	s_waitcnt lgkmcnt(0)
	v_mul_f32_e32 v1, s24, v0
	s_cbranch_vccnz .LBB30_33
; %bb.32:
	s_lshl_b64 s[4:5], s[2:3], 2
	s_add_u32 s4, s18, s4
	s_addc_u32 s5, s19, s5
	s_load_dword s1, s[4:5], 0x0
	s_waitcnt lgkmcnt(0)
	v_fmac_f32_e64 v1, s20, s1
.LBB30_33:
	s_or_b32 s21, s21, exec_lo
.LBB30_34:
	s_or_b32 exec_lo, exec_lo, s0
.LBB30_35:
	s_and_saveexec_b32 s0, s21
	s_cbranch_execz .LBB30_37
; %bb.36:
	s_lshl_b64 s[0:1], s[2:3], 2
	v_mov_b32_e32 v0, 0
	s_add_u32 s0, s18, s0
	s_addc_u32 s1, s19, s1
	global_store_dword v0, v1, s[0:1]
.LBB30_37:
	s_endpgm
	.section	.rodata,"a",@progbits
	.p2align	6, 0x0
	.amdhsa_kernel _ZL20rocblas_gemvt_kernelILb0ELi256EfPKffEviiT2_lPKT1_lilS5_lilS2_lPT3_lili
		.amdhsa_group_segment_fixed_size 1024
		.amdhsa_private_segment_fixed_size 0
		.amdhsa_kernarg_size 140
		.amdhsa_user_sgpr_count 6
		.amdhsa_user_sgpr_private_segment_buffer 1
		.amdhsa_user_sgpr_dispatch_ptr 0
		.amdhsa_user_sgpr_queue_ptr 0
		.amdhsa_user_sgpr_kernarg_segment_ptr 1
		.amdhsa_user_sgpr_dispatch_id 0
		.amdhsa_user_sgpr_flat_scratch_init 0
		.amdhsa_user_sgpr_private_segment_size 0
		.amdhsa_wavefront_size32 1
		.amdhsa_uses_dynamic_stack 0
		.amdhsa_system_sgpr_private_segment_wavefront_offset 0
		.amdhsa_system_sgpr_workgroup_id_x 1
		.amdhsa_system_sgpr_workgroup_id_y 0
		.amdhsa_system_sgpr_workgroup_id_z 1
		.amdhsa_system_sgpr_workgroup_info 0
		.amdhsa_system_vgpr_workitem_id 0
		.amdhsa_next_free_vgpr 10
		.amdhsa_next_free_sgpr 26
		.amdhsa_reserve_vcc 1
		.amdhsa_reserve_flat_scratch 0
		.amdhsa_float_round_mode_32 0
		.amdhsa_float_round_mode_16_64 0
		.amdhsa_float_denorm_mode_32 3
		.amdhsa_float_denorm_mode_16_64 3
		.amdhsa_dx10_clamp 1
		.amdhsa_ieee_mode 1
		.amdhsa_fp16_overflow 0
		.amdhsa_workgroup_processor_mode 1
		.amdhsa_memory_ordered 1
		.amdhsa_forward_progress 1
		.amdhsa_shared_vgpr_count 0
		.amdhsa_exception_fp_ieee_invalid_op 0
		.amdhsa_exception_fp_denorm_src 0
		.amdhsa_exception_fp_ieee_div_zero 0
		.amdhsa_exception_fp_ieee_overflow 0
		.amdhsa_exception_fp_ieee_underflow 0
		.amdhsa_exception_fp_ieee_inexact 0
		.amdhsa_exception_int_div_zero 0
	.end_amdhsa_kernel
	.section	.text._ZL20rocblas_gemvt_kernelILb0ELi256EfPKffEviiT2_lPKT1_lilS5_lilS2_lPT3_lili,"axG",@progbits,_ZL20rocblas_gemvt_kernelILb0ELi256EfPKffEviiT2_lPKT1_lilS5_lilS2_lPT3_lili,comdat
.Lfunc_end30:
	.size	_ZL20rocblas_gemvt_kernelILb0ELi256EfPKffEviiT2_lPKT1_lilS5_lilS2_lPT3_lili, .Lfunc_end30-_ZL20rocblas_gemvt_kernelILb0ELi256EfPKffEviiT2_lPKT1_lilS5_lilS2_lPT3_lili
                                        ; -- End function
	.set _ZL20rocblas_gemvt_kernelILb0ELi256EfPKffEviiT2_lPKT1_lilS5_lilS2_lPT3_lili.num_vgpr, 10
	.set _ZL20rocblas_gemvt_kernelILb0ELi256EfPKffEviiT2_lPKT1_lilS5_lilS2_lPT3_lili.num_agpr, 0
	.set _ZL20rocblas_gemvt_kernelILb0ELi256EfPKffEviiT2_lPKT1_lilS5_lilS2_lPT3_lili.numbered_sgpr, 26
	.set _ZL20rocblas_gemvt_kernelILb0ELi256EfPKffEviiT2_lPKT1_lilS5_lilS2_lPT3_lili.num_named_barrier, 0
	.set _ZL20rocblas_gemvt_kernelILb0ELi256EfPKffEviiT2_lPKT1_lilS5_lilS2_lPT3_lili.private_seg_size, 0
	.set _ZL20rocblas_gemvt_kernelILb0ELi256EfPKffEviiT2_lPKT1_lilS5_lilS2_lPT3_lili.uses_vcc, 1
	.set _ZL20rocblas_gemvt_kernelILb0ELi256EfPKffEviiT2_lPKT1_lilS5_lilS2_lPT3_lili.uses_flat_scratch, 0
	.set _ZL20rocblas_gemvt_kernelILb0ELi256EfPKffEviiT2_lPKT1_lilS5_lilS2_lPT3_lili.has_dyn_sized_stack, 0
	.set _ZL20rocblas_gemvt_kernelILb0ELi256EfPKffEviiT2_lPKT1_lilS5_lilS2_lPT3_lili.has_recursion, 0
	.set _ZL20rocblas_gemvt_kernelILb0ELi256EfPKffEviiT2_lPKT1_lilS5_lilS2_lPT3_lili.has_indirect_call, 0
	.section	.AMDGPU.csdata,"",@progbits
; Kernel info:
; codeLenInByte = 1452
; TotalNumSgprs: 28
; NumVgprs: 10
; ScratchSize: 0
; MemoryBound: 0
; FloatMode: 240
; IeeeMode: 1
; LDSByteSize: 1024 bytes/workgroup (compile time only)
; SGPRBlocks: 0
; VGPRBlocks: 1
; NumSGPRsForWavesPerEU: 28
; NumVGPRsForWavesPerEU: 10
; Occupancy: 16
; WaveLimiterHint : 1
; COMPUTE_PGM_RSRC2:SCRATCH_EN: 0
; COMPUTE_PGM_RSRC2:USER_SGPR: 6
; COMPUTE_PGM_RSRC2:TRAP_HANDLER: 0
; COMPUTE_PGM_RSRC2:TGID_X_EN: 1
; COMPUTE_PGM_RSRC2:TGID_Y_EN: 0
; COMPUTE_PGM_RSRC2:TGID_Z_EN: 1
; COMPUTE_PGM_RSRC2:TIDIG_COMP_CNT: 0
	.section	.text._ZL20rocblas_gemvt_kernelILb0ELi256EfffEviiT2_lPKT1_lilS3_lilS0_lPT3_lili,"axG",@progbits,_ZL20rocblas_gemvt_kernelILb0ELi256EfffEviiT2_lPKT1_lilS3_lilS0_lPT3_lili,comdat
	.globl	_ZL20rocblas_gemvt_kernelILb0ELi256EfffEviiT2_lPKT1_lilS3_lilS0_lPT3_lili ; -- Begin function _ZL20rocblas_gemvt_kernelILb0ELi256EfffEviiT2_lPKT1_lilS3_lilS0_lPT3_lili
	.p2align	8
	.type	_ZL20rocblas_gemvt_kernelILb0ELi256EfffEviiT2_lPKT1_lilS3_lilS0_lPT3_lili,@function
_ZL20rocblas_gemvt_kernelILb0ELi256EfffEviiT2_lPKT1_lilS3_lilS0_lPT3_lili: ; @_ZL20rocblas_gemvt_kernelILb0ELi256EfffEviiT2_lPKT1_lilS3_lilS0_lPT3_lili
; %bb.0:
	s_clause 0x1
	s_load_dword s18, s[4:5], 0x8
	s_load_dword s16, s[4:5], 0x58
	s_mov_b32 s17, 0
	s_waitcnt lgkmcnt(0)
	v_cmp_eq_f32_e64 s0, s18, 0
	v_cmp_eq_f32_e64 s1, s16, 1.0
	s_and_b32 s0, s0, s1
	s_and_b32 vcc_lo, exec_lo, s0
	s_cbranch_vccnz .LBB31_37
; %bb.1:
	s_clause 0x2
	s_load_dwordx2 s[8:9], s[4:5], 0x80
	s_load_dwordx4 s[0:3], s[4:5], 0x68
	s_load_dword s19, s[4:5], 0x78
	s_waitcnt lgkmcnt(0)
	s_mul_i32 s9, s9, s7
	s_mul_hi_u32 s10, s8, s7
	s_mul_i32 s8, s8, s7
	s_add_i32 s9, s10, s9
	v_cmp_neq_f32_e64 s10, s18, 0
	s_lshl_b64 s[8:9], s[8:9], 2
	s_add_u32 s8, s0, s8
	s_addc_u32 s9, s1, s9
	s_lshl_b64 s[0:1], s[2:3], 2
	s_add_u32 s14, s8, s0
	v_cmp_eq_u32_e64 s0, 0, v0
	s_addc_u32 s15, s9, s1
	s_and_b32 vcc_lo, exec_lo, s10
	s_cbranch_vccnz .LBB31_5
; %bb.2:
	s_mov_b32 s1, 0
                                        ; implicit-def: $vgpr1
                                        ; implicit-def: $sgpr2_sgpr3
	s_and_saveexec_b32 s8, s0
	s_cbranch_execz .LBB31_6
; %bb.3:
	v_cmp_eq_f32_e64 s0, s16, 0
	s_mul_hi_i32 s3, s19, s6
	s_mul_i32 s2, s19, s6
	s_and_b32 vcc_lo, exec_lo, s0
	s_cbranch_vccnz .LBB31_7
; %bb.4:
	s_lshl_b64 s[10:11], s[2:3], 2
	s_add_u32 s10, s14, s10
	s_addc_u32 s11, s15, s11
	s_load_dword s0, s[10:11], 0x0
	s_waitcnt lgkmcnt(0)
	v_mul_f32_e64 v1, s16, s0
	s_branch .LBB31_8
.LBB31_5:
                                        ; implicit-def: $vgpr1
                                        ; implicit-def: $sgpr2_sgpr3
	s_cbranch_execnz .LBB31_9
	s_branch .LBB31_35
.LBB31_6:
	s_or_b32 exec_lo, exec_lo, s8
	s_and_b32 vcc_lo, exec_lo, s1
	s_cbranch_vccnz .LBB31_9
	s_branch .LBB31_35
.LBB31_7:
	v_mov_b32_e32 v1, 0
.LBB31_8:
	s_mov_b32 s17, exec_lo
	s_or_b32 exec_lo, exec_lo, s8
	s_and_b32 vcc_lo, exec_lo, s1
	s_cbranch_vccz .LBB31_35
.LBB31_9:
	s_clause 0x6
	s_load_dwordx2 s[10:11], s[4:5], 0x50
	s_load_dwordx4 s[0:3], s[4:5], 0x30
	s_load_dword s20, s[4:5], 0x0
	s_load_dword s12, s[4:5], 0x28
	s_load_dwordx4 s[24:27], s[4:5], 0x18
	s_load_dwordx2 s[8:9], s[4:5], 0x40
	s_load_dword s4, s[4:5], 0x48
	v_mov_b32_e32 v7, 0
	s_waitcnt lgkmcnt(0)
	s_mul_i32 s5, s11, s7
	s_mul_i32 s1, s1, s7
	v_cmp_gt_i32_e32 vcc_lo, s20, v0
	s_mul_hi_u32 s21, s0, s7
	s_mul_i32 s0, s0, s7
	s_add_i32 s1, s21, s1
	s_mul_hi_u32 s11, s10, s7
	v_cndmask_b32_e32 v1, 0, v0, vcc_lo
	s_lshl_b64 s[0:1], s[0:1], 2
	s_add_i32 s11, s11, s5
	s_add_u32 s5, s24, s0
	s_mul_i32 s10, s10, s7
	v_lshlrev_b32_e32 v1, 2, v1
	s_addc_u32 s7, s25, s1
	s_lshl_b64 s[0:1], s[26:27], 2
	s_mul_hi_i32 s13, s12, s6
	s_add_u32 s5, s5, s0
	s_addc_u32 s7, s7, s1
	v_add_co_u32 v1, s5, s5, v1
	s_mul_i32 s12, s12, s6
	v_add_co_ci_u32_e64 v2, null, s7, 0, s5
	s_ashr_i32 s21, s20, 31
	s_lshl_b64 s[0:1], s[12:13], 2
	s_lshr_b32 s12, s21, 24
	v_add_co_u32 v1, vcc_lo, v1, s0
	s_add_i32 s5, s20, s12
	v_add_co_ci_u32_e64 v2, null, s1, v2, vcc_lo
	s_and_b32 s0, s5, 0xffffff00
	s_cmpk_lt_i32 s20, 0x100
	s_mov_b32 s1, 0
	s_cbranch_scc1 .LBB31_12
; %bb.10:
	v_mad_i64_i32 v[3:4], null, s4, v0, 0
	s_lshl_b64 s[22:23], s[8:9], 2
	s_ashr_i32 s5, s4, 31
	s_lshl_b64 s[12:13], s[10:11], 2
	s_add_u32 s7, s2, s22
	s_addc_u32 s21, s3, s23
	s_add_u32 s7, s7, s12
	v_lshlrev_b64 v[3:4], 2, v[3:4]
	s_addc_u32 s12, s21, s13
	v_mov_b32_e32 v6, v2
	v_mov_b32_e32 v7, 0
	;; [unrolled: 1-line block ×3, first 2 shown]
	v_add_co_u32 v3, vcc_lo, s7, v3
	v_add_co_ci_u32_e64 v4, null, s12, v4, vcc_lo
	s_lshl_b64 s[12:13], s[4:5], 10
	.p2align	6
.LBB31_11:                              ; =>This Inner Loop Header: Depth=1
	global_load_dword v8, v[5:6], off
	global_load_dword v9, v[3:4], off
	v_add_co_u32 v3, vcc_lo, v3, s12
	v_add_co_ci_u32_e64 v4, null, s13, v4, vcc_lo
	v_add_co_u32 v5, vcc_lo, 0x400, v5
	v_add_co_ci_u32_e64 v6, null, 0, v6, vcc_lo
	s_addk_i32 s1, 0x100
	s_cmp_ge_i32 s1, s0
	s_waitcnt vmcnt(0)
	v_fmac_f32_e32 v7, v8, v9
	s_cbranch_scc0 .LBB31_11
.LBB31_12:
	v_add_nc_u32_e32 v3, s0, v0
	s_mov_b32 s5, exec_lo
	v_cmpx_gt_i32_e64 s20, v3
	s_cbranch_execz .LBB31_14
; %bb.13:
	v_mad_i64_i32 v[3:4], null, s4, v3, 0
	s_lshl_b64 s[10:11], s[10:11], 2
	s_add_u32 s1, s2, s10
	s_addc_u32 s7, s3, s11
	s_lshl_b64 s[2:3], s[8:9], 2
	s_add_u32 s2, s1, s2
	s_addc_u32 s3, s7, s3
	s_ashr_i32 s1, s0, 31
	v_lshlrev_b64 v[3:4], 2, v[3:4]
	s_lshl_b64 s[0:1], s[0:1], 2
	v_add_co_u32 v1, vcc_lo, v1, s0
	v_add_co_ci_u32_e64 v2, null, s1, v2, vcc_lo
	v_add_co_u32 v3, vcc_lo, s2, v3
	v_add_co_ci_u32_e64 v4, null, s3, v4, vcc_lo
	global_load_dword v1, v[1:2], off
	global_load_dword v2, v[3:4], off
	s_waitcnt vmcnt(0)
	v_fmac_f32_e32 v7, v1, v2
.LBB31_14:
	s_or_b32 exec_lo, exec_lo, s5
	v_lshlrev_b32_e32 v1, 2, v0
	s_mov_b32 s0, exec_lo
	ds_write_b32 v1, v7
	s_waitcnt lgkmcnt(0)
	s_barrier
	buffer_gl0_inv
	v_cmpx_gt_u32_e32 0x80, v0
	s_cbranch_execz .LBB31_16
; %bb.15:
	ds_read2st64_b32 v[2:3], v1 offset1:2
	s_waitcnt lgkmcnt(0)
	v_add_f32_e32 v2, v3, v2
	ds_write_b32 v1, v2
.LBB31_16:
	s_or_b32 exec_lo, exec_lo, s0
	s_mov_b32 s0, exec_lo
	s_waitcnt lgkmcnt(0)
	s_barrier
	buffer_gl0_inv
	v_cmpx_gt_u32_e32 64, v0
	s_cbranch_execz .LBB31_18
; %bb.17:
	ds_read2st64_b32 v[2:3], v1 offset1:1
	s_waitcnt lgkmcnt(0)
	v_add_f32_e32 v2, v3, v2
	ds_write_b32 v1, v2
.LBB31_18:
	s_or_b32 exec_lo, exec_lo, s0
	s_mov_b32 s0, exec_lo
	s_waitcnt lgkmcnt(0)
	s_barrier
	buffer_gl0_inv
	v_cmpx_gt_u32_e32 32, v0
	s_cbranch_execz .LBB31_20
; %bb.19:
	ds_read2_b32 v[2:3], v1 offset1:32
	s_waitcnt lgkmcnt(0)
	v_add_f32_e32 v2, v3, v2
	ds_write_b32 v1, v2
.LBB31_20:
	s_or_b32 exec_lo, exec_lo, s0
	s_mov_b32 s0, exec_lo
	s_waitcnt lgkmcnt(0)
	s_barrier
	buffer_gl0_inv
	v_cmpx_gt_u32_e32 16, v0
	s_cbranch_execz .LBB31_22
; %bb.21:
	ds_read2_b32 v[2:3], v1 offset1:16
	s_waitcnt lgkmcnt(0)
	v_add_f32_e32 v2, v3, v2
	ds_write_b32 v1, v2
.LBB31_22:
	;; [unrolled: 13-line block ×5, first 2 shown]
	s_or_b32 exec_lo, exec_lo, s0
	v_cmp_eq_u32_e32 vcc_lo, 0, v0
	s_waitcnt lgkmcnt(0)
	s_barrier
	buffer_gl0_inv
	s_and_saveexec_b32 s0, vcc_lo
	s_cbranch_execz .LBB31_30
; %bb.29:
	v_mov_b32_e32 v2, 0
	ds_read_b64 v[0:1], v2
	s_waitcnt lgkmcnt(0)
	v_add_f32_e32 v0, v1, v0
	ds_write_b32 v2, v0
.LBB31_30:
	s_or_b32 exec_lo, exec_lo, s0
	s_waitcnt lgkmcnt(0)
	s_barrier
	buffer_gl0_inv
                                        ; implicit-def: $vgpr1
                                        ; implicit-def: $sgpr2_sgpr3
	s_and_saveexec_b32 s0, vcc_lo
	s_cbranch_execz .LBB31_34
; %bb.31:
	v_mov_b32_e32 v0, 0
	v_cmp_eq_f32_e64 s1, s16, 0
	s_mul_hi_i32 s3, s19, s6
	s_mul_i32 s2, s19, s6
	ds_read_b32 v0, v0
	s_and_b32 vcc_lo, exec_lo, s1
	s_waitcnt lgkmcnt(0)
	v_mul_f32_e32 v1, s18, v0
	s_cbranch_vccnz .LBB31_33
; %bb.32:
	s_lshl_b64 s[4:5], s[2:3], 2
	s_add_u32 s4, s14, s4
	s_addc_u32 s5, s15, s5
	s_load_dword s1, s[4:5], 0x0
	s_waitcnt lgkmcnt(0)
	v_fmac_f32_e64 v1, s16, s1
.LBB31_33:
	s_or_b32 s17, s17, exec_lo
.LBB31_34:
	s_or_b32 exec_lo, exec_lo, s0
.LBB31_35:
	s_and_saveexec_b32 s0, s17
	s_cbranch_execz .LBB31_37
; %bb.36:
	s_lshl_b64 s[0:1], s[2:3], 2
	v_mov_b32_e32 v0, 0
	s_add_u32 s0, s14, s0
	s_addc_u32 s1, s15, s1
	global_store_dword v0, v1, s[0:1]
.LBB31_37:
	s_endpgm
	.section	.rodata,"a",@progbits
	.p2align	6, 0x0
	.amdhsa_kernel _ZL20rocblas_gemvt_kernelILb0ELi256EfffEviiT2_lPKT1_lilS3_lilS0_lPT3_lili
		.amdhsa_group_segment_fixed_size 1024
		.amdhsa_private_segment_fixed_size 0
		.amdhsa_kernarg_size 140
		.amdhsa_user_sgpr_count 6
		.amdhsa_user_sgpr_private_segment_buffer 1
		.amdhsa_user_sgpr_dispatch_ptr 0
		.amdhsa_user_sgpr_queue_ptr 0
		.amdhsa_user_sgpr_kernarg_segment_ptr 1
		.amdhsa_user_sgpr_dispatch_id 0
		.amdhsa_user_sgpr_flat_scratch_init 0
		.amdhsa_user_sgpr_private_segment_size 0
		.amdhsa_wavefront_size32 1
		.amdhsa_uses_dynamic_stack 0
		.amdhsa_system_sgpr_private_segment_wavefront_offset 0
		.amdhsa_system_sgpr_workgroup_id_x 1
		.amdhsa_system_sgpr_workgroup_id_y 0
		.amdhsa_system_sgpr_workgroup_id_z 1
		.amdhsa_system_sgpr_workgroup_info 0
		.amdhsa_system_vgpr_workitem_id 0
		.amdhsa_next_free_vgpr 10
		.amdhsa_next_free_sgpr 28
		.amdhsa_reserve_vcc 1
		.amdhsa_reserve_flat_scratch 0
		.amdhsa_float_round_mode_32 0
		.amdhsa_float_round_mode_16_64 0
		.amdhsa_float_denorm_mode_32 3
		.amdhsa_float_denorm_mode_16_64 3
		.amdhsa_dx10_clamp 1
		.amdhsa_ieee_mode 1
		.amdhsa_fp16_overflow 0
		.amdhsa_workgroup_processor_mode 1
		.amdhsa_memory_ordered 1
		.amdhsa_forward_progress 1
		.amdhsa_shared_vgpr_count 0
		.amdhsa_exception_fp_ieee_invalid_op 0
		.amdhsa_exception_fp_denorm_src 0
		.amdhsa_exception_fp_ieee_div_zero 0
		.amdhsa_exception_fp_ieee_overflow 0
		.amdhsa_exception_fp_ieee_underflow 0
		.amdhsa_exception_fp_ieee_inexact 0
		.amdhsa_exception_int_div_zero 0
	.end_amdhsa_kernel
	.section	.text._ZL20rocblas_gemvt_kernelILb0ELi256EfffEviiT2_lPKT1_lilS3_lilS0_lPT3_lili,"axG",@progbits,_ZL20rocblas_gemvt_kernelILb0ELi256EfffEviiT2_lPKT1_lilS3_lilS0_lPT3_lili,comdat
.Lfunc_end31:
	.size	_ZL20rocblas_gemvt_kernelILb0ELi256EfffEviiT2_lPKT1_lilS3_lilS0_lPT3_lili, .Lfunc_end31-_ZL20rocblas_gemvt_kernelILb0ELi256EfffEviiT2_lPKT1_lilS3_lilS0_lPT3_lili
                                        ; -- End function
	.set _ZL20rocblas_gemvt_kernelILb0ELi256EfffEviiT2_lPKT1_lilS3_lilS0_lPT3_lili.num_vgpr, 10
	.set _ZL20rocblas_gemvt_kernelILb0ELi256EfffEviiT2_lPKT1_lilS3_lilS0_lPT3_lili.num_agpr, 0
	.set _ZL20rocblas_gemvt_kernelILb0ELi256EfffEviiT2_lPKT1_lilS3_lilS0_lPT3_lili.numbered_sgpr, 28
	.set _ZL20rocblas_gemvt_kernelILb0ELi256EfffEviiT2_lPKT1_lilS3_lilS0_lPT3_lili.num_named_barrier, 0
	.set _ZL20rocblas_gemvt_kernelILb0ELi256EfffEviiT2_lPKT1_lilS3_lilS0_lPT3_lili.private_seg_size, 0
	.set _ZL20rocblas_gemvt_kernelILb0ELi256EfffEviiT2_lPKT1_lilS3_lilS0_lPT3_lili.uses_vcc, 1
	.set _ZL20rocblas_gemvt_kernelILb0ELi256EfffEviiT2_lPKT1_lilS3_lilS0_lPT3_lili.uses_flat_scratch, 0
	.set _ZL20rocblas_gemvt_kernelILb0ELi256EfffEviiT2_lPKT1_lilS3_lilS0_lPT3_lili.has_dyn_sized_stack, 0
	.set _ZL20rocblas_gemvt_kernelILb0ELi256EfffEviiT2_lPKT1_lilS3_lilS0_lPT3_lili.has_recursion, 0
	.set _ZL20rocblas_gemvt_kernelILb0ELi256EfffEviiT2_lPKT1_lilS3_lilS0_lPT3_lili.has_indirect_call, 0
	.section	.AMDGPU.csdata,"",@progbits
; Kernel info:
; codeLenInByte = 1388
; TotalNumSgprs: 30
; NumVgprs: 10
; ScratchSize: 0
; MemoryBound: 0
; FloatMode: 240
; IeeeMode: 1
; LDSByteSize: 1024 bytes/workgroup (compile time only)
; SGPRBlocks: 0
; VGPRBlocks: 1
; NumSGPRsForWavesPerEU: 30
; NumVGPRsForWavesPerEU: 10
; Occupancy: 16
; WaveLimiterHint : 1
; COMPUTE_PGM_RSRC2:SCRATCH_EN: 0
; COMPUTE_PGM_RSRC2:USER_SGPR: 6
; COMPUTE_PGM_RSRC2:TRAP_HANDLER: 0
; COMPUTE_PGM_RSRC2:TGID_X_EN: 1
; COMPUTE_PGM_RSRC2:TGID_Y_EN: 0
; COMPUTE_PGM_RSRC2:TGID_Z_EN: 1
; COMPUTE_PGM_RSRC2:TIDIG_COMP_CNT: 0
	.section	.text._ZL32rocblas_gemvt_warp_reduce_kernelILb0ELi1024EifPKffEviiT3_lPKT2_lT1_lS5_lS6_lS2_lPT4_lS6_li,"axG",@progbits,_ZL32rocblas_gemvt_warp_reduce_kernelILb0ELi1024EifPKffEviiT3_lPKT2_lT1_lS5_lS6_lS2_lPT4_lS6_li,comdat
	.globl	_ZL32rocblas_gemvt_warp_reduce_kernelILb0ELi1024EifPKffEviiT3_lPKT2_lT1_lS5_lS6_lS2_lPT4_lS6_li ; -- Begin function _ZL32rocblas_gemvt_warp_reduce_kernelILb0ELi1024EifPKffEviiT3_lPKT2_lT1_lS5_lS6_lS2_lPT4_lS6_li
	.p2align	8
	.type	_ZL32rocblas_gemvt_warp_reduce_kernelILb0ELi1024EifPKffEviiT3_lPKT2_lT1_lS5_lS6_lS2_lPT4_lS6_li,@function
_ZL32rocblas_gemvt_warp_reduce_kernelILb0ELi1024EifPKffEviiT3_lPKT2_lT1_lS5_lS6_lS2_lPT4_lS6_li: ; @_ZL32rocblas_gemvt_warp_reduce_kernelILb0ELi1024EifPKffEviiT3_lPKT2_lT1_lS5_lS6_lS2_lPT4_lS6_li
; %bb.0:
	s_clause 0x1
	s_load_dwordx8 s[8:15], s[4:5], 0x8
	s_load_dwordx8 s[16:23], s[4:5], 0x50
	s_waitcnt lgkmcnt(0)
	s_mul_i32 s1, s11, s7
	s_mul_hi_u32 s2, s10, s7
	s_mul_i32 s0, s10, s7
	s_add_i32 s1, s2, s1
	s_mul_i32 s2, s21, s7
	s_lshl_b64 s[0:1], s[0:1], 2
	s_mul_hi_u32 s3, s20, s7
	s_add_u32 s0, s8, s0
	s_addc_u32 s1, s9, s1
	s_add_i32 s3, s3, s2
	s_mul_i32 s2, s20, s7
	s_mov_b32 s10, 0
	s_lshl_b64 s[2:3], s[2:3], 2
	s_add_u32 s2, s18, s2
	s_addc_u32 s3, s19, s3
	s_load_dword s11, s[0:1], 0x0
	s_load_dword s9, s[2:3], 0x0
	s_waitcnt lgkmcnt(0)
	v_cmp_eq_f32_e64 s0, s11, 0
	v_cmp_eq_f32_e64 s1, s9, 1.0
	s_and_b32 s0, s0, s1
	s_and_b32 vcc_lo, exec_lo, s0
	s_cbranch_vccnz .LBB32_30
; %bb.1:
	s_clause 0x2
	s_load_dwordx2 s[0:1], s[4:5], 0x80
	s_load_dwordx2 s[2:3], s[4:5], 0x70
	s_load_dword s18, s[4:5], 0x78
	v_cmp_neq_f32_e64 s19, s11, 0
	s_waitcnt lgkmcnt(0)
	s_mul_i32 s1, s1, s7
	s_mul_hi_u32 s8, s0, s7
	s_mul_i32 s0, s0, s7
	s_add_i32 s1, s8, s1
	s_lshl_b64 s[0:1], s[0:1], 2
	s_add_u32 s0, s22, s0
	s_addc_u32 s8, s23, s1
	s_lshl_b64 s[2:3], s[2:3], 2
	s_add_u32 s1, s0, s2
	v_cmp_eq_u32_e64 s0, 0, v0
	s_addc_u32 s8, s8, s3
	s_and_b32 vcc_lo, exec_lo, s19
	s_cbranch_vccnz .LBB32_5
; %bb.2:
	s_mov_b32 s19, 0
                                        ; implicit-def: $vgpr1
                                        ; implicit-def: $sgpr2_sgpr3
	s_and_saveexec_b32 s20, s0
	s_cbranch_execz .LBB32_6
; %bb.3:
	v_cmp_eq_f32_e64 s0, s9, 0
	s_mul_i32 s2, s18, s6
	s_ashr_i32 s3, s2, 31
	s_and_b32 vcc_lo, exec_lo, s0
	s_cbranch_vccnz .LBB32_7
; %bb.4:
	s_lshl_b64 s[22:23], s[2:3], 2
	s_add_u32 s22, s1, s22
	s_addc_u32 s23, s8, s23
	s_load_dword s0, s[22:23], 0x0
	s_waitcnt lgkmcnt(0)
	v_mul_f32_e64 v1, s9, s0
	s_branch .LBB32_8
.LBB32_5:
                                        ; implicit-def: $vgpr1
                                        ; implicit-def: $sgpr2_sgpr3
	s_cbranch_execnz .LBB32_9
	s_branch .LBB32_28
.LBB32_6:
	s_or_b32 exec_lo, exec_lo, s20
	s_and_b32 vcc_lo, exec_lo, s19
	s_cbranch_vccnz .LBB32_9
	s_branch .LBB32_28
.LBB32_7:
	v_mov_b32_e32 v1, 0
.LBB32_8:
	s_mov_b32 s10, exec_lo
	s_or_b32 exec_lo, exec_lo, s20
	s_and_b32 vcc_lo, exec_lo, s19
	s_cbranch_vccz .LBB32_28
.LBB32_9:
	s_clause 0x3
	s_load_dwordx4 s[20:23], s[4:5], 0x30
	s_load_dwordx2 s[24:25], s[4:5], 0x40
	s_load_dword s3, s[4:5], 0x0
	s_load_dword s0, s[4:5], 0x28
	s_mul_i32 s2, s17, s7
	s_mul_hi_u32 s17, s16, s7
	s_mul_i32 s16, s16, s7
	s_add_i32 s17, s17, s2
	s_load_dword s4, s[4:5], 0x48
	s_lshl_b64 s[16:17], s[16:17], 2
	v_mov_b32_e32 v7, 0
	s_waitcnt lgkmcnt(0)
	s_add_u32 s2, s22, s16
	s_addc_u32 s22, s23, s17
	v_cmp_gt_i32_e32 vcc_lo, s3, v0
	s_lshl_b64 s[16:17], s[24:25], 2
	s_mul_i32 s19, s21, s7
	s_mul_hi_u32 s21, s20, s7
	s_add_u32 s5, s2, s16
	v_cndmask_b32_e32 v1, 0, v0, vcc_lo
	s_mul_i32 s20, s20, s7
	s_addc_u32 s7, s22, s17
	s_add_i32 s21, s21, s19
	s_lshl_b64 s[16:17], s[20:21], 2
	s_mul_i32 s20, s0, s6
	s_add_u32 s0, s12, s16
	v_lshlrev_b32_e32 v1, 2, v1
	s_addc_u32 s2, s13, s17
	s_lshl_b64 s[12:13], s[14:15], 2
	s_add_u32 s0, s0, s12
	s_addc_u32 s2, s2, s13
	v_add_co_u32 v1, s0, s0, v1
	s_ashr_i32 s12, s3, 31
	s_ashr_i32 s21, s20, 31
	v_add_co_ci_u32_e64 v2, null, s2, 0, s0
	s_lshr_b32 s0, s12, 22
	s_lshl_b64 s[12:13], s[20:21], 2
	s_add_i32 s0, s3, s0
	v_add_co_u32 v1, vcc_lo, v1, s12
	v_add_co_ci_u32_e64 v2, null, s13, v2, vcc_lo
	s_and_b32 s2, s0, 0xfffffc00
	s_mov_b32 s13, 0
	s_mov_b32 s12, exec_lo
	v_cmpx_gt_i32_e64 s2, v0
	s_cbranch_execz .LBB32_13
; %bb.10:
	v_mul_lo_u32 v3, v0, s4
	v_mov_b32_e32 v6, v2
	v_mov_b32_e32 v7, 0
	;; [unrolled: 1-line block ×4, first 2 shown]
	s_lshl_b32 s14, s4, 10
	.p2align	6
.LBB32_11:                              ; =>This Inner Loop Header: Depth=1
	v_ashrrev_i32_e32 v4, 31, v3
	v_add_nc_u32_e32 v8, 0x400, v8
	v_lshlrev_b64 v[9:10], 2, v[3:4]
	v_cmp_le_i32_e64 s0, s2, v8
	v_add_nc_u32_e32 v3, s14, v3
	s_or_b32 s13, s0, s13
	v_add_co_u32 v9, vcc_lo, s5, v9
	v_add_co_ci_u32_e64 v10, null, s7, v10, vcc_lo
	global_load_dword v4, v[5:6], off
	global_load_dword v9, v[9:10], off
	v_add_co_u32 v5, vcc_lo, 0x1000, v5
	v_add_co_ci_u32_e64 v6, null, 0, v6, vcc_lo
	s_waitcnt vmcnt(0)
	v_fmac_f32_e32 v7, v4, v9
	s_andn2_b32 exec_lo, exec_lo, s13
	s_cbranch_execnz .LBB32_11
; %bb.12:
	s_or_b32 exec_lo, exec_lo, s13
.LBB32_13:
	s_or_b32 exec_lo, exec_lo, s12
	v_or_b32_e32 v3, s2, v0
	s_mov_b32 s0, exec_lo
	v_cmpx_gt_i32_e64 s3, v3
	s_cbranch_execz .LBB32_15
; %bb.14:
	v_mul_lo_u32 v3, s4, v3
	s_ashr_i32 s3, s2, 31
	s_lshl_b64 s[2:3], s[2:3], 2
	v_add_co_u32 v1, vcc_lo, v1, s2
	v_add_co_ci_u32_e64 v2, null, s3, v2, vcc_lo
	v_ashrrev_i32_e32 v4, 31, v3
	v_lshlrev_b64 v[3:4], 2, v[3:4]
	v_add_co_u32 v3, vcc_lo, s5, v3
	v_add_co_ci_u32_e64 v4, null, s7, v4, vcc_lo
	global_load_dword v1, v[1:2], off
	global_load_dword v2, v[3:4], off
	s_waitcnt vmcnt(0)
	v_fmac_f32_e32 v7, v1, v2
.LBB32_15:
	s_or_b32 exec_lo, exec_lo, s0
	v_and_b32_e32 v8, 31, v0
	v_cmp_gt_u32_e32 vcc_lo, 32, v0
	v_lshlrev_b32_e32 v1, 2, v8
	s_and_saveexec_b32 s0, vcc_lo
; %bb.16:
	v_mov_b32_e32 v2, 0
	ds_write_b32 v1, v2
; %bb.17:
	s_or_b32 exec_lo, exec_lo, s0
	v_mbcnt_lo_u32_b32 v6, -1, 0
	s_mov_b32 s2, exec_lo
	s_waitcnt lgkmcnt(0)
	s_barrier
	buffer_gl0_inv
	v_lshl_or_b32 v2, v6, 2, 64
	v_cmp_gt_u32_e64 s0, 24, v6
	ds_bpermute_b32 v4, v2, v7
	v_cndmask_b32_e64 v3, 0, 8, s0
	v_cmp_gt_u32_e64 s0, 28, v6
	v_add_lshl_u32 v3, v3, v6, 2
	s_waitcnt lgkmcnt(0)
	v_add_f32_e32 v5, v7, v4
	v_cndmask_b32_e64 v4, 0, 4, s0
	v_cmp_gt_u32_e64 s0, 30, v6
	ds_bpermute_b32 v7, v3, v5
	v_add_lshl_u32 v4, v4, v6, 2
	s_waitcnt lgkmcnt(0)
	v_add_f32_e32 v7, v5, v7
	v_cndmask_b32_e64 v5, 0, 2, s0
	v_cmp_ne_u32_e64 s0, 31, v6
	ds_bpermute_b32 v9, v4, v7
	v_add_lshl_u32 v5, v5, v6, 2
	v_add_co_ci_u32_e64 v6, null, 0, v6, s0
	v_lshlrev_b32_e32 v6, 2, v6
	s_waitcnt lgkmcnt(0)
	v_add_f32_e32 v7, v7, v9
	ds_bpermute_b32 v9, v5, v7
	s_waitcnt lgkmcnt(0)
	v_add_f32_e32 v7, v7, v9
	ds_bpermute_b32 v9, v6, v7
	v_cmpx_eq_u32_e32 0, v8
	s_cbranch_execz .LBB32_19
; %bb.18:
	v_lshrrev_b32_e32 v8, 3, v0
	s_waitcnt lgkmcnt(0)
	v_add_f32_e32 v7, v7, v9
	v_and_b32_e32 v8, 0x7c, v8
	ds_write_b32 v8, v7
.LBB32_19:
	s_or_b32 exec_lo, exec_lo, s2
	v_mov_b32_e32 v7, 0
	s_waitcnt lgkmcnt(0)
	s_barrier
	buffer_gl0_inv
	s_and_saveexec_b32 s0, vcc_lo
; %bb.20:
	ds_read_b32 v7, v1
; %bb.21:
	s_or_b32 exec_lo, exec_lo, s0
	s_and_saveexec_b32 s0, vcc_lo
	s_cbranch_execz .LBB32_23
; %bb.22:
	s_waitcnt lgkmcnt(0)
	ds_bpermute_b32 v1, v2, v7
	s_waitcnt lgkmcnt(0)
	v_add_f32_e32 v1, v7, v1
	ds_bpermute_b32 v2, v3, v1
	s_waitcnt lgkmcnt(0)
	v_add_f32_e32 v1, v1, v2
	;; [unrolled: 3-line block ×5, first 2 shown]
.LBB32_23:
	s_or_b32 exec_lo, exec_lo, s0
	s_mov_b32 s0, exec_lo
                                        ; implicit-def: $vgpr1
                                        ; implicit-def: $sgpr2_sgpr3
	v_cmpx_eq_u32_e32 0, v0
	s_cbranch_execz .LBB32_27
; %bb.24:
	v_cmp_eq_f32_e64 s3, s9, 0
	s_waitcnt lgkmcnt(0)
	v_mul_f32_e32 v1, s11, v7
	s_mul_i32 s2, s18, s6
	s_and_b32 vcc_lo, exec_lo, s3
	s_ashr_i32 s3, s2, 31
	s_cbranch_vccnz .LBB32_26
; %bb.25:
	s_lshl_b64 s[4:5], s[2:3], 2
	s_add_u32 s4, s1, s4
	s_addc_u32 s5, s8, s5
	s_load_dword s4, s[4:5], 0x0
	s_waitcnt lgkmcnt(0)
	v_fmac_f32_e64 v1, s9, s4
.LBB32_26:
	s_or_b32 s10, s10, exec_lo
.LBB32_27:
	s_or_b32 exec_lo, exec_lo, s0
.LBB32_28:
	s_and_saveexec_b32 s0, s10
	s_cbranch_execz .LBB32_30
; %bb.29:
	s_lshl_b64 s[2:3], s[2:3], 2
	v_mov_b32_e32 v0, 0
	s_add_u32 s0, s1, s2
	s_addc_u32 s1, s8, s3
	global_store_dword v0, v1, s[0:1]
.LBB32_30:
	s_endpgm
	.section	.rodata,"a",@progbits
	.p2align	6, 0x0
	.amdhsa_kernel _ZL32rocblas_gemvt_warp_reduce_kernelILb0ELi1024EifPKffEviiT3_lPKT2_lT1_lS5_lS6_lS2_lPT4_lS6_li
		.amdhsa_group_segment_fixed_size 128
		.amdhsa_private_segment_fixed_size 0
		.amdhsa_kernarg_size 140
		.amdhsa_user_sgpr_count 6
		.amdhsa_user_sgpr_private_segment_buffer 1
		.amdhsa_user_sgpr_dispatch_ptr 0
		.amdhsa_user_sgpr_queue_ptr 0
		.amdhsa_user_sgpr_kernarg_segment_ptr 1
		.amdhsa_user_sgpr_dispatch_id 0
		.amdhsa_user_sgpr_flat_scratch_init 0
		.amdhsa_user_sgpr_private_segment_size 0
		.amdhsa_wavefront_size32 1
		.amdhsa_uses_dynamic_stack 0
		.amdhsa_system_sgpr_private_segment_wavefront_offset 0
		.amdhsa_system_sgpr_workgroup_id_x 1
		.amdhsa_system_sgpr_workgroup_id_y 0
		.amdhsa_system_sgpr_workgroup_id_z 1
		.amdhsa_system_sgpr_workgroup_info 0
		.amdhsa_system_vgpr_workitem_id 0
		.amdhsa_next_free_vgpr 11
		.amdhsa_next_free_sgpr 26
		.amdhsa_reserve_vcc 1
		.amdhsa_reserve_flat_scratch 0
		.amdhsa_float_round_mode_32 0
		.amdhsa_float_round_mode_16_64 0
		.amdhsa_float_denorm_mode_32 3
		.amdhsa_float_denorm_mode_16_64 3
		.amdhsa_dx10_clamp 1
		.amdhsa_ieee_mode 1
		.amdhsa_fp16_overflow 0
		.amdhsa_workgroup_processor_mode 1
		.amdhsa_memory_ordered 1
		.amdhsa_forward_progress 1
		.amdhsa_shared_vgpr_count 0
		.amdhsa_exception_fp_ieee_invalid_op 0
		.amdhsa_exception_fp_denorm_src 0
		.amdhsa_exception_fp_ieee_div_zero 0
		.amdhsa_exception_fp_ieee_overflow 0
		.amdhsa_exception_fp_ieee_underflow 0
		.amdhsa_exception_fp_ieee_inexact 0
		.amdhsa_exception_int_div_zero 0
	.end_amdhsa_kernel
	.section	.text._ZL32rocblas_gemvt_warp_reduce_kernelILb0ELi1024EifPKffEviiT3_lPKT2_lT1_lS5_lS6_lS2_lPT4_lS6_li,"axG",@progbits,_ZL32rocblas_gemvt_warp_reduce_kernelILb0ELi1024EifPKffEviiT3_lPKT2_lT1_lS5_lS6_lS2_lPT4_lS6_li,comdat
.Lfunc_end32:
	.size	_ZL32rocblas_gemvt_warp_reduce_kernelILb0ELi1024EifPKffEviiT3_lPKT2_lT1_lS5_lS6_lS2_lPT4_lS6_li, .Lfunc_end32-_ZL32rocblas_gemvt_warp_reduce_kernelILb0ELi1024EifPKffEviiT3_lPKT2_lT1_lS5_lS6_lS2_lPT4_lS6_li
                                        ; -- End function
	.set _ZL32rocblas_gemvt_warp_reduce_kernelILb0ELi1024EifPKffEviiT3_lPKT2_lT1_lS5_lS6_lS2_lPT4_lS6_li.num_vgpr, 11
	.set _ZL32rocblas_gemvt_warp_reduce_kernelILb0ELi1024EifPKffEviiT3_lPKT2_lT1_lS5_lS6_lS2_lPT4_lS6_li.num_agpr, 0
	.set _ZL32rocblas_gemvt_warp_reduce_kernelILb0ELi1024EifPKffEviiT3_lPKT2_lT1_lS5_lS6_lS2_lPT4_lS6_li.numbered_sgpr, 26
	.set _ZL32rocblas_gemvt_warp_reduce_kernelILb0ELi1024EifPKffEviiT3_lPKT2_lT1_lS5_lS6_lS2_lPT4_lS6_li.num_named_barrier, 0
	.set _ZL32rocblas_gemvt_warp_reduce_kernelILb0ELi1024EifPKffEviiT3_lPKT2_lT1_lS5_lS6_lS2_lPT4_lS6_li.private_seg_size, 0
	.set _ZL32rocblas_gemvt_warp_reduce_kernelILb0ELi1024EifPKffEviiT3_lPKT2_lT1_lS5_lS6_lS2_lPT4_lS6_li.uses_vcc, 1
	.set _ZL32rocblas_gemvt_warp_reduce_kernelILb0ELi1024EifPKffEviiT3_lPKT2_lT1_lS5_lS6_lS2_lPT4_lS6_li.uses_flat_scratch, 0
	.set _ZL32rocblas_gemvt_warp_reduce_kernelILb0ELi1024EifPKffEviiT3_lPKT2_lT1_lS5_lS6_lS2_lPT4_lS6_li.has_dyn_sized_stack, 0
	.set _ZL32rocblas_gemvt_warp_reduce_kernelILb0ELi1024EifPKffEviiT3_lPKT2_lT1_lS5_lS6_lS2_lPT4_lS6_li.has_recursion, 0
	.set _ZL32rocblas_gemvt_warp_reduce_kernelILb0ELi1024EifPKffEviiT3_lPKT2_lT1_lS5_lS6_lS2_lPT4_lS6_li.has_indirect_call, 0
	.section	.AMDGPU.csdata,"",@progbits
; Kernel info:
; codeLenInByte = 1384
; TotalNumSgprs: 28
; NumVgprs: 11
; ScratchSize: 0
; MemoryBound: 0
; FloatMode: 240
; IeeeMode: 1
; LDSByteSize: 128 bytes/workgroup (compile time only)
; SGPRBlocks: 0
; VGPRBlocks: 1
; NumSGPRsForWavesPerEU: 28
; NumVGPRsForWavesPerEU: 11
; Occupancy: 16
; WaveLimiterHint : 1
; COMPUTE_PGM_RSRC2:SCRATCH_EN: 0
; COMPUTE_PGM_RSRC2:USER_SGPR: 6
; COMPUTE_PGM_RSRC2:TRAP_HANDLER: 0
; COMPUTE_PGM_RSRC2:TGID_X_EN: 1
; COMPUTE_PGM_RSRC2:TGID_Y_EN: 0
; COMPUTE_PGM_RSRC2:TGID_Z_EN: 1
; COMPUTE_PGM_RSRC2:TIDIG_COMP_CNT: 0
	.section	.text._ZL32rocblas_gemvt_warp_reduce_kernelILb0ELi1024ElfPKffEviiT3_lPKT2_lT1_lS5_lS6_lS2_lPT4_lS6_li,"axG",@progbits,_ZL32rocblas_gemvt_warp_reduce_kernelILb0ELi1024ElfPKffEviiT3_lPKT2_lT1_lS5_lS6_lS2_lPT4_lS6_li,comdat
	.globl	_ZL32rocblas_gemvt_warp_reduce_kernelILb0ELi1024ElfPKffEviiT3_lPKT2_lT1_lS5_lS6_lS2_lPT4_lS6_li ; -- Begin function _ZL32rocblas_gemvt_warp_reduce_kernelILb0ELi1024ElfPKffEviiT3_lPKT2_lT1_lS5_lS6_lS2_lPT4_lS6_li
	.p2align	8
	.type	_ZL32rocblas_gemvt_warp_reduce_kernelILb0ELi1024ElfPKffEviiT3_lPKT2_lT1_lS5_lS6_lS2_lPT4_lS6_li,@function
_ZL32rocblas_gemvt_warp_reduce_kernelILb0ELi1024ElfPKffEviiT3_lPKT2_lT1_lS5_lS6_lS2_lPT4_lS6_li: ; @_ZL32rocblas_gemvt_warp_reduce_kernelILb0ELi1024ElfPKffEviiT3_lPKT2_lT1_lS5_lS6_lS2_lPT4_lS6_li
; %bb.0:
	s_clause 0x1
	s_load_dwordx16 s[36:51], s[4:5], 0x8
	s_load_dwordx16 s[8:23], s[4:5], 0x48
	s_waitcnt lgkmcnt(0)
	s_mul_i32 s1, s39, s7
	s_mul_hi_u32 s2, s38, s7
	s_mul_i32 s0, s38, s7
	s_add_i32 s1, s2, s1
	s_mul_i32 s2, s15, s7
	s_lshl_b64 s[0:1], s[0:1], 2
	s_mul_hi_u32 s3, s14, s7
	s_add_u32 s0, s36, s0
	s_addc_u32 s1, s37, s1
	s_add_i32 s3, s3, s2
	s_mul_i32 s2, s14, s7
	s_mov_b32 s14, 0
	s_lshl_b64 s[2:3], s[2:3], 2
	s_add_u32 s2, s12, s2
	s_addc_u32 s3, s13, s3
	s_load_dword s15, s[0:1], 0x0
	s_load_dword s13, s[2:3], 0x0
	s_waitcnt lgkmcnt(0)
	v_cmp_eq_f32_e64 s0, s15, 0
	v_cmp_eq_f32_e64 s1, s13, 1.0
	s_and_b32 s0, s0, s1
	s_and_b32 vcc_lo, exec_lo, s0
	s_cbranch_vccnz .LBB33_30
; %bb.1:
	s_mul_i32 s1, s23, s7
	s_mul_hi_u32 s2, s22, s7
	s_mul_i32 s0, s22, s7
	s_add_i32 s1, s2, s1
	v_cmp_neq_f32_e64 s22, s15, 0
	s_lshl_b64 s[0:1], s[0:1], 2
	s_add_u32 s0, s16, s0
	s_addc_u32 s12, s17, s1
	s_lshl_b64 s[2:3], s[18:19], 2
	s_add_u32 s1, s0, s2
	v_cmp_eq_u32_e64 s0, 0, v0
	s_addc_u32 s12, s12, s3
	s_and_b32 vcc_lo, exec_lo, s22
	s_cbranch_vccnz .LBB33_5
; %bb.2:
	s_mov_b32 s16, 0
                                        ; implicit-def: $vgpr1
                                        ; implicit-def: $sgpr2_sgpr3
	s_and_saveexec_b32 s17, s0
	s_cbranch_execz .LBB33_6
; %bb.3:
	s_ashr_i32 s2, s6, 31
	v_cmp_eq_f32_e64 s0, s13, 0
	s_mul_hi_u32 s3, s20, s6
	s_mul_i32 s2, s20, s2
	s_mul_i32 s14, s21, s6
	s_add_i32 s2, s3, s2
	s_and_b32 vcc_lo, exec_lo, s0
	s_add_i32 s3, s2, s14
	s_mul_i32 s2, s20, s6
	s_cbranch_vccnz .LBB33_7
; %bb.4:
	s_lshl_b64 s[18:19], s[2:3], 2
	s_add_u32 s18, s1, s18
	s_addc_u32 s19, s12, s19
	s_load_dword s0, s[18:19], 0x0
	s_waitcnt lgkmcnt(0)
	v_mul_f32_e64 v1, s13, s0
	s_branch .LBB33_8
.LBB33_5:
                                        ; implicit-def: $vgpr1
                                        ; implicit-def: $sgpr2_sgpr3
	s_cbranch_execnz .LBB33_9
	s_branch .LBB33_28
.LBB33_6:
	s_or_b32 exec_lo, exec_lo, s17
	s_and_b32 vcc_lo, exec_lo, s16
	s_cbranch_vccnz .LBB33_9
	s_branch .LBB33_28
.LBB33_7:
	v_mov_b32_e32 v1, 0
.LBB33_8:
	s_mov_b32 s14, exec_lo
	s_or_b32 exec_lo, exec_lo, s17
	s_and_b32 vcc_lo, exec_lo, s16
	s_cbranch_vccz .LBB33_28
.LBB33_9:
	s_load_dword s5, s[4:5], 0x0
	s_mul_i32 s0, s11, s7
	s_mul_i32 s3, s47, s7
	s_mul_hi_u32 s11, s46, s7
	s_mul_i32 s2, s46, s7
	s_add_i32 s3, s11, s3
	s_mul_hi_u32 s4, s10, s7
	s_lshl_b64 s[16:17], s[2:3], 2
	s_add_i32 s3, s4, s0
	s_add_u32 s0, s40, s16
	s_addc_u32 s2, s41, s17
	s_lshl_b64 s[16:17], s[42:43], 2
	s_mul_hi_u32 s4, s44, s6
	s_add_u32 s0, s0, s16
	s_addc_u32 s2, s2, s17
	s_ashr_i32 s16, s6, 31
	s_mul_i32 s11, s45, s6
	s_mul_i32 s17, s44, s16
	;; [unrolled: 1-line block ×3, first 2 shown]
	s_add_i32 s4, s4, s17
	s_waitcnt lgkmcnt(0)
	v_cmp_gt_i32_e32 vcc_lo, s5, v0
	s_add_i32 s19, s4, s11
	s_ashr_i32 s4, s5, 31
	s_lshl_b64 s[18:19], s[18:19], 2
	s_lshr_b32 s4, s4, 22
	v_cndmask_b32_e32 v1, 0, v0, vcc_lo
	v_mov_b32_e32 v7, 0
	s_add_i32 s4, s5, s4
	s_mov_b32 s17, 0
	s_and_b32 s4, s4, 0xfffffc00
	v_lshlrev_b32_e32 v1, 2, v1
	v_add_co_u32 v1, s0, s0, v1
	v_add_co_ci_u32_e64 v2, null, s2, 0, s0
	s_mul_i32 s2, s10, s7
	v_add_co_u32 v1, vcc_lo, v1, s18
	v_add_co_ci_u32_e64 v2, null, s19, v2, vcc_lo
	s_mov_b32 s7, exec_lo
	v_cmpx_gt_i32_e64 s4, v0
	s_cbranch_execz .LBB33_13
; %bb.10:
	v_mad_u64_u32 v[5:6], null, s8, v0, 0
	s_lshl_b64 s[18:19], s[50:51], 2
	s_lshl_b64 s[10:11], s[2:3], 2
	s_add_u32 s0, s48, s18
	s_addc_u32 s18, s49, s19
	s_add_u32 s0, s0, s10
	s_addc_u32 s10, s18, s11
	v_mov_b32_e32 v3, v6
	v_mov_b32_e32 v7, 0
	;; [unrolled: 1-line block ×3, first 2 shown]
	v_mad_u64_u32 v[3:4], null, s9, v0, v[3:4]
	v_mov_b32_e32 v6, v3
	v_mov_b32_e32 v4, v2
	;; [unrolled: 1-line block ×3, first 2 shown]
	v_lshlrev_b64 v[5:6], 2, v[5:6]
	v_add_co_u32 v5, vcc_lo, s0, v5
	v_add_co_ci_u32_e64 v6, null, s10, v6, vcc_lo
	s_lshl_b64 s[10:11], s[8:9], 12
	.p2align	6
.LBB33_11:                              ; =>This Inner Loop Header: Depth=1
	global_load_dword v9, v[3:4], off
	global_load_dword v10, v[5:6], off
	v_add_nc_u32_e32 v8, 0x400, v8
	v_add_co_u32 v3, vcc_lo, 0x1000, v3
	v_add_co_ci_u32_e64 v4, null, 0, v4, vcc_lo
	v_add_co_u32 v5, vcc_lo, v5, s10
	v_cmp_le_i32_e64 s0, s4, v8
	v_add_co_ci_u32_e64 v6, null, s11, v6, vcc_lo
	s_or_b32 s17, s0, s17
	s_waitcnt vmcnt(0)
	v_fmac_f32_e32 v7, v9, v10
	s_andn2_b32 exec_lo, exec_lo, s17
	s_cbranch_execnz .LBB33_11
; %bb.12:
	s_or_b32 exec_lo, exec_lo, s17
.LBB33_13:
	s_or_b32 exec_lo, exec_lo, s7
	v_or_b32_e32 v3, s4, v0
	s_mov_b32 s0, exec_lo
	v_cmpx_gt_i32_e64 s5, v3
	s_cbranch_execz .LBB33_15
; %bb.14:
	v_ashrrev_i32_e32 v5, 31, v3
	v_mul_lo_u32 v6, s9, v3
	v_mad_u64_u32 v[3:4], null, s8, v3, 0
	s_lshl_b64 s[2:3], s[2:3], 2
	v_mul_lo_u32 v5, s8, v5
	s_add_u32 s5, s48, s2
	s_addc_u32 s7, s49, s3
	s_lshl_b64 s[2:3], s[50:51], 2
	s_add_u32 s8, s5, s2
	s_addc_u32 s7, s7, s3
	s_ashr_i32 s5, s4, 31
	v_add3_u32 v4, v4, v5, v6
	s_lshl_b64 s[2:3], s[4:5], 2
	v_add_co_u32 v1, vcc_lo, v1, s2
	v_lshlrev_b64 v[3:4], 2, v[3:4]
	v_add_co_ci_u32_e64 v2, null, s3, v2, vcc_lo
	v_add_co_u32 v3, vcc_lo, s8, v3
	v_add_co_ci_u32_e64 v4, null, s7, v4, vcc_lo
	global_load_dword v1, v[1:2], off
	global_load_dword v2, v[3:4], off
	s_waitcnt vmcnt(0)
	v_fmac_f32_e32 v7, v1, v2
.LBB33_15:
	s_or_b32 exec_lo, exec_lo, s0
	v_and_b32_e32 v8, 31, v0
	v_cmp_gt_u32_e32 vcc_lo, 32, v0
	v_lshlrev_b32_e32 v1, 2, v8
	s_and_saveexec_b32 s0, vcc_lo
; %bb.16:
	v_mov_b32_e32 v2, 0
	ds_write_b32 v1, v2
; %bb.17:
	s_or_b32 exec_lo, exec_lo, s0
	v_mbcnt_lo_u32_b32 v6, -1, 0
	s_mov_b32 s2, exec_lo
	s_waitcnt lgkmcnt(0)
	s_barrier
	buffer_gl0_inv
	v_lshl_or_b32 v2, v6, 2, 64
	v_cmp_gt_u32_e64 s0, 24, v6
	ds_bpermute_b32 v4, v2, v7
	v_cndmask_b32_e64 v3, 0, 8, s0
	v_cmp_gt_u32_e64 s0, 28, v6
	v_add_lshl_u32 v3, v3, v6, 2
	s_waitcnt lgkmcnt(0)
	v_add_f32_e32 v5, v7, v4
	v_cndmask_b32_e64 v4, 0, 4, s0
	v_cmp_gt_u32_e64 s0, 30, v6
	ds_bpermute_b32 v7, v3, v5
	v_add_lshl_u32 v4, v4, v6, 2
	s_waitcnt lgkmcnt(0)
	v_add_f32_e32 v7, v5, v7
	v_cndmask_b32_e64 v5, 0, 2, s0
	v_cmp_ne_u32_e64 s0, 31, v6
	ds_bpermute_b32 v9, v4, v7
	v_add_lshl_u32 v5, v5, v6, 2
	v_add_co_ci_u32_e64 v6, null, 0, v6, s0
	v_lshlrev_b32_e32 v6, 2, v6
	s_waitcnt lgkmcnt(0)
	v_add_f32_e32 v7, v7, v9
	ds_bpermute_b32 v9, v5, v7
	s_waitcnt lgkmcnt(0)
	v_add_f32_e32 v7, v7, v9
	ds_bpermute_b32 v9, v6, v7
	v_cmpx_eq_u32_e32 0, v8
	s_cbranch_execz .LBB33_19
; %bb.18:
	v_lshrrev_b32_e32 v8, 3, v0
	s_waitcnt lgkmcnt(0)
	v_add_f32_e32 v7, v7, v9
	v_and_b32_e32 v8, 0x7c, v8
	ds_write_b32 v8, v7
.LBB33_19:
	s_or_b32 exec_lo, exec_lo, s2
	v_mov_b32_e32 v7, 0
	s_waitcnt lgkmcnt(0)
	s_barrier
	buffer_gl0_inv
	s_and_saveexec_b32 s0, vcc_lo
; %bb.20:
	ds_read_b32 v7, v1
; %bb.21:
	s_or_b32 exec_lo, exec_lo, s0
	s_and_saveexec_b32 s0, vcc_lo
	s_cbranch_execz .LBB33_23
; %bb.22:
	s_waitcnt lgkmcnt(0)
	ds_bpermute_b32 v1, v2, v7
	s_waitcnt lgkmcnt(0)
	v_add_f32_e32 v1, v7, v1
	ds_bpermute_b32 v2, v3, v1
	s_waitcnt lgkmcnt(0)
	v_add_f32_e32 v1, v1, v2
	;; [unrolled: 3-line block ×5, first 2 shown]
.LBB33_23:
	s_or_b32 exec_lo, exec_lo, s0
	s_mov_b32 s0, exec_lo
                                        ; implicit-def: $vgpr1
                                        ; implicit-def: $sgpr2_sgpr3
	v_cmpx_eq_u32_e32 0, v0
	s_cbranch_execz .LBB33_27
; %bb.24:
	v_cmp_eq_f32_e64 s4, s13, 0
	s_mul_i32 s2, s20, s16
	s_mul_hi_u32 s3, s20, s6
	s_waitcnt lgkmcnt(0)
	v_mul_f32_e32 v1, s15, v7
	s_add_i32 s2, s3, s2
	s_mul_i32 s3, s21, s6
	s_and_b32 vcc_lo, exec_lo, s4
	s_add_i32 s3, s2, s3
	s_mul_i32 s2, s20, s6
	s_cbranch_vccnz .LBB33_26
; %bb.25:
	s_lshl_b64 s[4:5], s[2:3], 2
	s_add_u32 s4, s1, s4
	s_addc_u32 s5, s12, s5
	s_load_dword s4, s[4:5], 0x0
	s_waitcnt lgkmcnt(0)
	v_fmac_f32_e64 v1, s13, s4
.LBB33_26:
	s_or_b32 s14, s14, exec_lo
.LBB33_27:
	s_or_b32 exec_lo, exec_lo, s0
.LBB33_28:
	s_and_saveexec_b32 s0, s14
	s_cbranch_execz .LBB33_30
; %bb.29:
	s_lshl_b64 s[2:3], s[2:3], 2
	v_mov_b32_e32 v0, 0
	s_add_u32 s0, s1, s2
	s_addc_u32 s1, s12, s3
	global_store_dword v0, v1, s[0:1]
.LBB33_30:
	s_endpgm
	.section	.rodata,"a",@progbits
	.p2align	6, 0x0
	.amdhsa_kernel _ZL32rocblas_gemvt_warp_reduce_kernelILb0ELi1024ElfPKffEviiT3_lPKT2_lT1_lS5_lS6_lS2_lPT4_lS6_li
		.amdhsa_group_segment_fixed_size 128
		.amdhsa_private_segment_fixed_size 0
		.amdhsa_kernarg_size 140
		.amdhsa_user_sgpr_count 6
		.amdhsa_user_sgpr_private_segment_buffer 1
		.amdhsa_user_sgpr_dispatch_ptr 0
		.amdhsa_user_sgpr_queue_ptr 0
		.amdhsa_user_sgpr_kernarg_segment_ptr 1
		.amdhsa_user_sgpr_dispatch_id 0
		.amdhsa_user_sgpr_flat_scratch_init 0
		.amdhsa_user_sgpr_private_segment_size 0
		.amdhsa_wavefront_size32 1
		.amdhsa_uses_dynamic_stack 0
		.amdhsa_system_sgpr_private_segment_wavefront_offset 0
		.amdhsa_system_sgpr_workgroup_id_x 1
		.amdhsa_system_sgpr_workgroup_id_y 0
		.amdhsa_system_sgpr_workgroup_id_z 1
		.amdhsa_system_sgpr_workgroup_info 0
		.amdhsa_system_vgpr_workitem_id 0
		.amdhsa_next_free_vgpr 11
		.amdhsa_next_free_sgpr 52
		.amdhsa_reserve_vcc 1
		.amdhsa_reserve_flat_scratch 0
		.amdhsa_float_round_mode_32 0
		.amdhsa_float_round_mode_16_64 0
		.amdhsa_float_denorm_mode_32 3
		.amdhsa_float_denorm_mode_16_64 3
		.amdhsa_dx10_clamp 1
		.amdhsa_ieee_mode 1
		.amdhsa_fp16_overflow 0
		.amdhsa_workgroup_processor_mode 1
		.amdhsa_memory_ordered 1
		.amdhsa_forward_progress 1
		.amdhsa_shared_vgpr_count 0
		.amdhsa_exception_fp_ieee_invalid_op 0
		.amdhsa_exception_fp_denorm_src 0
		.amdhsa_exception_fp_ieee_div_zero 0
		.amdhsa_exception_fp_ieee_overflow 0
		.amdhsa_exception_fp_ieee_underflow 0
		.amdhsa_exception_fp_ieee_inexact 0
		.amdhsa_exception_int_div_zero 0
	.end_amdhsa_kernel
	.section	.text._ZL32rocblas_gemvt_warp_reduce_kernelILb0ELi1024ElfPKffEviiT3_lPKT2_lT1_lS5_lS6_lS2_lPT4_lS6_li,"axG",@progbits,_ZL32rocblas_gemvt_warp_reduce_kernelILb0ELi1024ElfPKffEviiT3_lPKT2_lT1_lS5_lS6_lS2_lPT4_lS6_li,comdat
.Lfunc_end33:
	.size	_ZL32rocblas_gemvt_warp_reduce_kernelILb0ELi1024ElfPKffEviiT3_lPKT2_lT1_lS5_lS6_lS2_lPT4_lS6_li, .Lfunc_end33-_ZL32rocblas_gemvt_warp_reduce_kernelILb0ELi1024ElfPKffEviiT3_lPKT2_lT1_lS5_lS6_lS2_lPT4_lS6_li
                                        ; -- End function
	.set _ZL32rocblas_gemvt_warp_reduce_kernelILb0ELi1024ElfPKffEviiT3_lPKT2_lT1_lS5_lS6_lS2_lPT4_lS6_li.num_vgpr, 11
	.set _ZL32rocblas_gemvt_warp_reduce_kernelILb0ELi1024ElfPKffEviiT3_lPKT2_lT1_lS5_lS6_lS2_lPT4_lS6_li.num_agpr, 0
	.set _ZL32rocblas_gemvt_warp_reduce_kernelILb0ELi1024ElfPKffEviiT3_lPKT2_lT1_lS5_lS6_lS2_lPT4_lS6_li.numbered_sgpr, 52
	.set _ZL32rocblas_gemvt_warp_reduce_kernelILb0ELi1024ElfPKffEviiT3_lPKT2_lT1_lS5_lS6_lS2_lPT4_lS6_li.num_named_barrier, 0
	.set _ZL32rocblas_gemvt_warp_reduce_kernelILb0ELi1024ElfPKffEviiT3_lPKT2_lT1_lS5_lS6_lS2_lPT4_lS6_li.private_seg_size, 0
	.set _ZL32rocblas_gemvt_warp_reduce_kernelILb0ELi1024ElfPKffEviiT3_lPKT2_lT1_lS5_lS6_lS2_lPT4_lS6_li.uses_vcc, 1
	.set _ZL32rocblas_gemvt_warp_reduce_kernelILb0ELi1024ElfPKffEviiT3_lPKT2_lT1_lS5_lS6_lS2_lPT4_lS6_li.uses_flat_scratch, 0
	.set _ZL32rocblas_gemvt_warp_reduce_kernelILb0ELi1024ElfPKffEviiT3_lPKT2_lT1_lS5_lS6_lS2_lPT4_lS6_li.has_dyn_sized_stack, 0
	.set _ZL32rocblas_gemvt_warp_reduce_kernelILb0ELi1024ElfPKffEviiT3_lPKT2_lT1_lS5_lS6_lS2_lPT4_lS6_li.has_recursion, 0
	.set _ZL32rocblas_gemvt_warp_reduce_kernelILb0ELi1024ElfPKffEviiT3_lPKT2_lT1_lS5_lS6_lS2_lPT4_lS6_li.has_indirect_call, 0
	.section	.AMDGPU.csdata,"",@progbits
; Kernel info:
; codeLenInByte = 1432
; TotalNumSgprs: 54
; NumVgprs: 11
; ScratchSize: 0
; MemoryBound: 0
; FloatMode: 240
; IeeeMode: 1
; LDSByteSize: 128 bytes/workgroup (compile time only)
; SGPRBlocks: 0
; VGPRBlocks: 1
; NumSGPRsForWavesPerEU: 54
; NumVGPRsForWavesPerEU: 11
; Occupancy: 16
; WaveLimiterHint : 0
; COMPUTE_PGM_RSRC2:SCRATCH_EN: 0
; COMPUTE_PGM_RSRC2:USER_SGPR: 6
; COMPUTE_PGM_RSRC2:TRAP_HANDLER: 0
; COMPUTE_PGM_RSRC2:TGID_X_EN: 1
; COMPUTE_PGM_RSRC2:TGID_Y_EN: 0
; COMPUTE_PGM_RSRC2:TGID_Z_EN: 1
; COMPUTE_PGM_RSRC2:TIDIG_COMP_CNT: 0
	.section	.text._ZL32rocblas_gemvt_warp_reduce_kernelILb0ELi1024EifffEviiT3_lPKT2_lT1_lS3_lS4_lS0_lPT4_lS4_li,"axG",@progbits,_ZL32rocblas_gemvt_warp_reduce_kernelILb0ELi1024EifffEviiT3_lPKT2_lT1_lS3_lS4_lS0_lPT4_lS4_li,comdat
	.globl	_ZL32rocblas_gemvt_warp_reduce_kernelILb0ELi1024EifffEviiT3_lPKT2_lT1_lS3_lS4_lS0_lPT4_lS4_li ; -- Begin function _ZL32rocblas_gemvt_warp_reduce_kernelILb0ELi1024EifffEviiT3_lPKT2_lT1_lS3_lS4_lS0_lPT4_lS4_li
	.p2align	8
	.type	_ZL32rocblas_gemvt_warp_reduce_kernelILb0ELi1024EifffEviiT3_lPKT2_lT1_lS3_lS4_lS0_lPT4_lS4_li,@function
_ZL32rocblas_gemvt_warp_reduce_kernelILb0ELi1024EifffEviiT3_lPKT2_lT1_lS3_lS4_lS0_lPT4_lS4_li: ; @_ZL32rocblas_gemvt_warp_reduce_kernelILb0ELi1024EifffEviiT3_lPKT2_lT1_lS3_lS4_lS0_lPT4_lS4_li
; %bb.0:
	s_clause 0x1
	s_load_dword s12, s[4:5], 0x8
	s_load_dword s10, s[4:5], 0x58
	s_mov_b32 s11, 0
	s_waitcnt lgkmcnt(0)
	v_cmp_eq_f32_e64 s0, s12, 0
	v_cmp_eq_f32_e64 s1, s10, 1.0
	s_and_b32 s0, s0, s1
	s_and_b32 vcc_lo, exec_lo, s0
	s_cbranch_vccnz .LBB34_30
; %bb.1:
	s_clause 0x2
	s_load_dwordx2 s[8:9], s[4:5], 0x80
	s_load_dwordx4 s[0:3], s[4:5], 0x68
	s_load_dword s13, s[4:5], 0x78
	s_waitcnt lgkmcnt(0)
	s_mul_i32 s9, s9, s7
	s_mul_hi_u32 s14, s8, s7
	s_mul_i32 s8, s8, s7
	s_add_i32 s9, s14, s9
	v_cmp_neq_f32_e64 s14, s12, 0
	s_lshl_b64 s[8:9], s[8:9], 2
	s_add_u32 s8, s0, s8
	s_addc_u32 s9, s1, s9
	s_lshl_b64 s[0:1], s[2:3], 2
	s_add_u32 s8, s8, s0
	v_cmp_eq_u32_e64 s0, 0, v0
	s_addc_u32 s9, s9, s1
	s_and_b32 vcc_lo, exec_lo, s14
	s_cbranch_vccnz .LBB34_5
; %bb.2:
	s_mov_b32 s1, 0
                                        ; implicit-def: $vgpr1
                                        ; implicit-def: $sgpr2_sgpr3
	s_and_saveexec_b32 s14, s0
	s_cbranch_execz .LBB34_6
; %bb.3:
	v_cmp_eq_f32_e64 s0, s10, 0
	s_mul_i32 s2, s13, s6
	s_ashr_i32 s3, s2, 31
	s_and_b32 vcc_lo, exec_lo, s0
	s_cbranch_vccnz .LBB34_7
; %bb.4:
	s_lshl_b64 s[16:17], s[2:3], 2
	s_add_u32 s16, s8, s16
	s_addc_u32 s17, s9, s17
	s_load_dword s0, s[16:17], 0x0
	s_waitcnt lgkmcnt(0)
	v_mul_f32_e64 v1, s10, s0
	s_branch .LBB34_8
.LBB34_5:
                                        ; implicit-def: $vgpr1
                                        ; implicit-def: $sgpr2_sgpr3
	s_cbranch_execnz .LBB34_9
	s_branch .LBB34_28
.LBB34_6:
	s_or_b32 exec_lo, exec_lo, s14
	s_and_b32 vcc_lo, exec_lo, s1
	s_cbranch_vccnz .LBB34_9
	s_branch .LBB34_28
.LBB34_7:
	v_mov_b32_e32 v1, 0
.LBB34_8:
	s_mov_b32 s11, exec_lo
	s_or_b32 exec_lo, exec_lo, s14
	s_and_b32 vcc_lo, exec_lo, s1
	s_cbranch_vccz .LBB34_28
.LBB34_9:
	s_clause 0x6
	s_load_dwordx2 s[20:21], s[4:5], 0x50
	s_load_dwordx4 s[16:19], s[4:5], 0x30
	s_load_dwordx2 s[22:23], s[4:5], 0x40
	s_load_dword s14, s[4:5], 0x0
	s_load_dwordx4 s[0:3], s[4:5], 0x18
	s_load_dword s15, s[4:5], 0x28
	s_load_dword s4, s[4:5], 0x48
	v_mov_b32_e32 v7, 0
	s_waitcnt lgkmcnt(0)
	s_mul_i32 s5, s21, s7
	s_mul_hi_u32 s21, s20, s7
	s_mul_i32 s20, s20, s7
	s_add_i32 s21, s21, s5
	v_cmp_gt_i32_e32 vcc_lo, s14, v0
	s_lshl_b64 s[20:21], s[20:21], 2
	s_mul_i32 s17, s17, s7
	s_add_u32 s5, s18, s20
	s_addc_u32 s20, s19, s21
	s_lshl_b64 s[18:19], s[22:23], 2
	s_mul_hi_u32 s24, s16, s7
	s_add_u32 s5, s5, s18
	v_cndmask_b32_e32 v1, 0, v0, vcc_lo
	s_mul_i32 s16, s16, s7
	s_addc_u32 s7, s20, s19
	s_add_i32 s17, s24, s17
	s_mul_i32 s18, s15, s6
	s_lshl_b64 s[16:17], s[16:17], 2
	v_lshlrev_b32_e32 v1, 2, v1
	s_add_u32 s15, s0, s16
	s_addc_u32 s16, s1, s17
	s_lshl_b64 s[0:1], s[2:3], 2
	s_mov_b32 s3, 0
	s_add_u32 s0, s15, s0
	s_addc_u32 s1, s16, s1
	v_add_co_u32 v1, s0, s0, v1
	s_ashr_i32 s19, s18, 31
	v_add_co_ci_u32_e64 v2, null, s1, 0, s0
	s_lshl_b64 s[0:1], s[18:19], 2
	s_ashr_i32 s2, s14, 31
	v_add_co_u32 v1, vcc_lo, v1, s0
	s_lshr_b32 s2, s2, 22
	v_add_co_ci_u32_e64 v2, null, s1, v2, vcc_lo
	s_add_i32 s2, s14, s2
	s_mov_b32 s1, exec_lo
	s_and_b32 s2, s2, 0xfffffc00
	v_cmpx_gt_i32_e64 s2, v0
	s_cbranch_execz .LBB34_13
; %bb.10:
	v_mul_lo_u32 v3, v0, s4
	v_mov_b32_e32 v6, v2
	v_mov_b32_e32 v7, 0
	;; [unrolled: 1-line block ×4, first 2 shown]
	s_lshl_b32 s15, s4, 10
	.p2align	6
.LBB34_11:                              ; =>This Inner Loop Header: Depth=1
	v_ashrrev_i32_e32 v4, 31, v3
	v_add_nc_u32_e32 v8, 0x400, v8
	v_lshlrev_b64 v[9:10], 2, v[3:4]
	v_cmp_le_i32_e64 s0, s2, v8
	v_add_nc_u32_e32 v3, s15, v3
	s_or_b32 s3, s0, s3
	v_add_co_u32 v9, vcc_lo, s5, v9
	v_add_co_ci_u32_e64 v10, null, s7, v10, vcc_lo
	global_load_dword v4, v[5:6], off
	global_load_dword v9, v[9:10], off
	v_add_co_u32 v5, vcc_lo, 0x1000, v5
	v_add_co_ci_u32_e64 v6, null, 0, v6, vcc_lo
	s_waitcnt vmcnt(0)
	v_fmac_f32_e32 v7, v4, v9
	s_andn2_b32 exec_lo, exec_lo, s3
	s_cbranch_execnz .LBB34_11
; %bb.12:
	s_or_b32 exec_lo, exec_lo, s3
.LBB34_13:
	s_or_b32 exec_lo, exec_lo, s1
	v_or_b32_e32 v3, s2, v0
	s_mov_b32 s0, exec_lo
	v_cmpx_gt_i32_e64 s14, v3
	s_cbranch_execz .LBB34_15
; %bb.14:
	v_mul_lo_u32 v3, s4, v3
	s_ashr_i32 s3, s2, 31
	s_lshl_b64 s[2:3], s[2:3], 2
	v_add_co_u32 v1, vcc_lo, v1, s2
	v_add_co_ci_u32_e64 v2, null, s3, v2, vcc_lo
	v_ashrrev_i32_e32 v4, 31, v3
	v_lshlrev_b64 v[3:4], 2, v[3:4]
	v_add_co_u32 v3, vcc_lo, s5, v3
	v_add_co_ci_u32_e64 v4, null, s7, v4, vcc_lo
	global_load_dword v1, v[1:2], off
	global_load_dword v2, v[3:4], off
	s_waitcnt vmcnt(0)
	v_fmac_f32_e32 v7, v1, v2
.LBB34_15:
	s_or_b32 exec_lo, exec_lo, s0
	v_and_b32_e32 v8, 31, v0
	v_cmp_gt_u32_e32 vcc_lo, 32, v0
	v_lshlrev_b32_e32 v1, 2, v8
	s_and_saveexec_b32 s0, vcc_lo
; %bb.16:
	v_mov_b32_e32 v2, 0
	ds_write_b32 v1, v2
; %bb.17:
	s_or_b32 exec_lo, exec_lo, s0
	v_mbcnt_lo_u32_b32 v6, -1, 0
	s_mov_b32 s1, exec_lo
	s_waitcnt lgkmcnt(0)
	s_barrier
	buffer_gl0_inv
	v_lshl_or_b32 v2, v6, 2, 64
	v_cmp_gt_u32_e64 s0, 24, v6
	ds_bpermute_b32 v4, v2, v7
	v_cndmask_b32_e64 v3, 0, 8, s0
	v_cmp_gt_u32_e64 s0, 28, v6
	v_add_lshl_u32 v3, v3, v6, 2
	s_waitcnt lgkmcnt(0)
	v_add_f32_e32 v5, v7, v4
	v_cndmask_b32_e64 v4, 0, 4, s0
	v_cmp_gt_u32_e64 s0, 30, v6
	ds_bpermute_b32 v7, v3, v5
	v_add_lshl_u32 v4, v4, v6, 2
	s_waitcnt lgkmcnt(0)
	v_add_f32_e32 v7, v5, v7
	v_cndmask_b32_e64 v5, 0, 2, s0
	v_cmp_ne_u32_e64 s0, 31, v6
	ds_bpermute_b32 v9, v4, v7
	v_add_lshl_u32 v5, v5, v6, 2
	v_add_co_ci_u32_e64 v6, null, 0, v6, s0
	v_lshlrev_b32_e32 v6, 2, v6
	s_waitcnt lgkmcnt(0)
	v_add_f32_e32 v7, v7, v9
	ds_bpermute_b32 v9, v5, v7
	s_waitcnt lgkmcnt(0)
	v_add_f32_e32 v7, v7, v9
	ds_bpermute_b32 v9, v6, v7
	v_cmpx_eq_u32_e32 0, v8
	s_cbranch_execz .LBB34_19
; %bb.18:
	v_lshrrev_b32_e32 v8, 3, v0
	s_waitcnt lgkmcnt(0)
	v_add_f32_e32 v7, v7, v9
	v_and_b32_e32 v8, 0x7c, v8
	ds_write_b32 v8, v7
.LBB34_19:
	s_or_b32 exec_lo, exec_lo, s1
	v_mov_b32_e32 v7, 0
	s_waitcnt lgkmcnt(0)
	s_barrier
	buffer_gl0_inv
	s_and_saveexec_b32 s0, vcc_lo
; %bb.20:
	ds_read_b32 v7, v1
; %bb.21:
	s_or_b32 exec_lo, exec_lo, s0
	s_and_saveexec_b32 s0, vcc_lo
	s_cbranch_execz .LBB34_23
; %bb.22:
	s_waitcnt lgkmcnt(0)
	ds_bpermute_b32 v1, v2, v7
	s_waitcnt lgkmcnt(0)
	v_add_f32_e32 v1, v7, v1
	ds_bpermute_b32 v2, v3, v1
	s_waitcnt lgkmcnt(0)
	v_add_f32_e32 v1, v1, v2
	;; [unrolled: 3-line block ×5, first 2 shown]
.LBB34_23:
	s_or_b32 exec_lo, exec_lo, s0
	s_mov_b32 s0, exec_lo
                                        ; implicit-def: $vgpr1
                                        ; implicit-def: $sgpr2_sgpr3
	v_cmpx_eq_u32_e32 0, v0
	s_cbranch_execz .LBB34_27
; %bb.24:
	v_cmp_eq_f32_e64 s1, s10, 0
	s_waitcnt lgkmcnt(0)
	v_mul_f32_e32 v1, s12, v7
	s_mul_i32 s2, s13, s6
	s_ashr_i32 s3, s2, 31
	s_and_b32 vcc_lo, exec_lo, s1
	s_cbranch_vccnz .LBB34_26
; %bb.25:
	s_lshl_b64 s[4:5], s[2:3], 2
	s_add_u32 s4, s8, s4
	s_addc_u32 s5, s9, s5
	s_load_dword s1, s[4:5], 0x0
	s_waitcnt lgkmcnt(0)
	v_fmac_f32_e64 v1, s10, s1
.LBB34_26:
	s_or_b32 s11, s11, exec_lo
.LBB34_27:
	s_or_b32 exec_lo, exec_lo, s0
.LBB34_28:
	s_and_saveexec_b32 s0, s11
	s_cbranch_execz .LBB34_30
; %bb.29:
	s_lshl_b64 s[0:1], s[2:3], 2
	v_mov_b32_e32 v0, 0
	s_add_u32 s0, s8, s0
	s_addc_u32 s1, s9, s1
	global_store_dword v0, v1, s[0:1]
.LBB34_30:
	s_endpgm
	.section	.rodata,"a",@progbits
	.p2align	6, 0x0
	.amdhsa_kernel _ZL32rocblas_gemvt_warp_reduce_kernelILb0ELi1024EifffEviiT3_lPKT2_lT1_lS3_lS4_lS0_lPT4_lS4_li
		.amdhsa_group_segment_fixed_size 128
		.amdhsa_private_segment_fixed_size 0
		.amdhsa_kernarg_size 140
		.amdhsa_user_sgpr_count 6
		.amdhsa_user_sgpr_private_segment_buffer 1
		.amdhsa_user_sgpr_dispatch_ptr 0
		.amdhsa_user_sgpr_queue_ptr 0
		.amdhsa_user_sgpr_kernarg_segment_ptr 1
		.amdhsa_user_sgpr_dispatch_id 0
		.amdhsa_user_sgpr_flat_scratch_init 0
		.amdhsa_user_sgpr_private_segment_size 0
		.amdhsa_wavefront_size32 1
		.amdhsa_uses_dynamic_stack 0
		.amdhsa_system_sgpr_private_segment_wavefront_offset 0
		.amdhsa_system_sgpr_workgroup_id_x 1
		.amdhsa_system_sgpr_workgroup_id_y 0
		.amdhsa_system_sgpr_workgroup_id_z 1
		.amdhsa_system_sgpr_workgroup_info 0
		.amdhsa_system_vgpr_workitem_id 0
		.amdhsa_next_free_vgpr 11
		.amdhsa_next_free_sgpr 25
		.amdhsa_reserve_vcc 1
		.amdhsa_reserve_flat_scratch 0
		.amdhsa_float_round_mode_32 0
		.amdhsa_float_round_mode_16_64 0
		.amdhsa_float_denorm_mode_32 3
		.amdhsa_float_denorm_mode_16_64 3
		.amdhsa_dx10_clamp 1
		.amdhsa_ieee_mode 1
		.amdhsa_fp16_overflow 0
		.amdhsa_workgroup_processor_mode 1
		.amdhsa_memory_ordered 1
		.amdhsa_forward_progress 1
		.amdhsa_shared_vgpr_count 0
		.amdhsa_exception_fp_ieee_invalid_op 0
		.amdhsa_exception_fp_denorm_src 0
		.amdhsa_exception_fp_ieee_div_zero 0
		.amdhsa_exception_fp_ieee_overflow 0
		.amdhsa_exception_fp_ieee_underflow 0
		.amdhsa_exception_fp_ieee_inexact 0
		.amdhsa_exception_int_div_zero 0
	.end_amdhsa_kernel
	.section	.text._ZL32rocblas_gemvt_warp_reduce_kernelILb0ELi1024EifffEviiT3_lPKT2_lT1_lS3_lS4_lS0_lPT4_lS4_li,"axG",@progbits,_ZL32rocblas_gemvt_warp_reduce_kernelILb0ELi1024EifffEviiT3_lPKT2_lT1_lS3_lS4_lS0_lPT4_lS4_li,comdat
.Lfunc_end34:
	.size	_ZL32rocblas_gemvt_warp_reduce_kernelILb0ELi1024EifffEviiT3_lPKT2_lT1_lS3_lS4_lS0_lPT4_lS4_li, .Lfunc_end34-_ZL32rocblas_gemvt_warp_reduce_kernelILb0ELi1024EifffEviiT3_lPKT2_lT1_lS3_lS4_lS0_lPT4_lS4_li
                                        ; -- End function
	.set _ZL32rocblas_gemvt_warp_reduce_kernelILb0ELi1024EifffEviiT3_lPKT2_lT1_lS3_lS4_lS0_lPT4_lS4_li.num_vgpr, 11
	.set _ZL32rocblas_gemvt_warp_reduce_kernelILb0ELi1024EifffEviiT3_lPKT2_lT1_lS3_lS4_lS0_lPT4_lS4_li.num_agpr, 0
	.set _ZL32rocblas_gemvt_warp_reduce_kernelILb0ELi1024EifffEviiT3_lPKT2_lT1_lS3_lS4_lS0_lPT4_lS4_li.numbered_sgpr, 25
	.set _ZL32rocblas_gemvt_warp_reduce_kernelILb0ELi1024EifffEviiT3_lPKT2_lT1_lS3_lS4_lS0_lPT4_lS4_li.num_named_barrier, 0
	.set _ZL32rocblas_gemvt_warp_reduce_kernelILb0ELi1024EifffEviiT3_lPKT2_lT1_lS3_lS4_lS0_lPT4_lS4_li.private_seg_size, 0
	.set _ZL32rocblas_gemvt_warp_reduce_kernelILb0ELi1024EifffEviiT3_lPKT2_lT1_lS3_lS4_lS0_lPT4_lS4_li.uses_vcc, 1
	.set _ZL32rocblas_gemvt_warp_reduce_kernelILb0ELi1024EifffEviiT3_lPKT2_lT1_lS3_lS4_lS0_lPT4_lS4_li.uses_flat_scratch, 0
	.set _ZL32rocblas_gemvt_warp_reduce_kernelILb0ELi1024EifffEviiT3_lPKT2_lT1_lS3_lS4_lS0_lPT4_lS4_li.has_dyn_sized_stack, 0
	.set _ZL32rocblas_gemvt_warp_reduce_kernelILb0ELi1024EifffEviiT3_lPKT2_lT1_lS3_lS4_lS0_lPT4_lS4_li.has_recursion, 0
	.set _ZL32rocblas_gemvt_warp_reduce_kernelILb0ELi1024EifffEviiT3_lPKT2_lT1_lS3_lS4_lS0_lPT4_lS4_li.has_indirect_call, 0
	.section	.AMDGPU.csdata,"",@progbits
; Kernel info:
; codeLenInByte = 1320
; TotalNumSgprs: 27
; NumVgprs: 11
; ScratchSize: 0
; MemoryBound: 0
; FloatMode: 240
; IeeeMode: 1
; LDSByteSize: 128 bytes/workgroup (compile time only)
; SGPRBlocks: 0
; VGPRBlocks: 1
; NumSGPRsForWavesPerEU: 27
; NumVGPRsForWavesPerEU: 11
; Occupancy: 16
; WaveLimiterHint : 1
; COMPUTE_PGM_RSRC2:SCRATCH_EN: 0
; COMPUTE_PGM_RSRC2:USER_SGPR: 6
; COMPUTE_PGM_RSRC2:TRAP_HANDLER: 0
; COMPUTE_PGM_RSRC2:TGID_X_EN: 1
; COMPUTE_PGM_RSRC2:TGID_Y_EN: 0
; COMPUTE_PGM_RSRC2:TGID_Z_EN: 1
; COMPUTE_PGM_RSRC2:TIDIG_COMP_CNT: 0
	.section	.text._ZL32rocblas_gemvt_warp_reduce_kernelILb0ELi1024ElfffEviiT3_lPKT2_lT1_lS3_lS4_lS0_lPT4_lS4_li,"axG",@progbits,_ZL32rocblas_gemvt_warp_reduce_kernelILb0ELi1024ElfffEviiT3_lPKT2_lT1_lS3_lS4_lS0_lPT4_lS4_li,comdat
	.globl	_ZL32rocblas_gemvt_warp_reduce_kernelILb0ELi1024ElfffEviiT3_lPKT2_lT1_lS3_lS4_lS0_lPT4_lS4_li ; -- Begin function _ZL32rocblas_gemvt_warp_reduce_kernelILb0ELi1024ElfffEviiT3_lPKT2_lT1_lS3_lS4_lS0_lPT4_lS4_li
	.p2align	8
	.type	_ZL32rocblas_gemvt_warp_reduce_kernelILb0ELi1024ElfffEviiT3_lPKT2_lT1_lS3_lS4_lS0_lPT4_lS4_li,@function
_ZL32rocblas_gemvt_warp_reduce_kernelILb0ELi1024ElfffEviiT3_lPKT2_lT1_lS3_lS4_lS0_lPT4_lS4_li: ; @_ZL32rocblas_gemvt_warp_reduce_kernelILb0ELi1024ElfffEviiT3_lPKT2_lT1_lS3_lS4_lS0_lPT4_lS4_li
; %bb.0:
	s_clause 0x1
	s_load_dword s30, s[4:5], 0x8
	s_load_dword s28, s[4:5], 0x58
	s_mov_b32 s29, 0
	s_waitcnt lgkmcnt(0)
	v_cmp_eq_f32_e64 s0, s30, 0
	v_cmp_eq_f32_e64 s1, s28, 1.0
	s_and_b32 s0, s0, s1
	s_and_b32 vcc_lo, exec_lo, s0
	s_cbranch_vccnz .LBB35_30
; %bb.1:
	s_load_dwordx8 s[20:27], s[4:5], 0x68
	v_cmp_neq_f32_e64 s8, s30, 0
	s_waitcnt lgkmcnt(0)
	s_mul_i32 s1, s27, s7
	s_mul_hi_u32 s2, s26, s7
	s_mul_i32 s0, s26, s7
	s_add_i32 s1, s2, s1
	s_lshl_b64 s[0:1], s[0:1], 2
	s_add_u32 s0, s20, s0
	s_addc_u32 s9, s21, s1
	s_lshl_b64 s[2:3], s[22:23], 2
	s_add_u32 s1, s0, s2
	v_cmp_eq_u32_e64 s0, 0, v0
	s_addc_u32 s26, s9, s3
	s_and_b32 vcc_lo, exec_lo, s8
	s_cbranch_vccnz .LBB35_5
; %bb.2:
	s_mov_b32 s8, 0
                                        ; implicit-def: $vgpr1
                                        ; implicit-def: $sgpr2_sgpr3
	s_and_saveexec_b32 s9, s0
	s_cbranch_execz .LBB35_6
; %bb.3:
	s_ashr_i32 s2, s6, 31
	v_cmp_eq_f32_e64 s0, s28, 0
	s_mul_hi_u32 s3, s24, s6
	s_mul_i32 s2, s24, s2
	s_mul_i32 s10, s25, s6
	s_add_i32 s2, s3, s2
	s_and_b32 vcc_lo, exec_lo, s0
	s_add_i32 s3, s2, s10
	s_mul_i32 s2, s24, s6
	s_cbranch_vccnz .LBB35_7
; %bb.4:
	s_lshl_b64 s[10:11], s[2:3], 2
	s_add_u32 s10, s1, s10
	s_addc_u32 s11, s26, s11
	s_load_dword s0, s[10:11], 0x0
	s_waitcnt lgkmcnt(0)
	v_mul_f32_e64 v1, s28, s0
	s_branch .LBB35_8
.LBB35_5:
                                        ; implicit-def: $vgpr1
                                        ; implicit-def: $sgpr2_sgpr3
	s_cbranch_execnz .LBB35_9
	s_branch .LBB35_28
.LBB35_6:
	s_or_b32 exec_lo, exec_lo, s9
	s_and_b32 vcc_lo, exec_lo, s8
	s_cbranch_vccnz .LBB35_9
	s_branch .LBB35_28
.LBB35_7:
	v_mov_b32_e32 v1, 0
.LBB35_8:
	s_mov_b32 s29, exec_lo
	s_or_b32 exec_lo, exec_lo, s9
	s_and_b32 vcc_lo, exec_lo, s8
	s_cbranch_vccz .LBB35_28
.LBB35_9:
	s_clause 0x1
	s_load_dwordx16 s[8:23], s[4:5], 0x18
	s_load_dword s5, s[4:5], 0x0
	v_mov_b32_e32 v7, 0
	s_waitcnt lgkmcnt(0)
	s_mul_i32 s3, s15, s7
	v_cmp_gt_i32_e32 vcc_lo, s5, v0
	s_mul_hi_u32 s15, s14, s7
	s_mul_i32 s2, s14, s7
	s_add_i32 s3, s15, s3
	s_mul_i32 s0, s23, s7
	v_cndmask_b32_e32 v1, 0, v0, vcc_lo
	s_mul_hi_u32 s4, s22, s7
	s_lshl_b64 s[34:35], s[2:3], 2
	s_add_i32 s3, s4, s0
	s_add_u32 s0, s8, s34
	v_lshlrev_b32_e32 v1, 2, v1
	s_addc_u32 s2, s9, s35
	s_lshl_b64 s[8:9], s[10:11], 2
	s_mul_hi_u32 s23, s12, s6
	s_add_u32 s0, s0, s8
	s_addc_u32 s2, s2, s9
	s_ashr_i32 s10, s6, 31
	v_add_co_u32 v1, s0, s0, v1
	v_add_co_ci_u32_e64 v2, null, s2, 0, s0
	s_mul_i32 s0, s12, s10
	s_mul_i32 s13, s13, s6
	s_add_i32 s0, s23, s0
	s_mul_i32 s14, s12, s6
	s_add_i32 s15, s0, s13
	s_ashr_i32 s4, s5, 31
	s_lshl_b64 s[8:9], s[14:15], 2
	s_lshr_b32 s2, s4, 22
	v_add_co_u32 v1, vcc_lo, v1, s8
	v_add_co_ci_u32_e64 v2, null, s9, v2, vcc_lo
	s_add_i32 s2, s5, s2
	s_mov_b32 s11, 0
	s_and_b32 s4, s2, 0xfffffc00
	s_mul_i32 s2, s22, s7
	s_mov_b32 s7, exec_lo
	v_cmpx_gt_i32_e64 s4, v0
	s_cbranch_execz .LBB35_13
; %bb.10:
	v_mad_u64_u32 v[5:6], null, s20, v0, 0
	s_lshl_b64 s[12:13], s[18:19], 2
	s_lshl_b64 s[8:9], s[2:3], 2
	s_add_u32 s0, s16, s12
	s_addc_u32 s12, s17, s13
	s_add_u32 s0, s0, s8
	s_addc_u32 s8, s12, s9
	v_mov_b32_e32 v3, v6
	v_mov_b32_e32 v7, 0
	;; [unrolled: 1-line block ×3, first 2 shown]
	v_mad_u64_u32 v[3:4], null, s21, v0, v[3:4]
	v_mov_b32_e32 v6, v3
	v_mov_b32_e32 v4, v2
	v_mov_b32_e32 v3, v1
	v_lshlrev_b64 v[5:6], 2, v[5:6]
	v_add_co_u32 v5, vcc_lo, s0, v5
	v_add_co_ci_u32_e64 v6, null, s8, v6, vcc_lo
	s_lshl_b64 s[8:9], s[20:21], 12
	.p2align	6
.LBB35_11:                              ; =>This Inner Loop Header: Depth=1
	global_load_dword v9, v[3:4], off
	global_load_dword v10, v[5:6], off
	v_add_nc_u32_e32 v8, 0x400, v8
	v_add_co_u32 v3, vcc_lo, 0x1000, v3
	v_add_co_ci_u32_e64 v4, null, 0, v4, vcc_lo
	v_add_co_u32 v5, vcc_lo, v5, s8
	v_cmp_le_i32_e64 s0, s4, v8
	v_add_co_ci_u32_e64 v6, null, s9, v6, vcc_lo
	s_or_b32 s11, s0, s11
	s_waitcnt vmcnt(0)
	v_fmac_f32_e32 v7, v9, v10
	s_andn2_b32 exec_lo, exec_lo, s11
	s_cbranch_execnz .LBB35_11
; %bb.12:
	s_or_b32 exec_lo, exec_lo, s11
.LBB35_13:
	s_or_b32 exec_lo, exec_lo, s7
	v_or_b32_e32 v3, s4, v0
	s_mov_b32 s0, exec_lo
	v_cmpx_gt_i32_e64 s5, v3
	s_cbranch_execz .LBB35_15
; %bb.14:
	v_ashrrev_i32_e32 v5, 31, v3
	v_mul_lo_u32 v6, s21, v3
	v_mad_u64_u32 v[3:4], null, s20, v3, 0
	s_lshl_b64 s[2:3], s[2:3], 2
	v_mul_lo_u32 v5, s20, v5
	s_add_u32 s5, s16, s2
	s_addc_u32 s7, s17, s3
	s_lshl_b64 s[2:3], s[18:19], 2
	s_add_u32 s8, s5, s2
	s_addc_u32 s7, s7, s3
	s_ashr_i32 s5, s4, 31
	v_add3_u32 v4, v4, v5, v6
	s_lshl_b64 s[2:3], s[4:5], 2
	v_add_co_u32 v1, vcc_lo, v1, s2
	v_lshlrev_b64 v[3:4], 2, v[3:4]
	v_add_co_ci_u32_e64 v2, null, s3, v2, vcc_lo
	v_add_co_u32 v3, vcc_lo, s8, v3
	v_add_co_ci_u32_e64 v4, null, s7, v4, vcc_lo
	global_load_dword v1, v[1:2], off
	global_load_dword v2, v[3:4], off
	s_waitcnt vmcnt(0)
	v_fmac_f32_e32 v7, v1, v2
.LBB35_15:
	s_or_b32 exec_lo, exec_lo, s0
	v_and_b32_e32 v8, 31, v0
	v_cmp_gt_u32_e32 vcc_lo, 32, v0
	v_lshlrev_b32_e32 v1, 2, v8
	s_and_saveexec_b32 s0, vcc_lo
; %bb.16:
	v_mov_b32_e32 v2, 0
	ds_write_b32 v1, v2
; %bb.17:
	s_or_b32 exec_lo, exec_lo, s0
	v_mbcnt_lo_u32_b32 v6, -1, 0
	s_mov_b32 s2, exec_lo
	s_waitcnt lgkmcnt(0)
	s_barrier
	buffer_gl0_inv
	v_lshl_or_b32 v2, v6, 2, 64
	v_cmp_gt_u32_e64 s0, 24, v6
	ds_bpermute_b32 v4, v2, v7
	v_cndmask_b32_e64 v3, 0, 8, s0
	v_cmp_gt_u32_e64 s0, 28, v6
	v_add_lshl_u32 v3, v3, v6, 2
	s_waitcnt lgkmcnt(0)
	v_add_f32_e32 v5, v7, v4
	v_cndmask_b32_e64 v4, 0, 4, s0
	v_cmp_gt_u32_e64 s0, 30, v6
	ds_bpermute_b32 v7, v3, v5
	v_add_lshl_u32 v4, v4, v6, 2
	s_waitcnt lgkmcnt(0)
	v_add_f32_e32 v7, v5, v7
	v_cndmask_b32_e64 v5, 0, 2, s0
	v_cmp_ne_u32_e64 s0, 31, v6
	ds_bpermute_b32 v9, v4, v7
	v_add_lshl_u32 v5, v5, v6, 2
	v_add_co_ci_u32_e64 v6, null, 0, v6, s0
	v_lshlrev_b32_e32 v6, 2, v6
	s_waitcnt lgkmcnt(0)
	v_add_f32_e32 v7, v7, v9
	ds_bpermute_b32 v9, v5, v7
	s_waitcnt lgkmcnt(0)
	v_add_f32_e32 v7, v7, v9
	ds_bpermute_b32 v9, v6, v7
	v_cmpx_eq_u32_e32 0, v8
	s_cbranch_execz .LBB35_19
; %bb.18:
	v_lshrrev_b32_e32 v8, 3, v0
	s_waitcnt lgkmcnt(0)
	v_add_f32_e32 v7, v7, v9
	v_and_b32_e32 v8, 0x7c, v8
	ds_write_b32 v8, v7
.LBB35_19:
	s_or_b32 exec_lo, exec_lo, s2
	v_mov_b32_e32 v7, 0
	s_waitcnt lgkmcnt(0)
	s_barrier
	buffer_gl0_inv
	s_and_saveexec_b32 s0, vcc_lo
; %bb.20:
	ds_read_b32 v7, v1
; %bb.21:
	s_or_b32 exec_lo, exec_lo, s0
	s_and_saveexec_b32 s0, vcc_lo
	s_cbranch_execz .LBB35_23
; %bb.22:
	s_waitcnt lgkmcnt(0)
	ds_bpermute_b32 v1, v2, v7
	s_waitcnt lgkmcnt(0)
	v_add_f32_e32 v1, v7, v1
	ds_bpermute_b32 v2, v3, v1
	s_waitcnt lgkmcnt(0)
	v_add_f32_e32 v1, v1, v2
	;; [unrolled: 3-line block ×5, first 2 shown]
.LBB35_23:
	s_or_b32 exec_lo, exec_lo, s0
	s_mov_b32 s0, exec_lo
                                        ; implicit-def: $vgpr1
                                        ; implicit-def: $sgpr2_sgpr3
	v_cmpx_eq_u32_e32 0, v0
	s_cbranch_execz .LBB35_27
; %bb.24:
	v_cmp_eq_f32_e64 s4, s28, 0
	s_mul_i32 s2, s24, s10
	s_mul_hi_u32 s3, s24, s6
	s_waitcnt lgkmcnt(0)
	v_mul_f32_e32 v1, s30, v7
	s_add_i32 s2, s3, s2
	s_mul_i32 s3, s25, s6
	s_and_b32 vcc_lo, exec_lo, s4
	s_add_i32 s3, s2, s3
	s_mul_i32 s2, s24, s6
	s_cbranch_vccnz .LBB35_26
; %bb.25:
	s_lshl_b64 s[4:5], s[2:3], 2
	s_add_u32 s4, s1, s4
	s_addc_u32 s5, s26, s5
	s_load_dword s4, s[4:5], 0x0
	s_waitcnt lgkmcnt(0)
	v_fmac_f32_e64 v1, s28, s4
.LBB35_26:
	s_or_b32 s29, s29, exec_lo
.LBB35_27:
	s_or_b32 exec_lo, exec_lo, s0
.LBB35_28:
	s_and_saveexec_b32 s0, s29
	s_cbranch_execz .LBB35_30
; %bb.29:
	s_lshl_b64 s[2:3], s[2:3], 2
	v_mov_b32_e32 v0, 0
	s_add_u32 s0, s1, s2
	s_addc_u32 s1, s26, s3
	global_store_dword v0, v1, s[0:1]
.LBB35_30:
	s_endpgm
	.section	.rodata,"a",@progbits
	.p2align	6, 0x0
	.amdhsa_kernel _ZL32rocblas_gemvt_warp_reduce_kernelILb0ELi1024ElfffEviiT3_lPKT2_lT1_lS3_lS4_lS0_lPT4_lS4_li
		.amdhsa_group_segment_fixed_size 128
		.amdhsa_private_segment_fixed_size 0
		.amdhsa_kernarg_size 140
		.amdhsa_user_sgpr_count 6
		.amdhsa_user_sgpr_private_segment_buffer 1
		.amdhsa_user_sgpr_dispatch_ptr 0
		.amdhsa_user_sgpr_queue_ptr 0
		.amdhsa_user_sgpr_kernarg_segment_ptr 1
		.amdhsa_user_sgpr_dispatch_id 0
		.amdhsa_user_sgpr_flat_scratch_init 0
		.amdhsa_user_sgpr_private_segment_size 0
		.amdhsa_wavefront_size32 1
		.amdhsa_uses_dynamic_stack 0
		.amdhsa_system_sgpr_private_segment_wavefront_offset 0
		.amdhsa_system_sgpr_workgroup_id_x 1
		.amdhsa_system_sgpr_workgroup_id_y 0
		.amdhsa_system_sgpr_workgroup_id_z 1
		.amdhsa_system_sgpr_workgroup_info 0
		.amdhsa_system_vgpr_workitem_id 0
		.amdhsa_next_free_vgpr 11
		.amdhsa_next_free_sgpr 36
		.amdhsa_reserve_vcc 1
		.amdhsa_reserve_flat_scratch 0
		.amdhsa_float_round_mode_32 0
		.amdhsa_float_round_mode_16_64 0
		.amdhsa_float_denorm_mode_32 3
		.amdhsa_float_denorm_mode_16_64 3
		.amdhsa_dx10_clamp 1
		.amdhsa_ieee_mode 1
		.amdhsa_fp16_overflow 0
		.amdhsa_workgroup_processor_mode 1
		.amdhsa_memory_ordered 1
		.amdhsa_forward_progress 1
		.amdhsa_shared_vgpr_count 0
		.amdhsa_exception_fp_ieee_invalid_op 0
		.amdhsa_exception_fp_denorm_src 0
		.amdhsa_exception_fp_ieee_div_zero 0
		.amdhsa_exception_fp_ieee_overflow 0
		.amdhsa_exception_fp_ieee_underflow 0
		.amdhsa_exception_fp_ieee_inexact 0
		.amdhsa_exception_int_div_zero 0
	.end_amdhsa_kernel
	.section	.text._ZL32rocblas_gemvt_warp_reduce_kernelILb0ELi1024ElfffEviiT3_lPKT2_lT1_lS3_lS4_lS0_lPT4_lS4_li,"axG",@progbits,_ZL32rocblas_gemvt_warp_reduce_kernelILb0ELi1024ElfffEviiT3_lPKT2_lT1_lS3_lS4_lS0_lPT4_lS4_li,comdat
.Lfunc_end35:
	.size	_ZL32rocblas_gemvt_warp_reduce_kernelILb0ELi1024ElfffEviiT3_lPKT2_lT1_lS3_lS4_lS0_lPT4_lS4_li, .Lfunc_end35-_ZL32rocblas_gemvt_warp_reduce_kernelILb0ELi1024ElfffEviiT3_lPKT2_lT1_lS3_lS4_lS0_lPT4_lS4_li
                                        ; -- End function
	.set _ZL32rocblas_gemvt_warp_reduce_kernelILb0ELi1024ElfffEviiT3_lPKT2_lT1_lS3_lS4_lS0_lPT4_lS4_li.num_vgpr, 11
	.set _ZL32rocblas_gemvt_warp_reduce_kernelILb0ELi1024ElfffEviiT3_lPKT2_lT1_lS3_lS4_lS0_lPT4_lS4_li.num_agpr, 0
	.set _ZL32rocblas_gemvt_warp_reduce_kernelILb0ELi1024ElfffEviiT3_lPKT2_lT1_lS3_lS4_lS0_lPT4_lS4_li.numbered_sgpr, 36
	.set _ZL32rocblas_gemvt_warp_reduce_kernelILb0ELi1024ElfffEviiT3_lPKT2_lT1_lS3_lS4_lS0_lPT4_lS4_li.num_named_barrier, 0
	.set _ZL32rocblas_gemvt_warp_reduce_kernelILb0ELi1024ElfffEviiT3_lPKT2_lT1_lS3_lS4_lS0_lPT4_lS4_li.private_seg_size, 0
	.set _ZL32rocblas_gemvt_warp_reduce_kernelILb0ELi1024ElfffEviiT3_lPKT2_lT1_lS3_lS4_lS0_lPT4_lS4_li.uses_vcc, 1
	.set _ZL32rocblas_gemvt_warp_reduce_kernelILb0ELi1024ElfffEviiT3_lPKT2_lT1_lS3_lS4_lS0_lPT4_lS4_li.uses_flat_scratch, 0
	.set _ZL32rocblas_gemvt_warp_reduce_kernelILb0ELi1024ElfffEviiT3_lPKT2_lT1_lS3_lS4_lS0_lPT4_lS4_li.has_dyn_sized_stack, 0
	.set _ZL32rocblas_gemvt_warp_reduce_kernelILb0ELi1024ElfffEviiT3_lPKT2_lT1_lS3_lS4_lS0_lPT4_lS4_li.has_recursion, 0
	.set _ZL32rocblas_gemvt_warp_reduce_kernelILb0ELi1024ElfffEviiT3_lPKT2_lT1_lS3_lS4_lS0_lPT4_lS4_li.has_indirect_call, 0
	.section	.AMDGPU.csdata,"",@progbits
; Kernel info:
; codeLenInByte = 1368
; TotalNumSgprs: 38
; NumVgprs: 11
; ScratchSize: 0
; MemoryBound: 0
; FloatMode: 240
; IeeeMode: 1
; LDSByteSize: 128 bytes/workgroup (compile time only)
; SGPRBlocks: 0
; VGPRBlocks: 1
; NumSGPRsForWavesPerEU: 38
; NumVGPRsForWavesPerEU: 11
; Occupancy: 16
; WaveLimiterHint : 1
; COMPUTE_PGM_RSRC2:SCRATCH_EN: 0
; COMPUTE_PGM_RSRC2:USER_SGPR: 6
; COMPUTE_PGM_RSRC2:TRAP_HANDLER: 0
; COMPUTE_PGM_RSRC2:TGID_X_EN: 1
; COMPUTE_PGM_RSRC2:TGID_Y_EN: 0
; COMPUTE_PGM_RSRC2:TGID_Z_EN: 1
; COMPUTE_PGM_RSRC2:TIDIG_COMP_CNT: 0
	.section	.text._ZL22rocblas_gemvtsm_kernelILb1ELi256EfPKffEviiT2_lPKT1_lilS5_lilS2_lPT3_lil,"axG",@progbits,_ZL22rocblas_gemvtsm_kernelILb1ELi256EfPKffEviiT2_lPKT1_lilS5_lilS2_lPT3_lil,comdat
	.globl	_ZL22rocblas_gemvtsm_kernelILb1ELi256EfPKffEviiT2_lPKT1_lilS5_lilS2_lPT3_lil ; -- Begin function _ZL22rocblas_gemvtsm_kernelILb1ELi256EfPKffEviiT2_lPKT1_lilS5_lilS2_lPT3_lil
	.p2align	8
	.type	_ZL22rocblas_gemvtsm_kernelILb1ELi256EfPKffEviiT2_lPKT1_lilS5_lilS2_lPT3_lil,@function
_ZL22rocblas_gemvtsm_kernelILb1ELi256EfPKffEviiT2_lPKT1_lilS5_lilS2_lPT3_lil: ; @_ZL22rocblas_gemvtsm_kernelILb1ELi256EfPKffEviiT2_lPKT1_lilS5_lilS2_lPT3_lil
; %bb.0:
	s_clause 0x1
	s_load_dwordx8 s[8:15], s[4:5], 0x8
	s_load_dwordx8 s[16:23], s[4:5], 0x50
	s_waitcnt lgkmcnt(0)
	s_mul_i32 s1, s11, s6
	s_mul_hi_u32 s2, s10, s6
	s_mul_i32 s0, s10, s6
	s_add_i32 s1, s2, s1
	s_mul_i32 s2, s21, s6
	s_lshl_b64 s[0:1], s[0:1], 2
	s_mul_hi_u32 s3, s20, s6
	s_add_u32 s0, s8, s0
	s_addc_u32 s1, s9, s1
	s_add_i32 s3, s3, s2
	s_mul_i32 s2, s20, s6
	s_lshl_b64 s[2:3], s[2:3], 2
	s_add_u32 s2, s18, s2
	s_addc_u32 s3, s19, s3
	s_load_dword s26, s[0:1], 0x0
	s_load_dword s7, s[2:3], 0x0
	s_waitcnt lgkmcnt(0)
	v_cmp_eq_f32_e64 s0, s26, 0
	v_cmp_eq_f32_e64 s1, s7, 1.0
	s_and_b32 s0, s0, s1
	s_and_b32 vcc_lo, exec_lo, s0
	s_cbranch_vccnz .LBB36_34
; %bb.1:
	s_clause 0x3
	s_load_dwordx2 s[0:1], s[4:5], 0x80
	s_load_dwordx2 s[18:19], s[4:5], 0x70
	s_load_dword s8, s[4:5], 0x78
	s_load_dwordx2 s[10:11], s[4:5], 0x0
	v_cmp_neq_f32_e64 s2, s26, 0
	s_and_b32 vcc_lo, exec_lo, s2
	s_waitcnt lgkmcnt(0)
	s_mul_i32 s1, s1, s6
	s_mul_hi_u32 s2, s0, s6
	s_mul_i32 s20, s0, s6
	s_add_i32 s21, s2, s1
	s_cbranch_vccnz .LBB36_9
; %bb.2:
	s_cmp_gt_i32 s11, 0
	v_cmp_neq_f32_e64 s0, s7, 0
	s_cselect_b32 s2, -1, 0
	v_cndmask_b32_e64 v1, 0, 1, s2
	s_and_b32 vcc_lo, exec_lo, s0
	v_cmp_ne_u32_e64 s0, 1, v1
	s_cbranch_vccnz .LBB36_10
; %bb.3:
	s_and_b32 vcc_lo, exec_lo, s0
	s_cbranch_vccnz .LBB36_8
; %bb.4:
	v_mad_i64_i32 v[1:2], null, s8, v0, 0
	s_lshl_b64 s[24:25], s[18:19], 2
	s_ashr_i32 s9, s8, 31
	s_lshl_b64 s[0:1], s[20:21], 2
	s_add_u32 s3, s22, s24
	s_addc_u32 s24, s23, s25
	s_add_u32 s0, s3, s0
	v_lshlrev_b64 v[1:2], 2, v[1:2]
	s_addc_u32 s1, s24, s1
	v_mov_b32_e32 v3, 0
	s_mov_b32 s3, 0
	v_add_co_u32 v1, vcc_lo, s0, v1
	v_add_co_ci_u32_e64 v2, null, s1, v2, vcc_lo
	s_lshl_b64 s[0:1], s[8:9], 10
	s_branch .LBB36_6
.LBB36_5:                               ;   in Loop: Header=BB36_6 Depth=1
	s_or_b32 exec_lo, exec_lo, s9
	v_add_co_u32 v1, vcc_lo, v1, s0
	v_add_co_ci_u32_e64 v2, null, s1, v2, vcc_lo
	s_addk_i32 s3, 0x100
	s_cmp_ge_i32 s3, s11
	s_cbranch_scc1 .LBB36_8
.LBB36_6:                               ; =>This Inner Loop Header: Depth=1
	v_add_nc_u32_e32 v4, s3, v0
	s_mov_b32 s9, exec_lo
	v_cmpx_gt_i32_e64 s11, v4
	s_cbranch_execz .LBB36_5
; %bb.7:                                ;   in Loop: Header=BB36_6 Depth=1
	global_store_dword v[1:2], v3, off
	s_branch .LBB36_5
.LBB36_8:
	s_cbranch_execz .LBB36_11
	s_branch .LBB36_16
.LBB36_9:
	s_branch .LBB36_17
.LBB36_10:
.LBB36_11:
	s_andn2_b32 vcc_lo, exec_lo, s2
	s_cbranch_vccnz .LBB36_16
; %bb.12:
	v_mad_i64_i32 v[1:2], null, s8, v0, 0
	s_lshl_b64 s[2:3], s[18:19], 2
	s_ashr_i32 s9, s8, 31
	s_lshl_b64 s[0:1], s[20:21], 2
	s_add_u32 s2, s22, s2
	s_addc_u32 s3, s23, s3
	s_add_u32 s0, s2, s0
	v_lshlrev_b64 v[1:2], 2, v[1:2]
	s_addc_u32 s1, s3, s1
	s_mov_b32 s2, 0
	v_add_co_u32 v1, vcc_lo, s0, v1
	v_add_co_ci_u32_e64 v2, null, s1, v2, vcc_lo
	s_lshl_b64 s[0:1], s[8:9], 10
	s_branch .LBB36_14
	.p2align	6
.LBB36_13:                              ;   in Loop: Header=BB36_14 Depth=1
	s_or_b32 exec_lo, exec_lo, s3
	v_add_co_u32 v1, vcc_lo, v1, s0
	v_add_co_ci_u32_e64 v2, null, s1, v2, vcc_lo
	s_addk_i32 s2, 0x100
	s_cmp_ge_i32 s2, s11
	s_cbranch_scc1 .LBB36_16
.LBB36_14:                              ; =>This Inner Loop Header: Depth=1
	v_add_nc_u32_e32 v3, s2, v0
	s_mov_b32 s3, exec_lo
	v_cmpx_gt_i32_e64 s11, v3
	s_cbranch_execz .LBB36_13
; %bb.15:                               ;   in Loop: Header=BB36_14 Depth=1
	global_load_dword v3, v[1:2], off
	s_waitcnt vmcnt(0)
	v_mul_f32_e32 v3, s7, v3
	global_store_dword v[1:2], v3, off
	s_branch .LBB36_13
.LBB36_16:
	s_cbranch_execnz .LBB36_34
.LBB36_17:
	s_clause 0x1
	s_load_dwordx4 s[0:3], s[4:5], 0x30
	s_load_dwordx2 s[24:25], s[4:5], 0x40
	s_mov_b32 s9, exec_lo
	v_cmpx_gt_i32_e64 s10, v0
	s_cbranch_execz .LBB36_19
; %bb.18:
	s_load_dword s27, s[4:5], 0x48
	s_mul_i32 s17, s17, s6
	s_mul_hi_u32 s28, s16, s6
	s_mul_i32 s16, s16, s6
	s_add_i32 s17, s28, s17
	s_lshl_b64 s[16:17], s[16:17], 2
	s_waitcnt lgkmcnt(0)
	s_add_u32 s16, s2, s16
	s_addc_u32 s17, s3, s17
	s_lshl_b64 s[2:3], s[24:25], 2
	s_add_u32 s2, s16, s2
	s_addc_u32 s3, s17, s3
	v_mad_i64_i32 v[1:2], null, s27, v0, 0
	v_lshlrev_b64 v[1:2], 2, v[1:2]
	v_add_co_u32 v1, vcc_lo, s2, v1
	v_add_co_ci_u32_e64 v2, null, s3, v2, vcc_lo
	global_load_dword v1, v[1:2], off
	v_lshlrev_b32_e32 v2, 2, v0
	s_waitcnt vmcnt(0)
	v_mul_f32_e32 v1, s26, v1
	ds_write_b32 v2, v1
.LBB36_19:
	s_or_b32 exec_lo, exec_lo, s9
	s_cmp_lt_i32 s11, 1
	s_waitcnt lgkmcnt(0)
	s_waitcnt_vscnt null, 0x0
	s_barrier
	buffer_gl0_inv
	s_cbranch_scc1 .LBB36_34
; %bb.20:
	s_load_dword s2, s[4:5], 0x28
	s_lshl_b64 s[4:5], s[20:21], 2
	s_mul_i32 s1, s1, s6
	s_add_u32 s3, s22, s4
	s_mul_hi_u32 s20, s0, s6
	s_mul_i32 s0, s0, s6
	s_addc_u32 s6, s23, s5
	s_lshl_b64 s[16:17], s[18:19], 2
	v_cmp_neq_f32_e64 s4, s7, 0
	s_add_u32 s5, s3, s16
	s_addc_u32 s6, s6, s17
	s_ashr_i32 s9, s8, 31
	s_waitcnt lgkmcnt(0)
	s_ashr_i32 s3, s2, 31
	s_cmp_gt_i32 s10, 0
	v_mad_i64_i32 v[1:2], null, s2, v0, 0
	s_cselect_b32 s16, -1, 0
	s_and_b32 s17, s10, 7
	s_cmp_gt_u32 s10, 7
	s_cselect_b32 s18, -1, 0
	s_and_b32 s10, s10, 0x7ffffff8
	s_cmp_lg_u32 s17, 0
	v_lshlrev_b64 v[1:2], 2, v[1:2]
	s_cselect_b32 s19, -1, 0
	s_add_i32 s1, s20, s1
	s_lshl_b64 s[14:15], s[14:15], 2
	s_lshl_b64 s[0:1], s[0:1], 2
	s_add_u32 s12, s12, s14
	s_addc_u32 s13, s13, s15
	s_add_u32 s0, s12, s0
	s_addc_u32 s1, s13, s1
	v_add_co_u32 v7, vcc_lo, s0, v1
	v_add_co_ci_u32_e64 v8, null, s1, v2, vcc_lo
	s_mov_b32 s1, 0
	v_add_co_u32 v1, vcc_lo, v7, 28
	v_add_co_ci_u32_e64 v2, null, 0, v8, vcc_lo
	s_lshl_b64 s[2:3], s[2:3], 10
	s_mov_b32 s12, 0
	s_branch .LBB36_23
.LBB36_21:                              ;   in Loop: Header=BB36_23 Depth=1
	v_add_co_u32 v3, vcc_lo, s5, v3
	v_add_co_ci_u32_e64 v4, null, s6, v4, vcc_lo
	global_store_dword v[3:4], v9, off
.LBB36_22:                              ;   in Loop: Header=BB36_23 Depth=1
	s_or_b32 exec_lo, exec_lo, s13
	v_add_co_u32 v1, vcc_lo, v1, s2
	v_add_co_ci_u32_e64 v2, null, s3, v2, vcc_lo
	v_add_co_u32 v7, vcc_lo, v7, s2
	v_add_co_ci_u32_e64 v8, null, s3, v8, vcc_lo
	s_addk_i32 s12, 0x100
	s_cmp_ge_i32 s12, s11
	s_cbranch_scc1 .LBB36_34
.LBB36_23:                              ; =>This Loop Header: Depth=1
                                        ;     Child Loop BB36_29 Depth 2
                                        ;     Child Loop BB36_33 Depth 2
	v_add_nc_u32_e32 v3, s12, v0
	s_mov_b32 s13, exec_lo
	v_cmpx_gt_i32_e64 s11, v3
	s_cbranch_execz .LBB36_22
; %bb.24:                               ;   in Loop: Header=BB36_23 Depth=1
	v_mad_u64_u32 v[4:5], null, v3, s8, 0
	s_andn2_b32 vcc_lo, exec_lo, s4
	v_mad_u64_u32 v[5:6], null, v3, s9, v[5:6]
	v_lshlrev_b64 v[3:4], 2, v[4:5]
	s_cbranch_vccnz .LBB36_26
; %bb.25:                               ;   in Loop: Header=BB36_23 Depth=1
	v_add_co_u32 v5, vcc_lo, s5, v3
	v_add_co_ci_u32_e64 v6, null, s6, v4, vcc_lo
	global_load_dword v5, v[5:6], off
	s_waitcnt vmcnt(0)
	v_mul_f32_e32 v9, s7, v5
	s_andn2_b32 vcc_lo, exec_lo, s16
	s_cbranch_vccz .LBB36_27
	s_branch .LBB36_21
.LBB36_26:                              ;   in Loop: Header=BB36_23 Depth=1
	v_mov_b32_e32 v9, 0
	s_andn2_b32 vcc_lo, exec_lo, s16
	s_cbranch_vccnz .LBB36_21
.LBB36_27:                              ;   in Loop: Header=BB36_23 Depth=1
	s_andn2_b32 vcc_lo, exec_lo, s18
	s_mov_b32 s0, 0
	s_cbranch_vccnz .LBB36_31
; %bb.28:                               ;   in Loop: Header=BB36_23 Depth=1
	v_mov_b32_e32 v6, v2
	v_mov_b32_e32 v5, v1
	s_mov_b32 s14, 0
	.p2align	6
.LBB36_29:                              ;   Parent Loop BB36_23 Depth=1
                                        ; =>  This Inner Loop Header: Depth=2
	s_clause 0x1
	global_load_dwordx4 v[10:13], v[5:6], off offset:-28
	global_load_dwordx4 v[14:17], v[5:6], off offset:-12
	v_mov_b32_e32 v22, s0
	v_add_co_u32 v5, vcc_lo, v5, 32
	v_add_co_ci_u32_e64 v6, null, 0, v6, vcc_lo
	ds_read_b128 v[18:21], v22
	ds_read_b128 v[22:25], v22 offset:16
	s_add_i32 s14, s14, 8
	s_add_i32 s0, s0, 32
	s_cmp_eq_u32 s10, s14
	s_waitcnt vmcnt(1) lgkmcnt(1)
	v_fmac_f32_e32 v9, v18, v10
	v_fmac_f32_e32 v9, v19, v11
	;; [unrolled: 1-line block ×4, first 2 shown]
	s_waitcnt vmcnt(0) lgkmcnt(0)
	v_fmac_f32_e32 v9, v22, v14
	v_fmac_f32_e32 v9, v23, v15
	v_fmac_f32_e32 v9, v24, v16
	v_fmac_f32_e32 v9, v25, v17
	s_cbranch_scc0 .LBB36_29
; %bb.30:                               ;   in Loop: Header=BB36_23 Depth=1
	s_mov_b32 s0, s10
.LBB36_31:                              ;   in Loop: Header=BB36_23 Depth=1
	s_andn2_b32 vcc_lo, exec_lo, s19
	s_cbranch_vccnz .LBB36_21
; %bb.32:                               ;   in Loop: Header=BB36_23 Depth=1
	s_lshl_b64 s[14:15], s[0:1], 2
	s_lshl_b32 s0, s0, 2
	v_add_co_u32 v5, vcc_lo, v7, s14
	v_add_co_ci_u32_e64 v6, null, s15, v8, vcc_lo
	s_mov_b32 s14, s17
.LBB36_33:                              ;   Parent Loop BB36_23 Depth=1
                                        ; =>  This Inner Loop Header: Depth=2
	global_load_dword v10, v[5:6], off
	v_mov_b32_e32 v11, s0
	v_add_co_u32 v5, vcc_lo, v5, 4
	v_add_co_ci_u32_e64 v6, null, 0, v6, vcc_lo
	ds_read_b32 v11, v11
	s_add_i32 s14, s14, -1
	s_add_i32 s0, s0, 4
	s_cmp_lg_u32 s14, 0
	s_waitcnt vmcnt(0) lgkmcnt(0)
	v_fmac_f32_e32 v9, v11, v10
	s_cbranch_scc1 .LBB36_33
	s_branch .LBB36_21
.LBB36_34:
	s_endpgm
	.section	.rodata,"a",@progbits
	.p2align	6, 0x0
	.amdhsa_kernel _ZL22rocblas_gemvtsm_kernelILb1ELi256EfPKffEviiT2_lPKT1_lilS5_lilS2_lPT3_lil
		.amdhsa_group_segment_fixed_size 256
		.amdhsa_private_segment_fixed_size 0
		.amdhsa_kernarg_size 136
		.amdhsa_user_sgpr_count 6
		.amdhsa_user_sgpr_private_segment_buffer 1
		.amdhsa_user_sgpr_dispatch_ptr 0
		.amdhsa_user_sgpr_queue_ptr 0
		.amdhsa_user_sgpr_kernarg_segment_ptr 1
		.amdhsa_user_sgpr_dispatch_id 0
		.amdhsa_user_sgpr_flat_scratch_init 0
		.amdhsa_user_sgpr_private_segment_size 0
		.amdhsa_wavefront_size32 1
		.amdhsa_uses_dynamic_stack 0
		.amdhsa_system_sgpr_private_segment_wavefront_offset 0
		.amdhsa_system_sgpr_workgroup_id_x 1
		.amdhsa_system_sgpr_workgroup_id_y 0
		.amdhsa_system_sgpr_workgroup_id_z 0
		.amdhsa_system_sgpr_workgroup_info 0
		.amdhsa_system_vgpr_workitem_id 0
		.amdhsa_next_free_vgpr 26
		.amdhsa_next_free_sgpr 29
		.amdhsa_reserve_vcc 1
		.amdhsa_reserve_flat_scratch 0
		.amdhsa_float_round_mode_32 0
		.amdhsa_float_round_mode_16_64 0
		.amdhsa_float_denorm_mode_32 3
		.amdhsa_float_denorm_mode_16_64 3
		.amdhsa_dx10_clamp 1
		.amdhsa_ieee_mode 1
		.amdhsa_fp16_overflow 0
		.amdhsa_workgroup_processor_mode 1
		.amdhsa_memory_ordered 1
		.amdhsa_forward_progress 1
		.amdhsa_shared_vgpr_count 0
		.amdhsa_exception_fp_ieee_invalid_op 0
		.amdhsa_exception_fp_denorm_src 0
		.amdhsa_exception_fp_ieee_div_zero 0
		.amdhsa_exception_fp_ieee_overflow 0
		.amdhsa_exception_fp_ieee_underflow 0
		.amdhsa_exception_fp_ieee_inexact 0
		.amdhsa_exception_int_div_zero 0
	.end_amdhsa_kernel
	.section	.text._ZL22rocblas_gemvtsm_kernelILb1ELi256EfPKffEviiT2_lPKT1_lilS5_lilS2_lPT3_lil,"axG",@progbits,_ZL22rocblas_gemvtsm_kernelILb1ELi256EfPKffEviiT2_lPKT1_lilS5_lilS2_lPT3_lil,comdat
.Lfunc_end36:
	.size	_ZL22rocblas_gemvtsm_kernelILb1ELi256EfPKffEviiT2_lPKT1_lilS5_lilS2_lPT3_lil, .Lfunc_end36-_ZL22rocblas_gemvtsm_kernelILb1ELi256EfPKffEviiT2_lPKT1_lilS5_lilS2_lPT3_lil
                                        ; -- End function
	.set _ZL22rocblas_gemvtsm_kernelILb1ELi256EfPKffEviiT2_lPKT1_lilS5_lilS2_lPT3_lil.num_vgpr, 26
	.set _ZL22rocblas_gemvtsm_kernelILb1ELi256EfPKffEviiT2_lPKT1_lilS5_lilS2_lPT3_lil.num_agpr, 0
	.set _ZL22rocblas_gemvtsm_kernelILb1ELi256EfPKffEviiT2_lPKT1_lilS5_lilS2_lPT3_lil.numbered_sgpr, 29
	.set _ZL22rocblas_gemvtsm_kernelILb1ELi256EfPKffEviiT2_lPKT1_lilS5_lilS2_lPT3_lil.num_named_barrier, 0
	.set _ZL22rocblas_gemvtsm_kernelILb1ELi256EfPKffEviiT2_lPKT1_lilS5_lilS2_lPT3_lil.private_seg_size, 0
	.set _ZL22rocblas_gemvtsm_kernelILb1ELi256EfPKffEviiT2_lPKT1_lilS5_lilS2_lPT3_lil.uses_vcc, 1
	.set _ZL22rocblas_gemvtsm_kernelILb1ELi256EfPKffEviiT2_lPKT1_lilS5_lilS2_lPT3_lil.uses_flat_scratch, 0
	.set _ZL22rocblas_gemvtsm_kernelILb1ELi256EfPKffEviiT2_lPKT1_lilS5_lilS2_lPT3_lil.has_dyn_sized_stack, 0
	.set _ZL22rocblas_gemvtsm_kernelILb1ELi256EfPKffEviiT2_lPKT1_lilS5_lilS2_lPT3_lil.has_recursion, 0
	.set _ZL22rocblas_gemvtsm_kernelILb1ELi256EfPKffEviiT2_lPKT1_lilS5_lilS2_lPT3_lil.has_indirect_call, 0
	.section	.AMDGPU.csdata,"",@progbits
; Kernel info:
; codeLenInByte = 1436
; TotalNumSgprs: 31
; NumVgprs: 26
; ScratchSize: 0
; MemoryBound: 0
; FloatMode: 240
; IeeeMode: 1
; LDSByteSize: 256 bytes/workgroup (compile time only)
; SGPRBlocks: 0
; VGPRBlocks: 3
; NumSGPRsForWavesPerEU: 31
; NumVGPRsForWavesPerEU: 26
; Occupancy: 16
; WaveLimiterHint : 1
; COMPUTE_PGM_RSRC2:SCRATCH_EN: 0
; COMPUTE_PGM_RSRC2:USER_SGPR: 6
; COMPUTE_PGM_RSRC2:TRAP_HANDLER: 0
; COMPUTE_PGM_RSRC2:TGID_X_EN: 1
; COMPUTE_PGM_RSRC2:TGID_Y_EN: 0
; COMPUTE_PGM_RSRC2:TGID_Z_EN: 0
; COMPUTE_PGM_RSRC2:TIDIG_COMP_CNT: 0
	.section	.text._ZL22rocblas_gemvtsm_kernelILb1ELi256EfffEviiT2_lPKT1_lilS3_lilS0_lPT3_lil,"axG",@progbits,_ZL22rocblas_gemvtsm_kernelILb1ELi256EfffEviiT2_lPKT1_lilS3_lilS0_lPT3_lil,comdat
	.globl	_ZL22rocblas_gemvtsm_kernelILb1ELi256EfffEviiT2_lPKT1_lilS3_lilS0_lPT3_lil ; -- Begin function _ZL22rocblas_gemvtsm_kernelILb1ELi256EfffEviiT2_lPKT1_lilS3_lilS0_lPT3_lil
	.p2align	8
	.type	_ZL22rocblas_gemvtsm_kernelILb1ELi256EfffEviiT2_lPKT1_lilS3_lilS0_lPT3_lil,@function
_ZL22rocblas_gemvtsm_kernelILb1ELi256EfffEviiT2_lPKT1_lilS3_lilS0_lPT3_lil: ; @_ZL22rocblas_gemvtsm_kernelILb1ELi256EfffEviiT2_lPKT1_lilS3_lilS0_lPT3_lil
; %bb.0:
	s_clause 0x1
	s_load_dwordx4 s[8:11], s[4:5], 0x0
	s_load_dword s7, s[4:5], 0x58
	s_waitcnt lgkmcnt(0)
	v_cmp_eq_f32_e64 s0, s10, 0
	v_cmp_eq_f32_e64 s1, s7, 1.0
	s_and_b32 s0, s0, s1
	s_and_b32 vcc_lo, exec_lo, s0
	s_cbranch_vccnz .LBB37_34
; %bb.1:
	s_clause 0x2
	s_load_dwordx2 s[0:1], s[4:5], 0x80
	s_load_dwordx4 s[12:15], s[4:5], 0x68
	s_load_dword s20, s[4:5], 0x78
	v_cmp_neq_f32_e64 s2, s10, 0
	s_and_b32 vcc_lo, exec_lo, s2
	s_waitcnt lgkmcnt(0)
	s_mul_i32 s1, s1, s6
	s_mul_hi_u32 s2, s0, s6
	s_mul_i32 s22, s0, s6
	s_add_i32 s23, s2, s1
	s_cbranch_vccnz .LBB37_9
; %bb.2:
	s_cmp_gt_i32 s9, 0
	v_cmp_neq_f32_e64 s0, s7, 0
	s_cselect_b32 s2, -1, 0
	v_cndmask_b32_e64 v1, 0, 1, s2
	s_and_b32 vcc_lo, exec_lo, s0
	v_cmp_ne_u32_e64 s0, 1, v1
	s_cbranch_vccnz .LBB37_10
; %bb.3:
	s_and_b32 vcc_lo, exec_lo, s0
	s_cbranch_vccnz .LBB37_8
; %bb.4:
	v_mad_i64_i32 v[1:2], null, s20, v0, 0
	s_lshl_b64 s[16:17], s[14:15], 2
	s_ashr_i32 s21, s20, 31
	s_lshl_b64 s[0:1], s[22:23], 2
	s_add_u32 s3, s12, s16
	s_addc_u32 s11, s13, s17
	s_add_u32 s0, s3, s0
	v_lshlrev_b64 v[1:2], 2, v[1:2]
	s_addc_u32 s1, s11, s1
	v_mov_b32_e32 v3, 0
	s_mov_b32 s3, 0
	v_add_co_u32 v1, vcc_lo, s0, v1
	v_add_co_ci_u32_e64 v2, null, s1, v2, vcc_lo
	s_lshl_b64 s[0:1], s[20:21], 10
	s_branch .LBB37_6
.LBB37_5:                               ;   in Loop: Header=BB37_6 Depth=1
	s_or_b32 exec_lo, exec_lo, s11
	v_add_co_u32 v1, vcc_lo, v1, s0
	v_add_co_ci_u32_e64 v2, null, s1, v2, vcc_lo
	s_addk_i32 s3, 0x100
	s_cmp_ge_i32 s3, s9
	s_cbranch_scc1 .LBB37_8
.LBB37_6:                               ; =>This Inner Loop Header: Depth=1
	v_add_nc_u32_e32 v4, s3, v0
	s_mov_b32 s11, exec_lo
	v_cmpx_gt_i32_e64 s9, v4
	s_cbranch_execz .LBB37_5
; %bb.7:                                ;   in Loop: Header=BB37_6 Depth=1
	global_store_dword v[1:2], v3, off
	s_branch .LBB37_5
.LBB37_8:
	s_cbranch_execz .LBB37_11
	s_branch .LBB37_16
.LBB37_9:
	s_branch .LBB37_17
.LBB37_10:
.LBB37_11:
	s_andn2_b32 vcc_lo, exec_lo, s2
	s_cbranch_vccnz .LBB37_16
; %bb.12:
	v_mad_i64_i32 v[1:2], null, s20, v0, 0
	s_lshl_b64 s[2:3], s[14:15], 2
	s_ashr_i32 s21, s20, 31
	s_lshl_b64 s[0:1], s[22:23], 2
	s_add_u32 s2, s12, s2
	s_addc_u32 s3, s13, s3
	s_add_u32 s0, s2, s0
	v_lshlrev_b64 v[1:2], 2, v[1:2]
	s_addc_u32 s1, s3, s1
	s_mov_b32 s2, 0
	v_add_co_u32 v1, vcc_lo, s0, v1
	v_add_co_ci_u32_e64 v2, null, s1, v2, vcc_lo
	s_lshl_b64 s[0:1], s[20:21], 10
	s_branch .LBB37_14
	.p2align	6
.LBB37_13:                              ;   in Loop: Header=BB37_14 Depth=1
	s_or_b32 exec_lo, exec_lo, s3
	v_add_co_u32 v1, vcc_lo, v1, s0
	v_add_co_ci_u32_e64 v2, null, s1, v2, vcc_lo
	s_addk_i32 s2, 0x100
	s_cmp_ge_i32 s2, s9
	s_cbranch_scc1 .LBB37_16
.LBB37_14:                              ; =>This Inner Loop Header: Depth=1
	v_add_nc_u32_e32 v3, s2, v0
	s_mov_b32 s3, exec_lo
	v_cmpx_gt_i32_e64 s9, v3
	s_cbranch_execz .LBB37_13
; %bb.15:                               ;   in Loop: Header=BB37_14 Depth=1
	global_load_dword v3, v[1:2], off
	s_waitcnt vmcnt(0)
	v_mul_f32_e32 v3, s7, v3
	global_store_dword v[1:2], v3, off
	s_branch .LBB37_13
.LBB37_16:
	s_cbranch_execnz .LBB37_34
.LBB37_17:
	s_clause 0x1
	s_load_dwordx4 s[0:3], s[4:5], 0x30
	s_load_dwordx2 s[16:17], s[4:5], 0x40
	s_mov_b32 s11, exec_lo
	v_cmpx_gt_i32_e64 s8, v0
	s_cbranch_execz .LBB37_19
; %bb.18:
	s_clause 0x1
	s_load_dwordx2 s[18:19], s[4:5], 0x50
	s_load_dword s21, s[4:5], 0x48
	s_waitcnt lgkmcnt(0)
	s_mul_i32 s19, s19, s6
	v_mad_i64_i32 v[1:2], null, s21, v0, 0
	s_mul_hi_u32 s24, s18, s6
	s_mul_i32 s18, s18, s6
	s_add_i32 s19, s24, s19
	s_lshl_b64 s[18:19], s[18:19], 2
	s_add_u32 s18, s2, s18
	v_lshlrev_b64 v[1:2], 2, v[1:2]
	s_addc_u32 s19, s3, s19
	s_lshl_b64 s[2:3], s[16:17], 2
	s_add_u32 s2, s18, s2
	s_addc_u32 s3, s19, s3
	v_add_co_u32 v1, vcc_lo, s2, v1
	v_add_co_ci_u32_e64 v2, null, s3, v2, vcc_lo
	global_load_dword v1, v[1:2], off
	v_lshlrev_b32_e32 v2, 2, v0
	s_waitcnt vmcnt(0)
	v_mul_f32_e32 v1, s10, v1
	ds_write_b32 v2, v1
.LBB37_19:
	s_or_b32 exec_lo, exec_lo, s11
	s_cmp_lt_i32 s9, 1
	s_waitcnt lgkmcnt(0)
	s_waitcnt_vscnt null, 0x0
	s_barrier
	buffer_gl0_inv
	s_cbranch_scc1 .LBB37_34
; %bb.20:
	s_clause 0x1
	s_load_dword s2, s[4:5], 0x28
	s_load_dwordx4 s[16:19], s[4:5], 0x18
	s_lshl_b64 s[4:5], s[22:23], 2
	s_mul_i32 s1, s1, s6
	s_add_u32 s3, s12, s4
	s_mul_hi_u32 s21, s0, s6
	s_mul_i32 s0, s0, s6
	s_addc_u32 s6, s13, s5
	s_lshl_b64 s[10:11], s[14:15], 2
	v_cmp_neq_f32_e64 s4, s7, 0
	s_add_u32 s5, s3, s10
	s_addc_u32 s6, s6, s11
	s_ashr_i32 s10, s20, 31
	s_waitcnt lgkmcnt(0)
	s_ashr_i32 s3, s2, 31
	s_cmp_gt_i32 s8, 0
	v_mad_i64_i32 v[1:2], null, s2, v0, 0
	s_cselect_b32 s11, -1, 0
	s_and_b32 s12, s8, 7
	s_cmp_gt_u32 s8, 7
	s_cselect_b32 s13, -1, 0
	s_and_b32 s8, s8, 0x7ffffff8
	s_cmp_lg_u32 s12, 0
	v_lshlrev_b64 v[1:2], 2, v[1:2]
	s_cselect_b32 s14, -1, 0
	s_add_i32 s1, s21, s1
	s_lshl_b64 s[18:19], s[18:19], 2
	s_lshl_b64 s[0:1], s[0:1], 2
	s_add_u32 s15, s16, s18
	s_addc_u32 s16, s17, s19
	s_add_u32 s0, s15, s0
	s_addc_u32 s1, s16, s1
	v_add_co_u32 v7, vcc_lo, s0, v1
	v_add_co_ci_u32_e64 v8, null, s1, v2, vcc_lo
	s_mov_b32 s1, 0
	v_add_co_u32 v1, vcc_lo, v7, 28
	v_add_co_ci_u32_e64 v2, null, 0, v8, vcc_lo
	s_lshl_b64 s[2:3], s[2:3], 10
	s_mov_b32 s15, 0
	s_branch .LBB37_23
.LBB37_21:                              ;   in Loop: Header=BB37_23 Depth=1
	v_add_co_u32 v3, vcc_lo, s5, v3
	v_add_co_ci_u32_e64 v4, null, s6, v4, vcc_lo
	global_store_dword v[3:4], v9, off
.LBB37_22:                              ;   in Loop: Header=BB37_23 Depth=1
	s_or_b32 exec_lo, exec_lo, s16
	v_add_co_u32 v1, vcc_lo, v1, s2
	v_add_co_ci_u32_e64 v2, null, s3, v2, vcc_lo
	v_add_co_u32 v7, vcc_lo, v7, s2
	v_add_co_ci_u32_e64 v8, null, s3, v8, vcc_lo
	s_addk_i32 s15, 0x100
	s_cmp_ge_i32 s15, s9
	s_cbranch_scc1 .LBB37_34
.LBB37_23:                              ; =>This Loop Header: Depth=1
                                        ;     Child Loop BB37_29 Depth 2
                                        ;     Child Loop BB37_33 Depth 2
	v_add_nc_u32_e32 v3, s15, v0
	s_mov_b32 s16, exec_lo
	v_cmpx_gt_i32_e64 s9, v3
	s_cbranch_execz .LBB37_22
; %bb.24:                               ;   in Loop: Header=BB37_23 Depth=1
	v_mad_u64_u32 v[4:5], null, v3, s20, 0
	s_andn2_b32 vcc_lo, exec_lo, s4
	v_mad_u64_u32 v[5:6], null, v3, s10, v[5:6]
	v_lshlrev_b64 v[3:4], 2, v[4:5]
	s_cbranch_vccnz .LBB37_26
; %bb.25:                               ;   in Loop: Header=BB37_23 Depth=1
	v_add_co_u32 v5, vcc_lo, s5, v3
	v_add_co_ci_u32_e64 v6, null, s6, v4, vcc_lo
	global_load_dword v5, v[5:6], off
	s_waitcnt vmcnt(0)
	v_mul_f32_e32 v9, s7, v5
	s_andn2_b32 vcc_lo, exec_lo, s11
	s_cbranch_vccz .LBB37_27
	s_branch .LBB37_21
.LBB37_26:                              ;   in Loop: Header=BB37_23 Depth=1
	v_mov_b32_e32 v9, 0
	s_andn2_b32 vcc_lo, exec_lo, s11
	s_cbranch_vccnz .LBB37_21
.LBB37_27:                              ;   in Loop: Header=BB37_23 Depth=1
	s_andn2_b32 vcc_lo, exec_lo, s13
	s_mov_b32 s0, 0
	s_cbranch_vccnz .LBB37_31
; %bb.28:                               ;   in Loop: Header=BB37_23 Depth=1
	v_mov_b32_e32 v6, v2
	v_mov_b32_e32 v5, v1
	s_mov_b32 s17, 0
	.p2align	6
.LBB37_29:                              ;   Parent Loop BB37_23 Depth=1
                                        ; =>  This Inner Loop Header: Depth=2
	s_clause 0x1
	global_load_dwordx4 v[10:13], v[5:6], off offset:-28
	global_load_dwordx4 v[14:17], v[5:6], off offset:-12
	v_mov_b32_e32 v22, s0
	v_add_co_u32 v5, vcc_lo, v5, 32
	v_add_co_ci_u32_e64 v6, null, 0, v6, vcc_lo
	ds_read_b128 v[18:21], v22
	ds_read_b128 v[22:25], v22 offset:16
	s_add_i32 s17, s17, 8
	s_add_i32 s0, s0, 32
	s_cmp_eq_u32 s8, s17
	s_waitcnt vmcnt(1) lgkmcnt(1)
	v_fmac_f32_e32 v9, v18, v10
	v_fmac_f32_e32 v9, v19, v11
	;; [unrolled: 1-line block ×4, first 2 shown]
	s_waitcnt vmcnt(0) lgkmcnt(0)
	v_fmac_f32_e32 v9, v22, v14
	v_fmac_f32_e32 v9, v23, v15
	;; [unrolled: 1-line block ×4, first 2 shown]
	s_cbranch_scc0 .LBB37_29
; %bb.30:                               ;   in Loop: Header=BB37_23 Depth=1
	s_mov_b32 s0, s8
.LBB37_31:                              ;   in Loop: Header=BB37_23 Depth=1
	s_andn2_b32 vcc_lo, exec_lo, s14
	s_cbranch_vccnz .LBB37_21
; %bb.32:                               ;   in Loop: Header=BB37_23 Depth=1
	s_lshl_b64 s[18:19], s[0:1], 2
	s_lshl_b32 s0, s0, 2
	v_add_co_u32 v5, vcc_lo, v7, s18
	v_add_co_ci_u32_e64 v6, null, s19, v8, vcc_lo
	s_mov_b32 s17, s12
.LBB37_33:                              ;   Parent Loop BB37_23 Depth=1
                                        ; =>  This Inner Loop Header: Depth=2
	global_load_dword v10, v[5:6], off
	v_mov_b32_e32 v11, s0
	v_add_co_u32 v5, vcc_lo, v5, 4
	v_add_co_ci_u32_e64 v6, null, 0, v6, vcc_lo
	ds_read_b32 v11, v11
	s_add_i32 s17, s17, -1
	s_add_i32 s0, s0, 4
	s_cmp_lg_u32 s17, 0
	s_waitcnt vmcnt(0) lgkmcnt(0)
	v_fmac_f32_e32 v9, v11, v10
	s_cbranch_scc1 .LBB37_33
	s_branch .LBB37_21
.LBB37_34:
	s_endpgm
	.section	.rodata,"a",@progbits
	.p2align	6, 0x0
	.amdhsa_kernel _ZL22rocblas_gemvtsm_kernelILb1ELi256EfffEviiT2_lPKT1_lilS3_lilS0_lPT3_lil
		.amdhsa_group_segment_fixed_size 256
		.amdhsa_private_segment_fixed_size 0
		.amdhsa_kernarg_size 136
		.amdhsa_user_sgpr_count 6
		.amdhsa_user_sgpr_private_segment_buffer 1
		.amdhsa_user_sgpr_dispatch_ptr 0
		.amdhsa_user_sgpr_queue_ptr 0
		.amdhsa_user_sgpr_kernarg_segment_ptr 1
		.amdhsa_user_sgpr_dispatch_id 0
		.amdhsa_user_sgpr_flat_scratch_init 0
		.amdhsa_user_sgpr_private_segment_size 0
		.amdhsa_wavefront_size32 1
		.amdhsa_uses_dynamic_stack 0
		.amdhsa_system_sgpr_private_segment_wavefront_offset 0
		.amdhsa_system_sgpr_workgroup_id_x 1
		.amdhsa_system_sgpr_workgroup_id_y 0
		.amdhsa_system_sgpr_workgroup_id_z 0
		.amdhsa_system_sgpr_workgroup_info 0
		.amdhsa_system_vgpr_workitem_id 0
		.amdhsa_next_free_vgpr 26
		.amdhsa_next_free_sgpr 25
		.amdhsa_reserve_vcc 1
		.amdhsa_reserve_flat_scratch 0
		.amdhsa_float_round_mode_32 0
		.amdhsa_float_round_mode_16_64 0
		.amdhsa_float_denorm_mode_32 3
		.amdhsa_float_denorm_mode_16_64 3
		.amdhsa_dx10_clamp 1
		.amdhsa_ieee_mode 1
		.amdhsa_fp16_overflow 0
		.amdhsa_workgroup_processor_mode 1
		.amdhsa_memory_ordered 1
		.amdhsa_forward_progress 1
		.amdhsa_shared_vgpr_count 0
		.amdhsa_exception_fp_ieee_invalid_op 0
		.amdhsa_exception_fp_denorm_src 0
		.amdhsa_exception_fp_ieee_div_zero 0
		.amdhsa_exception_fp_ieee_overflow 0
		.amdhsa_exception_fp_ieee_underflow 0
		.amdhsa_exception_fp_ieee_inexact 0
		.amdhsa_exception_int_div_zero 0
	.end_amdhsa_kernel
	.section	.text._ZL22rocblas_gemvtsm_kernelILb1ELi256EfffEviiT2_lPKT1_lilS3_lilS0_lPT3_lil,"axG",@progbits,_ZL22rocblas_gemvtsm_kernelILb1ELi256EfffEviiT2_lPKT1_lilS3_lilS0_lPT3_lil,comdat
.Lfunc_end37:
	.size	_ZL22rocblas_gemvtsm_kernelILb1ELi256EfffEviiT2_lPKT1_lilS3_lilS0_lPT3_lil, .Lfunc_end37-_ZL22rocblas_gemvtsm_kernelILb1ELi256EfffEviiT2_lPKT1_lilS3_lilS0_lPT3_lil
                                        ; -- End function
	.set _ZL22rocblas_gemvtsm_kernelILb1ELi256EfffEviiT2_lPKT1_lilS3_lilS0_lPT3_lil.num_vgpr, 26
	.set _ZL22rocblas_gemvtsm_kernelILb1ELi256EfffEviiT2_lPKT1_lilS3_lilS0_lPT3_lil.num_agpr, 0
	.set _ZL22rocblas_gemvtsm_kernelILb1ELi256EfffEviiT2_lPKT1_lilS3_lilS0_lPT3_lil.numbered_sgpr, 25
	.set _ZL22rocblas_gemvtsm_kernelILb1ELi256EfffEviiT2_lPKT1_lilS3_lilS0_lPT3_lil.num_named_barrier, 0
	.set _ZL22rocblas_gemvtsm_kernelILb1ELi256EfffEviiT2_lPKT1_lilS3_lilS0_lPT3_lil.private_seg_size, 0
	.set _ZL22rocblas_gemvtsm_kernelILb1ELi256EfffEviiT2_lPKT1_lilS3_lilS0_lPT3_lil.uses_vcc, 1
	.set _ZL22rocblas_gemvtsm_kernelILb1ELi256EfffEviiT2_lPKT1_lilS3_lilS0_lPT3_lil.uses_flat_scratch, 0
	.set _ZL22rocblas_gemvtsm_kernelILb1ELi256EfffEviiT2_lPKT1_lilS3_lilS0_lPT3_lil.has_dyn_sized_stack, 0
	.set _ZL22rocblas_gemvtsm_kernelILb1ELi256EfffEviiT2_lPKT1_lilS3_lilS0_lPT3_lil.has_recursion, 0
	.set _ZL22rocblas_gemvtsm_kernelILb1ELi256EfffEviiT2_lPKT1_lilS3_lilS0_lPT3_lil.has_indirect_call, 0
	.section	.AMDGPU.csdata,"",@progbits
; Kernel info:
; codeLenInByte = 1372
; TotalNumSgprs: 27
; NumVgprs: 26
; ScratchSize: 0
; MemoryBound: 0
; FloatMode: 240
; IeeeMode: 1
; LDSByteSize: 256 bytes/workgroup (compile time only)
; SGPRBlocks: 0
; VGPRBlocks: 3
; NumSGPRsForWavesPerEU: 27
; NumVGPRsForWavesPerEU: 26
; Occupancy: 16
; WaveLimiterHint : 1
; COMPUTE_PGM_RSRC2:SCRATCH_EN: 0
; COMPUTE_PGM_RSRC2:USER_SGPR: 6
; COMPUTE_PGM_RSRC2:TRAP_HANDLER: 0
; COMPUTE_PGM_RSRC2:TGID_X_EN: 1
; COMPUTE_PGM_RSRC2:TGID_Y_EN: 0
; COMPUTE_PGM_RSRC2:TGID_Z_EN: 0
; COMPUTE_PGM_RSRC2:TIDIG_COMP_CNT: 0
	.section	.text._ZL23rocblas_gemvt_sn_kernelILb1ELi256ELi4EifPKffEviiT4_lPKT3_lilS5_lilPT5_i,"axG",@progbits,_ZL23rocblas_gemvt_sn_kernelILb1ELi256ELi4EifPKffEviiT4_lPKT3_lilS5_lilPT5_i,comdat
	.globl	_ZL23rocblas_gemvt_sn_kernelILb1ELi256ELi4EifPKffEviiT4_lPKT3_lilS5_lilPT5_i ; -- Begin function _ZL23rocblas_gemvt_sn_kernelILb1ELi256ELi4EifPKffEviiT4_lPKT3_lilS5_lilPT5_i
	.p2align	8
	.type	_ZL23rocblas_gemvt_sn_kernelILb1ELi256ELi4EifPKffEviiT4_lPKT3_lilS5_lilPT5_i,@function
_ZL23rocblas_gemvt_sn_kernelILb1ELi256ELi4EifPKffEviiT4_lPKT3_lilS5_lilPT5_i: ; @_ZL23rocblas_gemvt_sn_kernelILb1ELi256ELi4EifPKffEviiT4_lPKT3_lilS5_lilPT5_i
; %bb.0:
	s_clause 0x2
	s_load_dwordx8 s[8:15], s[4:5], 0x8
	s_load_dwordx2 s[16:17], s[4:5], 0x0
	s_load_dword s18, s[4:5], 0x68
	s_mov_b32 s19, 0
	s_waitcnt lgkmcnt(0)
	s_mul_i32 s1, s11, s7
	s_mul_hi_u32 s2, s10, s7
	s_mul_i32 s0, s10, s7
	s_add_i32 s1, s2, s1
	s_mul_i32 s2, s17, s7
	s_lshl_b64 s[0:1], s[0:1], 2
	s_add_u32 s0, s8, s0
	s_addc_u32 s1, s9, s1
	s_load_dword s33, s[0:1], 0x0
	s_load_dwordx4 s[8:11], s[4:5], 0x50
	s_ashr_i32 s22, s17, 31
	s_mul_hi_u32 s0, s17, s7
	s_mul_i32 s1, s22, s7
	s_add_i32 s0, s0, s1
	s_mul_hi_u32 s1, s2, s18
	s_mul_i32 s3, s0, s18
	s_mul_i32 s0, s2, s18
	s_add_i32 s1, s1, s3
	s_lshl_b64 s[0:1], s[0:1], 2
	s_waitcnt lgkmcnt(0)
	v_cmp_neq_f32_e64 s2, s33, 0
	s_add_u32 s38, s10, s0
	v_cmp_eq_u32_e64 s0, 0, v0
	s_addc_u32 s37, s11, s1
	s_and_b32 vcc_lo, exec_lo, s2
	s_cbranch_vccnz .LBB38_5
; %bb.1:
	s_cmp_gt_i32 s17, 0
	s_cselect_b32 s1, -1, 0
	s_and_b32 s0, s0, s1
	s_and_saveexec_b32 s10, s0
	s_cbranch_execz .LBB38_4
; %bb.2:
	s_mov_b32 s0, s7
	s_mov_b32 s7, 0
	v_mov_b32_e32 v1, 0
	s_lshl_b64 s[2:3], s[6:7], 2
	s_mov_b32 s7, s0
	s_add_u32 s0, s38, s2
	s_addc_u32 s1, s37, s3
	s_lshl_b64 s[2:3], s[18:19], 2
	s_mov_b32 s11, s17
.LBB38_3:                               ; =>This Inner Loop Header: Depth=1
	s_add_i32 s11, s11, -1
	global_store_dword v1, v1, s[0:1]
	s_add_u32 s0, s0, s2
	s_addc_u32 s1, s1, s3
	s_cmp_eq_u32 s11, 0
	s_cbranch_scc0 .LBB38_3
.LBB38_4:
	s_or_b32 exec_lo, exec_lo, s10
	s_cbranch_execz .LBB38_6
	s_branch .LBB38_80
.LBB38_5:
.LBB38_6:
	s_clause 0x1
	s_load_dwordx4 s[0:3], s[4:5], 0x30
	s_load_dwordx2 s[10:11], s[4:5], 0x40
	s_mul_i32 s9, s9, s7
	s_mul_hi_u32 s19, s8, s7
	s_mul_i32 s8, s8, s7
	s_add_i32 s9, s19, s9
	s_load_dword s19, s[4:5], 0x48
	s_lshl_b64 s[8:9], s[8:9], 2
	v_and_b32_e32 v10, 31, v0
	v_mbcnt_lo_u32_b32 v24, -1, 0
	v_lshrrev_b32_e32 v25, 3, v0
	s_waitcnt lgkmcnt(0)
	s_add_u32 s8, s2, s8
	s_addc_u32 s9, s3, s9
	s_lshl_b64 s[2:3], s[10:11], 2
	s_mul_i32 s1, s1, s7
	s_mul_hi_u32 s20, s0, s7
	s_add_u32 s34, s8, s2
	s_mul_i32 s0, s0, s7
	s_addc_u32 s35, s9, s3
	s_add_i32 s1, s20, s1
	s_load_dword s10, s[4:5], 0x28
	s_lshl_b64 s[20:21], s[0:1], 2
	v_cmp_gt_u32_e64 s0, 32, v0
	s_add_u32 s1, s12, s20
	s_addc_u32 s2, s13, s21
	s_lshl_b64 s[14:15], s[14:15], 2
	s_add_u32 s3, s1, s14
	s_addc_u32 s2, s2, s15
	s_lshl_b32 s1, s6, 10
	s_ashr_i32 s4, s16, 31
	v_lshl_or_b32 v1, v0, 2, s1
	s_lshr_b32 s4, s4, 30
	s_lshr_b32 s5, s22, 30
	s_add_i32 s4, s16, s4
	s_add_i32 s5, s17, s5
	v_ashrrev_i32_e32 v2, 31, v1
	s_and_b32 s4, s4, -4
	v_mul_lo_u32 v9, s19, v1
	s_sub_i32 s36, s16, s4
	v_cmp_gt_u32_e64 s1, 8, v0
	v_lshlrev_b64 v[11:12], 2, v[1:2]
	v_add_nc_u32_e32 v26, 4, v1
	v_add_nc_u32_e32 v27, s36, v1
	s_and_b32 s39, s5, -4
	s_cmp_lt_i32 s39, 1
	v_add_co_u32 v22, vcc_lo, s3, v11
	v_add_co_ci_u32_e64 v23, null, s2, v12, vcc_lo
	s_cbranch_scc1 .LBB38_55
; %bb.7:
	v_cmp_gt_u32_e32 vcc_lo, 24, v24
	v_mul_lo_u32 v13, s19, v1
	s_cmp_gt_i32 s36, 0
	s_mov_b32 s23, 0
	s_cselect_b32 s40, -1, 0
	v_cndmask_b32_e64 v2, 0, 8, vcc_lo
	v_cmp_gt_u32_e32 vcc_lo, 28, v24
	s_waitcnt lgkmcnt(0)
	s_lshl_b32 s41, s10, 2
	s_lshl_b32 s22, s10, 1
	v_ashrrev_i32_e32 v14, 31, v13
	v_add_lshl_u32 v29, v2, v24, 2
	v_cndmask_b32_e64 v3, 0, 4, vcc_lo
	v_cmp_gt_u32_e32 vcc_lo, 30, v24
	s_add_u32 s7, s20, s14
	v_lshlrev_b64 v[5:6], 2, v[13:14]
	s_addc_u32 s8, s21, s15
	v_add_lshl_u32 v30, v3, v24, 2
	v_cndmask_b32_e64 v1, 0, 2, vcc_lo
	v_cmp_ne_u32_e32 vcc_lo, 31, v24
	s_add_u32 s7, s12, s7
	s_addc_u32 s8, s13, s8
	v_cmp_ge_i32_e64 s2, s16, v26
	v_add_lshl_u32 v31, v1, v24, 2
	v_add_nc_u32_e32 v1, s19, v13
	v_add_co_ci_u32_e64 v4, null, 0, v24, vcc_lo
	v_add_co_u32 v14, vcc_lo, s34, v5
	v_add_nc_u32_e32 v3, s19, v1
	v_ashrrev_i32_e32 v2, 31, v1
	v_lshlrev_b32_e32 v32, 2, v4
	v_add_co_ci_u32_e64 v15, null, s35, v6, vcc_lo
	v_add_nc_u32_e32 v7, s19, v3
	v_lshlrev_b64 v[1:2], 2, v[1:2]
	v_ashrrev_i32_e32 v4, 31, v3
	v_mov_b32_e32 v5, 0
	v_cmp_ge_i32_e64 s3, s16, v27
	v_ashrrev_i32_e32 v8, 31, v7
	v_lshl_or_b32 v28, v24, 2, 64
	v_lshlrev_b64 v[3:4], 2, v[3:4]
	v_add_co_u32 v16, vcc_lo, s34, v1
	v_add_co_ci_u32_e64 v17, null, s35, v2, vcc_lo
	v_lshlrev_b64 v[1:2], 2, v[7:8]
	v_add_co_u32 v18, vcc_lo, s34, v3
	v_mov_b32_e32 v6, v5
	v_mov_b32_e32 v7, v5
	;; [unrolled: 1-line block ×3, first 2 shown]
	v_add_co_ci_u32_e64 v19, null, s35, v4, vcc_lo
	v_add_co_u32 v20, vcc_lo, s34, v1
	v_add_co_ci_u32_e64 v21, null, s35, v2, vcc_lo
	v_add_co_u32 v35, vcc_lo, s7, v11
	v_mov_b32_e32 v1, v5
	v_cmp_eq_u32_e64 s4, 0, v10
	v_lshlrev_b32_e32 v33, 2, v10
	v_and_b32_e32 v34, 28, v25
	v_cmp_eq_u32_e64 s5, 0, v0
	v_add_co_ci_u32_e64 v36, null, s8, v12, vcc_lo
	v_mov_b32_e32 v2, v6
	v_mov_b32_e32 v3, v7
	;; [unrolled: 1-line block ×3, first 2 shown]
	s_mov_b32 s11, s23
	s_mul_i32 s42, s10, 3
	s_mov_b32 s43, s23
	s_mov_b32 s24, s23
	s_mov_b64 s[26:27], s[22:23]
	s_mov_b64 s[28:29], s[10:11]
	s_mov_b32 s11, 0
	s_branch .LBB38_9
.LBB38_8:                               ;   in Loop: Header=BB38_9 Depth=1
	s_or_b32 exec_lo, exec_lo, s7
	s_add_i32 s11, s11, 4
	s_add_u32 s28, s28, s41
	s_addc_u32 s29, s29, 0
	s_add_u32 s26, s26, s41
	s_addc_u32 s27, s27, 0
	s_add_u32 s42, s42, s41
	s_addc_u32 s43, s43, 0
	s_add_i32 s24, s24, s41
	s_cmp_ge_i32 s11, s39
	s_cbranch_scc1 .LBB38_56
.LBB38_9:                               ; =>This Loop Header: Depth=1
                                        ;     Child Loop BB38_40 Depth 2
                                        ;     Child Loop BB38_43 Depth 2
                                        ; implicit-def: $vgpr8
                                        ; implicit-def: $vgpr37
                                        ; implicit-def: $vgpr38
                                        ; implicit-def: $vgpr39
	s_and_saveexec_b32 s7, s2
	s_xor_b32 s7, exec_lo, s7
	s_cbranch_execnz .LBB38_36
; %bb.10:                               ;   in Loop: Header=BB38_9 Depth=1
	s_andn2_saveexec_b32 s22, s7
	s_cbranch_execnz .LBB38_37
.LBB38_11:                              ;   in Loop: Header=BB38_9 Depth=1
	s_or_b32 exec_lo, exec_lo, s22
	s_and_saveexec_b32 s7, s0
.LBB38_12:                              ;   in Loop: Header=BB38_9 Depth=1
	ds_write_b32 v33, v5
.LBB38_13:                              ;   in Loop: Header=BB38_9 Depth=1
	s_or_b32 exec_lo, exec_lo, s7
	ds_bpermute_b32 v6, v28, v39
	s_waitcnt lgkmcnt(0)
	s_waitcnt_vscnt null, 0x0
	s_barrier
	buffer_gl0_inv
	v_add_f32_e32 v6, v39, v6
	ds_bpermute_b32 v7, v29, v6
	s_waitcnt lgkmcnt(0)
	v_add_f32_e32 v6, v6, v7
	ds_bpermute_b32 v7, v30, v6
	s_waitcnt lgkmcnt(0)
	;; [unrolled: 3-line block ×3, first 2 shown]
	v_add_f32_e32 v6, v6, v7
	ds_bpermute_b32 v7, v32, v6
	s_and_saveexec_b32 s7, s4
	s_cbranch_execz .LBB38_15
; %bb.14:                               ;   in Loop: Header=BB38_9 Depth=1
	s_waitcnt lgkmcnt(0)
	v_add_f32_e32 v6, v6, v7
	ds_write_b32 v34, v6
.LBB38_15:                              ;   in Loop: Header=BB38_9 Depth=1
	s_or_b32 exec_lo, exec_lo, s7
	v_mov_b32_e32 v6, 0
	s_waitcnt lgkmcnt(0)
	s_barrier
	buffer_gl0_inv
	s_and_saveexec_b32 s7, s1
	s_cbranch_execnz .LBB38_44
; %bb.16:                               ;   in Loop: Header=BB38_9 Depth=1
	s_or_b32 exec_lo, exec_lo, s7
	s_and_saveexec_b32 s7, s0
	s_cbranch_execnz .LBB38_45
.LBB38_17:                              ;   in Loop: Header=BB38_9 Depth=1
	s_or_b32 exec_lo, exec_lo, s7
	s_and_saveexec_b32 s7, s0
.LBB38_18:                              ;   in Loop: Header=BB38_9 Depth=1
	ds_write_b32 v33, v5
.LBB38_19:                              ;   in Loop: Header=BB38_9 Depth=1
	s_or_b32 exec_lo, exec_lo, s7
	ds_bpermute_b32 v7, v28, v38
	s_waitcnt lgkmcnt(0)
	s_barrier
	buffer_gl0_inv
	v_add_f32_e32 v7, v38, v7
	ds_bpermute_b32 v38, v29, v7
	s_waitcnt lgkmcnt(0)
	v_add_f32_e32 v7, v7, v38
	ds_bpermute_b32 v38, v30, v7
	s_waitcnt lgkmcnt(0)
	;; [unrolled: 3-line block ×3, first 2 shown]
	v_add_f32_e32 v7, v7, v38
	ds_bpermute_b32 v38, v32, v7
	s_and_saveexec_b32 s7, s4
	s_cbranch_execz .LBB38_21
; %bb.20:                               ;   in Loop: Header=BB38_9 Depth=1
	s_waitcnt lgkmcnt(0)
	v_add_f32_e32 v7, v7, v38
	ds_write_b32 v34, v7
.LBB38_21:                              ;   in Loop: Header=BB38_9 Depth=1
	s_or_b32 exec_lo, exec_lo, s7
	v_mov_b32_e32 v7, 0
	s_waitcnt lgkmcnt(0)
	s_barrier
	buffer_gl0_inv
	s_and_saveexec_b32 s7, s1
	s_cbranch_execnz .LBB38_46
; %bb.22:                               ;   in Loop: Header=BB38_9 Depth=1
	s_or_b32 exec_lo, exec_lo, s7
	s_and_saveexec_b32 s7, s0
	s_cbranch_execnz .LBB38_47
.LBB38_23:                              ;   in Loop: Header=BB38_9 Depth=1
	s_or_b32 exec_lo, exec_lo, s7
	s_and_saveexec_b32 s7, s0
.LBB38_24:                              ;   in Loop: Header=BB38_9 Depth=1
	ds_write_b32 v33, v5
.LBB38_25:                              ;   in Loop: Header=BB38_9 Depth=1
	s_or_b32 exec_lo, exec_lo, s7
	ds_bpermute_b32 v38, v28, v37
	s_waitcnt lgkmcnt(0)
	s_barrier
	buffer_gl0_inv
	v_add_f32_e32 v37, v37, v38
	ds_bpermute_b32 v38, v29, v37
	s_waitcnt lgkmcnt(0)
	v_add_f32_e32 v37, v37, v38
	ds_bpermute_b32 v38, v30, v37
	s_waitcnt lgkmcnt(0)
	;; [unrolled: 3-line block ×3, first 2 shown]
	v_add_f32_e32 v37, v37, v38
	ds_bpermute_b32 v38, v32, v37
	s_and_saveexec_b32 s7, s4
	s_cbranch_execz .LBB38_27
; %bb.26:                               ;   in Loop: Header=BB38_9 Depth=1
	s_waitcnt lgkmcnt(0)
	v_add_f32_e32 v37, v37, v38
	ds_write_b32 v34, v37
.LBB38_27:                              ;   in Loop: Header=BB38_9 Depth=1
	s_or_b32 exec_lo, exec_lo, s7
	v_mov_b32_e32 v37, 0
	s_waitcnt lgkmcnt(0)
	s_barrier
	buffer_gl0_inv
	s_and_saveexec_b32 s7, s1
	s_cbranch_execnz .LBB38_48
; %bb.28:                               ;   in Loop: Header=BB38_9 Depth=1
	s_or_b32 exec_lo, exec_lo, s7
	s_and_saveexec_b32 s7, s0
	s_cbranch_execnz .LBB38_49
.LBB38_29:                              ;   in Loop: Header=BB38_9 Depth=1
	s_or_b32 exec_lo, exec_lo, s7
	s_and_saveexec_b32 s7, s0
.LBB38_30:                              ;   in Loop: Header=BB38_9 Depth=1
	ds_write_b32 v33, v5
.LBB38_31:                              ;   in Loop: Header=BB38_9 Depth=1
	s_or_b32 exec_lo, exec_lo, s7
	ds_bpermute_b32 v38, v28, v8
	s_waitcnt lgkmcnt(0)
	s_barrier
	buffer_gl0_inv
	v_add_f32_e32 v8, v8, v38
	ds_bpermute_b32 v38, v29, v8
	s_waitcnt lgkmcnt(0)
	v_add_f32_e32 v8, v8, v38
	ds_bpermute_b32 v38, v30, v8
	s_waitcnt lgkmcnt(0)
	;; [unrolled: 3-line block ×3, first 2 shown]
	v_add_f32_e32 v8, v8, v38
	ds_bpermute_b32 v38, v32, v8
	s_and_saveexec_b32 s7, s4
	s_cbranch_execz .LBB38_33
; %bb.32:                               ;   in Loop: Header=BB38_9 Depth=1
	s_waitcnt lgkmcnt(0)
	v_add_f32_e32 v8, v8, v38
	ds_write_b32 v34, v8
.LBB38_33:                              ;   in Loop: Header=BB38_9 Depth=1
	s_or_b32 exec_lo, exec_lo, s7
	v_mov_b32_e32 v8, 0
	s_waitcnt lgkmcnt(0)
	s_barrier
	buffer_gl0_inv
	s_and_saveexec_b32 s7, s1
	s_cbranch_execnz .LBB38_50
; %bb.34:                               ;   in Loop: Header=BB38_9 Depth=1
	s_or_b32 exec_lo, exec_lo, s7
	s_and_saveexec_b32 s7, s0
	s_cbranch_execnz .LBB38_51
.LBB38_35:                              ;   in Loop: Header=BB38_9 Depth=1
	s_or_b32 exec_lo, exec_lo, s7
	s_and_saveexec_b32 s7, s5
	s_cbranch_execz .LBB38_8
	s_branch .LBB38_52
.LBB38_36:                              ;   in Loop: Header=BB38_9 Depth=1
	s_mul_i32 s8, s11, s10
	s_ashr_i32 s9, s8, 31
	s_add_i32 s30, s8, s10
	s_lshl_b64 s[8:9], s[8:9], 2
	s_ashr_i32 s31, s30, 31
	v_add_co_u32 v2, vcc_lo, v22, s8
	v_add_co_ci_u32_e64 v3, null, s9, v23, vcc_lo
	s_lshl_b64 s[8:9], s[30:31], 2
	s_add_i32 s30, s30, s10
	v_add_co_u32 v6, vcc_lo, v22, s8
	s_ashr_i32 s31, s30, 31
	s_add_i32 s8, s30, s10
	v_add_co_ci_u32_e64 v7, null, s9, v23, vcc_lo
	s_lshl_b64 s[30:31], s[30:31], 2
	s_ashr_i32 s9, s8, 31
	v_add_co_u32 v37, vcc_lo, v22, s30
	s_lshl_b64 s[8:9], s[8:9], 2
	v_add_co_ci_u32_e64 v38, null, s31, v23, vcc_lo
	v_add_co_u32 v51, vcc_lo, v22, s8
	v_add_co_ci_u32_e64 v52, null, s9, v23, vcc_lo
	global_load_dword v1, v[14:15], off
	s_clause 0x3
	global_load_dwordx4 v[39:42], v[2:3], off
	global_load_dwordx4 v[43:46], v[6:7], off
	;; [unrolled: 1-line block ×4, first 2 shown]
	s_clause 0x2
	global_load_dword v2, v[16:17], off
	global_load_dword v3, v[18:19], off
	;; [unrolled: 1-line block ×3, first 2 shown]
	s_waitcnt vmcnt(6)
	v_fma_f32 v39, v1, v39, 0
	s_waitcnt vmcnt(5)
	v_fma_f32 v38, v1, v43, 0
	;; [unrolled: 2-line block ×3, first 2 shown]
	s_waitcnt vmcnt(3) lgkmcnt(0)
	v_fma_f32 v8, v1, v51, 0
	s_waitcnt vmcnt(2)
	v_fmac_f32_e32 v39, v2, v40
	v_fmac_f32_e32 v38, v2, v44
	v_fmac_f32_e32 v37, v2, v48
	v_fmac_f32_e32 v8, v2, v52
	s_waitcnt vmcnt(1)
	v_fmac_f32_e32 v39, v3, v41
	v_fmac_f32_e32 v38, v3, v45
	v_fmac_f32_e32 v37, v3, v49
	v_fmac_f32_e32 v8, v3, v53
	;; [unrolled: 5-line block ×3, first 2 shown]
	s_andn2_saveexec_b32 s22, s7
	s_cbranch_execz .LBB38_11
.LBB38_37:                              ;   in Loop: Header=BB38_9 Depth=1
	s_waitcnt lgkmcnt(0)
	v_mov_b32_e32 v8, 0
	v_mov_b32_e32 v37, 0
	;; [unrolled: 1-line block ×4, first 2 shown]
	s_and_saveexec_b32 s44, s3
	s_cbranch_execz .LBB38_54
; %bb.38:                               ;   in Loop: Header=BB38_9 Depth=1
	s_andn2_b32 vcc_lo, exec_lo, s40
	s_cbranch_vccnz .LBB38_41
; %bb.39:                               ;   in Loop: Header=BB38_9 Depth=1
	v_mov_b32_e32 v6, v13
	s_mov_b64 s[30:31], 0
	.p2align	6
.LBB38_40:                              ;   Parent Loop BB38_9 Depth=1
                                        ; =>  This Inner Loop Header: Depth=2
	v_ashrrev_i32_e32 v7, 31, v6
	s_cmp_eq_u32 s30, 3
	v_lshlrev_b64 v[7:8], 2, v[6:7]
	v_add_nc_u32_e32 v6, s19, v6
	v_add_co_u32 v7, vcc_lo, s34, v7
	v_add_co_ci_u32_e64 v8, null, s35, v8, vcc_lo
	s_cselect_b32 vcc_lo, -1, 0
	s_cmp_eq_u32 s30, 2
	s_cselect_b32 s7, -1, 0
	global_load_dword v7, v[7:8], off
	s_cmp_eq_u32 s30, 1
	s_cselect_b32 s8, -1, 0
	s_cmp_eq_u32 s30, 0
	s_cselect_b32 s9, -1, 0
	s_add_u32 s30, s30, 1
	s_addc_u32 s31, s31, 0
	s_cmp_eq_u32 s36, s30
	s_waitcnt vmcnt(0)
	v_cndmask_b32_e32 v4, v4, v7, vcc_lo
	v_cndmask_b32_e64 v3, v3, v7, s7
	v_cndmask_b32_e64 v2, v2, v7, s8
	;; [unrolled: 1-line block ×3, first 2 shown]
	s_cbranch_scc0 .LBB38_40
.LBB38_41:                              ;   in Loop: Header=BB38_9 Depth=1
	s_andn2_b32 vcc_lo, exec_lo, s40
	s_cbranch_vccnz .LBB38_53
; %bb.42:                               ;   in Loop: Header=BB38_9 Depth=1
	s_ashr_i32 s25, s24, 31
	v_mov_b32_e32 v39, 0
	s_lshl_b64 s[8:9], s[24:25], 2
	v_mov_b32_e32 v38, 0
	v_add_co_u32 v6, vcc_lo, v35, s8
	v_add_co_ci_u32_e64 v7, null, s9, v36, vcc_lo
	v_mov_b32_e32 v37, 0
	v_mov_b32_e32 v8, 0
	s_mov_b64 s[8:9], 0
.LBB38_43:                              ;   Parent Loop BB38_9 Depth=1
                                        ; =>  This Inner Loop Header: Depth=2
	s_cmp_eq_u32 s8, 1
	s_cselect_b32 vcc_lo, -1, 0
	s_cmp_eq_u32 s8, 2
	v_cndmask_b32_e32 v40, v1, v2, vcc_lo
	s_cselect_b32 vcc_lo, -1, 0
	s_cmp_eq_u32 s8, 3
	v_cndmask_b32_e32 v46, v40, v3, vcc_lo
	s_cselect_b32 vcc_lo, -1, 0
	s_add_i32 s30, s28, s8
	s_add_i32 s46, s26, s8
	s_ashr_i32 s31, s30, 31
	s_add_i32 s48, s42, s8
	s_ashr_i32 s47, s46, 31
	s_lshl_b64 s[30:31], s[30:31], 2
	s_ashr_i32 s49, s48, 31
	s_lshl_b64 s[46:47], s[46:47], 2
	v_add_co_u32 v40, s7, v22, s30
	s_lshl_b64 s[48:49], s[48:49], 2
	v_add_co_ci_u32_e64 v41, null, s31, v23, s7
	v_add_co_u32 v42, s7, v22, s46
	v_add_co_ci_u32_e64 v43, null, s47, v23, s7
	v_add_co_u32 v44, s7, v22, s48
	v_add_co_ci_u32_e64 v45, null, s49, v23, s7
	global_load_dword v47, v[6:7], off
	s_clause 0x2
	global_load_dword v40, v[40:41], off
	global_load_dword v41, v[42:43], off
	;; [unrolled: 1-line block ×3, first 2 shown]
	v_cndmask_b32_e32 v43, v46, v4, vcc_lo
	v_add_co_u32 v6, s7, v6, 4
	v_add_co_ci_u32_e64 v7, null, 0, v7, s7
	s_add_u32 s8, s8, 1
	s_addc_u32 s9, s9, 0
	s_cmp_lg_u32 s36, s8
	s_waitcnt vmcnt(3)
	v_fmac_f32_e32 v39, v43, v47
	s_waitcnt vmcnt(2)
	v_fmac_f32_e32 v38, v43, v40
	;; [unrolled: 2-line block ×4, first 2 shown]
	s_cbranch_scc1 .LBB38_43
	s_branch .LBB38_54
.LBB38_44:                              ;   in Loop: Header=BB38_9 Depth=1
	ds_read_b32 v6, v33
	s_or_b32 exec_lo, exec_lo, s7
	s_and_saveexec_b32 s7, s0
	s_cbranch_execz .LBB38_17
.LBB38_45:                              ;   in Loop: Header=BB38_9 Depth=1
	s_waitcnt lgkmcnt(0)
	ds_bpermute_b32 v7, v30, v6
	s_waitcnt lgkmcnt(0)
	v_add_f32_e32 v6, v6, v7
	ds_bpermute_b32 v7, v31, v6
	s_waitcnt lgkmcnt(0)
	v_add_f32_e32 v6, v6, v7
	;; [unrolled: 3-line block ×3, first 2 shown]
	s_or_b32 exec_lo, exec_lo, s7
	s_and_saveexec_b32 s7, s0
	s_cbranch_execnz .LBB38_18
	s_branch .LBB38_19
.LBB38_46:                              ;   in Loop: Header=BB38_9 Depth=1
	ds_read_b32 v7, v33
	s_or_b32 exec_lo, exec_lo, s7
	s_and_saveexec_b32 s7, s0
	s_cbranch_execz .LBB38_23
.LBB38_47:                              ;   in Loop: Header=BB38_9 Depth=1
	s_waitcnt lgkmcnt(0)
	ds_bpermute_b32 v38, v30, v7
	s_waitcnt lgkmcnt(0)
	v_add_f32_e32 v7, v7, v38
	ds_bpermute_b32 v38, v31, v7
	s_waitcnt lgkmcnt(0)
	v_add_f32_e32 v7, v7, v38
	;; [unrolled: 3-line block ×3, first 2 shown]
	s_or_b32 exec_lo, exec_lo, s7
	s_and_saveexec_b32 s7, s0
	s_cbranch_execnz .LBB38_24
	s_branch .LBB38_25
.LBB38_48:                              ;   in Loop: Header=BB38_9 Depth=1
	ds_read_b32 v37, v33
	s_or_b32 exec_lo, exec_lo, s7
	s_and_saveexec_b32 s7, s0
	s_cbranch_execz .LBB38_29
.LBB38_49:                              ;   in Loop: Header=BB38_9 Depth=1
	s_waitcnt lgkmcnt(0)
	ds_bpermute_b32 v38, v30, v37
	s_waitcnt lgkmcnt(0)
	v_add_f32_e32 v37, v37, v38
	ds_bpermute_b32 v38, v31, v37
	s_waitcnt lgkmcnt(0)
	v_add_f32_e32 v37, v37, v38
	;; [unrolled: 3-line block ×3, first 2 shown]
	s_or_b32 exec_lo, exec_lo, s7
	s_and_saveexec_b32 s7, s0
	s_cbranch_execnz .LBB38_30
	s_branch .LBB38_31
.LBB38_50:                              ;   in Loop: Header=BB38_9 Depth=1
	ds_read_b32 v8, v33
	s_or_b32 exec_lo, exec_lo, s7
	s_and_saveexec_b32 s7, s0
	s_cbranch_execz .LBB38_35
.LBB38_51:                              ;   in Loop: Header=BB38_9 Depth=1
	s_waitcnt lgkmcnt(0)
	ds_bpermute_b32 v38, v30, v8
	s_waitcnt lgkmcnt(0)
	v_add_f32_e32 v8, v8, v38
	ds_bpermute_b32 v38, v31, v8
	s_waitcnt lgkmcnt(0)
	v_add_f32_e32 v8, v8, v38
	ds_bpermute_b32 v38, v32, v8
	s_waitcnt lgkmcnt(0)
	v_add_f32_e32 v8, v8, v38
	s_or_b32 exec_lo, exec_lo, s7
	s_and_saveexec_b32 s7, s5
	s_cbranch_execz .LBB38_8
.LBB38_52:                              ;   in Loop: Header=BB38_9 Depth=1
	s_mul_i32 s8, s11, s18
	v_mul_f32_e32 v6, s33, v6
	s_add_i32 s22, s8, s6
	v_mul_f32_e32 v7, s33, v7
	s_lshl_b64 s[8:9], s[22:23], 2
	v_mul_f32_e32 v37, s33, v37
	s_add_u32 s8, s38, s8
	s_addc_u32 s9, s37, s9
	s_add_i32 s22, s22, s18
	global_store_dword v5, v6, s[8:9]
	s_lshl_b64 s[30:31], s[22:23], 2
	s_waitcnt lgkmcnt(0)
	v_mul_f32_e32 v6, s33, v8
	s_add_u32 s30, s38, s30
	s_addc_u32 s31, s37, s31
	s_add_i32 s22, s22, s18
	global_store_dword v5, v7, s[30:31]
	s_lshl_b64 s[44:45], s[22:23], 2
	s_add_u32 s8, s38, s44
	s_addc_u32 s9, s37, s45
	s_add_i32 s22, s22, s18
	s_lshl_b64 s[44:45], s[22:23], 2
	s_add_u32 s30, s38, s44
	s_addc_u32 s31, s37, s45
	global_store_dword v5, v37, s[8:9]
	global_store_dword v5, v6, s[30:31]
	s_branch .LBB38_8
.LBB38_53:                              ;   in Loop: Header=BB38_9 Depth=1
	v_mov_b32_e32 v8, 0
	v_mov_b32_e32 v37, 0
	;; [unrolled: 1-line block ×4, first 2 shown]
.LBB38_54:                              ;   in Loop: Header=BB38_9 Depth=1
	s_or_b32 exec_lo, exec_lo, s44
	s_or_b32 exec_lo, exec_lo, s22
	s_and_saveexec_b32 s7, s0
	s_cbranch_execnz .LBB38_12
	s_branch .LBB38_13
.LBB38_55:
	v_mov_b32_e32 v1, 0
	s_mov_b32 s11, 0
	v_mov_b32_e32 v2, v1
	v_mov_b32_e32 v3, v1
	;; [unrolled: 1-line block ×3, first 2 shown]
.LBB38_56:
	s_cmp_ge_i32 s11, s17
	s_cbranch_scc1 .LBB38_80
; %bb.57:
	v_cmp_gt_u32_e32 vcc_lo, 24, v24
	v_lshlrev_b32_e32 v17, 2, v10
	v_cmp_eq_u32_e64 s3, 0, v10
	v_ashrrev_i32_e32 v10, 31, v9
	v_cmp_ge_i32_e64 s0, s16, v26
	v_cndmask_b32_e64 v5, 0, 8, vcc_lo
	v_cmp_gt_u32_e32 vcc_lo, 28, v24
	v_lshl_or_b32 v18, v24, 2, 64
	v_lshlrev_b64 v[13:14], 2, v[9:10]
	v_cmp_ge_i32_e64 s1, s16, v27
	v_add_lshl_u32 v19, v5, v24, 2
	v_cndmask_b32_e64 v6, 0, 4, vcc_lo
	v_cmp_gt_u32_e32 vcc_lo, 30, v24
	v_add_nc_u32_e32 v5, s19, v9
	s_cmp_gt_i32 s36, 0
	s_mov_b32 s7, 0
	v_add_lshl_u32 v20, v6, v24, 2
	v_cndmask_b32_e64 v7, 0, 2, vcc_lo
	v_cmp_ne_u32_e32 vcc_lo, 31, v24
	v_ashrrev_i32_e32 v6, 31, v5
	s_cselect_b32 s16, -1, 0
	s_lshl_b64 s[8:9], s[6:7], 2
	v_add_lshl_u32 v21, v7, v24, 2
	v_add_nc_u32_e32 v7, s19, v5
	s_waitcnt lgkmcnt(0)
	v_add_co_ci_u32_e64 v8, null, 0, v24, vcc_lo
	v_lshlrev_b64 v[15:16], 2, v[5:6]
	v_add_co_u32 v5, vcc_lo, s34, v13
	v_add_nc_u32_e32 v26, s19, v7
	v_lshlrev_b32_e32 v24, 2, v8
	v_ashrrev_i32_e32 v8, 31, v7
	v_add_co_ci_u32_e64 v6, null, s35, v14, vcc_lo
	v_ashrrev_i32_e32 v27, 31, v26
	s_add_u32 s22, s38, s8
	v_lshlrev_b64 v[13:14], 2, v[7:8]
	v_add_co_u32 v7, vcc_lo, s34, v15
	v_add_co_ci_u32_e64 v8, null, s35, v16, vcc_lo
	v_lshlrev_b64 v[15:16], 2, v[26:27]
	s_addc_u32 s23, s37, s9
	v_add_co_u32 v13, vcc_lo, s34, v13
	s_add_u32 s6, s20, s14
	s_addc_u32 s8, s21, s15
	v_add_co_ci_u32_e64 v14, null, s35, v14, vcc_lo
	v_add_co_u32 v15, vcc_lo, s34, v15
	s_add_u32 s6, s12, s6
	v_cmp_gt_u32_e64 s2, 32, v0
	v_cmp_gt_u32_e64 s4, 8, v0
	v_cmp_eq_u32_e64 s5, 0, v0
	v_add_co_ci_u32_e64 v16, null, s35, v16, vcc_lo
	s_addc_u32 s8, s13, s8
	v_add_co_u32 v0, vcc_lo, s6, v11
	v_and_b32_e32 v25, 28, v25
	v_add_co_ci_u32_e64 v12, null, s8, v12, vcc_lo
	v_mov_b32_e32 v26, 0
	s_mul_i32 s12, s11, s10
	s_branch .LBB38_59
.LBB38_58:                              ;   in Loop: Header=BB38_59 Depth=1
	s_or_b32 exec_lo, exec_lo, s6
	s_add_i32 s11, s11, 1
	s_add_i32 s12, s12, s10
	s_cmp_ge_i32 s11, s17
	s_cbranch_scc1 .LBB38_80
.LBB38_59:                              ; =>This Loop Header: Depth=1
                                        ;     Child Loop BB38_72 Depth 2
                                        ;     Child Loop BB38_75 Depth 2
	v_mov_b32_e32 v27, s7
	s_and_saveexec_b32 s6, s0
	s_xor_b32 s6, exec_lo, s6
	s_cbranch_execnz .LBB38_68
; %bb.60:                               ;   in Loop: Header=BB38_59 Depth=1
	s_andn2_saveexec_b32 s20, s6
	s_cbranch_execnz .LBB38_69
.LBB38_61:                              ;   in Loop: Header=BB38_59 Depth=1
	s_or_b32 exec_lo, exec_lo, s20
	s_and_saveexec_b32 s6, s2
.LBB38_62:                              ;   in Loop: Header=BB38_59 Depth=1
	ds_write_b32 v17, v26
.LBB38_63:                              ;   in Loop: Header=BB38_59 Depth=1
	s_or_b32 exec_lo, exec_lo, s6
	s_waitcnt lgkmcnt(0)
	ds_bpermute_b32 v10, v18, v27
	s_waitcnt lgkmcnt(0)
	s_waitcnt_vscnt null, 0x0
	s_barrier
	buffer_gl0_inv
	v_add_f32_e32 v10, v27, v10
	ds_bpermute_b32 v11, v19, v10
	s_waitcnt lgkmcnt(0)
	v_add_f32_e32 v10, v10, v11
	ds_bpermute_b32 v11, v20, v10
	s_waitcnt lgkmcnt(0)
	;; [unrolled: 3-line block ×3, first 2 shown]
	v_add_f32_e32 v10, v10, v11
	ds_bpermute_b32 v11, v24, v10
	s_and_saveexec_b32 s6, s3
	s_cbranch_execz .LBB38_65
; %bb.64:                               ;   in Loop: Header=BB38_59 Depth=1
	s_waitcnt lgkmcnt(0)
	v_add_f32_e32 v10, v10, v11
	ds_write_b32 v25, v10
.LBB38_65:                              ;   in Loop: Header=BB38_59 Depth=1
	s_or_b32 exec_lo, exec_lo, s6
	v_mov_b32_e32 v10, 0
	s_waitcnt lgkmcnt(0)
	s_barrier
	buffer_gl0_inv
	s_and_saveexec_b32 s6, s4
	s_cbranch_execnz .LBB38_77
; %bb.66:                               ;   in Loop: Header=BB38_59 Depth=1
	s_or_b32 exec_lo, exec_lo, s6
	s_and_saveexec_b32 s6, s2
	s_cbranch_execnz .LBB38_78
.LBB38_67:                              ;   in Loop: Header=BB38_59 Depth=1
	s_or_b32 exec_lo, exec_lo, s6
	s_and_saveexec_b32 s6, s5
	s_cbranch_execz .LBB38_58
	s_branch .LBB38_79
.LBB38_68:                              ;   in Loop: Header=BB38_59 Depth=1
	s_mul_i32 s8, s11, s10
	s_ashr_i32 s9, s8, 31
	s_lshl_b64 s[8:9], s[8:9], 2
	v_add_co_u32 v1, vcc_lo, v22, s8
	v_add_co_ci_u32_e64 v2, null, s9, v23, vcc_lo
	global_load_dwordx4 v[27:30], v[1:2], off
	s_clause 0x3
	global_load_dword v1, v[5:6], off
	global_load_dword v2, v[7:8], off
	;; [unrolled: 1-line block ×4, first 2 shown]
	s_waitcnt vmcnt(3)
	v_fma_f32 v27, v1, v27, 0
	s_waitcnt vmcnt(2)
	v_fmac_f32_e32 v27, v2, v28
	s_waitcnt vmcnt(1)
	v_fmac_f32_e32 v27, v3, v29
	;; [unrolled: 2-line block ×3, first 2 shown]
	s_andn2_saveexec_b32 s20, s6
	s_cbranch_execz .LBB38_61
.LBB38_69:                              ;   in Loop: Header=BB38_59 Depth=1
	s_and_saveexec_b32 s21, s1
	s_cbranch_execz .LBB38_76
; %bb.70:                               ;   in Loop: Header=BB38_59 Depth=1
	s_andn2_b32 vcc_lo, exec_lo, s16
	s_cbranch_vccnz .LBB38_73
; %bb.71:                               ;   in Loop: Header=BB38_59 Depth=1
	s_waitcnt lgkmcnt(0)
	v_mov_b32_e32 v10, v9
	s_mov_b64 s[14:15], 0
	.p2align	6
.LBB38_72:                              ;   Parent Loop BB38_59 Depth=1
                                        ; =>  This Inner Loop Header: Depth=2
	v_ashrrev_i32_e32 v11, 31, v10
	s_cmp_eq_u32 s14, 3
	v_lshlrev_b64 v[28:29], 2, v[10:11]
	v_add_nc_u32_e32 v10, s19, v10
	v_add_co_u32 v28, vcc_lo, s34, v28
	v_add_co_ci_u32_e64 v29, null, s35, v29, vcc_lo
	s_cselect_b32 vcc_lo, -1, 0
	s_cmp_eq_u32 s14, 2
	s_cselect_b32 s6, -1, 0
	global_load_dword v11, v[28:29], off
	s_cmp_eq_u32 s14, 1
	s_cselect_b32 s8, -1, 0
	s_cmp_eq_u32 s14, 0
	s_cselect_b32 s9, -1, 0
	s_add_u32 s14, s14, 1
	s_addc_u32 s15, s15, 0
	s_cmp_eq_u32 s36, s14
	s_waitcnt vmcnt(0)
	v_cndmask_b32_e32 v4, v4, v11, vcc_lo
	v_cndmask_b32_e64 v3, v3, v11, s6
	v_cndmask_b32_e64 v2, v2, v11, s8
	;; [unrolled: 1-line block ×3, first 2 shown]
	s_cbranch_scc0 .LBB38_72
.LBB38_73:                              ;   in Loop: Header=BB38_59 Depth=1
	s_andn2_b32 vcc_lo, exec_lo, s16
	s_cbranch_vccnz .LBB38_76
; %bb.74:                               ;   in Loop: Header=BB38_59 Depth=1
	s_ashr_i32 s13, s12, 31
	s_lshl_b64 s[8:9], s[12:13], 2
	s_waitcnt lgkmcnt(0)
	v_add_co_u32 v10, vcc_lo, v0, s8
	v_add_co_ci_u32_e64 v11, null, s9, v12, vcc_lo
	s_mov_b64 s[8:9], 0
	.p2align	6
.LBB38_75:                              ;   Parent Loop BB38_59 Depth=1
                                        ; =>  This Inner Loop Header: Depth=2
	global_load_dword v28, v[10:11], off
	s_cmp_eq_u32 s8, 1
	s_cselect_b32 vcc_lo, -1, 0
	s_cmp_eq_u32 s8, 2
	v_cndmask_b32_e32 v29, v1, v2, vcc_lo
	s_cselect_b32 vcc_lo, -1, 0
	s_cmp_eq_u32 s8, 3
	v_cndmask_b32_e32 v29, v29, v3, vcc_lo
	s_cselect_b32 vcc_lo, -1, 0
	s_add_u32 s8, s8, 1
	s_addc_u32 s9, s9, 0
	s_cmp_lg_u32 s36, s8
	v_cndmask_b32_e32 v29, v29, v4, vcc_lo
	v_add_co_u32 v10, vcc_lo, v10, 4
	v_add_co_ci_u32_e64 v11, null, 0, v11, vcc_lo
	s_waitcnt vmcnt(0)
	v_fmac_f32_e32 v27, v29, v28
	s_cbranch_scc1 .LBB38_75
.LBB38_76:                              ;   in Loop: Header=BB38_59 Depth=1
	s_or_b32 exec_lo, exec_lo, s21
	s_or_b32 exec_lo, exec_lo, s20
	s_and_saveexec_b32 s6, s2
	s_cbranch_execnz .LBB38_62
	s_branch .LBB38_63
.LBB38_77:                              ;   in Loop: Header=BB38_59 Depth=1
	ds_read_b32 v10, v17
	s_or_b32 exec_lo, exec_lo, s6
	s_and_saveexec_b32 s6, s2
	s_cbranch_execz .LBB38_67
.LBB38_78:                              ;   in Loop: Header=BB38_59 Depth=1
	s_waitcnt lgkmcnt(0)
	ds_bpermute_b32 v11, v20, v10
	s_waitcnt lgkmcnt(0)
	v_add_f32_e32 v10, v10, v11
	ds_bpermute_b32 v11, v21, v10
	s_waitcnt lgkmcnt(0)
	v_add_f32_e32 v10, v10, v11
	;; [unrolled: 3-line block ×3, first 2 shown]
	s_or_b32 exec_lo, exec_lo, s6
	s_and_saveexec_b32 s6, s5
	s_cbranch_execz .LBB38_58
.LBB38_79:                              ;   in Loop: Header=BB38_59 Depth=1
	s_mul_hi_u32 s9, s11, s18
	s_mul_i32 s8, s11, s18
	s_waitcnt lgkmcnt(0)
	v_mul_f32_e32 v10, s33, v10
	s_lshl_b64 s[8:9], s[8:9], 2
	s_add_u32 s8, s22, s8
	s_addc_u32 s9, s23, s9
	global_store_dword v26, v10, s[8:9]
	s_branch .LBB38_58
.LBB38_80:
	s_endpgm
	.section	.rodata,"a",@progbits
	.p2align	6, 0x0
	.amdhsa_kernel _ZL23rocblas_gemvt_sn_kernelILb1ELi256ELi4EifPKffEviiT4_lPKT3_lilS5_lilPT5_i
		.amdhsa_group_segment_fixed_size 128
		.amdhsa_private_segment_fixed_size 0
		.amdhsa_kernarg_size 360
		.amdhsa_user_sgpr_count 6
		.amdhsa_user_sgpr_private_segment_buffer 1
		.amdhsa_user_sgpr_dispatch_ptr 0
		.amdhsa_user_sgpr_queue_ptr 0
		.amdhsa_user_sgpr_kernarg_segment_ptr 1
		.amdhsa_user_sgpr_dispatch_id 0
		.amdhsa_user_sgpr_flat_scratch_init 0
		.amdhsa_user_sgpr_private_segment_size 0
		.amdhsa_wavefront_size32 1
		.amdhsa_uses_dynamic_stack 0
		.amdhsa_system_sgpr_private_segment_wavefront_offset 0
		.amdhsa_system_sgpr_workgroup_id_x 1
		.amdhsa_system_sgpr_workgroup_id_y 0
		.amdhsa_system_sgpr_workgroup_id_z 1
		.amdhsa_system_sgpr_workgroup_info 0
		.amdhsa_system_vgpr_workitem_id 0
		.amdhsa_next_free_vgpr 55
		.amdhsa_next_free_sgpr 50
		.amdhsa_reserve_vcc 1
		.amdhsa_reserve_flat_scratch 0
		.amdhsa_float_round_mode_32 0
		.amdhsa_float_round_mode_16_64 0
		.amdhsa_float_denorm_mode_32 3
		.amdhsa_float_denorm_mode_16_64 3
		.amdhsa_dx10_clamp 1
		.amdhsa_ieee_mode 1
		.amdhsa_fp16_overflow 0
		.amdhsa_workgroup_processor_mode 1
		.amdhsa_memory_ordered 1
		.amdhsa_forward_progress 1
		.amdhsa_shared_vgpr_count 0
		.amdhsa_exception_fp_ieee_invalid_op 0
		.amdhsa_exception_fp_denorm_src 0
		.amdhsa_exception_fp_ieee_div_zero 0
		.amdhsa_exception_fp_ieee_overflow 0
		.amdhsa_exception_fp_ieee_underflow 0
		.amdhsa_exception_fp_ieee_inexact 0
		.amdhsa_exception_int_div_zero 0
	.end_amdhsa_kernel
	.section	.text._ZL23rocblas_gemvt_sn_kernelILb1ELi256ELi4EifPKffEviiT4_lPKT3_lilS5_lilPT5_i,"axG",@progbits,_ZL23rocblas_gemvt_sn_kernelILb1ELi256ELi4EifPKffEviiT4_lPKT3_lilS5_lilPT5_i,comdat
.Lfunc_end38:
	.size	_ZL23rocblas_gemvt_sn_kernelILb1ELi256ELi4EifPKffEviiT4_lPKT3_lilS5_lilPT5_i, .Lfunc_end38-_ZL23rocblas_gemvt_sn_kernelILb1ELi256ELi4EifPKffEviiT4_lPKT3_lilS5_lilPT5_i
                                        ; -- End function
	.set _ZL23rocblas_gemvt_sn_kernelILb1ELi256ELi4EifPKffEviiT4_lPKT3_lilS5_lilPT5_i.num_vgpr, 55
	.set _ZL23rocblas_gemvt_sn_kernelILb1ELi256ELi4EifPKffEviiT4_lPKT3_lilS5_lilPT5_i.num_agpr, 0
	.set _ZL23rocblas_gemvt_sn_kernelILb1ELi256ELi4EifPKffEviiT4_lPKT3_lilS5_lilPT5_i.numbered_sgpr, 50
	.set _ZL23rocblas_gemvt_sn_kernelILb1ELi256ELi4EifPKffEviiT4_lPKT3_lilS5_lilPT5_i.num_named_barrier, 0
	.set _ZL23rocblas_gemvt_sn_kernelILb1ELi256ELi4EifPKffEviiT4_lPKT3_lilS5_lilPT5_i.private_seg_size, 0
	.set _ZL23rocblas_gemvt_sn_kernelILb1ELi256ELi4EifPKffEviiT4_lPKT3_lilS5_lilPT5_i.uses_vcc, 1
	.set _ZL23rocblas_gemvt_sn_kernelILb1ELi256ELi4EifPKffEviiT4_lPKT3_lilS5_lilPT5_i.uses_flat_scratch, 0
	.set _ZL23rocblas_gemvt_sn_kernelILb1ELi256ELi4EifPKffEviiT4_lPKT3_lilS5_lilPT5_i.has_dyn_sized_stack, 0
	.set _ZL23rocblas_gemvt_sn_kernelILb1ELi256ELi4EifPKffEviiT4_lPKT3_lilS5_lilPT5_i.has_recursion, 0
	.set _ZL23rocblas_gemvt_sn_kernelILb1ELi256ELi4EifPKffEviiT4_lPKT3_lilS5_lilPT5_i.has_indirect_call, 0
	.section	.AMDGPU.csdata,"",@progbits
; Kernel info:
; codeLenInByte = 4136
; TotalNumSgprs: 52
; NumVgprs: 55
; ScratchSize: 0
; MemoryBound: 0
; FloatMode: 240
; IeeeMode: 1
; LDSByteSize: 128 bytes/workgroup (compile time only)
; SGPRBlocks: 0
; VGPRBlocks: 6
; NumSGPRsForWavesPerEU: 52
; NumVGPRsForWavesPerEU: 55
; Occupancy: 16
; WaveLimiterHint : 1
; COMPUTE_PGM_RSRC2:SCRATCH_EN: 0
; COMPUTE_PGM_RSRC2:USER_SGPR: 6
; COMPUTE_PGM_RSRC2:TRAP_HANDLER: 0
; COMPUTE_PGM_RSRC2:TGID_X_EN: 1
; COMPUTE_PGM_RSRC2:TGID_Y_EN: 0
; COMPUTE_PGM_RSRC2:TGID_Z_EN: 1
; COMPUTE_PGM_RSRC2:TIDIG_COMP_CNT: 0
	.section	.text._ZL23rocblas_gemvt_sn_kernelILb1ELi256ELi4ElfPKffEviiT4_lPKT3_lilS5_lilPT5_i,"axG",@progbits,_ZL23rocblas_gemvt_sn_kernelILb1ELi256ELi4ElfPKffEviiT4_lPKT3_lilS5_lilPT5_i,comdat
	.globl	_ZL23rocblas_gemvt_sn_kernelILb1ELi256ELi4ElfPKffEviiT4_lPKT3_lilS5_lilPT5_i ; -- Begin function _ZL23rocblas_gemvt_sn_kernelILb1ELi256ELi4ElfPKffEviiT4_lPKT3_lilS5_lilPT5_i
	.p2align	8
	.type	_ZL23rocblas_gemvt_sn_kernelILb1ELi256ELi4ElfPKffEviiT4_lPKT3_lilS5_lilPT5_i,@function
_ZL23rocblas_gemvt_sn_kernelILb1ELi256ELi4ElfPKffEviiT4_lPKT3_lilS5_lilPT5_i: ; @_ZL23rocblas_gemvt_sn_kernelILb1ELi256ELi4ElfPKffEviiT4_lPKT3_lilS5_lilPT5_i
; %bb.0:
	s_clause 0x2
	s_load_dwordx8 s[8:15], s[4:5], 0x8
	s_load_dwordx2 s[20:21], s[4:5], 0x0
	s_load_dword s22, s[4:5], 0x68
	s_mov_b32 s23, 0
	s_waitcnt lgkmcnt(0)
	s_mul_i32 s1, s11, s7
	s_mul_hi_u32 s2, s10, s7
	s_mul_i32 s0, s10, s7
	s_add_i32 s1, s2, s1
	s_mul_i32 s2, s21, s7
	s_lshl_b64 s[0:1], s[0:1], 2
	s_add_u32 s0, s8, s0
	s_addc_u32 s1, s9, s1
	s_load_dword s33, s[0:1], 0x0
	s_load_dwordx4 s[8:11], s[4:5], 0x50
	s_ashr_i32 s34, s21, 31
	s_mul_hi_u32 s0, s21, s7
	s_mul_i32 s1, s34, s7
	s_add_i32 s0, s0, s1
	s_mul_hi_u32 s1, s2, s22
	s_mul_i32 s3, s0, s22
	s_mul_i32 s0, s2, s22
	s_add_i32 s1, s1, s3
	s_lshl_b64 s[0:1], s[0:1], 2
	s_waitcnt lgkmcnt(0)
	v_cmp_neq_f32_e64 s2, s33, 0
	s_add_u32 s44, s10, s0
	v_cmp_eq_u32_e64 s0, 0, v0
	s_addc_u32 s45, s11, s1
	s_and_b32 vcc_lo, exec_lo, s2
	s_cbranch_vccnz .LBB39_5
; %bb.1:
	s_cmp_gt_i32 s21, 0
	s_cselect_b32 s1, -1, 0
	s_and_b32 s0, s0, s1
	s_and_saveexec_b32 s10, s0
	s_cbranch_execz .LBB39_4
; %bb.2:
	s_mov_b32 s0, s7
	s_mov_b32 s7, 0
	v_mov_b32_e32 v1, 0
	s_lshl_b64 s[2:3], s[6:7], 2
	s_mov_b32 s7, s0
	s_add_u32 s0, s44, s2
	s_addc_u32 s1, s45, s3
	s_lshl_b64 s[2:3], s[22:23], 2
	s_mov_b32 s11, s21
.LBB39_3:                               ; =>This Inner Loop Header: Depth=1
	s_add_i32 s11, s11, -1
	global_store_dword v1, v1, s[0:1]
	s_add_u32 s0, s0, s2
	s_addc_u32 s1, s1, s3
	s_cmp_eq_u32 s11, 0
	s_cbranch_scc0 .LBB39_3
.LBB39_4:
	s_or_b32 exec_lo, exec_lo, s10
	s_cbranch_execz .LBB39_6
	s_branch .LBB39_80
.LBB39_5:
.LBB39_6:
	s_clause 0x3
	s_load_dword s24, s[4:5], 0x28
	s_load_dword s26, s[4:5], 0x48
	s_load_dwordx4 s[16:19], s[4:5], 0x30
	s_load_dwordx2 s[0:1], s[4:5], 0x40
	s_mul_i32 s3, s9, s7
	s_mul_hi_u32 s4, s8, s7
	s_mul_i32 s2, s8, s7
	s_add_i32 s3, s4, s3
	v_and_b32_e32 v26, 31, v0
	s_lshl_b64 s[28:29], s[2:3], 2
	v_mbcnt_lo_u32_b32 v29, -1, 0
	v_lshrrev_b32_e32 v31, 3, v0
	s_waitcnt lgkmcnt(0)
	s_ashr_i32 s25, s24, 31
	s_ashr_i32 s27, s26, 31
	s_add_u32 s5, s18, s28
	s_addc_u32 s8, s19, s29
	s_lshl_b64 s[30:31], s[0:1], 2
	s_mul_i32 s3, s17, s7
	s_mul_hi_u32 s4, s16, s7
	s_add_u32 s46, s5, s30
	s_mul_i32 s2, s16, s7
	s_addc_u32 s47, s8, s31
	s_add_i32 s3, s4, s3
	v_cmp_gt_u32_e64 s0, 32, v0
	s_lshl_b64 s[16:17], s[2:3], 2
	v_cmp_gt_u32_e64 s1, 8, v0
	s_add_u32 s2, s12, s16
	s_addc_u32 s3, s13, s17
	s_lshl_b64 s[14:15], s[14:15], 2
	s_add_u32 s2, s2, s14
	s_addc_u32 s3, s3, s15
	s_lshl_b32 s4, s6, 10
	s_ashr_i32 s5, s20, 31
	v_lshl_or_b32 v13, v0, 2, s4
	s_lshr_b32 s4, s34, 30
	s_lshr_b32 s5, s5, 30
	s_add_i32 s4, s21, s4
	s_add_i32 s5, s20, s5
	v_ashrrev_i32_e32 v14, 31, v13
	s_and_b32 s48, s4, -4
	s_and_b32 s4, s5, -4
	v_add_nc_u32_e32 v32, 4, v13
	s_sub_i32 s23, s20, s4
	v_lshlrev_b64 v[11:12], 2, v[13:14]
	v_or_b32_e32 v30, 1, v13
	v_or_b32_e32 v28, 2, v13
	v_add_nc_u32_e32 v33, s23, v13
	v_or_b32_e32 v27, 3, v13
	s_cmp_lt_i32 s48, 1
	v_add_co_u32 v9, vcc_lo, s2, v11
	v_add_co_ci_u32_e64 v10, null, s3, v12, vcc_lo
	s_cbranch_scc1 .LBB39_55
; %bb.7:
	v_cmp_gt_u32_e32 vcc_lo, 24, v29
	v_mad_i64_i32 v[5:6], null, s26, v28, 0
	v_mad_i64_i32 v[7:8], null, s26, v27, 0
	v_cndmask_b32_e64 v1, 0, 8, vcc_lo
	v_cmp_gt_u32_e32 vcc_lo, 28, v29
	s_cmp_gt_i32 s23, 0
	s_mov_b32 s7, 0
	v_lshlrev_b64 v[5:6], 2, v[5:6]
	v_add_lshl_u32 v35, v1, v29, 2
	v_cndmask_b32_e64 v2, 0, 4, vcc_lo
	v_cmp_gt_u32_e32 vcc_lo, 30, v29
	s_cselect_b32 s49, -1, 0
	s_lshl_b64 s[8:9], s[6:7], 2
	v_mov_b32_e32 v25, v10
	v_add_lshl_u32 v36, v2, v29, 2
	v_cndmask_b32_e64 v3, 0, 2, vcc_lo
	v_cmp_ne_u32_e32 vcc_lo, 31, v29
	v_mad_i64_i32 v[1:2], null, s26, v13, 0
	s_add_u32 s50, s44, s8
	v_add_lshl_u32 v37, v3, v29, 2
	v_add_co_ci_u32_e64 v4, null, 0, v29, vcc_lo
	s_addc_u32 s51, s45, s9
	s_add_u32 s8, s18, s30
	v_lshlrev_b64 v[1:2], 2, v[1:2]
	v_lshlrev_b32_e32 v38, 2, v4
	v_mad_i64_i32 v[3:4], null, s26, v30, 0
	s_addc_u32 s9, s19, s31
	s_add_u32 s8, s8, s28
	v_add_co_u32 v14, vcc_lo, s46, v1
	v_add_co_ci_u32_e64 v15, null, s47, v2, vcc_lo
	v_lshlrev_b64 v[3:4], 2, v[3:4]
	s_addc_u32 s9, s9, s29
	v_cmp_ge_i32_e64 s2, s20, v32
	v_cmp_ge_i32_e64 s3, s20, v33
	v_lshl_or_b32 v34, v29, 2, 64
	v_cmp_eq_u32_e64 s4, 0, v26
	v_add_co_u32 v16, vcc_lo, s46, v3
	v_add_co_ci_u32_e64 v17, null, s47, v4, vcc_lo
	v_lshlrev_b64 v[3:4], 2, v[7:8]
	v_add_co_u32 v18, vcc_lo, s46, v5
	v_mov_b32_e32 v5, 0
	v_add_co_ci_u32_e64 v19, null, s47, v6, vcc_lo
	v_add_co_u32 v20, vcc_lo, s46, v3
	v_mov_b32_e32 v6, v5
	v_mov_b32_e32 v7, v5
	;; [unrolled: 1-line block ×3, first 2 shown]
	v_add_co_ci_u32_e64 v21, null, s47, v4, vcc_lo
	v_add_co_u32 v22, vcc_lo, s8, v1
	v_add_co_ci_u32_e64 v23, null, s9, v2, vcc_lo
	v_mov_b32_e32 v1, v5
	v_lshlrev_b32_e32 v39, 2, v26
	v_and_b32_e32 v40, 28, v31
	v_cmp_eq_u32_e64 s5, 0, v0
	v_mov_b32_e32 v24, v9
	v_mov_b32_e32 v2, v6
	;; [unrolled: 1-line block ×4, first 2 shown]
	s_lshl_b64 s[34:35], s[26:27], 2
	s_lshl_b64 s[36:37], s[24:25], 4
	;; [unrolled: 1-line block ×4, first 2 shown]
	s_mul_hi_i32 s52, s24, 12
	s_mul_i32 s53, s24, 12
	s_branch .LBB39_9
.LBB39_8:                               ;   in Loop: Header=BB39_9 Depth=1
	s_or_b32 exec_lo, exec_lo, s8
	v_add_co_u32 v24, vcc_lo, v24, s36
	v_add_co_ci_u32_e64 v25, null, s37, v25, vcc_lo
	s_add_i32 s7, s7, 4
	s_cmp_ge_i32 s7, s48
	s_cbranch_scc1 .LBB39_56
.LBB39_9:                               ; =>This Loop Header: Depth=1
                                        ;     Child Loop BB39_40 Depth 2
                                        ;     Child Loop BB39_43 Depth 2
                                        ; implicit-def: $vgpr8
                                        ; implicit-def: $vgpr41
                                        ; implicit-def: $vgpr42
                                        ; implicit-def: $vgpr43
	s_and_saveexec_b32 s8, s2
	s_xor_b32 s8, exec_lo, s8
	s_cbranch_execnz .LBB39_36
; %bb.10:                               ;   in Loop: Header=BB39_9 Depth=1
	s_andn2_saveexec_b32 s54, s8
	s_cbranch_execnz .LBB39_37
.LBB39_11:                              ;   in Loop: Header=BB39_9 Depth=1
	s_or_b32 exec_lo, exec_lo, s54
	s_and_saveexec_b32 s8, s0
.LBB39_12:                              ;   in Loop: Header=BB39_9 Depth=1
	ds_write_b32 v39, v5
.LBB39_13:                              ;   in Loop: Header=BB39_9 Depth=1
	s_or_b32 exec_lo, exec_lo, s8
	ds_bpermute_b32 v6, v34, v43
	s_waitcnt lgkmcnt(0)
	s_waitcnt_vscnt null, 0x0
	s_barrier
	buffer_gl0_inv
	v_add_f32_e32 v6, v43, v6
	ds_bpermute_b32 v7, v35, v6
	s_waitcnt lgkmcnt(0)
	v_add_f32_e32 v6, v6, v7
	ds_bpermute_b32 v7, v36, v6
	s_waitcnt lgkmcnt(0)
	v_add_f32_e32 v6, v6, v7
	ds_bpermute_b32 v7, v37, v6
	s_waitcnt lgkmcnt(0)
	v_add_f32_e32 v6, v6, v7
	ds_bpermute_b32 v7, v38, v6
	s_and_saveexec_b32 s8, s4
	s_cbranch_execz .LBB39_15
; %bb.14:                               ;   in Loop: Header=BB39_9 Depth=1
	s_waitcnt lgkmcnt(0)
	v_add_f32_e32 v6, v6, v7
	ds_write_b32 v40, v6
.LBB39_15:                              ;   in Loop: Header=BB39_9 Depth=1
	s_or_b32 exec_lo, exec_lo, s8
	v_mov_b32_e32 v6, 0
	s_waitcnt lgkmcnt(0)
	s_barrier
	buffer_gl0_inv
	s_and_saveexec_b32 s8, s1
	s_cbranch_execnz .LBB39_44
; %bb.16:                               ;   in Loop: Header=BB39_9 Depth=1
	s_or_b32 exec_lo, exec_lo, s8
	s_and_saveexec_b32 s8, s0
	s_cbranch_execnz .LBB39_45
.LBB39_17:                              ;   in Loop: Header=BB39_9 Depth=1
	s_or_b32 exec_lo, exec_lo, s8
	s_and_saveexec_b32 s8, s0
.LBB39_18:                              ;   in Loop: Header=BB39_9 Depth=1
	ds_write_b32 v39, v5
.LBB39_19:                              ;   in Loop: Header=BB39_9 Depth=1
	s_or_b32 exec_lo, exec_lo, s8
	ds_bpermute_b32 v7, v34, v42
	s_waitcnt lgkmcnt(0)
	s_barrier
	buffer_gl0_inv
	v_add_f32_e32 v7, v42, v7
	ds_bpermute_b32 v42, v35, v7
	s_waitcnt lgkmcnt(0)
	v_add_f32_e32 v7, v7, v42
	ds_bpermute_b32 v42, v36, v7
	s_waitcnt lgkmcnt(0)
	;; [unrolled: 3-line block ×3, first 2 shown]
	v_add_f32_e32 v7, v7, v42
	ds_bpermute_b32 v42, v38, v7
	s_and_saveexec_b32 s8, s4
	s_cbranch_execz .LBB39_21
; %bb.20:                               ;   in Loop: Header=BB39_9 Depth=1
	s_waitcnt lgkmcnt(0)
	v_add_f32_e32 v7, v7, v42
	ds_write_b32 v40, v7
.LBB39_21:                              ;   in Loop: Header=BB39_9 Depth=1
	s_or_b32 exec_lo, exec_lo, s8
	v_mov_b32_e32 v7, 0
	s_waitcnt lgkmcnt(0)
	s_barrier
	buffer_gl0_inv
	s_and_saveexec_b32 s8, s1
	s_cbranch_execnz .LBB39_46
; %bb.22:                               ;   in Loop: Header=BB39_9 Depth=1
	s_or_b32 exec_lo, exec_lo, s8
	s_and_saveexec_b32 s8, s0
	s_cbranch_execnz .LBB39_47
.LBB39_23:                              ;   in Loop: Header=BB39_9 Depth=1
	s_or_b32 exec_lo, exec_lo, s8
	s_and_saveexec_b32 s8, s0
.LBB39_24:                              ;   in Loop: Header=BB39_9 Depth=1
	ds_write_b32 v39, v5
.LBB39_25:                              ;   in Loop: Header=BB39_9 Depth=1
	s_or_b32 exec_lo, exec_lo, s8
	ds_bpermute_b32 v42, v34, v41
	s_waitcnt lgkmcnt(0)
	s_barrier
	buffer_gl0_inv
	v_add_f32_e32 v41, v41, v42
	ds_bpermute_b32 v42, v35, v41
	s_waitcnt lgkmcnt(0)
	v_add_f32_e32 v41, v41, v42
	ds_bpermute_b32 v42, v36, v41
	s_waitcnt lgkmcnt(0)
	;; [unrolled: 3-line block ×3, first 2 shown]
	v_add_f32_e32 v41, v41, v42
	ds_bpermute_b32 v42, v38, v41
	s_and_saveexec_b32 s8, s4
	s_cbranch_execz .LBB39_27
; %bb.26:                               ;   in Loop: Header=BB39_9 Depth=1
	s_waitcnt lgkmcnt(0)
	v_add_f32_e32 v41, v41, v42
	ds_write_b32 v40, v41
.LBB39_27:                              ;   in Loop: Header=BB39_9 Depth=1
	s_or_b32 exec_lo, exec_lo, s8
	v_mov_b32_e32 v41, 0
	s_waitcnt lgkmcnt(0)
	s_barrier
	buffer_gl0_inv
	s_and_saveexec_b32 s8, s1
	s_cbranch_execnz .LBB39_48
; %bb.28:                               ;   in Loop: Header=BB39_9 Depth=1
	s_or_b32 exec_lo, exec_lo, s8
	s_and_saveexec_b32 s8, s0
	s_cbranch_execnz .LBB39_49
.LBB39_29:                              ;   in Loop: Header=BB39_9 Depth=1
	s_or_b32 exec_lo, exec_lo, s8
	s_and_saveexec_b32 s8, s0
.LBB39_30:                              ;   in Loop: Header=BB39_9 Depth=1
	ds_write_b32 v39, v5
.LBB39_31:                              ;   in Loop: Header=BB39_9 Depth=1
	s_or_b32 exec_lo, exec_lo, s8
	ds_bpermute_b32 v42, v34, v8
	s_waitcnt lgkmcnt(0)
	s_barrier
	buffer_gl0_inv
	v_add_f32_e32 v8, v8, v42
	ds_bpermute_b32 v42, v35, v8
	s_waitcnt lgkmcnt(0)
	v_add_f32_e32 v8, v8, v42
	ds_bpermute_b32 v42, v36, v8
	s_waitcnt lgkmcnt(0)
	;; [unrolled: 3-line block ×3, first 2 shown]
	v_add_f32_e32 v8, v8, v42
	ds_bpermute_b32 v42, v38, v8
	s_and_saveexec_b32 s8, s4
	s_cbranch_execz .LBB39_33
; %bb.32:                               ;   in Loop: Header=BB39_9 Depth=1
	s_waitcnt lgkmcnt(0)
	v_add_f32_e32 v8, v8, v42
	ds_write_b32 v40, v8
.LBB39_33:                              ;   in Loop: Header=BB39_9 Depth=1
	s_or_b32 exec_lo, exec_lo, s8
	v_mov_b32_e32 v8, 0
	s_waitcnt lgkmcnt(0)
	s_barrier
	buffer_gl0_inv
	s_and_saveexec_b32 s8, s1
	s_cbranch_execnz .LBB39_50
; %bb.34:                               ;   in Loop: Header=BB39_9 Depth=1
	s_or_b32 exec_lo, exec_lo, s8
	s_and_saveexec_b32 s8, s0
	s_cbranch_execnz .LBB39_51
.LBB39_35:                              ;   in Loop: Header=BB39_9 Depth=1
	s_or_b32 exec_lo, exec_lo, s8
	s_and_saveexec_b32 s8, s5
	s_cbranch_execz .LBB39_8
	s_branch .LBB39_52
.LBB39_36:                              ;   in Loop: Header=BB39_9 Depth=1
	s_mul_i32 s9, s7, s25
	s_mul_hi_u32 s10, s7, s24
	s_add_i32 s11, s10, s9
	s_mul_i32 s10, s7, s24
	s_or_b32 s9, s7, 1
	s_lshl_b64 s[10:11], s[10:11], 2
	s_mul_i32 s42, s9, s25
	s_mul_hi_u32 s43, s9, s24
	v_add_co_u32 v2, vcc_lo, v9, s10
	v_add_co_ci_u32_e64 v3, null, s11, v10, vcc_lo
	s_add_i32 s11, s43, s42
	s_mul_i32 s10, s9, s24
	s_or_b32 s9, s7, 2
	s_lshl_b64 s[10:11], s[10:11], 2
	s_mul_i32 s42, s9, s25
	s_mul_hi_u32 s43, s9, s24
	v_add_co_u32 v6, vcc_lo, v9, s10
	v_add_co_ci_u32_e64 v7, null, s11, v10, vcc_lo
	s_add_i32 s11, s43, s42
	s_or_b32 s42, s7, 3
	s_mul_i32 s10, s9, s24
	s_mul_i32 s9, s42, s25
	s_mul_hi_u32 s43, s42, s24
	s_lshl_b64 s[10:11], s[10:11], 2
	s_add_i32 s43, s43, s9
	s_mul_i32 s42, s42, s24
	v_add_co_u32 v41, vcc_lo, v9, s10
	v_add_co_ci_u32_e64 v42, null, s11, v10, vcc_lo
	s_lshl_b64 s[10:11], s[42:43], 2
	v_add_co_u32 v55, vcc_lo, v9, s10
	v_add_co_ci_u32_e64 v56, null, s11, v10, vcc_lo
	global_load_dword v1, v[14:15], off
	s_clause 0x3
	global_load_dwordx4 v[43:46], v[2:3], off
	global_load_dwordx4 v[47:50], v[6:7], off
	;; [unrolled: 1-line block ×4, first 2 shown]
	s_clause 0x2
	global_load_dword v2, v[16:17], off
	global_load_dword v3, v[18:19], off
	global_load_dword v4, v[20:21], off
	s_waitcnt vmcnt(6)
	v_fma_f32 v43, v1, v43, 0
	s_waitcnt vmcnt(5)
	v_fma_f32 v42, v1, v47, 0
	;; [unrolled: 2-line block ×3, first 2 shown]
	s_waitcnt vmcnt(3) lgkmcnt(0)
	v_fma_f32 v8, v1, v55, 0
	s_waitcnt vmcnt(2)
	v_fmac_f32_e32 v43, v2, v44
	v_fmac_f32_e32 v42, v2, v48
	v_fmac_f32_e32 v41, v2, v52
	v_fmac_f32_e32 v8, v2, v56
	s_waitcnt vmcnt(1)
	v_fmac_f32_e32 v43, v3, v45
	v_fmac_f32_e32 v42, v3, v49
	v_fmac_f32_e32 v41, v3, v53
	v_fmac_f32_e32 v8, v3, v57
	;; [unrolled: 5-line block ×3, first 2 shown]
	s_andn2_saveexec_b32 s54, s8
	s_cbranch_execz .LBB39_11
.LBB39_37:                              ;   in Loop: Header=BB39_9 Depth=1
	s_waitcnt lgkmcnt(0)
	v_mov_b32_e32 v8, 0
	v_mov_b32_e32 v41, 0
	;; [unrolled: 1-line block ×4, first 2 shown]
	s_and_saveexec_b32 s55, s3
	s_cbranch_execz .LBB39_54
; %bb.38:                               ;   in Loop: Header=BB39_9 Depth=1
	s_andn2_b32 vcc_lo, exec_lo, s49
	s_cbranch_vccnz .LBB39_41
; %bb.39:                               ;   in Loop: Header=BB39_9 Depth=1
	v_mov_b32_e32 v6, v22
	v_mov_b32_e32 v7, v23
	s_mov_b64 s[42:43], 0
	.p2align	6
.LBB39_40:                              ;   Parent Loop BB39_9 Depth=1
                                        ; =>  This Inner Loop Header: Depth=2
	global_load_dword v8, v[6:7], off
	s_cmp_eq_u32 s42, 3
	v_add_co_u32 v6, vcc_lo, v6, s34
	v_add_co_ci_u32_e64 v7, null, s35, v7, vcc_lo
	s_cselect_b32 vcc_lo, -1, 0
	s_cmp_eq_u32 s42, 2
	s_cselect_b32 s8, -1, 0
	s_cmp_eq_u32 s42, 1
	s_cselect_b32 s9, -1, 0
	;; [unrolled: 2-line block ×3, first 2 shown]
	s_add_u32 s42, s42, 1
	s_addc_u32 s43, s43, 0
	s_cmp_eq_u32 s23, s42
	s_waitcnt vmcnt(0)
	v_cndmask_b32_e32 v4, v4, v8, vcc_lo
	v_cndmask_b32_e64 v3, v3, v8, s8
	v_cndmask_b32_e64 v2, v2, v8, s9
	;; [unrolled: 1-line block ×3, first 2 shown]
	s_cbranch_scc0 .LBB39_40
.LBB39_41:                              ;   in Loop: Header=BB39_9 Depth=1
	s_andn2_b32 vcc_lo, exec_lo, s49
	s_cbranch_vccnz .LBB39_53
; %bb.42:                               ;   in Loop: Header=BB39_9 Depth=1
	v_mov_b32_e32 v6, v24
	v_mov_b32_e32 v43, 0
	;; [unrolled: 1-line block ×6, first 2 shown]
	s_mov_b64 s[10:11], 0
	s_inst_prefetch 0x1
	.p2align	6
.LBB39_43:                              ;   Parent Loop BB39_9 Depth=1
                                        ; =>  This Inner Loop Header: Depth=2
	v_add_co_u32 v44, vcc_lo, v6, s38
	v_add_co_ci_u32_e64 v45, null, s39, v7, vcc_lo
	v_add_co_u32 v46, vcc_lo, v6, s40
	v_add_co_ci_u32_e64 v47, null, s41, v7, vcc_lo
	;; [unrolled: 2-line block ×3, first 2 shown]
	s_clause 0x3
	global_load_dword v50, v[6:7], off
	global_load_dword v44, v[44:45], off
	;; [unrolled: 1-line block ×4, first 2 shown]
	s_cmp_eq_u32 s10, 1
	v_add_co_u32 v6, s8, v6, 4
	s_cselect_b32 vcc_lo, -1, 0
	s_cmp_eq_u32 s10, 2
	v_cndmask_b32_e32 v47, v1, v2, vcc_lo
	s_cselect_b32 vcc_lo, -1, 0
	s_cmp_eq_u32 s10, 3
	v_add_co_ci_u32_e64 v7, null, 0, v7, s8
	v_cndmask_b32_e32 v47, v47, v3, vcc_lo
	s_cselect_b32 vcc_lo, -1, 0
	s_add_u32 s10, s10, 1
	s_addc_u32 s11, s11, 0
	s_cmp_lg_u32 s23, s10
	v_cndmask_b32_e32 v47, v47, v4, vcc_lo
	s_waitcnt vmcnt(3)
	v_fmac_f32_e32 v43, v47, v50
	s_waitcnt vmcnt(2)
	v_fmac_f32_e32 v42, v47, v44
	;; [unrolled: 2-line block ×4, first 2 shown]
	s_cbranch_scc1 .LBB39_43
	s_branch .LBB39_54
.LBB39_44:                              ;   in Loop: Header=BB39_9 Depth=1
	ds_read_b32 v6, v39
	s_or_b32 exec_lo, exec_lo, s8
	s_and_saveexec_b32 s8, s0
	s_cbranch_execz .LBB39_17
.LBB39_45:                              ;   in Loop: Header=BB39_9 Depth=1
	s_waitcnt lgkmcnt(0)
	ds_bpermute_b32 v7, v36, v6
	s_waitcnt lgkmcnt(0)
	v_add_f32_e32 v6, v6, v7
	ds_bpermute_b32 v7, v37, v6
	s_waitcnt lgkmcnt(0)
	v_add_f32_e32 v6, v6, v7
	ds_bpermute_b32 v7, v38, v6
	s_waitcnt lgkmcnt(0)
	v_add_f32_e32 v6, v6, v7
	s_or_b32 exec_lo, exec_lo, s8
	s_and_saveexec_b32 s8, s0
	s_cbranch_execnz .LBB39_18
	s_branch .LBB39_19
.LBB39_46:                              ;   in Loop: Header=BB39_9 Depth=1
	ds_read_b32 v7, v39
	s_or_b32 exec_lo, exec_lo, s8
	s_and_saveexec_b32 s8, s0
	s_cbranch_execz .LBB39_23
.LBB39_47:                              ;   in Loop: Header=BB39_9 Depth=1
	s_waitcnt lgkmcnt(0)
	ds_bpermute_b32 v42, v36, v7
	s_waitcnt lgkmcnt(0)
	v_add_f32_e32 v7, v7, v42
	ds_bpermute_b32 v42, v37, v7
	s_waitcnt lgkmcnt(0)
	v_add_f32_e32 v7, v7, v42
	;; [unrolled: 3-line block ×3, first 2 shown]
	s_or_b32 exec_lo, exec_lo, s8
	s_and_saveexec_b32 s8, s0
	s_cbranch_execnz .LBB39_24
	s_branch .LBB39_25
.LBB39_48:                              ;   in Loop: Header=BB39_9 Depth=1
	ds_read_b32 v41, v39
	s_or_b32 exec_lo, exec_lo, s8
	s_and_saveexec_b32 s8, s0
	s_cbranch_execz .LBB39_29
.LBB39_49:                              ;   in Loop: Header=BB39_9 Depth=1
	s_waitcnt lgkmcnt(0)
	ds_bpermute_b32 v42, v36, v41
	s_waitcnt lgkmcnt(0)
	v_add_f32_e32 v41, v41, v42
	ds_bpermute_b32 v42, v37, v41
	s_waitcnt lgkmcnt(0)
	v_add_f32_e32 v41, v41, v42
	;; [unrolled: 3-line block ×3, first 2 shown]
	s_or_b32 exec_lo, exec_lo, s8
	s_and_saveexec_b32 s8, s0
	s_cbranch_execnz .LBB39_30
	s_branch .LBB39_31
.LBB39_50:                              ;   in Loop: Header=BB39_9 Depth=1
	ds_read_b32 v8, v39
	s_or_b32 exec_lo, exec_lo, s8
	s_and_saveexec_b32 s8, s0
	s_cbranch_execz .LBB39_35
.LBB39_51:                              ;   in Loop: Header=BB39_9 Depth=1
	s_waitcnt lgkmcnt(0)
	ds_bpermute_b32 v42, v36, v8
	s_waitcnt lgkmcnt(0)
	v_add_f32_e32 v8, v8, v42
	ds_bpermute_b32 v42, v37, v8
	s_waitcnt lgkmcnt(0)
	v_add_f32_e32 v8, v8, v42
	;; [unrolled: 3-line block ×3, first 2 shown]
	s_or_b32 exec_lo, exec_lo, s8
	s_and_saveexec_b32 s8, s5
	s_cbranch_execz .LBB39_8
.LBB39_52:                              ;   in Loop: Header=BB39_9 Depth=1
	s_mul_hi_u32 s11, s7, s22
	s_mul_i32 s10, s7, s22
	v_mul_f32_e32 v6, s33, v6
	s_lshl_b64 s[10:11], s[10:11], 2
	v_mul_f32_e32 v7, s33, v7
	s_add_u32 s10, s50, s10
	s_addc_u32 s11, s51, s11
	s_or_b32 s9, s7, 1
	global_store_dword v5, v6, s[10:11]
	s_mul_hi_u32 s43, s9, s22
	s_mul_i32 s42, s9, s22
	v_mul_f32_e32 v6, s33, v41
	s_lshl_b64 s[42:43], s[42:43], 2
	s_waitcnt lgkmcnt(0)
	v_mul_f32_e32 v8, s33, v8
	s_add_u32 s42, s50, s42
	s_addc_u32 s43, s51, s43
	s_or_b32 s9, s7, 2
	global_store_dword v5, v7, s[42:43]
	s_mul_hi_u32 s55, s9, s22
	s_mul_i32 s54, s9, s22
	s_lshl_b64 s[54:55], s[54:55], 2
	s_add_u32 s10, s50, s54
	s_addc_u32 s11, s51, s55
	s_or_b32 s9, s7, 3
	s_mul_hi_u32 s55, s9, s22
	s_mul_i32 s54, s9, s22
	s_lshl_b64 s[54:55], s[54:55], 2
	s_add_u32 s42, s50, s54
	s_addc_u32 s43, s51, s55
	global_store_dword v5, v6, s[10:11]
	global_store_dword v5, v8, s[42:43]
	s_branch .LBB39_8
.LBB39_53:                              ;   in Loop: Header=BB39_9 Depth=1
	v_mov_b32_e32 v8, 0
	v_mov_b32_e32 v41, 0
	;; [unrolled: 1-line block ×4, first 2 shown]
.LBB39_54:                              ;   in Loop: Header=BB39_9 Depth=1
	s_inst_prefetch 0x2
	s_or_b32 exec_lo, exec_lo, s55
	s_or_b32 exec_lo, exec_lo, s54
	s_and_saveexec_b32 s8, s0
	s_cbranch_execnz .LBB39_12
	s_branch .LBB39_13
.LBB39_55:
	v_mov_b32_e32 v1, 0
	s_mov_b32 s7, 0
	v_mov_b32_e32 v2, v1
	v_mov_b32_e32 v3, v1
	;; [unrolled: 1-line block ×3, first 2 shown]
.LBB39_56:
	s_cmp_ge_i32 s7, s21
	s_cbranch_scc1 .LBB39_80
; %bb.57:
	v_cmp_gt_u32_e32 vcc_lo, 24, v29
	v_lshl_or_b32 v22, v29, 2, 64
	v_mad_i64_i32 v[15:16], null, s26, v27, 0
	s_cmp_gt_i32 s23, 0
	v_cndmask_b32_e64 v5, 0, 8, vcc_lo
	v_cmp_gt_u32_e32 vcc_lo, 28, v29
	s_mov_b32 s11, 0
	s_mov_b32 s10, s6
	v_cmp_ge_i32_e64 s0, s20, v32
	v_add_lshl_u32 v23, v5, v29, 2
	v_cndmask_b32_e64 v6, 0, 4, vcc_lo
	v_cmp_gt_u32_e32 vcc_lo, 30, v29
	v_cmp_ge_i32_e64 s1, s20, v33
	s_cselect_b32 s20, -1, 0
	s_lshl_b64 s[8:9], s[10:11], 2
	v_add_lshl_u32 v24, v6, v29, 2
	v_cndmask_b32_e64 v7, 0, 2, vcc_lo
	v_cmp_ne_u32_e32 vcc_lo, 31, v29
	v_mad_i64_i32 v[5:6], null, s26, v13, 0
	v_mad_i64_i32 v[13:14], null, s26, v28, 0
	s_waitcnt lgkmcnt(0)
	v_add_co_ci_u32_e64 v8, null, 0, v29, vcc_lo
	v_add_lshl_u32 v25, v7, v29, 2
	v_lshlrev_b64 v[15:16], 2, v[15:16]
	v_lshlrev_b64 v[17:18], 2, v[5:6]
	v_lshlrev_b32_e32 v29, 2, v8
	v_mad_i64_i32 v[7:8], null, s26, v30, 0
	v_lshlrev_b64 v[13:14], 2, v[13:14]
	s_add_u32 s10, s44, s8
	v_add_co_u32 v5, vcc_lo, s46, v17
	v_add_co_ci_u32_e64 v6, null, s47, v18, vcc_lo
	v_lshlrev_b64 v[7:8], 2, v[7:8]
	s_addc_u32 s34, s45, s9
	s_add_u32 s6, s18, s30
	s_addc_u32 s8, s19, s31
	s_mul_i32 s9, s25, s7
	s_mul_hi_u32 s18, s24, s7
	v_add_co_u32 v7, vcc_lo, s46, v7
	v_add_co_ci_u32_e64 v8, null, s47, v8, vcc_lo
	v_add_co_u32 v13, vcc_lo, s46, v13
	v_add_co_ci_u32_e64 v14, null, s47, v14, vcc_lo
	v_add_co_u32 v15, vcc_lo, s46, v15
	s_add_u32 s6, s6, s28
	s_addc_u32 s19, s8, s29
	s_add_i32 s9, s18, s9
	s_mul_i32 s8, s24, s7
	v_add_co_ci_u32_e64 v16, null, s47, v16, vcc_lo
	v_add_co_u32 v17, vcc_lo, s6, v17
	s_lshl_b64 s[8:9], s[8:9], 2
	v_add_co_ci_u32_e64 v18, null, s19, v18, vcc_lo
	s_lshl_b64 s[18:19], s[26:27], 2
	s_add_u32 s6, s16, s8
	s_addc_u32 s8, s17, s9
	s_add_u32 s6, s6, s14
	s_addc_u32 s8, s8, s15
	s_add_u32 s6, s12, s6
	s_addc_u32 s8, s13, s8
	v_add_co_u32 v11, vcc_lo, s6, v11
	v_cmp_gt_u32_e64 s2, 32, v0
	v_lshlrev_b32_e32 v21, 2, v26
	v_cmp_eq_u32_e64 s3, 0, v26
	v_and_b32_e32 v26, 28, v31
	v_cmp_gt_u32_e64 s4, 8, v0
	v_cmp_eq_u32_e64 s5, 0, v0
	v_add_co_ci_u32_e64 v12, null, s8, v12, vcc_lo
	v_mov_b32_e32 v0, 0
	s_lshl_b64 s[12:13], s[24:25], 2
	s_branch .LBB39_59
.LBB39_58:                              ;   in Loop: Header=BB39_59 Depth=1
	s_or_b32 exec_lo, exec_lo, s6
	v_add_co_u32 v11, vcc_lo, v11, s12
	v_add_co_ci_u32_e64 v12, null, s13, v12, vcc_lo
	s_add_i32 s7, s7, 1
	s_cmp_ge_i32 s7, s21
	s_cbranch_scc1 .LBB39_80
.LBB39_59:                              ; =>This Loop Header: Depth=1
                                        ;     Child Loop BB39_72 Depth 2
                                        ;     Child Loop BB39_75 Depth 2
	v_mov_b32_e32 v27, s11
	s_and_saveexec_b32 s6, s0
	s_xor_b32 s6, exec_lo, s6
	s_cbranch_execnz .LBB39_68
; %bb.60:                               ;   in Loop: Header=BB39_59 Depth=1
	s_andn2_saveexec_b32 s16, s6
	s_cbranch_execnz .LBB39_69
.LBB39_61:                              ;   in Loop: Header=BB39_59 Depth=1
	s_or_b32 exec_lo, exec_lo, s16
	s_and_saveexec_b32 s6, s2
.LBB39_62:                              ;   in Loop: Header=BB39_59 Depth=1
	ds_write_b32 v21, v0
.LBB39_63:                              ;   in Loop: Header=BB39_59 Depth=1
	s_or_b32 exec_lo, exec_lo, s6
	s_waitcnt lgkmcnt(0)
	ds_bpermute_b32 v19, v22, v27
	s_waitcnt lgkmcnt(0)
	s_waitcnt_vscnt null, 0x0
	s_barrier
	buffer_gl0_inv
	v_add_f32_e32 v19, v27, v19
	ds_bpermute_b32 v20, v23, v19
	s_waitcnt lgkmcnt(0)
	v_add_f32_e32 v19, v19, v20
	ds_bpermute_b32 v20, v24, v19
	s_waitcnt lgkmcnt(0)
	v_add_f32_e32 v19, v19, v20
	ds_bpermute_b32 v20, v25, v19
	s_waitcnt lgkmcnt(0)
	v_add_f32_e32 v19, v19, v20
	ds_bpermute_b32 v20, v29, v19
	s_and_saveexec_b32 s6, s3
	s_cbranch_execz .LBB39_65
; %bb.64:                               ;   in Loop: Header=BB39_59 Depth=1
	s_waitcnt lgkmcnt(0)
	v_add_f32_e32 v19, v19, v20
	ds_write_b32 v26, v19
.LBB39_65:                              ;   in Loop: Header=BB39_59 Depth=1
	s_or_b32 exec_lo, exec_lo, s6
	v_mov_b32_e32 v19, 0
	s_waitcnt lgkmcnt(0)
	s_barrier
	buffer_gl0_inv
	s_and_saveexec_b32 s6, s4
	s_cbranch_execnz .LBB39_77
; %bb.66:                               ;   in Loop: Header=BB39_59 Depth=1
	s_or_b32 exec_lo, exec_lo, s6
	s_and_saveexec_b32 s6, s2
	s_cbranch_execnz .LBB39_78
.LBB39_67:                              ;   in Loop: Header=BB39_59 Depth=1
	s_or_b32 exec_lo, exec_lo, s6
	s_and_saveexec_b32 s6, s5
	s_cbranch_execz .LBB39_58
	s_branch .LBB39_79
.LBB39_68:                              ;   in Loop: Header=BB39_59 Depth=1
	s_mul_i32 s9, s7, s25
	s_mul_hi_u32 s14, s7, s24
	s_mul_i32 s8, s7, s24
	s_add_i32 s9, s14, s9
	s_lshl_b64 s[8:9], s[8:9], 2
	v_add_co_u32 v1, vcc_lo, v9, s8
	v_add_co_ci_u32_e64 v2, null, s9, v10, vcc_lo
	global_load_dwordx4 v[30:33], v[1:2], off
	s_clause 0x3
	global_load_dword v1, v[5:6], off
	global_load_dword v2, v[7:8], off
	;; [unrolled: 1-line block ×4, first 2 shown]
	s_waitcnt vmcnt(3)
	v_fma_f32 v27, v1, v30, 0
	s_waitcnt vmcnt(2)
	v_fmac_f32_e32 v27, v2, v31
	s_waitcnt vmcnt(1)
	v_fmac_f32_e32 v27, v3, v32
	;; [unrolled: 2-line block ×3, first 2 shown]
	s_andn2_saveexec_b32 s16, s6
	s_cbranch_execz .LBB39_61
.LBB39_69:                              ;   in Loop: Header=BB39_59 Depth=1
	s_and_saveexec_b32 s17, s1
	s_cbranch_execz .LBB39_76
; %bb.70:                               ;   in Loop: Header=BB39_59 Depth=1
	s_andn2_b32 vcc_lo, exec_lo, s20
	s_cbranch_vccnz .LBB39_73
; %bb.71:                               ;   in Loop: Header=BB39_59 Depth=1
	s_waitcnt lgkmcnt(0)
	v_mov_b32_e32 v20, v18
	v_mov_b32_e32 v19, v17
	s_mov_b64 s[14:15], 0
	.p2align	6
.LBB39_72:                              ;   Parent Loop BB39_59 Depth=1
                                        ; =>  This Inner Loop Header: Depth=2
	global_load_dword v28, v[19:20], off
	s_cmp_eq_u32 s14, 3
	v_add_co_u32 v19, vcc_lo, v19, s18
	v_add_co_ci_u32_e64 v20, null, s19, v20, vcc_lo
	s_cselect_b32 vcc_lo, -1, 0
	s_cmp_eq_u32 s14, 2
	s_cselect_b32 s6, -1, 0
	s_cmp_eq_u32 s14, 1
	s_cselect_b32 s8, -1, 0
	;; [unrolled: 2-line block ×3, first 2 shown]
	s_add_u32 s14, s14, 1
	s_addc_u32 s15, s15, 0
	s_cmp_eq_u32 s23, s14
	s_waitcnt vmcnt(0)
	v_cndmask_b32_e32 v4, v4, v28, vcc_lo
	v_cndmask_b32_e64 v3, v3, v28, s6
	v_cndmask_b32_e64 v2, v2, v28, s8
	;; [unrolled: 1-line block ×3, first 2 shown]
	s_cbranch_scc0 .LBB39_72
.LBB39_73:                              ;   in Loop: Header=BB39_59 Depth=1
	s_andn2_b32 vcc_lo, exec_lo, s20
	s_cbranch_vccnz .LBB39_76
; %bb.74:                               ;   in Loop: Header=BB39_59 Depth=1
	s_waitcnt lgkmcnt(0)
	v_mov_b32_e32 v20, v12
	v_mov_b32_e32 v19, v11
	s_mov_b64 s[8:9], 0
	.p2align	6
.LBB39_75:                              ;   Parent Loop BB39_59 Depth=1
                                        ; =>  This Inner Loop Header: Depth=2
	global_load_dword v28, v[19:20], off
	s_cmp_eq_u32 s8, 1
	s_cselect_b32 vcc_lo, -1, 0
	s_cmp_eq_u32 s8, 2
	v_cndmask_b32_e32 v30, v1, v2, vcc_lo
	s_cselect_b32 vcc_lo, -1, 0
	s_cmp_eq_u32 s8, 3
	v_cndmask_b32_e32 v30, v30, v3, vcc_lo
	s_cselect_b32 vcc_lo, -1, 0
	s_add_u32 s8, s8, 1
	s_addc_u32 s9, s9, 0
	s_cmp_lg_u32 s23, s8
	v_cndmask_b32_e32 v30, v30, v4, vcc_lo
	v_add_co_u32 v19, vcc_lo, v19, 4
	v_add_co_ci_u32_e64 v20, null, 0, v20, vcc_lo
	s_waitcnt vmcnt(0)
	v_fmac_f32_e32 v27, v30, v28
	s_cbranch_scc1 .LBB39_75
.LBB39_76:                              ;   in Loop: Header=BB39_59 Depth=1
	s_or_b32 exec_lo, exec_lo, s17
	s_or_b32 exec_lo, exec_lo, s16
	s_and_saveexec_b32 s6, s2
	s_cbranch_execnz .LBB39_62
	s_branch .LBB39_63
.LBB39_77:                              ;   in Loop: Header=BB39_59 Depth=1
	ds_read_b32 v19, v21
	s_or_b32 exec_lo, exec_lo, s6
	s_and_saveexec_b32 s6, s2
	s_cbranch_execz .LBB39_67
.LBB39_78:                              ;   in Loop: Header=BB39_59 Depth=1
	s_waitcnt lgkmcnt(0)
	ds_bpermute_b32 v20, v24, v19
	s_waitcnt lgkmcnt(0)
	v_add_f32_e32 v19, v19, v20
	ds_bpermute_b32 v20, v25, v19
	s_waitcnt lgkmcnt(0)
	v_add_f32_e32 v19, v19, v20
	;; [unrolled: 3-line block ×3, first 2 shown]
	s_or_b32 exec_lo, exec_lo, s6
	s_and_saveexec_b32 s6, s5
	s_cbranch_execz .LBB39_58
.LBB39_79:                              ;   in Loop: Header=BB39_59 Depth=1
	s_mul_hi_u32 s9, s7, s22
	s_mul_i32 s8, s7, s22
	s_waitcnt lgkmcnt(0)
	v_mul_f32_e32 v19, s33, v19
	s_lshl_b64 s[8:9], s[8:9], 2
	s_add_u32 s8, s10, s8
	s_addc_u32 s9, s34, s9
	global_store_dword v0, v19, s[8:9]
	s_branch .LBB39_58
.LBB39_80:
	s_endpgm
	.section	.rodata,"a",@progbits
	.p2align	6, 0x0
	.amdhsa_kernel _ZL23rocblas_gemvt_sn_kernelILb1ELi256ELi4ElfPKffEviiT4_lPKT3_lilS5_lilPT5_i
		.amdhsa_group_segment_fixed_size 128
		.amdhsa_private_segment_fixed_size 0
		.amdhsa_kernarg_size 360
		.amdhsa_user_sgpr_count 6
		.amdhsa_user_sgpr_private_segment_buffer 1
		.amdhsa_user_sgpr_dispatch_ptr 0
		.amdhsa_user_sgpr_queue_ptr 0
		.amdhsa_user_sgpr_kernarg_segment_ptr 1
		.amdhsa_user_sgpr_dispatch_id 0
		.amdhsa_user_sgpr_flat_scratch_init 0
		.amdhsa_user_sgpr_private_segment_size 0
		.amdhsa_wavefront_size32 1
		.amdhsa_uses_dynamic_stack 0
		.amdhsa_system_sgpr_private_segment_wavefront_offset 0
		.amdhsa_system_sgpr_workgroup_id_x 1
		.amdhsa_system_sgpr_workgroup_id_y 0
		.amdhsa_system_sgpr_workgroup_id_z 1
		.amdhsa_system_sgpr_workgroup_info 0
		.amdhsa_system_vgpr_workitem_id 0
		.amdhsa_next_free_vgpr 59
		.amdhsa_next_free_sgpr 56
		.amdhsa_reserve_vcc 1
		.amdhsa_reserve_flat_scratch 0
		.amdhsa_float_round_mode_32 0
		.amdhsa_float_round_mode_16_64 0
		.amdhsa_float_denorm_mode_32 3
		.amdhsa_float_denorm_mode_16_64 3
		.amdhsa_dx10_clamp 1
		.amdhsa_ieee_mode 1
		.amdhsa_fp16_overflow 0
		.amdhsa_workgroup_processor_mode 1
		.amdhsa_memory_ordered 1
		.amdhsa_forward_progress 1
		.amdhsa_shared_vgpr_count 0
		.amdhsa_exception_fp_ieee_invalid_op 0
		.amdhsa_exception_fp_denorm_src 0
		.amdhsa_exception_fp_ieee_div_zero 0
		.amdhsa_exception_fp_ieee_overflow 0
		.amdhsa_exception_fp_ieee_underflow 0
		.amdhsa_exception_fp_ieee_inexact 0
		.amdhsa_exception_int_div_zero 0
	.end_amdhsa_kernel
	.section	.text._ZL23rocblas_gemvt_sn_kernelILb1ELi256ELi4ElfPKffEviiT4_lPKT3_lilS5_lilPT5_i,"axG",@progbits,_ZL23rocblas_gemvt_sn_kernelILb1ELi256ELi4ElfPKffEviiT4_lPKT3_lilS5_lilPT5_i,comdat
.Lfunc_end39:
	.size	_ZL23rocblas_gemvt_sn_kernelILb1ELi256ELi4ElfPKffEviiT4_lPKT3_lilS5_lilPT5_i, .Lfunc_end39-_ZL23rocblas_gemvt_sn_kernelILb1ELi256ELi4ElfPKffEviiT4_lPKT3_lilS5_lilPT5_i
                                        ; -- End function
	.set _ZL23rocblas_gemvt_sn_kernelILb1ELi256ELi4ElfPKffEviiT4_lPKT3_lilS5_lilPT5_i.num_vgpr, 59
	.set _ZL23rocblas_gemvt_sn_kernelILb1ELi256ELi4ElfPKffEviiT4_lPKT3_lilS5_lilPT5_i.num_agpr, 0
	.set _ZL23rocblas_gemvt_sn_kernelILb1ELi256ELi4ElfPKffEviiT4_lPKT3_lilS5_lilPT5_i.numbered_sgpr, 56
	.set _ZL23rocblas_gemvt_sn_kernelILb1ELi256ELi4ElfPKffEviiT4_lPKT3_lilS5_lilPT5_i.num_named_barrier, 0
	.set _ZL23rocblas_gemvt_sn_kernelILb1ELi256ELi4ElfPKffEviiT4_lPKT3_lilS5_lilPT5_i.private_seg_size, 0
	.set _ZL23rocblas_gemvt_sn_kernelILb1ELi256ELi4ElfPKffEviiT4_lPKT3_lilS5_lilPT5_i.uses_vcc, 1
	.set _ZL23rocblas_gemvt_sn_kernelILb1ELi256ELi4ElfPKffEviiT4_lPKT3_lilS5_lilPT5_i.uses_flat_scratch, 0
	.set _ZL23rocblas_gemvt_sn_kernelILb1ELi256ELi4ElfPKffEviiT4_lPKT3_lilS5_lilPT5_i.has_dyn_sized_stack, 0
	.set _ZL23rocblas_gemvt_sn_kernelILb1ELi256ELi4ElfPKffEviiT4_lPKT3_lilS5_lilPT5_i.has_recursion, 0
	.set _ZL23rocblas_gemvt_sn_kernelILb1ELi256ELi4ElfPKffEviiT4_lPKT3_lilS5_lilPT5_i.has_indirect_call, 0
	.section	.AMDGPU.csdata,"",@progbits
; Kernel info:
; codeLenInByte = 4200
; TotalNumSgprs: 58
; NumVgprs: 59
; ScratchSize: 0
; MemoryBound: 0
; FloatMode: 240
; IeeeMode: 1
; LDSByteSize: 128 bytes/workgroup (compile time only)
; SGPRBlocks: 0
; VGPRBlocks: 7
; NumSGPRsForWavesPerEU: 58
; NumVGPRsForWavesPerEU: 59
; Occupancy: 16
; WaveLimiterHint : 1
; COMPUTE_PGM_RSRC2:SCRATCH_EN: 0
; COMPUTE_PGM_RSRC2:USER_SGPR: 6
; COMPUTE_PGM_RSRC2:TRAP_HANDLER: 0
; COMPUTE_PGM_RSRC2:TGID_X_EN: 1
; COMPUTE_PGM_RSRC2:TGID_Y_EN: 0
; COMPUTE_PGM_RSRC2:TGID_Z_EN: 1
; COMPUTE_PGM_RSRC2:TIDIG_COMP_CNT: 0
	.section	.text._ZL23rocblas_gemvt_sn_kernelILb1ELi256ELi4EifffEviiT4_lPKT3_lilS3_lilPT5_i,"axG",@progbits,_ZL23rocblas_gemvt_sn_kernelILb1ELi256ELi4EifffEviiT4_lPKT3_lilS3_lilPT5_i,comdat
	.globl	_ZL23rocblas_gemvt_sn_kernelILb1ELi256ELi4EifffEviiT4_lPKT3_lilS3_lilPT5_i ; -- Begin function _ZL23rocblas_gemvt_sn_kernelILb1ELi256ELi4EifffEviiT4_lPKT3_lilS3_lilPT5_i
	.p2align	8
	.type	_ZL23rocblas_gemvt_sn_kernelILb1ELi256ELi4EifffEviiT4_lPKT3_lilS3_lilPT5_i,@function
_ZL23rocblas_gemvt_sn_kernelILb1ELi256ELi4EifffEviiT4_lPKT3_lilS3_lilPT5_i: ; @_ZL23rocblas_gemvt_sn_kernelILb1ELi256ELi4EifffEviiT4_lPKT3_lilS3_lilPT5_i
; %bb.0:
	s_clause 0x2
	s_load_dwordx4 s[12:15], s[4:5], 0x0
	s_load_dword s20, s[4:5], 0x68
	s_load_dwordx4 s[8:11], s[4:5], 0x50
	s_mov_b32 s21, 0
	s_waitcnt lgkmcnt(0)
	s_ashr_i32 s24, s13, 31
	s_mul_hi_u32 s0, s13, s7
	s_mul_i32 s1, s24, s7
	s_mul_i32 s2, s13, s7
	s_add_i32 s0, s0, s1
	s_mul_hi_u32 s1, s2, s20
	s_mul_i32 s3, s0, s20
	s_mul_i32 s0, s2, s20
	s_add_i32 s1, s1, s3
	v_cmp_neq_f32_e64 s2, s14, 0
	s_lshl_b64 s[0:1], s[0:1], 2
	s_add_u32 s38, s10, s0
	v_cmp_eq_u32_e64 s0, 0, v0
	s_addc_u32 s37, s11, s1
	s_and_b32 vcc_lo, exec_lo, s2
	s_cbranch_vccnz .LBB40_5
; %bb.1:
	s_cmp_gt_i32 s13, 0
	s_cselect_b32 s1, -1, 0
	s_and_b32 s0, s0, s1
	s_and_saveexec_b32 s10, s0
	s_cbranch_execz .LBB40_4
; %bb.2:
	s_mov_b32 s0, s7
	s_mov_b32 s7, 0
	v_mov_b32_e32 v1, 0
	s_lshl_b64 s[2:3], s[6:7], 2
	s_mov_b32 s7, s0
	s_add_u32 s0, s38, s2
	s_addc_u32 s1, s37, s3
	s_lshl_b64 s[2:3], s[20:21], 2
	s_mov_b32 s11, s13
.LBB40_3:                               ; =>This Inner Loop Header: Depth=1
	s_add_i32 s11, s11, -1
	global_store_dword v1, v1, s[0:1]
	s_add_u32 s0, s0, s2
	s_addc_u32 s1, s1, s3
	s_cmp_eq_u32 s11, 0
	s_cbranch_scc0 .LBB40_3
.LBB40_4:
	s_or_b32 exec_lo, exec_lo, s10
	s_cbranch_execz .LBB40_6
	s_branch .LBB40_80
.LBB40_5:
.LBB40_6:
	s_clause 0x2
	s_load_dwordx4 s[0:3], s[4:5], 0x30
	s_load_dwordx2 s[22:23], s[4:5], 0x40
	s_load_dwordx4 s[16:19], s[4:5], 0x18
	s_mul_i32 s9, s9, s7
	s_mul_hi_u32 s10, s8, s7
	s_mul_i32 s8, s8, s7
	s_add_i32 s9, s10, s9
	s_clause 0x1
	s_load_dword s10, s[4:5], 0x28
	s_load_dword s33, s[4:5], 0x48
	s_lshl_b64 s[8:9], s[8:9], 2
	v_and_b32_e32 v10, 31, v0
	v_mbcnt_lo_u32_b32 v24, -1, 0
	v_lshrrev_b32_e32 v25, 3, v0
	s_waitcnt lgkmcnt(0)
	s_add_u32 s8, s2, s8
	s_addc_u32 s9, s3, s9
	s_lshl_b64 s[2:3], s[22:23], 2
	s_mul_i32 s1, s1, s7
	s_mul_hi_u32 s11, s0, s7
	s_add_u32 s15, s8, s2
	s_mul_i32 s0, s0, s7
	s_addc_u32 s21, s9, s3
	s_add_i32 s1, s11, s1
	s_lshl_b64 s[22:23], s[0:1], 2
	v_cmp_gt_u32_e64 s0, 32, v0
	s_add_u32 s1, s16, s22
	s_addc_u32 s2, s17, s23
	s_lshl_b64 s[18:19], s[18:19], 2
	s_add_u32 s3, s1, s18
	s_addc_u32 s2, s2, s19
	s_lshl_b32 s1, s6, 10
	s_ashr_i32 s4, s12, 31
	v_lshl_or_b32 v1, v0, 2, s1
	s_lshr_b32 s4, s4, 30
	s_lshr_b32 s5, s24, 30
	s_add_i32 s4, s12, s4
	s_add_i32 s5, s13, s5
	v_ashrrev_i32_e32 v2, 31, v1
	s_and_b32 s4, s4, -4
	v_mul_lo_u32 v9, s33, v1
	s_sub_i32 s36, s12, s4
	v_cmp_gt_u32_e64 s1, 8, v0
	v_lshlrev_b64 v[11:12], 2, v[1:2]
	v_add_nc_u32_e32 v26, 4, v1
	v_add_nc_u32_e32 v27, s36, v1
	s_and_b32 s39, s5, -4
	s_cmp_lt_i32 s39, 1
	v_add_co_u32 v22, vcc_lo, s3, v11
	v_add_co_ci_u32_e64 v23, null, s2, v12, vcc_lo
	s_cbranch_scc1 .LBB40_55
; %bb.7:
	v_cmp_gt_u32_e32 vcc_lo, 24, v24
	v_mul_lo_u32 v13, s33, v1
	s_cmp_gt_i32 s36, 0
	s_mov_b32 s25, 0
	s_cselect_b32 s40, -1, 0
	v_cndmask_b32_e64 v2, 0, 8, vcc_lo
	v_cmp_gt_u32_e32 vcc_lo, 28, v24
	s_lshl_b32 s41, s10, 2
	s_lshl_b32 s24, s10, 1
	v_ashrrev_i32_e32 v14, 31, v13
	v_add_lshl_u32 v29, v2, v24, 2
	v_cndmask_b32_e64 v3, 0, 4, vcc_lo
	v_cmp_gt_u32_e32 vcc_lo, 30, v24
	s_add_u32 s7, s22, s18
	v_lshlrev_b64 v[5:6], 2, v[13:14]
	s_addc_u32 s8, s23, s19
	v_add_lshl_u32 v30, v3, v24, 2
	v_cndmask_b32_e64 v1, 0, 2, vcc_lo
	v_cmp_ne_u32_e32 vcc_lo, 31, v24
	s_add_u32 s7, s16, s7
	s_addc_u32 s8, s17, s8
	v_cmp_ge_i32_e64 s2, s12, v26
	v_add_lshl_u32 v31, v1, v24, 2
	v_add_nc_u32_e32 v1, s33, v13
	v_add_co_ci_u32_e64 v4, null, 0, v24, vcc_lo
	v_add_co_u32 v14, vcc_lo, s15, v5
	v_add_nc_u32_e32 v3, s33, v1
	v_ashrrev_i32_e32 v2, 31, v1
	v_lshlrev_b32_e32 v32, 2, v4
	v_add_co_ci_u32_e64 v15, null, s21, v6, vcc_lo
	v_add_nc_u32_e32 v7, s33, v3
	v_lshlrev_b64 v[1:2], 2, v[1:2]
	v_ashrrev_i32_e32 v4, 31, v3
	v_mov_b32_e32 v5, 0
	v_cmp_ge_i32_e64 s3, s12, v27
	v_ashrrev_i32_e32 v8, 31, v7
	v_lshl_or_b32 v28, v24, 2, 64
	v_lshlrev_b64 v[3:4], 2, v[3:4]
	v_add_co_u32 v16, vcc_lo, s15, v1
	v_add_co_ci_u32_e64 v17, null, s21, v2, vcc_lo
	v_lshlrev_b64 v[1:2], 2, v[7:8]
	v_add_co_u32 v18, vcc_lo, s15, v3
	v_mov_b32_e32 v6, v5
	v_mov_b32_e32 v7, v5
	;; [unrolled: 1-line block ×3, first 2 shown]
	v_add_co_ci_u32_e64 v19, null, s21, v4, vcc_lo
	v_add_co_u32 v20, vcc_lo, s15, v1
	v_add_co_ci_u32_e64 v21, null, s21, v2, vcc_lo
	v_add_co_u32 v35, vcc_lo, s7, v11
	v_mov_b32_e32 v1, v5
	v_cmp_eq_u32_e64 s4, 0, v10
	v_lshlrev_b32_e32 v33, 2, v10
	v_and_b32_e32 v34, 28, v25
	v_cmp_eq_u32_e64 s5, 0, v0
	v_add_co_ci_u32_e64 v36, null, s8, v12, vcc_lo
	v_mov_b32_e32 v2, v6
	v_mov_b32_e32 v3, v7
	;; [unrolled: 1-line block ×3, first 2 shown]
	s_mov_b32 s11, s25
	s_mul_i32 s42, s10, 3
	s_mov_b32 s43, s25
	s_mov_b32 s26, s25
	s_mov_b64 s[28:29], s[24:25]
	s_mov_b64 s[30:31], s[10:11]
	s_mov_b32 s11, 0
	s_branch .LBB40_9
.LBB40_8:                               ;   in Loop: Header=BB40_9 Depth=1
	s_or_b32 exec_lo, exec_lo, s7
	s_add_i32 s11, s11, 4
	s_add_u32 s30, s30, s41
	s_addc_u32 s31, s31, 0
	s_add_u32 s28, s28, s41
	s_addc_u32 s29, s29, 0
	;; [unrolled: 2-line block ×3, first 2 shown]
	s_add_i32 s26, s26, s41
	s_cmp_ge_i32 s11, s39
	s_cbranch_scc1 .LBB40_56
.LBB40_9:                               ; =>This Loop Header: Depth=1
                                        ;     Child Loop BB40_40 Depth 2
                                        ;     Child Loop BB40_43 Depth 2
                                        ; implicit-def: $vgpr8
                                        ; implicit-def: $vgpr37
                                        ; implicit-def: $vgpr38
                                        ; implicit-def: $vgpr39
	s_and_saveexec_b32 s7, s2
	s_xor_b32 s7, exec_lo, s7
	s_cbranch_execnz .LBB40_36
; %bb.10:                               ;   in Loop: Header=BB40_9 Depth=1
	s_andn2_saveexec_b32 s24, s7
	s_cbranch_execnz .LBB40_37
.LBB40_11:                              ;   in Loop: Header=BB40_9 Depth=1
	s_or_b32 exec_lo, exec_lo, s24
	s_and_saveexec_b32 s7, s0
.LBB40_12:                              ;   in Loop: Header=BB40_9 Depth=1
	ds_write_b32 v33, v5
.LBB40_13:                              ;   in Loop: Header=BB40_9 Depth=1
	s_or_b32 exec_lo, exec_lo, s7
	ds_bpermute_b32 v6, v28, v39
	s_waitcnt lgkmcnt(0)
	s_waitcnt_vscnt null, 0x0
	s_barrier
	buffer_gl0_inv
	v_add_f32_e32 v6, v39, v6
	ds_bpermute_b32 v7, v29, v6
	s_waitcnt lgkmcnt(0)
	v_add_f32_e32 v6, v6, v7
	ds_bpermute_b32 v7, v30, v6
	s_waitcnt lgkmcnt(0)
	;; [unrolled: 3-line block ×3, first 2 shown]
	v_add_f32_e32 v6, v6, v7
	ds_bpermute_b32 v7, v32, v6
	s_and_saveexec_b32 s7, s4
	s_cbranch_execz .LBB40_15
; %bb.14:                               ;   in Loop: Header=BB40_9 Depth=1
	s_waitcnt lgkmcnt(0)
	v_add_f32_e32 v6, v6, v7
	ds_write_b32 v34, v6
.LBB40_15:                              ;   in Loop: Header=BB40_9 Depth=1
	s_or_b32 exec_lo, exec_lo, s7
	v_mov_b32_e32 v6, 0
	s_waitcnt lgkmcnt(0)
	s_barrier
	buffer_gl0_inv
	s_and_saveexec_b32 s7, s1
	s_cbranch_execnz .LBB40_44
; %bb.16:                               ;   in Loop: Header=BB40_9 Depth=1
	s_or_b32 exec_lo, exec_lo, s7
	s_and_saveexec_b32 s7, s0
	s_cbranch_execnz .LBB40_45
.LBB40_17:                              ;   in Loop: Header=BB40_9 Depth=1
	s_or_b32 exec_lo, exec_lo, s7
	s_and_saveexec_b32 s7, s0
.LBB40_18:                              ;   in Loop: Header=BB40_9 Depth=1
	ds_write_b32 v33, v5
.LBB40_19:                              ;   in Loop: Header=BB40_9 Depth=1
	s_or_b32 exec_lo, exec_lo, s7
	ds_bpermute_b32 v7, v28, v38
	s_waitcnt lgkmcnt(0)
	s_barrier
	buffer_gl0_inv
	v_add_f32_e32 v7, v38, v7
	ds_bpermute_b32 v38, v29, v7
	s_waitcnt lgkmcnt(0)
	v_add_f32_e32 v7, v7, v38
	ds_bpermute_b32 v38, v30, v7
	s_waitcnt lgkmcnt(0)
	;; [unrolled: 3-line block ×3, first 2 shown]
	v_add_f32_e32 v7, v7, v38
	ds_bpermute_b32 v38, v32, v7
	s_and_saveexec_b32 s7, s4
	s_cbranch_execz .LBB40_21
; %bb.20:                               ;   in Loop: Header=BB40_9 Depth=1
	s_waitcnt lgkmcnt(0)
	v_add_f32_e32 v7, v7, v38
	ds_write_b32 v34, v7
.LBB40_21:                              ;   in Loop: Header=BB40_9 Depth=1
	s_or_b32 exec_lo, exec_lo, s7
	v_mov_b32_e32 v7, 0
	s_waitcnt lgkmcnt(0)
	s_barrier
	buffer_gl0_inv
	s_and_saveexec_b32 s7, s1
	s_cbranch_execnz .LBB40_46
; %bb.22:                               ;   in Loop: Header=BB40_9 Depth=1
	s_or_b32 exec_lo, exec_lo, s7
	s_and_saveexec_b32 s7, s0
	s_cbranch_execnz .LBB40_47
.LBB40_23:                              ;   in Loop: Header=BB40_9 Depth=1
	s_or_b32 exec_lo, exec_lo, s7
	s_and_saveexec_b32 s7, s0
.LBB40_24:                              ;   in Loop: Header=BB40_9 Depth=1
	ds_write_b32 v33, v5
.LBB40_25:                              ;   in Loop: Header=BB40_9 Depth=1
	s_or_b32 exec_lo, exec_lo, s7
	ds_bpermute_b32 v38, v28, v37
	s_waitcnt lgkmcnt(0)
	s_barrier
	buffer_gl0_inv
	v_add_f32_e32 v37, v37, v38
	ds_bpermute_b32 v38, v29, v37
	s_waitcnt lgkmcnt(0)
	v_add_f32_e32 v37, v37, v38
	ds_bpermute_b32 v38, v30, v37
	s_waitcnt lgkmcnt(0)
	;; [unrolled: 3-line block ×3, first 2 shown]
	v_add_f32_e32 v37, v37, v38
	ds_bpermute_b32 v38, v32, v37
	s_and_saveexec_b32 s7, s4
	s_cbranch_execz .LBB40_27
; %bb.26:                               ;   in Loop: Header=BB40_9 Depth=1
	s_waitcnt lgkmcnt(0)
	v_add_f32_e32 v37, v37, v38
	ds_write_b32 v34, v37
.LBB40_27:                              ;   in Loop: Header=BB40_9 Depth=1
	s_or_b32 exec_lo, exec_lo, s7
	v_mov_b32_e32 v37, 0
	s_waitcnt lgkmcnt(0)
	s_barrier
	buffer_gl0_inv
	s_and_saveexec_b32 s7, s1
	s_cbranch_execnz .LBB40_48
; %bb.28:                               ;   in Loop: Header=BB40_9 Depth=1
	s_or_b32 exec_lo, exec_lo, s7
	s_and_saveexec_b32 s7, s0
	s_cbranch_execnz .LBB40_49
.LBB40_29:                              ;   in Loop: Header=BB40_9 Depth=1
	s_or_b32 exec_lo, exec_lo, s7
	s_and_saveexec_b32 s7, s0
.LBB40_30:                              ;   in Loop: Header=BB40_9 Depth=1
	ds_write_b32 v33, v5
.LBB40_31:                              ;   in Loop: Header=BB40_9 Depth=1
	s_or_b32 exec_lo, exec_lo, s7
	ds_bpermute_b32 v38, v28, v8
	s_waitcnt lgkmcnt(0)
	s_barrier
	buffer_gl0_inv
	v_add_f32_e32 v8, v8, v38
	ds_bpermute_b32 v38, v29, v8
	s_waitcnt lgkmcnt(0)
	v_add_f32_e32 v8, v8, v38
	ds_bpermute_b32 v38, v30, v8
	s_waitcnt lgkmcnt(0)
	;; [unrolled: 3-line block ×3, first 2 shown]
	v_add_f32_e32 v8, v8, v38
	ds_bpermute_b32 v38, v32, v8
	s_and_saveexec_b32 s7, s4
	s_cbranch_execz .LBB40_33
; %bb.32:                               ;   in Loop: Header=BB40_9 Depth=1
	s_waitcnt lgkmcnt(0)
	v_add_f32_e32 v8, v8, v38
	ds_write_b32 v34, v8
.LBB40_33:                              ;   in Loop: Header=BB40_9 Depth=1
	s_or_b32 exec_lo, exec_lo, s7
	v_mov_b32_e32 v8, 0
	s_waitcnt lgkmcnt(0)
	s_barrier
	buffer_gl0_inv
	s_and_saveexec_b32 s7, s1
	s_cbranch_execnz .LBB40_50
; %bb.34:                               ;   in Loop: Header=BB40_9 Depth=1
	s_or_b32 exec_lo, exec_lo, s7
	s_and_saveexec_b32 s7, s0
	s_cbranch_execnz .LBB40_51
.LBB40_35:                              ;   in Loop: Header=BB40_9 Depth=1
	s_or_b32 exec_lo, exec_lo, s7
	s_and_saveexec_b32 s7, s5
	s_cbranch_execz .LBB40_8
	s_branch .LBB40_52
.LBB40_36:                              ;   in Loop: Header=BB40_9 Depth=1
	s_mul_i32 s8, s11, s10
	s_ashr_i32 s9, s8, 31
	s_add_i32 s34, s8, s10
	s_lshl_b64 s[8:9], s[8:9], 2
	s_ashr_i32 s35, s34, 31
	v_add_co_u32 v2, vcc_lo, v22, s8
	v_add_co_ci_u32_e64 v3, null, s9, v23, vcc_lo
	s_lshl_b64 s[8:9], s[34:35], 2
	s_add_i32 s34, s34, s10
	v_add_co_u32 v6, vcc_lo, v22, s8
	s_ashr_i32 s35, s34, 31
	s_add_i32 s8, s34, s10
	v_add_co_ci_u32_e64 v7, null, s9, v23, vcc_lo
	s_lshl_b64 s[34:35], s[34:35], 2
	s_ashr_i32 s9, s8, 31
	v_add_co_u32 v37, vcc_lo, v22, s34
	s_lshl_b64 s[8:9], s[8:9], 2
	v_add_co_ci_u32_e64 v38, null, s35, v23, vcc_lo
	v_add_co_u32 v51, vcc_lo, v22, s8
	v_add_co_ci_u32_e64 v52, null, s9, v23, vcc_lo
	global_load_dword v1, v[14:15], off
	s_clause 0x3
	global_load_dwordx4 v[39:42], v[2:3], off
	global_load_dwordx4 v[43:46], v[6:7], off
	;; [unrolled: 1-line block ×4, first 2 shown]
	s_clause 0x2
	global_load_dword v2, v[16:17], off
	global_load_dword v3, v[18:19], off
	;; [unrolled: 1-line block ×3, first 2 shown]
	s_waitcnt vmcnt(6)
	v_fma_f32 v39, v1, v39, 0
	s_waitcnt vmcnt(5)
	v_fma_f32 v38, v1, v43, 0
	;; [unrolled: 2-line block ×3, first 2 shown]
	s_waitcnt vmcnt(3) lgkmcnt(0)
	v_fma_f32 v8, v1, v51, 0
	s_waitcnt vmcnt(2)
	v_fmac_f32_e32 v39, v2, v40
	v_fmac_f32_e32 v38, v2, v44
	v_fmac_f32_e32 v37, v2, v48
	v_fmac_f32_e32 v8, v2, v52
	s_waitcnt vmcnt(1)
	v_fmac_f32_e32 v39, v3, v41
	v_fmac_f32_e32 v38, v3, v45
	v_fmac_f32_e32 v37, v3, v49
	v_fmac_f32_e32 v8, v3, v53
	;; [unrolled: 5-line block ×3, first 2 shown]
	s_andn2_saveexec_b32 s24, s7
	s_cbranch_execz .LBB40_11
.LBB40_37:                              ;   in Loop: Header=BB40_9 Depth=1
	s_waitcnt lgkmcnt(0)
	v_mov_b32_e32 v8, 0
	v_mov_b32_e32 v37, 0
	;; [unrolled: 1-line block ×4, first 2 shown]
	s_and_saveexec_b32 s44, s3
	s_cbranch_execz .LBB40_54
; %bb.38:                               ;   in Loop: Header=BB40_9 Depth=1
	s_andn2_b32 vcc_lo, exec_lo, s40
	s_cbranch_vccnz .LBB40_41
; %bb.39:                               ;   in Loop: Header=BB40_9 Depth=1
	v_mov_b32_e32 v6, v13
	s_mov_b64 s[34:35], 0
	.p2align	6
.LBB40_40:                              ;   Parent Loop BB40_9 Depth=1
                                        ; =>  This Inner Loop Header: Depth=2
	v_ashrrev_i32_e32 v7, 31, v6
	s_cmp_eq_u32 s34, 3
	v_lshlrev_b64 v[7:8], 2, v[6:7]
	v_add_nc_u32_e32 v6, s33, v6
	v_add_co_u32 v7, vcc_lo, s15, v7
	v_add_co_ci_u32_e64 v8, null, s21, v8, vcc_lo
	s_cselect_b32 vcc_lo, -1, 0
	s_cmp_eq_u32 s34, 2
	s_cselect_b32 s7, -1, 0
	global_load_dword v7, v[7:8], off
	s_cmp_eq_u32 s34, 1
	s_cselect_b32 s8, -1, 0
	s_cmp_eq_u32 s34, 0
	s_cselect_b32 s9, -1, 0
	s_add_u32 s34, s34, 1
	s_addc_u32 s35, s35, 0
	s_cmp_eq_u32 s36, s34
	s_waitcnt vmcnt(0)
	v_cndmask_b32_e32 v4, v4, v7, vcc_lo
	v_cndmask_b32_e64 v3, v3, v7, s7
	v_cndmask_b32_e64 v2, v2, v7, s8
	;; [unrolled: 1-line block ×3, first 2 shown]
	s_cbranch_scc0 .LBB40_40
.LBB40_41:                              ;   in Loop: Header=BB40_9 Depth=1
	s_andn2_b32 vcc_lo, exec_lo, s40
	s_cbranch_vccnz .LBB40_53
; %bb.42:                               ;   in Loop: Header=BB40_9 Depth=1
	s_ashr_i32 s27, s26, 31
	v_mov_b32_e32 v39, 0
	s_lshl_b64 s[8:9], s[26:27], 2
	v_mov_b32_e32 v38, 0
	v_add_co_u32 v6, vcc_lo, v35, s8
	v_add_co_ci_u32_e64 v7, null, s9, v36, vcc_lo
	v_mov_b32_e32 v37, 0
	v_mov_b32_e32 v8, 0
	s_mov_b64 s[8:9], 0
.LBB40_43:                              ;   Parent Loop BB40_9 Depth=1
                                        ; =>  This Inner Loop Header: Depth=2
	s_cmp_eq_u32 s8, 1
	s_cselect_b32 vcc_lo, -1, 0
	s_cmp_eq_u32 s8, 2
	v_cndmask_b32_e32 v40, v1, v2, vcc_lo
	s_cselect_b32 vcc_lo, -1, 0
	s_cmp_eq_u32 s8, 3
	v_cndmask_b32_e32 v46, v40, v3, vcc_lo
	s_cselect_b32 vcc_lo, -1, 0
	s_add_i32 s34, s30, s8
	s_add_i32 s46, s28, s8
	s_ashr_i32 s35, s34, 31
	s_add_i32 s48, s42, s8
	s_ashr_i32 s47, s46, 31
	s_lshl_b64 s[34:35], s[34:35], 2
	s_ashr_i32 s49, s48, 31
	s_lshl_b64 s[46:47], s[46:47], 2
	v_add_co_u32 v40, s7, v22, s34
	s_lshl_b64 s[48:49], s[48:49], 2
	v_add_co_ci_u32_e64 v41, null, s35, v23, s7
	v_add_co_u32 v42, s7, v22, s46
	v_add_co_ci_u32_e64 v43, null, s47, v23, s7
	v_add_co_u32 v44, s7, v22, s48
	v_add_co_ci_u32_e64 v45, null, s49, v23, s7
	global_load_dword v47, v[6:7], off
	s_clause 0x2
	global_load_dword v40, v[40:41], off
	global_load_dword v41, v[42:43], off
	;; [unrolled: 1-line block ×3, first 2 shown]
	v_cndmask_b32_e32 v43, v46, v4, vcc_lo
	v_add_co_u32 v6, s7, v6, 4
	v_add_co_ci_u32_e64 v7, null, 0, v7, s7
	s_add_u32 s8, s8, 1
	s_addc_u32 s9, s9, 0
	s_cmp_lg_u32 s36, s8
	s_waitcnt vmcnt(3)
	v_fmac_f32_e32 v39, v43, v47
	s_waitcnt vmcnt(2)
	v_fmac_f32_e32 v38, v43, v40
	;; [unrolled: 2-line block ×4, first 2 shown]
	s_cbranch_scc1 .LBB40_43
	s_branch .LBB40_54
.LBB40_44:                              ;   in Loop: Header=BB40_9 Depth=1
	ds_read_b32 v6, v33
	s_or_b32 exec_lo, exec_lo, s7
	s_and_saveexec_b32 s7, s0
	s_cbranch_execz .LBB40_17
.LBB40_45:                              ;   in Loop: Header=BB40_9 Depth=1
	s_waitcnt lgkmcnt(0)
	ds_bpermute_b32 v7, v30, v6
	s_waitcnt lgkmcnt(0)
	v_add_f32_e32 v6, v6, v7
	ds_bpermute_b32 v7, v31, v6
	s_waitcnt lgkmcnt(0)
	v_add_f32_e32 v6, v6, v7
	;; [unrolled: 3-line block ×3, first 2 shown]
	s_or_b32 exec_lo, exec_lo, s7
	s_and_saveexec_b32 s7, s0
	s_cbranch_execnz .LBB40_18
	s_branch .LBB40_19
.LBB40_46:                              ;   in Loop: Header=BB40_9 Depth=1
	ds_read_b32 v7, v33
	s_or_b32 exec_lo, exec_lo, s7
	s_and_saveexec_b32 s7, s0
	s_cbranch_execz .LBB40_23
.LBB40_47:                              ;   in Loop: Header=BB40_9 Depth=1
	s_waitcnt lgkmcnt(0)
	ds_bpermute_b32 v38, v30, v7
	s_waitcnt lgkmcnt(0)
	v_add_f32_e32 v7, v7, v38
	ds_bpermute_b32 v38, v31, v7
	s_waitcnt lgkmcnt(0)
	v_add_f32_e32 v7, v7, v38
	;; [unrolled: 3-line block ×3, first 2 shown]
	s_or_b32 exec_lo, exec_lo, s7
	s_and_saveexec_b32 s7, s0
	s_cbranch_execnz .LBB40_24
	s_branch .LBB40_25
.LBB40_48:                              ;   in Loop: Header=BB40_9 Depth=1
	ds_read_b32 v37, v33
	s_or_b32 exec_lo, exec_lo, s7
	s_and_saveexec_b32 s7, s0
	s_cbranch_execz .LBB40_29
.LBB40_49:                              ;   in Loop: Header=BB40_9 Depth=1
	s_waitcnt lgkmcnt(0)
	ds_bpermute_b32 v38, v30, v37
	s_waitcnt lgkmcnt(0)
	v_add_f32_e32 v37, v37, v38
	ds_bpermute_b32 v38, v31, v37
	s_waitcnt lgkmcnt(0)
	v_add_f32_e32 v37, v37, v38
	;; [unrolled: 3-line block ×3, first 2 shown]
	s_or_b32 exec_lo, exec_lo, s7
	s_and_saveexec_b32 s7, s0
	s_cbranch_execnz .LBB40_30
	s_branch .LBB40_31
.LBB40_50:                              ;   in Loop: Header=BB40_9 Depth=1
	ds_read_b32 v8, v33
	s_or_b32 exec_lo, exec_lo, s7
	s_and_saveexec_b32 s7, s0
	s_cbranch_execz .LBB40_35
.LBB40_51:                              ;   in Loop: Header=BB40_9 Depth=1
	s_waitcnt lgkmcnt(0)
	ds_bpermute_b32 v38, v30, v8
	s_waitcnt lgkmcnt(0)
	v_add_f32_e32 v8, v8, v38
	ds_bpermute_b32 v38, v31, v8
	s_waitcnt lgkmcnt(0)
	v_add_f32_e32 v8, v8, v38
	;; [unrolled: 3-line block ×3, first 2 shown]
	s_or_b32 exec_lo, exec_lo, s7
	s_and_saveexec_b32 s7, s5
	s_cbranch_execz .LBB40_8
.LBB40_52:                              ;   in Loop: Header=BB40_9 Depth=1
	s_mul_i32 s8, s11, s20
	v_mul_f32_e32 v6, s14, v6
	s_add_i32 s24, s8, s6
	v_mul_f32_e32 v7, s14, v7
	s_lshl_b64 s[8:9], s[24:25], 2
	v_mul_f32_e32 v37, s14, v37
	s_add_u32 s8, s38, s8
	s_addc_u32 s9, s37, s9
	s_add_i32 s24, s24, s20
	global_store_dword v5, v6, s[8:9]
	s_lshl_b64 s[34:35], s[24:25], 2
	s_waitcnt lgkmcnt(0)
	v_mul_f32_e32 v6, s14, v8
	s_add_u32 s34, s38, s34
	s_addc_u32 s35, s37, s35
	s_add_i32 s24, s24, s20
	global_store_dword v5, v7, s[34:35]
	s_lshl_b64 s[44:45], s[24:25], 2
	s_add_u32 s8, s38, s44
	s_addc_u32 s9, s37, s45
	s_add_i32 s24, s24, s20
	s_lshl_b64 s[44:45], s[24:25], 2
	s_add_u32 s34, s38, s44
	s_addc_u32 s35, s37, s45
	global_store_dword v5, v37, s[8:9]
	global_store_dword v5, v6, s[34:35]
	s_branch .LBB40_8
.LBB40_53:                              ;   in Loop: Header=BB40_9 Depth=1
	v_mov_b32_e32 v8, 0
	v_mov_b32_e32 v37, 0
	;; [unrolled: 1-line block ×4, first 2 shown]
.LBB40_54:                              ;   in Loop: Header=BB40_9 Depth=1
	s_or_b32 exec_lo, exec_lo, s44
	s_or_b32 exec_lo, exec_lo, s24
	s_and_saveexec_b32 s7, s0
	s_cbranch_execnz .LBB40_12
	s_branch .LBB40_13
.LBB40_55:
	v_mov_b32_e32 v1, 0
	s_mov_b32 s11, 0
	v_mov_b32_e32 v2, v1
	v_mov_b32_e32 v3, v1
	;; [unrolled: 1-line block ×3, first 2 shown]
.LBB40_56:
	s_cmp_ge_i32 s11, s13
	s_cbranch_scc1 .LBB40_80
; %bb.57:
	v_cmp_gt_u32_e32 vcc_lo, 24, v24
	v_lshlrev_b32_e32 v17, 2, v10
	v_cmp_eq_u32_e64 s3, 0, v10
	v_ashrrev_i32_e32 v10, 31, v9
	v_cmp_ge_i32_e64 s0, s12, v26
	v_cndmask_b32_e64 v5, 0, 8, vcc_lo
	v_cmp_gt_u32_e32 vcc_lo, 28, v24
	v_lshl_or_b32 v18, v24, 2, 64
	v_lshlrev_b64 v[13:14], 2, v[9:10]
	v_cmp_ge_i32_e64 s1, s12, v27
	v_add_lshl_u32 v19, v5, v24, 2
	v_cndmask_b32_e64 v6, 0, 4, vcc_lo
	v_cmp_gt_u32_e32 vcc_lo, 30, v24
	v_add_nc_u32_e32 v5, s33, v9
	s_cmp_gt_i32 s36, 0
	s_mov_b32 s7, 0
	v_add_lshl_u32 v20, v6, v24, 2
	v_cndmask_b32_e64 v7, 0, 2, vcc_lo
	v_cmp_ne_u32_e32 vcc_lo, 31, v24
	v_ashrrev_i32_e32 v6, 31, v5
	s_cselect_b32 s12, -1, 0
	s_lshl_b64 s[8:9], s[6:7], 2
	v_add_lshl_u32 v21, v7, v24, 2
	v_add_nc_u32_e32 v7, s33, v5
	s_waitcnt lgkmcnt(0)
	v_add_co_ci_u32_e64 v8, null, 0, v24, vcc_lo
	v_lshlrev_b64 v[15:16], 2, v[5:6]
	v_add_co_u32 v5, vcc_lo, s15, v13
	v_add_nc_u32_e32 v26, s33, v7
	v_lshlrev_b32_e32 v24, 2, v8
	v_ashrrev_i32_e32 v8, 31, v7
	v_add_co_ci_u32_e64 v6, null, s21, v14, vcc_lo
	v_ashrrev_i32_e32 v27, 31, v26
	s_add_u32 s24, s38, s8
	v_lshlrev_b64 v[13:14], 2, v[7:8]
	v_add_co_u32 v7, vcc_lo, s15, v15
	v_add_co_ci_u32_e64 v8, null, s21, v16, vcc_lo
	v_lshlrev_b64 v[15:16], 2, v[26:27]
	s_addc_u32 s25, s37, s9
	v_add_co_u32 v13, vcc_lo, s15, v13
	s_add_u32 s6, s22, s18
	s_addc_u32 s8, s23, s19
	v_add_co_ci_u32_e64 v14, null, s21, v14, vcc_lo
	v_add_co_u32 v15, vcc_lo, s15, v15
	s_add_u32 s6, s16, s6
	v_cmp_gt_u32_e64 s2, 32, v0
	v_cmp_gt_u32_e64 s4, 8, v0
	v_cmp_eq_u32_e64 s5, 0, v0
	v_add_co_ci_u32_e64 v16, null, s21, v16, vcc_lo
	s_addc_u32 s8, s17, s8
	v_add_co_u32 v0, vcc_lo, s6, v11
	v_and_b32_e32 v25, 28, v25
	v_add_co_ci_u32_e64 v12, null, s8, v12, vcc_lo
	v_mov_b32_e32 v26, 0
	s_mul_i32 s16, s11, s10
	s_branch .LBB40_59
.LBB40_58:                              ;   in Loop: Header=BB40_59 Depth=1
	s_or_b32 exec_lo, exec_lo, s6
	s_add_i32 s11, s11, 1
	s_add_i32 s16, s16, s10
	s_cmp_ge_i32 s11, s13
	s_cbranch_scc1 .LBB40_80
.LBB40_59:                              ; =>This Loop Header: Depth=1
                                        ;     Child Loop BB40_72 Depth 2
                                        ;     Child Loop BB40_75 Depth 2
	v_mov_b32_e32 v27, s7
	s_and_saveexec_b32 s6, s0
	s_xor_b32 s6, exec_lo, s6
	s_cbranch_execnz .LBB40_68
; %bb.60:                               ;   in Loop: Header=BB40_59 Depth=1
	s_andn2_saveexec_b32 s22, s6
	s_cbranch_execnz .LBB40_69
.LBB40_61:                              ;   in Loop: Header=BB40_59 Depth=1
	s_or_b32 exec_lo, exec_lo, s22
	s_and_saveexec_b32 s6, s2
.LBB40_62:                              ;   in Loop: Header=BB40_59 Depth=1
	ds_write_b32 v17, v26
.LBB40_63:                              ;   in Loop: Header=BB40_59 Depth=1
	s_or_b32 exec_lo, exec_lo, s6
	s_waitcnt lgkmcnt(0)
	ds_bpermute_b32 v10, v18, v27
	s_waitcnt lgkmcnt(0)
	s_waitcnt_vscnt null, 0x0
	s_barrier
	buffer_gl0_inv
	v_add_f32_e32 v10, v27, v10
	ds_bpermute_b32 v11, v19, v10
	s_waitcnt lgkmcnt(0)
	v_add_f32_e32 v10, v10, v11
	ds_bpermute_b32 v11, v20, v10
	s_waitcnt lgkmcnt(0)
	;; [unrolled: 3-line block ×3, first 2 shown]
	v_add_f32_e32 v10, v10, v11
	ds_bpermute_b32 v11, v24, v10
	s_and_saveexec_b32 s6, s3
	s_cbranch_execz .LBB40_65
; %bb.64:                               ;   in Loop: Header=BB40_59 Depth=1
	s_waitcnt lgkmcnt(0)
	v_add_f32_e32 v10, v10, v11
	ds_write_b32 v25, v10
.LBB40_65:                              ;   in Loop: Header=BB40_59 Depth=1
	s_or_b32 exec_lo, exec_lo, s6
	v_mov_b32_e32 v10, 0
	s_waitcnt lgkmcnt(0)
	s_barrier
	buffer_gl0_inv
	s_and_saveexec_b32 s6, s4
	s_cbranch_execnz .LBB40_77
; %bb.66:                               ;   in Loop: Header=BB40_59 Depth=1
	s_or_b32 exec_lo, exec_lo, s6
	s_and_saveexec_b32 s6, s2
	s_cbranch_execnz .LBB40_78
.LBB40_67:                              ;   in Loop: Header=BB40_59 Depth=1
	s_or_b32 exec_lo, exec_lo, s6
	s_and_saveexec_b32 s6, s5
	s_cbranch_execz .LBB40_58
	s_branch .LBB40_79
.LBB40_68:                              ;   in Loop: Header=BB40_59 Depth=1
	s_mul_i32 s8, s11, s10
	s_ashr_i32 s9, s8, 31
	s_lshl_b64 s[8:9], s[8:9], 2
	v_add_co_u32 v1, vcc_lo, v22, s8
	v_add_co_ci_u32_e64 v2, null, s9, v23, vcc_lo
	global_load_dwordx4 v[27:30], v[1:2], off
	s_clause 0x3
	global_load_dword v1, v[5:6], off
	global_load_dword v2, v[7:8], off
	;; [unrolled: 1-line block ×4, first 2 shown]
	s_waitcnt vmcnt(3)
	v_fma_f32 v27, v1, v27, 0
	s_waitcnt vmcnt(2)
	v_fmac_f32_e32 v27, v2, v28
	s_waitcnt vmcnt(1)
	v_fmac_f32_e32 v27, v3, v29
	;; [unrolled: 2-line block ×3, first 2 shown]
	s_andn2_saveexec_b32 s22, s6
	s_cbranch_execz .LBB40_61
.LBB40_69:                              ;   in Loop: Header=BB40_59 Depth=1
	s_and_saveexec_b32 s23, s1
	s_cbranch_execz .LBB40_76
; %bb.70:                               ;   in Loop: Header=BB40_59 Depth=1
	s_andn2_b32 vcc_lo, exec_lo, s12
	s_cbranch_vccnz .LBB40_73
; %bb.71:                               ;   in Loop: Header=BB40_59 Depth=1
	s_waitcnt lgkmcnt(0)
	v_mov_b32_e32 v10, v9
	s_mov_b64 s[18:19], 0
	.p2align	6
.LBB40_72:                              ;   Parent Loop BB40_59 Depth=1
                                        ; =>  This Inner Loop Header: Depth=2
	v_ashrrev_i32_e32 v11, 31, v10
	s_cmp_eq_u32 s18, 3
	v_lshlrev_b64 v[28:29], 2, v[10:11]
	v_add_nc_u32_e32 v10, s33, v10
	v_add_co_u32 v28, vcc_lo, s15, v28
	v_add_co_ci_u32_e64 v29, null, s21, v29, vcc_lo
	s_cselect_b32 vcc_lo, -1, 0
	s_cmp_eq_u32 s18, 2
	s_cselect_b32 s6, -1, 0
	global_load_dword v11, v[28:29], off
	s_cmp_eq_u32 s18, 1
	s_cselect_b32 s8, -1, 0
	s_cmp_eq_u32 s18, 0
	s_cselect_b32 s9, -1, 0
	s_add_u32 s18, s18, 1
	s_addc_u32 s19, s19, 0
	s_cmp_eq_u32 s36, s18
	s_waitcnt vmcnt(0)
	v_cndmask_b32_e32 v4, v4, v11, vcc_lo
	v_cndmask_b32_e64 v3, v3, v11, s6
	v_cndmask_b32_e64 v2, v2, v11, s8
	;; [unrolled: 1-line block ×3, first 2 shown]
	s_cbranch_scc0 .LBB40_72
.LBB40_73:                              ;   in Loop: Header=BB40_59 Depth=1
	s_andn2_b32 vcc_lo, exec_lo, s12
	s_cbranch_vccnz .LBB40_76
; %bb.74:                               ;   in Loop: Header=BB40_59 Depth=1
	s_ashr_i32 s17, s16, 31
	s_lshl_b64 s[8:9], s[16:17], 2
	s_waitcnt lgkmcnt(0)
	v_add_co_u32 v10, vcc_lo, v0, s8
	v_add_co_ci_u32_e64 v11, null, s9, v12, vcc_lo
	s_mov_b64 s[8:9], 0
	.p2align	6
.LBB40_75:                              ;   Parent Loop BB40_59 Depth=1
                                        ; =>  This Inner Loop Header: Depth=2
	global_load_dword v28, v[10:11], off
	s_cmp_eq_u32 s8, 1
	s_cselect_b32 vcc_lo, -1, 0
	s_cmp_eq_u32 s8, 2
	v_cndmask_b32_e32 v29, v1, v2, vcc_lo
	s_cselect_b32 vcc_lo, -1, 0
	s_cmp_eq_u32 s8, 3
	v_cndmask_b32_e32 v29, v29, v3, vcc_lo
	s_cselect_b32 vcc_lo, -1, 0
	s_add_u32 s8, s8, 1
	s_addc_u32 s9, s9, 0
	s_cmp_lg_u32 s36, s8
	v_cndmask_b32_e32 v29, v29, v4, vcc_lo
	v_add_co_u32 v10, vcc_lo, v10, 4
	v_add_co_ci_u32_e64 v11, null, 0, v11, vcc_lo
	s_waitcnt vmcnt(0)
	v_fmac_f32_e32 v27, v29, v28
	s_cbranch_scc1 .LBB40_75
.LBB40_76:                              ;   in Loop: Header=BB40_59 Depth=1
	s_or_b32 exec_lo, exec_lo, s23
	s_or_b32 exec_lo, exec_lo, s22
	s_and_saveexec_b32 s6, s2
	s_cbranch_execnz .LBB40_62
	s_branch .LBB40_63
.LBB40_77:                              ;   in Loop: Header=BB40_59 Depth=1
	ds_read_b32 v10, v17
	s_or_b32 exec_lo, exec_lo, s6
	s_and_saveexec_b32 s6, s2
	s_cbranch_execz .LBB40_67
.LBB40_78:                              ;   in Loop: Header=BB40_59 Depth=1
	s_waitcnt lgkmcnt(0)
	ds_bpermute_b32 v11, v20, v10
	s_waitcnt lgkmcnt(0)
	v_add_f32_e32 v10, v10, v11
	ds_bpermute_b32 v11, v21, v10
	s_waitcnt lgkmcnt(0)
	v_add_f32_e32 v10, v10, v11
	ds_bpermute_b32 v11, v24, v10
	s_waitcnt lgkmcnt(0)
	v_add_f32_e32 v10, v10, v11
	s_or_b32 exec_lo, exec_lo, s6
	s_and_saveexec_b32 s6, s5
	s_cbranch_execz .LBB40_58
.LBB40_79:                              ;   in Loop: Header=BB40_59 Depth=1
	s_mul_hi_u32 s9, s11, s20
	s_mul_i32 s8, s11, s20
	s_waitcnt lgkmcnt(0)
	v_mul_f32_e32 v10, s14, v10
	s_lshl_b64 s[8:9], s[8:9], 2
	s_add_u32 s8, s24, s8
	s_addc_u32 s9, s25, s9
	global_store_dword v26, v10, s[8:9]
	s_branch .LBB40_58
.LBB40_80:
	s_endpgm
	.section	.rodata,"a",@progbits
	.p2align	6, 0x0
	.amdhsa_kernel _ZL23rocblas_gemvt_sn_kernelILb1ELi256ELi4EifffEviiT4_lPKT3_lilS3_lilPT5_i
		.amdhsa_group_segment_fixed_size 128
		.amdhsa_private_segment_fixed_size 0
		.amdhsa_kernarg_size 360
		.amdhsa_user_sgpr_count 6
		.amdhsa_user_sgpr_private_segment_buffer 1
		.amdhsa_user_sgpr_dispatch_ptr 0
		.amdhsa_user_sgpr_queue_ptr 0
		.amdhsa_user_sgpr_kernarg_segment_ptr 1
		.amdhsa_user_sgpr_dispatch_id 0
		.amdhsa_user_sgpr_flat_scratch_init 0
		.amdhsa_user_sgpr_private_segment_size 0
		.amdhsa_wavefront_size32 1
		.amdhsa_uses_dynamic_stack 0
		.amdhsa_system_sgpr_private_segment_wavefront_offset 0
		.amdhsa_system_sgpr_workgroup_id_x 1
		.amdhsa_system_sgpr_workgroup_id_y 0
		.amdhsa_system_sgpr_workgroup_id_z 1
		.amdhsa_system_sgpr_workgroup_info 0
		.amdhsa_system_vgpr_workitem_id 0
		.amdhsa_next_free_vgpr 55
		.amdhsa_next_free_sgpr 50
		.amdhsa_reserve_vcc 1
		.amdhsa_reserve_flat_scratch 0
		.amdhsa_float_round_mode_32 0
		.amdhsa_float_round_mode_16_64 0
		.amdhsa_float_denorm_mode_32 3
		.amdhsa_float_denorm_mode_16_64 3
		.amdhsa_dx10_clamp 1
		.amdhsa_ieee_mode 1
		.amdhsa_fp16_overflow 0
		.amdhsa_workgroup_processor_mode 1
		.amdhsa_memory_ordered 1
		.amdhsa_forward_progress 1
		.amdhsa_shared_vgpr_count 0
		.amdhsa_exception_fp_ieee_invalid_op 0
		.amdhsa_exception_fp_denorm_src 0
		.amdhsa_exception_fp_ieee_div_zero 0
		.amdhsa_exception_fp_ieee_overflow 0
		.amdhsa_exception_fp_ieee_underflow 0
		.amdhsa_exception_fp_ieee_inexact 0
		.amdhsa_exception_int_div_zero 0
	.end_amdhsa_kernel
	.section	.text._ZL23rocblas_gemvt_sn_kernelILb1ELi256ELi4EifffEviiT4_lPKT3_lilS3_lilPT5_i,"axG",@progbits,_ZL23rocblas_gemvt_sn_kernelILb1ELi256ELi4EifffEviiT4_lPKT3_lilS3_lilPT5_i,comdat
.Lfunc_end40:
	.size	_ZL23rocblas_gemvt_sn_kernelILb1ELi256ELi4EifffEviiT4_lPKT3_lilS3_lilPT5_i, .Lfunc_end40-_ZL23rocblas_gemvt_sn_kernelILb1ELi256ELi4EifffEviiT4_lPKT3_lilS3_lilPT5_i
                                        ; -- End function
	.set _ZL23rocblas_gemvt_sn_kernelILb1ELi256ELi4EifffEviiT4_lPKT3_lilS3_lilPT5_i.num_vgpr, 55
	.set _ZL23rocblas_gemvt_sn_kernelILb1ELi256ELi4EifffEviiT4_lPKT3_lilS3_lilPT5_i.num_agpr, 0
	.set _ZL23rocblas_gemvt_sn_kernelILb1ELi256ELi4EifffEviiT4_lPKT3_lilS3_lilPT5_i.numbered_sgpr, 50
	.set _ZL23rocblas_gemvt_sn_kernelILb1ELi256ELi4EifffEviiT4_lPKT3_lilS3_lilPT5_i.num_named_barrier, 0
	.set _ZL23rocblas_gemvt_sn_kernelILb1ELi256ELi4EifffEviiT4_lPKT3_lilS3_lilPT5_i.private_seg_size, 0
	.set _ZL23rocblas_gemvt_sn_kernelILb1ELi256ELi4EifffEviiT4_lPKT3_lilS3_lilPT5_i.uses_vcc, 1
	.set _ZL23rocblas_gemvt_sn_kernelILb1ELi256ELi4EifffEviiT4_lPKT3_lilS3_lilPT5_i.uses_flat_scratch, 0
	.set _ZL23rocblas_gemvt_sn_kernelILb1ELi256ELi4EifffEviiT4_lPKT3_lilS3_lilPT5_i.has_dyn_sized_stack, 0
	.set _ZL23rocblas_gemvt_sn_kernelILb1ELi256ELi4EifffEviiT4_lPKT3_lilS3_lilPT5_i.has_recursion, 0
	.set _ZL23rocblas_gemvt_sn_kernelILb1ELi256ELi4EifffEviiT4_lPKT3_lilS3_lilPT5_i.has_indirect_call, 0
	.section	.AMDGPU.csdata,"",@progbits
; Kernel info:
; codeLenInByte = 4072
; TotalNumSgprs: 52
; NumVgprs: 55
; ScratchSize: 0
; MemoryBound: 0
; FloatMode: 240
; IeeeMode: 1
; LDSByteSize: 128 bytes/workgroup (compile time only)
; SGPRBlocks: 0
; VGPRBlocks: 6
; NumSGPRsForWavesPerEU: 52
; NumVGPRsForWavesPerEU: 55
; Occupancy: 16
; WaveLimiterHint : 1
; COMPUTE_PGM_RSRC2:SCRATCH_EN: 0
; COMPUTE_PGM_RSRC2:USER_SGPR: 6
; COMPUTE_PGM_RSRC2:TRAP_HANDLER: 0
; COMPUTE_PGM_RSRC2:TGID_X_EN: 1
; COMPUTE_PGM_RSRC2:TGID_Y_EN: 0
; COMPUTE_PGM_RSRC2:TGID_Z_EN: 1
; COMPUTE_PGM_RSRC2:TIDIG_COMP_CNT: 0
	.section	.text._ZL23rocblas_gemvt_sn_kernelILb1ELi256ELi4ElfffEviiT4_lPKT3_lilS3_lilPT5_i,"axG",@progbits,_ZL23rocblas_gemvt_sn_kernelILb1ELi256ELi4ElfffEviiT4_lPKT3_lilS3_lilPT5_i,comdat
	.globl	_ZL23rocblas_gemvt_sn_kernelILb1ELi256ELi4ElfffEviiT4_lPKT3_lilS3_lilPT5_i ; -- Begin function _ZL23rocblas_gemvt_sn_kernelILb1ELi256ELi4ElfffEviiT4_lPKT3_lilS3_lilPT5_i
	.p2align	8
	.type	_ZL23rocblas_gemvt_sn_kernelILb1ELi256ELi4ElfffEviiT4_lPKT3_lilS3_lilPT5_i,@function
_ZL23rocblas_gemvt_sn_kernelILb1ELi256ELi4ElfffEviiT4_lPKT3_lilS3_lilPT5_i: ; @_ZL23rocblas_gemvt_sn_kernelILb1ELi256ELi4ElfffEviiT4_lPKT3_lilS3_lilPT5_i
; %bb.0:
	s_clause 0x2
	s_load_dwordx4 s[12:15], s[4:5], 0x0
	s_load_dword s24, s[4:5], 0x68
	s_load_dwordx4 s[8:11], s[4:5], 0x50
	s_mov_b32 s25, 0
	s_waitcnt lgkmcnt(0)
	s_ashr_i32 s15, s13, 31
	s_mul_hi_u32 s0, s13, s7
	s_mul_i32 s1, s15, s7
	s_mul_i32 s2, s13, s7
	s_add_i32 s0, s0, s1
	s_mul_hi_u32 s1, s2, s24
	s_mul_i32 s3, s0, s24
	s_mul_i32 s0, s2, s24
	s_add_i32 s1, s1, s3
	v_cmp_neq_f32_e64 s2, s14, 0
	s_lshl_b64 s[0:1], s[0:1], 2
	s_add_u32 s33, s10, s0
	v_cmp_eq_u32_e64 s0, 0, v0
	s_addc_u32 s46, s11, s1
	s_and_b32 vcc_lo, exec_lo, s2
	s_cbranch_vccnz .LBB41_5
; %bb.1:
	s_cmp_gt_i32 s13, 0
	s_cselect_b32 s1, -1, 0
	s_and_b32 s0, s0, s1
	s_and_saveexec_b32 s10, s0
	s_cbranch_execz .LBB41_4
; %bb.2:
	s_mov_b32 s0, s7
	s_mov_b32 s7, 0
	v_mov_b32_e32 v1, 0
	s_lshl_b64 s[2:3], s[6:7], 2
	s_mov_b32 s7, s0
	s_add_u32 s0, s33, s2
	s_addc_u32 s1, s46, s3
	s_lshl_b64 s[2:3], s[24:25], 2
	s_mov_b32 s11, s13
.LBB41_3:                               ; =>This Inner Loop Header: Depth=1
	s_add_i32 s11, s11, -1
	global_store_dword v1, v1, s[0:1]
	s_add_u32 s0, s0, s2
	s_addc_u32 s1, s1, s3
	s_cmp_eq_u32 s11, 0
	s_cbranch_scc0 .LBB41_3
.LBB41_4:
	s_or_b32 exec_lo, exec_lo, s10
	s_cbranch_execz .LBB41_6
	s_branch .LBB41_80
.LBB41_5:
.LBB41_6:
	s_clause 0x4
	s_load_dword s26, s[4:5], 0x28
	s_load_dword s28, s[4:5], 0x48
	s_load_dwordx4 s[20:23], s[4:5], 0x30
	s_load_dwordx2 s[0:1], s[4:5], 0x40
	s_load_dwordx4 s[16:19], s[4:5], 0x18
	s_mul_i32 s3, s9, s7
	s_mul_hi_u32 s4, s8, s7
	s_mul_i32 s2, s8, s7
	s_add_i32 s3, s4, s3
	v_and_b32_e32 v26, 31, v0
	s_lshl_b64 s[30:31], s[2:3], 2
	v_mbcnt_lo_u32_b32 v29, -1, 0
	v_lshrrev_b32_e32 v31, 3, v0
	s_waitcnt lgkmcnt(0)
	s_ashr_i32 s27, s26, 31
	s_ashr_i32 s29, s28, 31
	s_add_u32 s5, s22, s30
	s_addc_u32 s8, s23, s31
	s_lshl_b64 s[34:35], s[0:1], 2
	s_mul_i32 s3, s21, s7
	s_mul_hi_u32 s4, s20, s7
	s_add_u32 s25, s5, s34
	s_mul_i32 s2, s20, s7
	s_addc_u32 s47, s8, s35
	s_add_i32 s3, s4, s3
	v_cmp_gt_u32_e64 s0, 32, v0
	s_lshl_b64 s[20:21], s[2:3], 2
	v_cmp_gt_u32_e64 s1, 8, v0
	s_add_u32 s2, s16, s20
	s_addc_u32 s3, s17, s21
	s_lshl_b64 s[18:19], s[18:19], 2
	s_add_u32 s2, s2, s18
	s_addc_u32 s3, s3, s19
	s_lshl_b32 s4, s6, 10
	s_ashr_i32 s5, s12, 31
	v_lshl_or_b32 v13, v0, 2, s4
	s_lshr_b32 s4, s15, 30
	s_lshr_b32 s5, s5, 30
	s_add_i32 s4, s13, s4
	s_add_i32 s5, s12, s5
	v_ashrrev_i32_e32 v14, 31, v13
	s_and_b32 s48, s4, -4
	s_and_b32 s4, s5, -4
	v_add_nc_u32_e32 v32, 4, v13
	s_sub_i32 s15, s12, s4
	v_lshlrev_b64 v[11:12], 2, v[13:14]
	v_or_b32_e32 v30, 1, v13
	v_or_b32_e32 v28, 2, v13
	v_add_nc_u32_e32 v33, s15, v13
	v_or_b32_e32 v27, 3, v13
	s_cmp_lt_i32 s48, 1
	v_add_co_u32 v9, vcc_lo, s2, v11
	v_add_co_ci_u32_e64 v10, null, s3, v12, vcc_lo
	s_cbranch_scc1 .LBB41_55
; %bb.7:
	v_cmp_gt_u32_e32 vcc_lo, 24, v29
	v_mad_i64_i32 v[5:6], null, s28, v28, 0
	v_mad_i64_i32 v[7:8], null, s28, v27, 0
	v_cndmask_b32_e64 v1, 0, 8, vcc_lo
	v_cmp_gt_u32_e32 vcc_lo, 28, v29
	s_cmp_gt_i32 s15, 0
	s_mov_b32 s7, 0
	v_lshlrev_b64 v[5:6], 2, v[5:6]
	v_add_lshl_u32 v35, v1, v29, 2
	v_cndmask_b32_e64 v2, 0, 4, vcc_lo
	v_cmp_gt_u32_e32 vcc_lo, 30, v29
	s_cselect_b32 s49, -1, 0
	s_lshl_b64 s[8:9], s[6:7], 2
	v_mov_b32_e32 v25, v10
	v_add_lshl_u32 v36, v2, v29, 2
	v_cndmask_b32_e64 v3, 0, 2, vcc_lo
	v_cmp_ne_u32_e32 vcc_lo, 31, v29
	v_mad_i64_i32 v[1:2], null, s28, v13, 0
	s_add_u32 s50, s33, s8
	v_add_lshl_u32 v37, v3, v29, 2
	v_add_co_ci_u32_e64 v4, null, 0, v29, vcc_lo
	s_addc_u32 s51, s46, s9
	s_add_u32 s8, s22, s34
	v_lshlrev_b64 v[1:2], 2, v[1:2]
	v_lshlrev_b32_e32 v38, 2, v4
	v_mad_i64_i32 v[3:4], null, s28, v30, 0
	s_addc_u32 s9, s23, s35
	s_add_u32 s8, s8, s30
	v_add_co_u32 v14, vcc_lo, s25, v1
	v_add_co_ci_u32_e64 v15, null, s47, v2, vcc_lo
	v_lshlrev_b64 v[3:4], 2, v[3:4]
	s_addc_u32 s9, s9, s31
	v_cmp_ge_i32_e64 s2, s12, v32
	v_cmp_ge_i32_e64 s3, s12, v33
	v_lshl_or_b32 v34, v29, 2, 64
	v_cmp_eq_u32_e64 s4, 0, v26
	v_add_co_u32 v16, vcc_lo, s25, v3
	v_add_co_ci_u32_e64 v17, null, s47, v4, vcc_lo
	v_lshlrev_b64 v[3:4], 2, v[7:8]
	v_add_co_u32 v18, vcc_lo, s25, v5
	v_mov_b32_e32 v5, 0
	v_add_co_ci_u32_e64 v19, null, s47, v6, vcc_lo
	v_add_co_u32 v20, vcc_lo, s25, v3
	v_mov_b32_e32 v6, v5
	v_mov_b32_e32 v7, v5
	;; [unrolled: 1-line block ×3, first 2 shown]
	v_add_co_ci_u32_e64 v21, null, s47, v4, vcc_lo
	v_add_co_u32 v22, vcc_lo, s8, v1
	v_add_co_ci_u32_e64 v23, null, s9, v2, vcc_lo
	v_mov_b32_e32 v1, v5
	v_lshlrev_b32_e32 v39, 2, v26
	v_and_b32_e32 v40, 28, v31
	v_cmp_eq_u32_e64 s5, 0, v0
	v_mov_b32_e32 v24, v9
	v_mov_b32_e32 v2, v6
	;; [unrolled: 1-line block ×4, first 2 shown]
	s_lshl_b64 s[36:37], s[28:29], 2
	s_lshl_b64 s[38:39], s[26:27], 4
	;; [unrolled: 1-line block ×4, first 2 shown]
	s_mul_hi_i32 s52, s26, 12
	s_mul_i32 s53, s26, 12
	s_branch .LBB41_9
.LBB41_8:                               ;   in Loop: Header=BB41_9 Depth=1
	s_or_b32 exec_lo, exec_lo, s8
	v_add_co_u32 v24, vcc_lo, v24, s38
	v_add_co_ci_u32_e64 v25, null, s39, v25, vcc_lo
	s_add_i32 s7, s7, 4
	s_cmp_ge_i32 s7, s48
	s_cbranch_scc1 .LBB41_56
.LBB41_9:                               ; =>This Loop Header: Depth=1
                                        ;     Child Loop BB41_40 Depth 2
                                        ;     Child Loop BB41_43 Depth 2
                                        ; implicit-def: $vgpr8
                                        ; implicit-def: $vgpr41
                                        ; implicit-def: $vgpr42
                                        ; implicit-def: $vgpr43
	s_and_saveexec_b32 s8, s2
	s_xor_b32 s8, exec_lo, s8
	s_cbranch_execnz .LBB41_36
; %bb.10:                               ;   in Loop: Header=BB41_9 Depth=1
	s_andn2_saveexec_b32 s54, s8
	s_cbranch_execnz .LBB41_37
.LBB41_11:                              ;   in Loop: Header=BB41_9 Depth=1
	s_or_b32 exec_lo, exec_lo, s54
	s_and_saveexec_b32 s8, s0
.LBB41_12:                              ;   in Loop: Header=BB41_9 Depth=1
	ds_write_b32 v39, v5
.LBB41_13:                              ;   in Loop: Header=BB41_9 Depth=1
	s_or_b32 exec_lo, exec_lo, s8
	ds_bpermute_b32 v6, v34, v43
	s_waitcnt lgkmcnt(0)
	s_waitcnt_vscnt null, 0x0
	s_barrier
	buffer_gl0_inv
	v_add_f32_e32 v6, v43, v6
	ds_bpermute_b32 v7, v35, v6
	s_waitcnt lgkmcnt(0)
	v_add_f32_e32 v6, v6, v7
	ds_bpermute_b32 v7, v36, v6
	s_waitcnt lgkmcnt(0)
	;; [unrolled: 3-line block ×3, first 2 shown]
	v_add_f32_e32 v6, v6, v7
	ds_bpermute_b32 v7, v38, v6
	s_and_saveexec_b32 s8, s4
	s_cbranch_execz .LBB41_15
; %bb.14:                               ;   in Loop: Header=BB41_9 Depth=1
	s_waitcnt lgkmcnt(0)
	v_add_f32_e32 v6, v6, v7
	ds_write_b32 v40, v6
.LBB41_15:                              ;   in Loop: Header=BB41_9 Depth=1
	s_or_b32 exec_lo, exec_lo, s8
	v_mov_b32_e32 v6, 0
	s_waitcnt lgkmcnt(0)
	s_barrier
	buffer_gl0_inv
	s_and_saveexec_b32 s8, s1
	s_cbranch_execnz .LBB41_44
; %bb.16:                               ;   in Loop: Header=BB41_9 Depth=1
	s_or_b32 exec_lo, exec_lo, s8
	s_and_saveexec_b32 s8, s0
	s_cbranch_execnz .LBB41_45
.LBB41_17:                              ;   in Loop: Header=BB41_9 Depth=1
	s_or_b32 exec_lo, exec_lo, s8
	s_and_saveexec_b32 s8, s0
.LBB41_18:                              ;   in Loop: Header=BB41_9 Depth=1
	ds_write_b32 v39, v5
.LBB41_19:                              ;   in Loop: Header=BB41_9 Depth=1
	s_or_b32 exec_lo, exec_lo, s8
	ds_bpermute_b32 v7, v34, v42
	s_waitcnt lgkmcnt(0)
	s_barrier
	buffer_gl0_inv
	v_add_f32_e32 v7, v42, v7
	ds_bpermute_b32 v42, v35, v7
	s_waitcnt lgkmcnt(0)
	v_add_f32_e32 v7, v7, v42
	ds_bpermute_b32 v42, v36, v7
	s_waitcnt lgkmcnt(0)
	;; [unrolled: 3-line block ×3, first 2 shown]
	v_add_f32_e32 v7, v7, v42
	ds_bpermute_b32 v42, v38, v7
	s_and_saveexec_b32 s8, s4
	s_cbranch_execz .LBB41_21
; %bb.20:                               ;   in Loop: Header=BB41_9 Depth=1
	s_waitcnt lgkmcnt(0)
	v_add_f32_e32 v7, v7, v42
	ds_write_b32 v40, v7
.LBB41_21:                              ;   in Loop: Header=BB41_9 Depth=1
	s_or_b32 exec_lo, exec_lo, s8
	v_mov_b32_e32 v7, 0
	s_waitcnt lgkmcnt(0)
	s_barrier
	buffer_gl0_inv
	s_and_saveexec_b32 s8, s1
	s_cbranch_execnz .LBB41_46
; %bb.22:                               ;   in Loop: Header=BB41_9 Depth=1
	s_or_b32 exec_lo, exec_lo, s8
	s_and_saveexec_b32 s8, s0
	s_cbranch_execnz .LBB41_47
.LBB41_23:                              ;   in Loop: Header=BB41_9 Depth=1
	s_or_b32 exec_lo, exec_lo, s8
	s_and_saveexec_b32 s8, s0
.LBB41_24:                              ;   in Loop: Header=BB41_9 Depth=1
	ds_write_b32 v39, v5
.LBB41_25:                              ;   in Loop: Header=BB41_9 Depth=1
	s_or_b32 exec_lo, exec_lo, s8
	ds_bpermute_b32 v42, v34, v41
	s_waitcnt lgkmcnt(0)
	s_barrier
	buffer_gl0_inv
	v_add_f32_e32 v41, v41, v42
	ds_bpermute_b32 v42, v35, v41
	s_waitcnt lgkmcnt(0)
	v_add_f32_e32 v41, v41, v42
	ds_bpermute_b32 v42, v36, v41
	s_waitcnt lgkmcnt(0)
	;; [unrolled: 3-line block ×3, first 2 shown]
	v_add_f32_e32 v41, v41, v42
	ds_bpermute_b32 v42, v38, v41
	s_and_saveexec_b32 s8, s4
	s_cbranch_execz .LBB41_27
; %bb.26:                               ;   in Loop: Header=BB41_9 Depth=1
	s_waitcnt lgkmcnt(0)
	v_add_f32_e32 v41, v41, v42
	ds_write_b32 v40, v41
.LBB41_27:                              ;   in Loop: Header=BB41_9 Depth=1
	s_or_b32 exec_lo, exec_lo, s8
	v_mov_b32_e32 v41, 0
	s_waitcnt lgkmcnt(0)
	s_barrier
	buffer_gl0_inv
	s_and_saveexec_b32 s8, s1
	s_cbranch_execnz .LBB41_48
; %bb.28:                               ;   in Loop: Header=BB41_9 Depth=1
	s_or_b32 exec_lo, exec_lo, s8
	s_and_saveexec_b32 s8, s0
	s_cbranch_execnz .LBB41_49
.LBB41_29:                              ;   in Loop: Header=BB41_9 Depth=1
	s_or_b32 exec_lo, exec_lo, s8
	s_and_saveexec_b32 s8, s0
.LBB41_30:                              ;   in Loop: Header=BB41_9 Depth=1
	ds_write_b32 v39, v5
.LBB41_31:                              ;   in Loop: Header=BB41_9 Depth=1
	s_or_b32 exec_lo, exec_lo, s8
	ds_bpermute_b32 v42, v34, v8
	s_waitcnt lgkmcnt(0)
	s_barrier
	buffer_gl0_inv
	v_add_f32_e32 v8, v8, v42
	ds_bpermute_b32 v42, v35, v8
	s_waitcnt lgkmcnt(0)
	v_add_f32_e32 v8, v8, v42
	ds_bpermute_b32 v42, v36, v8
	s_waitcnt lgkmcnt(0)
	;; [unrolled: 3-line block ×3, first 2 shown]
	v_add_f32_e32 v8, v8, v42
	ds_bpermute_b32 v42, v38, v8
	s_and_saveexec_b32 s8, s4
	s_cbranch_execz .LBB41_33
; %bb.32:                               ;   in Loop: Header=BB41_9 Depth=1
	s_waitcnt lgkmcnt(0)
	v_add_f32_e32 v8, v8, v42
	ds_write_b32 v40, v8
.LBB41_33:                              ;   in Loop: Header=BB41_9 Depth=1
	s_or_b32 exec_lo, exec_lo, s8
	v_mov_b32_e32 v8, 0
	s_waitcnt lgkmcnt(0)
	s_barrier
	buffer_gl0_inv
	s_and_saveexec_b32 s8, s1
	s_cbranch_execnz .LBB41_50
; %bb.34:                               ;   in Loop: Header=BB41_9 Depth=1
	s_or_b32 exec_lo, exec_lo, s8
	s_and_saveexec_b32 s8, s0
	s_cbranch_execnz .LBB41_51
.LBB41_35:                              ;   in Loop: Header=BB41_9 Depth=1
	s_or_b32 exec_lo, exec_lo, s8
	s_and_saveexec_b32 s8, s5
	s_cbranch_execz .LBB41_8
	s_branch .LBB41_52
.LBB41_36:                              ;   in Loop: Header=BB41_9 Depth=1
	s_mul_i32 s9, s7, s27
	s_mul_hi_u32 s10, s7, s26
	s_add_i32 s11, s10, s9
	s_mul_i32 s10, s7, s26
	s_or_b32 s9, s7, 1
	s_lshl_b64 s[10:11], s[10:11], 2
	s_mul_i32 s44, s9, s27
	s_mul_hi_u32 s45, s9, s26
	v_add_co_u32 v2, vcc_lo, v9, s10
	v_add_co_ci_u32_e64 v3, null, s11, v10, vcc_lo
	s_add_i32 s11, s45, s44
	s_mul_i32 s10, s9, s26
	s_or_b32 s9, s7, 2
	s_lshl_b64 s[10:11], s[10:11], 2
	s_mul_i32 s44, s9, s27
	s_mul_hi_u32 s45, s9, s26
	v_add_co_u32 v6, vcc_lo, v9, s10
	v_add_co_ci_u32_e64 v7, null, s11, v10, vcc_lo
	s_add_i32 s11, s45, s44
	s_or_b32 s44, s7, 3
	s_mul_i32 s10, s9, s26
	s_mul_i32 s9, s44, s27
	s_mul_hi_u32 s45, s44, s26
	s_lshl_b64 s[10:11], s[10:11], 2
	s_add_i32 s45, s45, s9
	s_mul_i32 s44, s44, s26
	v_add_co_u32 v41, vcc_lo, v9, s10
	v_add_co_ci_u32_e64 v42, null, s11, v10, vcc_lo
	s_lshl_b64 s[10:11], s[44:45], 2
	v_add_co_u32 v55, vcc_lo, v9, s10
	v_add_co_ci_u32_e64 v56, null, s11, v10, vcc_lo
	global_load_dword v1, v[14:15], off
	s_clause 0x3
	global_load_dwordx4 v[43:46], v[2:3], off
	global_load_dwordx4 v[47:50], v[6:7], off
	;; [unrolled: 1-line block ×4, first 2 shown]
	s_clause 0x2
	global_load_dword v2, v[16:17], off
	global_load_dword v3, v[18:19], off
	global_load_dword v4, v[20:21], off
	s_waitcnt vmcnt(6)
	v_fma_f32 v43, v1, v43, 0
	s_waitcnt vmcnt(5)
	v_fma_f32 v42, v1, v47, 0
	;; [unrolled: 2-line block ×3, first 2 shown]
	s_waitcnt vmcnt(3) lgkmcnt(0)
	v_fma_f32 v8, v1, v55, 0
	s_waitcnt vmcnt(2)
	v_fmac_f32_e32 v43, v2, v44
	v_fmac_f32_e32 v42, v2, v48
	v_fmac_f32_e32 v41, v2, v52
	v_fmac_f32_e32 v8, v2, v56
	s_waitcnt vmcnt(1)
	v_fmac_f32_e32 v43, v3, v45
	v_fmac_f32_e32 v42, v3, v49
	v_fmac_f32_e32 v41, v3, v53
	v_fmac_f32_e32 v8, v3, v57
	;; [unrolled: 5-line block ×3, first 2 shown]
	s_andn2_saveexec_b32 s54, s8
	s_cbranch_execz .LBB41_11
.LBB41_37:                              ;   in Loop: Header=BB41_9 Depth=1
	s_waitcnt lgkmcnt(0)
	v_mov_b32_e32 v8, 0
	v_mov_b32_e32 v41, 0
	;; [unrolled: 1-line block ×4, first 2 shown]
	s_and_saveexec_b32 s55, s3
	s_cbranch_execz .LBB41_54
; %bb.38:                               ;   in Loop: Header=BB41_9 Depth=1
	s_andn2_b32 vcc_lo, exec_lo, s49
	s_cbranch_vccnz .LBB41_41
; %bb.39:                               ;   in Loop: Header=BB41_9 Depth=1
	v_mov_b32_e32 v6, v22
	v_mov_b32_e32 v7, v23
	s_mov_b64 s[44:45], 0
	.p2align	6
.LBB41_40:                              ;   Parent Loop BB41_9 Depth=1
                                        ; =>  This Inner Loop Header: Depth=2
	global_load_dword v8, v[6:7], off
	s_cmp_eq_u32 s44, 3
	v_add_co_u32 v6, vcc_lo, v6, s36
	v_add_co_ci_u32_e64 v7, null, s37, v7, vcc_lo
	s_cselect_b32 vcc_lo, -1, 0
	s_cmp_eq_u32 s44, 2
	s_cselect_b32 s8, -1, 0
	s_cmp_eq_u32 s44, 1
	s_cselect_b32 s9, -1, 0
	;; [unrolled: 2-line block ×3, first 2 shown]
	s_add_u32 s44, s44, 1
	s_addc_u32 s45, s45, 0
	s_cmp_eq_u32 s15, s44
	s_waitcnt vmcnt(0)
	v_cndmask_b32_e32 v4, v4, v8, vcc_lo
	v_cndmask_b32_e64 v3, v3, v8, s8
	v_cndmask_b32_e64 v2, v2, v8, s9
	;; [unrolled: 1-line block ×3, first 2 shown]
	s_cbranch_scc0 .LBB41_40
.LBB41_41:                              ;   in Loop: Header=BB41_9 Depth=1
	s_andn2_b32 vcc_lo, exec_lo, s49
	s_cbranch_vccnz .LBB41_53
; %bb.42:                               ;   in Loop: Header=BB41_9 Depth=1
	v_mov_b32_e32 v6, v24
	v_mov_b32_e32 v43, 0
	;; [unrolled: 1-line block ×6, first 2 shown]
	s_mov_b64 s[10:11], 0
	s_inst_prefetch 0x1
	.p2align	6
.LBB41_43:                              ;   Parent Loop BB41_9 Depth=1
                                        ; =>  This Inner Loop Header: Depth=2
	v_add_co_u32 v44, vcc_lo, v6, s40
	v_add_co_ci_u32_e64 v45, null, s41, v7, vcc_lo
	v_add_co_u32 v46, vcc_lo, v6, s42
	v_add_co_ci_u32_e64 v47, null, s43, v7, vcc_lo
	;; [unrolled: 2-line block ×3, first 2 shown]
	s_clause 0x3
	global_load_dword v50, v[6:7], off
	global_load_dword v44, v[44:45], off
	;; [unrolled: 1-line block ×4, first 2 shown]
	s_cmp_eq_u32 s10, 1
	v_add_co_u32 v6, s8, v6, 4
	s_cselect_b32 vcc_lo, -1, 0
	s_cmp_eq_u32 s10, 2
	v_cndmask_b32_e32 v47, v1, v2, vcc_lo
	s_cselect_b32 vcc_lo, -1, 0
	s_cmp_eq_u32 s10, 3
	v_add_co_ci_u32_e64 v7, null, 0, v7, s8
	v_cndmask_b32_e32 v47, v47, v3, vcc_lo
	s_cselect_b32 vcc_lo, -1, 0
	s_add_u32 s10, s10, 1
	s_addc_u32 s11, s11, 0
	s_cmp_lg_u32 s15, s10
	v_cndmask_b32_e32 v47, v47, v4, vcc_lo
	s_waitcnt vmcnt(3)
	v_fmac_f32_e32 v43, v47, v50
	s_waitcnt vmcnt(2)
	v_fmac_f32_e32 v42, v47, v44
	;; [unrolled: 2-line block ×4, first 2 shown]
	s_cbranch_scc1 .LBB41_43
	s_branch .LBB41_54
.LBB41_44:                              ;   in Loop: Header=BB41_9 Depth=1
	ds_read_b32 v6, v39
	s_or_b32 exec_lo, exec_lo, s8
	s_and_saveexec_b32 s8, s0
	s_cbranch_execz .LBB41_17
.LBB41_45:                              ;   in Loop: Header=BB41_9 Depth=1
	s_waitcnt lgkmcnt(0)
	ds_bpermute_b32 v7, v36, v6
	s_waitcnt lgkmcnt(0)
	v_add_f32_e32 v6, v6, v7
	ds_bpermute_b32 v7, v37, v6
	s_waitcnt lgkmcnt(0)
	v_add_f32_e32 v6, v6, v7
	;; [unrolled: 3-line block ×3, first 2 shown]
	s_or_b32 exec_lo, exec_lo, s8
	s_and_saveexec_b32 s8, s0
	s_cbranch_execnz .LBB41_18
	s_branch .LBB41_19
.LBB41_46:                              ;   in Loop: Header=BB41_9 Depth=1
	ds_read_b32 v7, v39
	s_or_b32 exec_lo, exec_lo, s8
	s_and_saveexec_b32 s8, s0
	s_cbranch_execz .LBB41_23
.LBB41_47:                              ;   in Loop: Header=BB41_9 Depth=1
	s_waitcnt lgkmcnt(0)
	ds_bpermute_b32 v42, v36, v7
	s_waitcnt lgkmcnt(0)
	v_add_f32_e32 v7, v7, v42
	ds_bpermute_b32 v42, v37, v7
	s_waitcnt lgkmcnt(0)
	v_add_f32_e32 v7, v7, v42
	;; [unrolled: 3-line block ×3, first 2 shown]
	s_or_b32 exec_lo, exec_lo, s8
	s_and_saveexec_b32 s8, s0
	s_cbranch_execnz .LBB41_24
	s_branch .LBB41_25
.LBB41_48:                              ;   in Loop: Header=BB41_9 Depth=1
	ds_read_b32 v41, v39
	s_or_b32 exec_lo, exec_lo, s8
	s_and_saveexec_b32 s8, s0
	s_cbranch_execz .LBB41_29
.LBB41_49:                              ;   in Loop: Header=BB41_9 Depth=1
	s_waitcnt lgkmcnt(0)
	ds_bpermute_b32 v42, v36, v41
	s_waitcnt lgkmcnt(0)
	v_add_f32_e32 v41, v41, v42
	ds_bpermute_b32 v42, v37, v41
	s_waitcnt lgkmcnt(0)
	v_add_f32_e32 v41, v41, v42
	;; [unrolled: 3-line block ×3, first 2 shown]
	s_or_b32 exec_lo, exec_lo, s8
	s_and_saveexec_b32 s8, s0
	s_cbranch_execnz .LBB41_30
	s_branch .LBB41_31
.LBB41_50:                              ;   in Loop: Header=BB41_9 Depth=1
	ds_read_b32 v8, v39
	s_or_b32 exec_lo, exec_lo, s8
	s_and_saveexec_b32 s8, s0
	s_cbranch_execz .LBB41_35
.LBB41_51:                              ;   in Loop: Header=BB41_9 Depth=1
	s_waitcnt lgkmcnt(0)
	ds_bpermute_b32 v42, v36, v8
	s_waitcnt lgkmcnt(0)
	v_add_f32_e32 v8, v8, v42
	ds_bpermute_b32 v42, v37, v8
	s_waitcnt lgkmcnt(0)
	v_add_f32_e32 v8, v8, v42
	;; [unrolled: 3-line block ×3, first 2 shown]
	s_or_b32 exec_lo, exec_lo, s8
	s_and_saveexec_b32 s8, s5
	s_cbranch_execz .LBB41_8
.LBB41_52:                              ;   in Loop: Header=BB41_9 Depth=1
	s_mul_hi_u32 s11, s7, s24
	s_mul_i32 s10, s7, s24
	v_mul_f32_e32 v6, s14, v6
	s_lshl_b64 s[10:11], s[10:11], 2
	v_mul_f32_e32 v7, s14, v7
	s_add_u32 s10, s50, s10
	s_addc_u32 s11, s51, s11
	s_or_b32 s9, s7, 1
	global_store_dword v5, v6, s[10:11]
	s_mul_hi_u32 s45, s9, s24
	s_mul_i32 s44, s9, s24
	v_mul_f32_e32 v6, s14, v41
	s_lshl_b64 s[44:45], s[44:45], 2
	s_waitcnt lgkmcnt(0)
	v_mul_f32_e32 v8, s14, v8
	s_add_u32 s44, s50, s44
	s_addc_u32 s45, s51, s45
	s_or_b32 s9, s7, 2
	global_store_dword v5, v7, s[44:45]
	s_mul_hi_u32 s55, s9, s24
	s_mul_i32 s54, s9, s24
	s_lshl_b64 s[54:55], s[54:55], 2
	s_add_u32 s10, s50, s54
	s_addc_u32 s11, s51, s55
	s_or_b32 s9, s7, 3
	s_mul_hi_u32 s55, s9, s24
	s_mul_i32 s54, s9, s24
	s_lshl_b64 s[54:55], s[54:55], 2
	s_add_u32 s44, s50, s54
	s_addc_u32 s45, s51, s55
	global_store_dword v5, v6, s[10:11]
	global_store_dword v5, v8, s[44:45]
	s_branch .LBB41_8
.LBB41_53:                              ;   in Loop: Header=BB41_9 Depth=1
	v_mov_b32_e32 v8, 0
	v_mov_b32_e32 v41, 0
	;; [unrolled: 1-line block ×4, first 2 shown]
.LBB41_54:                              ;   in Loop: Header=BB41_9 Depth=1
	s_inst_prefetch 0x2
	s_or_b32 exec_lo, exec_lo, s55
	s_or_b32 exec_lo, exec_lo, s54
	s_and_saveexec_b32 s8, s0
	s_cbranch_execnz .LBB41_12
	s_branch .LBB41_13
.LBB41_55:
	v_mov_b32_e32 v1, 0
	s_mov_b32 s7, 0
	v_mov_b32_e32 v2, v1
	v_mov_b32_e32 v3, v1
	;; [unrolled: 1-line block ×3, first 2 shown]
.LBB41_56:
	s_cmp_ge_i32 s7, s13
	s_cbranch_scc1 .LBB41_80
; %bb.57:
	v_cmp_gt_u32_e32 vcc_lo, 24, v29
	v_lshl_or_b32 v22, v29, 2, 64
	v_mad_i64_i32 v[15:16], null, s28, v27, 0
	s_cmp_gt_i32 s15, 0
	v_cndmask_b32_e64 v5, 0, 8, vcc_lo
	v_cmp_gt_u32_e32 vcc_lo, 28, v29
	s_mov_b32 s11, 0
	s_mov_b32 s10, s6
	v_cmp_ge_i32_e64 s0, s12, v32
	v_add_lshl_u32 v23, v5, v29, 2
	v_cndmask_b32_e64 v6, 0, 4, vcc_lo
	v_cmp_gt_u32_e32 vcc_lo, 30, v29
	v_cmp_ge_i32_e64 s1, s12, v33
	s_cselect_b32 s12, -1, 0
	s_lshl_b64 s[8:9], s[10:11], 2
	v_add_lshl_u32 v24, v6, v29, 2
	v_cndmask_b32_e64 v7, 0, 2, vcc_lo
	v_cmp_ne_u32_e32 vcc_lo, 31, v29
	v_mad_i64_i32 v[5:6], null, s28, v13, 0
	v_mad_i64_i32 v[13:14], null, s28, v28, 0
	s_waitcnt lgkmcnt(0)
	v_add_co_ci_u32_e64 v8, null, 0, v29, vcc_lo
	v_add_lshl_u32 v25, v7, v29, 2
	v_lshlrev_b64 v[15:16], 2, v[15:16]
	v_lshlrev_b64 v[17:18], 2, v[5:6]
	v_lshlrev_b32_e32 v29, 2, v8
	v_mad_i64_i32 v[7:8], null, s28, v30, 0
	v_lshlrev_b64 v[13:14], 2, v[13:14]
	s_add_u32 s10, s33, s8
	v_add_co_u32 v5, vcc_lo, s25, v17
	v_add_co_ci_u32_e64 v6, null, s47, v18, vcc_lo
	v_lshlrev_b64 v[7:8], 2, v[7:8]
	s_addc_u32 s33, s46, s9
	s_add_u32 s6, s22, s34
	s_addc_u32 s8, s23, s35
	s_mul_i32 s9, s27, s7
	s_mul_hi_u32 s22, s26, s7
	v_add_co_u32 v7, vcc_lo, s25, v7
	v_add_co_ci_u32_e64 v8, null, s47, v8, vcc_lo
	v_add_co_u32 v13, vcc_lo, s25, v13
	v_add_co_ci_u32_e64 v14, null, s47, v14, vcc_lo
	v_add_co_u32 v15, vcc_lo, s25, v15
	s_add_u32 s6, s6, s30
	s_addc_u32 s23, s8, s31
	s_add_i32 s9, s22, s9
	s_mul_i32 s8, s26, s7
	v_add_co_ci_u32_e64 v16, null, s47, v16, vcc_lo
	v_add_co_u32 v17, vcc_lo, s6, v17
	s_lshl_b64 s[8:9], s[8:9], 2
	v_add_co_ci_u32_e64 v18, null, s23, v18, vcc_lo
	s_lshl_b64 s[22:23], s[28:29], 2
	s_add_u32 s6, s20, s8
	s_addc_u32 s8, s21, s9
	s_add_u32 s6, s6, s18
	s_addc_u32 s8, s8, s19
	s_add_u32 s6, s16, s6
	s_addc_u32 s8, s17, s8
	v_add_co_u32 v11, vcc_lo, s6, v11
	v_cmp_gt_u32_e64 s2, 32, v0
	v_lshlrev_b32_e32 v21, 2, v26
	v_cmp_eq_u32_e64 s3, 0, v26
	v_and_b32_e32 v26, 28, v31
	v_cmp_gt_u32_e64 s4, 8, v0
	v_cmp_eq_u32_e64 s5, 0, v0
	v_add_co_ci_u32_e64 v12, null, s8, v12, vcc_lo
	v_mov_b32_e32 v0, 0
	s_lshl_b64 s[16:17], s[26:27], 2
	s_branch .LBB41_59
.LBB41_58:                              ;   in Loop: Header=BB41_59 Depth=1
	s_or_b32 exec_lo, exec_lo, s6
	v_add_co_u32 v11, vcc_lo, v11, s16
	v_add_co_ci_u32_e64 v12, null, s17, v12, vcc_lo
	s_add_i32 s7, s7, 1
	s_cmp_ge_i32 s7, s13
	s_cbranch_scc1 .LBB41_80
.LBB41_59:                              ; =>This Loop Header: Depth=1
                                        ;     Child Loop BB41_72 Depth 2
                                        ;     Child Loop BB41_75 Depth 2
	v_mov_b32_e32 v27, s11
	s_and_saveexec_b32 s6, s0
	s_xor_b32 s6, exec_lo, s6
	s_cbranch_execnz .LBB41_68
; %bb.60:                               ;   in Loop: Header=BB41_59 Depth=1
	s_andn2_saveexec_b32 s20, s6
	s_cbranch_execnz .LBB41_69
.LBB41_61:                              ;   in Loop: Header=BB41_59 Depth=1
	s_or_b32 exec_lo, exec_lo, s20
	s_and_saveexec_b32 s6, s2
.LBB41_62:                              ;   in Loop: Header=BB41_59 Depth=1
	ds_write_b32 v21, v0
.LBB41_63:                              ;   in Loop: Header=BB41_59 Depth=1
	s_or_b32 exec_lo, exec_lo, s6
	s_waitcnt lgkmcnt(0)
	ds_bpermute_b32 v19, v22, v27
	s_waitcnt lgkmcnt(0)
	s_waitcnt_vscnt null, 0x0
	s_barrier
	buffer_gl0_inv
	v_add_f32_e32 v19, v27, v19
	ds_bpermute_b32 v20, v23, v19
	s_waitcnt lgkmcnt(0)
	v_add_f32_e32 v19, v19, v20
	ds_bpermute_b32 v20, v24, v19
	s_waitcnt lgkmcnt(0)
	;; [unrolled: 3-line block ×3, first 2 shown]
	v_add_f32_e32 v19, v19, v20
	ds_bpermute_b32 v20, v29, v19
	s_and_saveexec_b32 s6, s3
	s_cbranch_execz .LBB41_65
; %bb.64:                               ;   in Loop: Header=BB41_59 Depth=1
	s_waitcnt lgkmcnt(0)
	v_add_f32_e32 v19, v19, v20
	ds_write_b32 v26, v19
.LBB41_65:                              ;   in Loop: Header=BB41_59 Depth=1
	s_or_b32 exec_lo, exec_lo, s6
	v_mov_b32_e32 v19, 0
	s_waitcnt lgkmcnt(0)
	s_barrier
	buffer_gl0_inv
	s_and_saveexec_b32 s6, s4
	s_cbranch_execnz .LBB41_77
; %bb.66:                               ;   in Loop: Header=BB41_59 Depth=1
	s_or_b32 exec_lo, exec_lo, s6
	s_and_saveexec_b32 s6, s2
	s_cbranch_execnz .LBB41_78
.LBB41_67:                              ;   in Loop: Header=BB41_59 Depth=1
	s_or_b32 exec_lo, exec_lo, s6
	s_and_saveexec_b32 s6, s5
	s_cbranch_execz .LBB41_58
	s_branch .LBB41_79
.LBB41_68:                              ;   in Loop: Header=BB41_59 Depth=1
	s_mul_i32 s9, s7, s27
	s_mul_hi_u32 s18, s7, s26
	s_mul_i32 s8, s7, s26
	s_add_i32 s9, s18, s9
	s_lshl_b64 s[8:9], s[8:9], 2
	v_add_co_u32 v1, vcc_lo, v9, s8
	v_add_co_ci_u32_e64 v2, null, s9, v10, vcc_lo
	global_load_dwordx4 v[30:33], v[1:2], off
	s_clause 0x3
	global_load_dword v1, v[5:6], off
	global_load_dword v2, v[7:8], off
	;; [unrolled: 1-line block ×4, first 2 shown]
	s_waitcnt vmcnt(3)
	v_fma_f32 v27, v1, v30, 0
	s_waitcnt vmcnt(2)
	v_fmac_f32_e32 v27, v2, v31
	s_waitcnt vmcnt(1)
	v_fmac_f32_e32 v27, v3, v32
	;; [unrolled: 2-line block ×3, first 2 shown]
	s_andn2_saveexec_b32 s20, s6
	s_cbranch_execz .LBB41_61
.LBB41_69:                              ;   in Loop: Header=BB41_59 Depth=1
	s_and_saveexec_b32 s21, s1
	s_cbranch_execz .LBB41_76
; %bb.70:                               ;   in Loop: Header=BB41_59 Depth=1
	s_andn2_b32 vcc_lo, exec_lo, s12
	s_cbranch_vccnz .LBB41_73
; %bb.71:                               ;   in Loop: Header=BB41_59 Depth=1
	s_waitcnt lgkmcnt(0)
	v_mov_b32_e32 v20, v18
	v_mov_b32_e32 v19, v17
	s_mov_b64 s[18:19], 0
	.p2align	6
.LBB41_72:                              ;   Parent Loop BB41_59 Depth=1
                                        ; =>  This Inner Loop Header: Depth=2
	global_load_dword v28, v[19:20], off
	s_cmp_eq_u32 s18, 3
	v_add_co_u32 v19, vcc_lo, v19, s22
	v_add_co_ci_u32_e64 v20, null, s23, v20, vcc_lo
	s_cselect_b32 vcc_lo, -1, 0
	s_cmp_eq_u32 s18, 2
	s_cselect_b32 s6, -1, 0
	s_cmp_eq_u32 s18, 1
	s_cselect_b32 s8, -1, 0
	;; [unrolled: 2-line block ×3, first 2 shown]
	s_add_u32 s18, s18, 1
	s_addc_u32 s19, s19, 0
	s_cmp_eq_u32 s15, s18
	s_waitcnt vmcnt(0)
	v_cndmask_b32_e32 v4, v4, v28, vcc_lo
	v_cndmask_b32_e64 v3, v3, v28, s6
	v_cndmask_b32_e64 v2, v2, v28, s8
	;; [unrolled: 1-line block ×3, first 2 shown]
	s_cbranch_scc0 .LBB41_72
.LBB41_73:                              ;   in Loop: Header=BB41_59 Depth=1
	s_andn2_b32 vcc_lo, exec_lo, s12
	s_cbranch_vccnz .LBB41_76
; %bb.74:                               ;   in Loop: Header=BB41_59 Depth=1
	s_waitcnt lgkmcnt(0)
	v_mov_b32_e32 v20, v12
	v_mov_b32_e32 v19, v11
	s_mov_b64 s[8:9], 0
	.p2align	6
.LBB41_75:                              ;   Parent Loop BB41_59 Depth=1
                                        ; =>  This Inner Loop Header: Depth=2
	global_load_dword v28, v[19:20], off
	s_cmp_eq_u32 s8, 1
	s_cselect_b32 vcc_lo, -1, 0
	s_cmp_eq_u32 s8, 2
	v_cndmask_b32_e32 v30, v1, v2, vcc_lo
	s_cselect_b32 vcc_lo, -1, 0
	s_cmp_eq_u32 s8, 3
	v_cndmask_b32_e32 v30, v30, v3, vcc_lo
	s_cselect_b32 vcc_lo, -1, 0
	s_add_u32 s8, s8, 1
	s_addc_u32 s9, s9, 0
	s_cmp_lg_u32 s15, s8
	v_cndmask_b32_e32 v30, v30, v4, vcc_lo
	v_add_co_u32 v19, vcc_lo, v19, 4
	v_add_co_ci_u32_e64 v20, null, 0, v20, vcc_lo
	s_waitcnt vmcnt(0)
	v_fmac_f32_e32 v27, v30, v28
	s_cbranch_scc1 .LBB41_75
.LBB41_76:                              ;   in Loop: Header=BB41_59 Depth=1
	s_or_b32 exec_lo, exec_lo, s21
	s_or_b32 exec_lo, exec_lo, s20
	s_and_saveexec_b32 s6, s2
	s_cbranch_execnz .LBB41_62
	s_branch .LBB41_63
.LBB41_77:                              ;   in Loop: Header=BB41_59 Depth=1
	ds_read_b32 v19, v21
	s_or_b32 exec_lo, exec_lo, s6
	s_and_saveexec_b32 s6, s2
	s_cbranch_execz .LBB41_67
.LBB41_78:                              ;   in Loop: Header=BB41_59 Depth=1
	s_waitcnt lgkmcnt(0)
	ds_bpermute_b32 v20, v24, v19
	s_waitcnt lgkmcnt(0)
	v_add_f32_e32 v19, v19, v20
	ds_bpermute_b32 v20, v25, v19
	s_waitcnt lgkmcnt(0)
	v_add_f32_e32 v19, v19, v20
	ds_bpermute_b32 v20, v29, v19
	s_waitcnt lgkmcnt(0)
	v_add_f32_e32 v19, v19, v20
	s_or_b32 exec_lo, exec_lo, s6
	s_and_saveexec_b32 s6, s5
	s_cbranch_execz .LBB41_58
.LBB41_79:                              ;   in Loop: Header=BB41_59 Depth=1
	s_mul_hi_u32 s9, s7, s24
	s_mul_i32 s8, s7, s24
	s_waitcnt lgkmcnt(0)
	v_mul_f32_e32 v19, s14, v19
	s_lshl_b64 s[8:9], s[8:9], 2
	s_add_u32 s8, s10, s8
	s_addc_u32 s9, s33, s9
	global_store_dword v0, v19, s[8:9]
	s_branch .LBB41_58
.LBB41_80:
	s_endpgm
	.section	.rodata,"a",@progbits
	.p2align	6, 0x0
	.amdhsa_kernel _ZL23rocblas_gemvt_sn_kernelILb1ELi256ELi4ElfffEviiT4_lPKT3_lilS3_lilPT5_i
		.amdhsa_group_segment_fixed_size 128
		.amdhsa_private_segment_fixed_size 0
		.amdhsa_kernarg_size 360
		.amdhsa_user_sgpr_count 6
		.amdhsa_user_sgpr_private_segment_buffer 1
		.amdhsa_user_sgpr_dispatch_ptr 0
		.amdhsa_user_sgpr_queue_ptr 0
		.amdhsa_user_sgpr_kernarg_segment_ptr 1
		.amdhsa_user_sgpr_dispatch_id 0
		.amdhsa_user_sgpr_flat_scratch_init 0
		.amdhsa_user_sgpr_private_segment_size 0
		.amdhsa_wavefront_size32 1
		.amdhsa_uses_dynamic_stack 0
		.amdhsa_system_sgpr_private_segment_wavefront_offset 0
		.amdhsa_system_sgpr_workgroup_id_x 1
		.amdhsa_system_sgpr_workgroup_id_y 0
		.amdhsa_system_sgpr_workgroup_id_z 1
		.amdhsa_system_sgpr_workgroup_info 0
		.amdhsa_system_vgpr_workitem_id 0
		.amdhsa_next_free_vgpr 59
		.amdhsa_next_free_sgpr 56
		.amdhsa_reserve_vcc 1
		.amdhsa_reserve_flat_scratch 0
		.amdhsa_float_round_mode_32 0
		.amdhsa_float_round_mode_16_64 0
		.amdhsa_float_denorm_mode_32 3
		.amdhsa_float_denorm_mode_16_64 3
		.amdhsa_dx10_clamp 1
		.amdhsa_ieee_mode 1
		.amdhsa_fp16_overflow 0
		.amdhsa_workgroup_processor_mode 1
		.amdhsa_memory_ordered 1
		.amdhsa_forward_progress 1
		.amdhsa_shared_vgpr_count 0
		.amdhsa_exception_fp_ieee_invalid_op 0
		.amdhsa_exception_fp_denorm_src 0
		.amdhsa_exception_fp_ieee_div_zero 0
		.amdhsa_exception_fp_ieee_overflow 0
		.amdhsa_exception_fp_ieee_underflow 0
		.amdhsa_exception_fp_ieee_inexact 0
		.amdhsa_exception_int_div_zero 0
	.end_amdhsa_kernel
	.section	.text._ZL23rocblas_gemvt_sn_kernelILb1ELi256ELi4ElfffEviiT4_lPKT3_lilS3_lilPT5_i,"axG",@progbits,_ZL23rocblas_gemvt_sn_kernelILb1ELi256ELi4ElfffEviiT4_lPKT3_lilS3_lilPT5_i,comdat
.Lfunc_end41:
	.size	_ZL23rocblas_gemvt_sn_kernelILb1ELi256ELi4ElfffEviiT4_lPKT3_lilS3_lilPT5_i, .Lfunc_end41-_ZL23rocblas_gemvt_sn_kernelILb1ELi256ELi4ElfffEviiT4_lPKT3_lilS3_lilPT5_i
                                        ; -- End function
	.set _ZL23rocblas_gemvt_sn_kernelILb1ELi256ELi4ElfffEviiT4_lPKT3_lilS3_lilPT5_i.num_vgpr, 59
	.set _ZL23rocblas_gemvt_sn_kernelILb1ELi256ELi4ElfffEviiT4_lPKT3_lilS3_lilPT5_i.num_agpr, 0
	.set _ZL23rocblas_gemvt_sn_kernelILb1ELi256ELi4ElfffEviiT4_lPKT3_lilS3_lilPT5_i.numbered_sgpr, 56
	.set _ZL23rocblas_gemvt_sn_kernelILb1ELi256ELi4ElfffEviiT4_lPKT3_lilS3_lilPT5_i.num_named_barrier, 0
	.set _ZL23rocblas_gemvt_sn_kernelILb1ELi256ELi4ElfffEviiT4_lPKT3_lilS3_lilPT5_i.private_seg_size, 0
	.set _ZL23rocblas_gemvt_sn_kernelILb1ELi256ELi4ElfffEviiT4_lPKT3_lilS3_lilPT5_i.uses_vcc, 1
	.set _ZL23rocblas_gemvt_sn_kernelILb1ELi256ELi4ElfffEviiT4_lPKT3_lilS3_lilPT5_i.uses_flat_scratch, 0
	.set _ZL23rocblas_gemvt_sn_kernelILb1ELi256ELi4ElfffEviiT4_lPKT3_lilS3_lilPT5_i.has_dyn_sized_stack, 0
	.set _ZL23rocblas_gemvt_sn_kernelILb1ELi256ELi4ElfffEviiT4_lPKT3_lilS3_lilPT5_i.has_recursion, 0
	.set _ZL23rocblas_gemvt_sn_kernelILb1ELi256ELi4ElfffEviiT4_lPKT3_lilS3_lilPT5_i.has_indirect_call, 0
	.section	.AMDGPU.csdata,"",@progbits
; Kernel info:
; codeLenInByte = 4200
; TotalNumSgprs: 58
; NumVgprs: 59
; ScratchSize: 0
; MemoryBound: 0
; FloatMode: 240
; IeeeMode: 1
; LDSByteSize: 128 bytes/workgroup (compile time only)
; SGPRBlocks: 0
; VGPRBlocks: 7
; NumSGPRsForWavesPerEU: 58
; NumVGPRsForWavesPerEU: 59
; Occupancy: 16
; WaveLimiterHint : 1
; COMPUTE_PGM_RSRC2:SCRATCH_EN: 0
; COMPUTE_PGM_RSRC2:USER_SGPR: 6
; COMPUTE_PGM_RSRC2:TRAP_HANDLER: 0
; COMPUTE_PGM_RSRC2:TGID_X_EN: 1
; COMPUTE_PGM_RSRC2:TGID_Y_EN: 0
; COMPUTE_PGM_RSRC2:TGID_Z_EN: 1
; COMPUTE_PGM_RSRC2:TIDIG_COMP_CNT: 0
	.section	.text._ZL36rocblas_gemvt_double_buffered_kernelILb1ELi128ELi8ELi8EfPKffEviiT4_lPKT3_lilS5_lilPT5_lili,"axG",@progbits,_ZL36rocblas_gemvt_double_buffered_kernelILb1ELi128ELi8ELi8EfPKffEviiT4_lPKT3_lilS5_lilPT5_lili,comdat
	.globl	_ZL36rocblas_gemvt_double_buffered_kernelILb1ELi128ELi8ELi8EfPKffEviiT4_lPKT3_lilS5_lilPT5_lili ; -- Begin function _ZL36rocblas_gemvt_double_buffered_kernelILb1ELi128ELi8ELi8EfPKffEviiT4_lPKT3_lilS5_lilPT5_lili
	.p2align	8
	.type	_ZL36rocblas_gemvt_double_buffered_kernelILb1ELi128ELi8ELi8EfPKffEviiT4_lPKT3_lilS5_lilPT5_lili,@function
_ZL36rocblas_gemvt_double_buffered_kernelILb1ELi128ELi8ELi8EfPKffEviiT4_lPKT3_lilS5_lilPT5_lili: ; @_ZL36rocblas_gemvt_double_buffered_kernelILb1ELi128ELi8ELi8EfPKffEviiT4_lPKT3_lilS5_lilPT5_lili
; %bb.0:
	s_load_dwordx8 s[12:19], s[4:5], 0x8
	s_waitcnt lgkmcnt(0)
	s_mul_i32 s0, s15, s8
	s_mul_hi_u32 s1, s14, s8
	s_add_i32 s1, s1, s0
	s_mul_i32 s0, s14, s8
	s_lshl_b64 s[0:1], s[0:1], 2
	s_add_u32 s0, s12, s0
	s_addc_u32 s1, s13, s1
	s_load_dword s9, s[0:1], 0x0
	s_waitcnt lgkmcnt(0)
	v_cmp_eq_f32_e64 s0, s9, 0
	s_and_b32 vcc_lo, exec_lo, s0
	s_cbranch_vccnz .LBB42_12
; %bb.1:
	s_clause 0x1
	s_load_dword s0, s[4:5], 0x84
	s_load_dword s1, s[4:5], 0x0
	s_waitcnt lgkmcnt(0)
	v_cvt_f32_u32_e32 v2, s0
	s_ashr_i32 s3, s1, 31
	s_sub_i32 s10, 0, s0
	s_lshr_b32 s3, s3, 25
	s_add_i32 s1, s1, s3
	v_rcp_iflag_f32_e32 v2, v2
	s_ashr_i32 s1, s1, 7
	v_mul_f32_e32 v2, 0x4f7ffffe, v2
	v_cvt_u32_f32_e32 v2, v2
	v_readfirstlane_b32 s2, v2
	s_mul_i32 s10, s10, s2
	s_mul_hi_u32 s3, s2, s10
	s_add_i32 s2, s2, s3
	s_mul_hi_u32 s2, s1, s2
	s_mul_i32 s3, s2, s0
	s_add_i32 s10, s2, 1
	s_sub_i32 s3, s1, s3
	s_sub_i32 s11, s3, s0
	s_cmp_ge_u32 s3, s0
	s_cselect_b32 s2, s10, s2
	s_cselect_b32 s3, s11, s3
	s_add_i32 s10, s2, 1
	s_cmp_ge_u32 s3, s0
	s_cselect_b32 s14, s10, s2
	s_mul_i32 s0, s14, s0
	s_sub_i32 s15, s1, s0
	s_cmp_lt_u32 s7, s15
	s_cselect_b32 s0, -1, 0
	s_cmp_lg_u32 s0, 0
	s_addc_u32 s24, s14, 0
	s_cmp_eq_u32 s24, 0
	s_cbranch_scc1 .LBB42_12
; %bb.2:
	s_clause 0x1
	s_load_dwordx4 s[0:3], s[4:5], 0x50
	s_load_dwordx2 s[12:13], s[4:5], 0x60
	v_lshl_add_u32 v4, v1, 7, v0
	v_and_b32_e32 v2, 63, v0
	s_lshl_b32 s10, s6, 7
	s_ashr_i32 s11, s10, 31
	v_lshrrev_b32_e32 v13, 3, v4
	v_lshlrev_b32_e32 v12, 2, v2
	s_cmp_lt_i32 s24, 1
	v_and_b32_e32 v14, 0x7ff8, v13
	s_cbranch_scc1 .LBB42_8
; %bb.3:
	v_cvt_f64_i32_e32 v[5:6], s7
	v_cvt_f64_u32_e32 v[7:8], s15
	s_mul_i32 s14, s14, s7
	s_load_dwordx4 s[28:31], s[4:5], 0x30
	v_cvt_f64_u32_e32 v[9:10], s14
	s_clause 0x2
	s_load_dword s20, s[4:5], 0x28
	s_load_dword s14, s[4:5], 0x48
	s_load_dwordx2 s[6:7], s[4:5], 0x40
	s_waitcnt lgkmcnt(0)
	s_mul_i32 s1, s1, s8
	s_mul_hi_u32 s25, s0, s8
	v_mov_b32_e32 v3, 0
	s_mul_i32 s0, s0, s8
	v_lshrrev_b32_e32 v4, 1, v4
	v_mov_b32_e32 v39, v3
	v_mov_b32_e32 v37, v3
	v_and_b32_e32 v4, 0x1ffe0, v4
	v_mov_b32_e32 v38, v3
	s_mul_i32 s15, s29, s8
	v_min_f64 v[5:6], v[5:6], v[7:8]
	s_mul_hi_u32 s21, s28, s8
	s_mul_i32 s22, s28, s8
	s_add_i32 s23, s21, s15
	s_ashr_i32 s21, s20, 31
	s_lshl_b64 s[22:23], s[22:23], 2
	s_ashr_i32 s15, s14, 31
	s_add_u32 s26, s16, s22
	s_addc_u32 s27, s17, s23
	s_lshl_b64 s[28:29], s[18:19], 2
	s_mul_hi_i32 s19, s20, s10
	s_add_u32 s33, s26, s28
	s_addc_u32 s27, s27, s29
	s_add_i32 s1, s25, s1
	s_mul_i32 s18, s20, s10
	s_lshl_b64 s[0:1], s[0:1], 2
	s_add_u32 s25, s30, s0
	s_addc_u32 s26, s31, s1
	s_lshl_b64 s[0:1], s[6:7], 2
	s_add_u32 s25, s25, s0
	v_add_f64 v[5:6], v[5:6], v[9:10]
	s_addc_u32 s26, s26, s1
	s_lshl_b64 s[0:1], s[18:19], 2
	s_add_u32 s7, s33, s0
	s_addc_u32 s27, s27, s1
	v_cvt_i32_f64_e32 v7, v[5:6]
	v_mad_i64_i32 v[5:6], null, s20, v14, v[2:3]
	v_lshlrev_b64 v[5:6], 2, v[5:6]
	v_readfirstlane_b32 s6, v7
	s_lshl_b32 s0, s6, 7
	s_ashr_i32 s1, s0, 31
	s_lshl_b64 s[18:19], s[0:1], 2
	s_add_u32 s0, s7, s18
	s_addc_u32 s1, s27, s19
	v_add_co_u32 v5, vcc_lo, s0, v5
	v_add_co_ci_u32_e64 v6, null, s1, v6, vcc_lo
	s_lshl_b64 s[0:1], s[20:21], 2
	s_lshl_b64 s[30:31], s[10:11], 2
	v_add_co_u32 v7, vcc_lo, v5, s0
	v_add_co_ci_u32_e64 v8, null, s1, v6, vcc_lo
	v_add_co_u32 v33, s11, v4, s30
	v_add_co_u32 v9, vcc_lo, v7, s0
	v_add_co_ci_u32_e64 v10, null, s1, v8, vcc_lo
	s_add_i32 s27, s24, -1
	v_add_co_u32 v15, vcc_lo, v9, s0
	v_add_co_ci_u32_e64 v16, null, s1, v10, vcc_lo
	s_lshl_b64 s[6:7], s[14:15], 9
	v_add_co_u32 v17, vcc_lo, v15, s0
	v_add_co_ci_u32_e64 v18, null, s1, v16, vcc_lo
	v_add_co_ci_u32_e64 v34, null, 0, s31, s11
	v_add_co_u32 v26, vcc_lo, v17, s0
	v_add_co_ci_u32_e64 v27, null, s1, v18, vcc_lo
	s_add_u32 s11, s16, s18
	v_add_co_u32 v28, vcc_lo, v26, s0
	v_add_co_ci_u32_e64 v29, null, s1, v27, vcc_lo
	s_addc_u32 s16, s17, s19
	v_add_co_u32 v30, vcc_lo, v28, s0
	v_add_co_ci_u32_e64 v31, null, s1, v29, vcc_lo
	s_clause 0x5
	global_load_dword v19, v[5:6], off
	global_load_dword v21, v[7:8], off
	;; [unrolled: 1-line block ×8, first 2 shown]
	s_add_u32 s11, s11, s28
	v_add_co_u32 v8, vcc_lo, v33, 4
	s_addc_u32 s17, s16, s29
	s_add_u32 s16, s11, s22
	v_add_co_ci_u32_e64 v9, null, 0, v34, vcc_lo
	s_addc_u32 s17, s17, s23
	v_mul_lo_u32 v10, v33, s21
	v_mad_u64_u32 v[4:5], null, v33, s20, s[16:17]
	v_mul_lo_u32 v11, v34, s20
	v_add_co_u32 v17, vcc_lo, v33, 8
	v_mad_u64_u32 v[6:7], null, v8, s20, s[16:17]
	v_mul_lo_u32 v15, v8, s21
	v_mul_lo_u32 v16, v9, s20
	v_add_co_ci_u32_e64 v18, null, 0, v34, vcc_lo
	v_mad_u64_u32 v[8:9], null, v17, s20, s[16:17]
	v_mul_lo_u32 v17, v17, s21
	v_mul_lo_u32 v18, v18, s20
	v_add3_u32 v5, v11, v5, v10
	v_add_co_u32 v11, vcc_lo, v33, 12
	v_add3_u32 v7, v16, v7, v15
	v_add_co_ci_u32_e64 v15, null, 0, v34, vcc_lo
	s_mul_i32 s11, s19, s14
	v_add3_u32 v18, v18, v9, v17
	v_mad_u64_u32 v[9:10], null, v11, s20, s[16:17]
	v_mul_lo_u32 v11, v11, s21
	v_mul_lo_u32 v20, v15, s20
	v_add_co_u32 v15, vcc_lo, 0x200, v6
	v_add_co_ci_u32_e64 v16, null, 0, v7, vcc_lo
	v_add_co_u32 v17, vcc_lo, 0x200, v8
	v_add_co_ci_u32_e64 v18, null, 0, v18, vcc_lo
	v_add_co_u32 v8, vcc_lo, v33, 16
	v_add3_u32 v22, v20, v10, v11
	v_add_co_ci_u32_e64 v10, null, 0, v34, vcc_lo
	v_mad_u64_u32 v[6:7], null, v8, s20, s[16:17]
	v_mul_lo_u32 v8, v8, s21
	v_mul_lo_u32 v30, v10, s20
	v_add_co_u32 v20, vcc_lo, v33, 20
	v_add_co_ci_u32_e64 v29, null, 0, v34, vcc_lo
	v_mad_u64_u32 v[10:11], null, v20, s20, s[16:17]
	v_mul_lo_u32 v31, v20, s21
	v_add_co_u32 v20, vcc_lo, 0x200, v9
	v_add_co_ci_u32_e64 v22, null, 0, v22, vcc_lo
	v_add3_u32 v9, v30, v7, v8
	v_add_co_u32 v30, vcc_lo, v33, 24
	v_mul_lo_u32 v29, v29, s20
	v_add_co_ci_u32_e64 v32, null, 0, v34, vcc_lo
	v_mad_u64_u32 v[7:8], null, v30, s20, s[16:17]
	v_mul_lo_u32 v35, v30, s21
	v_mul_lo_u32 v36, v32, s20
	v_add3_u32 v11, v29, v11, v31
	v_add_co_u32 v29, vcc_lo, 0x200, v6
	v_add_co_ci_u32_e64 v30, null, 0, v9, vcc_lo
	v_add_co_u32 v31, vcc_lo, 0x200, v10
	v_add_co_ci_u32_e64 v32, null, 0, v11, vcc_lo
	v_add3_u32 v6, v36, v8, v35
	v_add_co_u32 v8, vcc_lo, v33, 28
	v_add_co_ci_u32_e64 v9, null, 0, v34, vcc_lo
	v_or_b32_e32 v33, s18, v12
	v_mad_u64_u32 v[10:11], null, v8, s20, s[16:17]
	v_mul_lo_u32 v34, v8, s21
	v_mul_lo_u32 v35, v9, s20
	v_or_b32_e32 v8, 0x100, v33
	v_add_co_u32 v40, vcc_lo, 0x200, v7
	v_add_co_ci_u32_e64 v41, null, 0, v6, vcc_lo
	v_mul_lo_u32 v36, v33, s15
	v_mad_u64_u32 v[6:7], null, v33, s14, 0
	v_mul_lo_u32 v33, v8, s15
	v_mad_u64_u32 v[8:9], null, v8, s14, 0
	v_add3_u32 v11, v35, v11, v34
	v_add_co_u32 v42, vcc_lo, 0x200, v10
	v_add3_u32 v7, v7, v36, s11
	v_mov_b32_e32 v35, v3
	v_add_co_ci_u32_e64 v43, null, 0, v11, vcc_lo
	v_add3_u32 v9, v9, v33, s11
	v_mov_b32_e32 v36, v3
	v_mov_b32_e32 v34, v3
	;; [unrolled: 1-line block ×3, first 2 shown]
	s_mov_b32 s11, 0
	s_waitcnt vmcnt(7)
	v_mov_b32_e32 v44, v19
	s_waitcnt vmcnt(6)
	v_mov_b32_e32 v45, v21
	;; [unrolled: 2-line block ×8, first 2 shown]
.LBB42_4:                               ; =>This Inner Loop Header: Depth=1
	v_add_co_u32 v10, vcc_lo, v4, v12
	v_add_co_ci_u32_e64 v11, null, 0, v5, vcc_lo
	s_cmp_lg_u32 s27, s11
	v_add_co_u32 v53, vcc_lo, 0x100, v10
	v_add_co_ci_u32_e64 v55, null, 0, v11, vcc_lo
	global_load_dword v52, v[10:11], off offset:256
	v_add_co_u32 v54, vcc_lo, v53, s0
	v_add_co_ci_u32_e64 v55, null, s1, v55, vcc_lo
	v_add_co_u32 v56, vcc_lo, v54, s0
	v_add_co_ci_u32_e64 v57, null, s1, v55, vcc_lo
	s_clause 0x1
	global_load_dword v53, v[54:55], off
	global_load_dword v54, v[56:57], off
	v_add_co_u32 v56, vcc_lo, v56, s0
	v_add_co_ci_u32_e64 v57, null, s1, v57, vcc_lo
	v_add_co_u32 v58, vcc_lo, v56, s0
	v_add_co_ci_u32_e64 v59, null, s1, v57, vcc_lo
	s_clause 0x1
	global_load_dword v55, v[56:57], off
	global_load_dword v56, v[58:59], off
	v_add_co_u32 v58, vcc_lo, v58, s0
	v_add_co_ci_u32_e64 v59, null, s1, v59, vcc_lo
	v_add_co_u32 v60, vcc_lo, v58, s0
	v_add_co_ci_u32_e64 v61, null, s1, v59, vcc_lo
	global_load_dword v57, v[58:59], off
	v_add_co_u32 v59, vcc_lo, v60, s0
	global_load_dword v58, v[60:61], off
	v_add_co_ci_u32_e64 v60, null, s1, v61, vcc_lo
	global_load_dword v59, v[59:60], off
	v_add_co_u32 v60, vcc_lo, s25, v6
	v_add_co_ci_u32_e64 v61, null, s26, v7, vcc_lo
	global_load_dword v60, v[60:61], off
	s_cbranch_scc0 .LBB42_6
; %bb.5:                                ;   in Loop: Header=BB42_4 Depth=1
	global_load_dword v44, v[10:11], off offset:512
	v_add_co_u32 v10, vcc_lo, v15, v12
	v_add_co_ci_u32_e64 v11, null, 0, v16, vcc_lo
	global_load_dword v45, v[10:11], off
	v_add_co_u32 v10, vcc_lo, v17, v12
	v_add_co_ci_u32_e64 v11, null, 0, v18, vcc_lo
	global_load_dword v46, v[10:11], off
	;; [unrolled: 3-line block ×7, first 2 shown]
.LBB42_6:                               ;   in Loop: Header=BB42_4 Depth=1
	v_add_co_u32 v10, vcc_lo, s25, v8
	v_add_co_ci_u32_e64 v11, null, s26, v9, vcc_lo
	v_add_co_u32 v4, vcc_lo, 0x200, v4
	v_add_co_ci_u32_e64 v5, null, 0, v5, vcc_lo
	global_load_dword v10, v[10:11], off
	v_add_co_u32 v15, vcc_lo, 0x200, v15
	v_add_co_ci_u32_e64 v16, null, 0, v16, vcc_lo
	v_add_co_u32 v17, vcc_lo, 0x200, v17
	v_add_co_ci_u32_e64 v18, null, 0, v18, vcc_lo
	;; [unrolled: 2-line block ×4, first 2 shown]
	v_add_co_u32 v31, vcc_lo, 0x200, v31
	s_waitcnt vmcnt(1)
	v_fmac_f32_e32 v3, v19, v60
	v_fmac_f32_e32 v39, v21, v60
	;; [unrolled: 1-line block ×8, first 2 shown]
	v_add_co_ci_u32_e64 v32, null, 0, v32, vcc_lo
	v_add_co_u32 v40, vcc_lo, 0x200, v40
	v_add_co_ci_u32_e64 v41, null, 0, v41, vcc_lo
	v_add_co_u32 v42, vcc_lo, 0x200, v42
	s_add_i32 s11, s11, 1
	v_add_co_ci_u32_e64 v43, null, 0, v43, vcc_lo
	s_add_u32 s25, s25, s6
	s_addc_u32 s26, s26, s7
	s_cmp_ge_i32 s11, s24
	s_waitcnt vmcnt(0)
	v_fmac_f32_e32 v3, v52, v10
	v_fmac_f32_e32 v39, v53, v10
	;; [unrolled: 1-line block ×8, first 2 shown]
	s_cbranch_scc1 .LBB42_9
; %bb.7:                                ;   in Loop: Header=BB42_4 Depth=1
	v_mov_b32_e32 v19, v44
	v_mov_b32_e32 v21, v45
	;; [unrolled: 1-line block ×8, first 2 shown]
	s_branch .LBB42_4
.LBB42_8:
	v_mov_b32_e32 v33, 0
	v_mov_b32_e32 v34, 0
	;; [unrolled: 1-line block ×8, first 2 shown]
.LBB42_9:
	v_lshlrev_b32_e32 v4, 8, v13
	v_lshl_or_b32 v5, v14, 8, v12
	v_cmp_eq_u32_e32 vcc_lo, 0, v1
	s_mov_b32 s6, 0
	v_or3_b32 v1, v4, v12, 0x700
	ds_write2st64_b32 v5, v3, v39 offset1:1
	ds_write2st64_b32 v5, v37, v38 offset0:2 offset1:3
	ds_write2st64_b32 v5, v35, v36 offset0:4 offset1:5
	ds_write_b32 v5, v34 offset:1536
	ds_write_b32 v1, v33
	s_waitcnt lgkmcnt(0)
	s_barrier
	buffer_gl0_inv
	s_and_saveexec_b32 s0, vcc_lo
	s_cbranch_execz .LBB42_12
; %bb.10:
	v_lshlrev_b32_e32 v5, 8, v0
	v_add_nc_u32_e32 v1, 1, v0
	v_add_nc_u32_e32 v3, 2, v0
	;; [unrolled: 1-line block ×4, first 2 shown]
	v_lshl_or_b32 v6, v2, 2, v5
	v_and_b32_e32 v1, 63, v1
	v_and_b32_e32 v3, 63, v3
	v_add_nc_u32_e32 v8, 5, v0
	v_add_nc_u32_e32 v9, 6, v0
	ds_read_b32 v6, v6
	v_lshl_or_b32 v1, v1, 2, v5
	v_lshl_or_b32 v3, v3, 2, v5
	v_add_nc_u32_e32 v10, 7, v0
	v_and_b32_e32 v4, 63, v4
	ds_read_b32 v1, v1
	ds_read_b32 v3, v3
	v_and_b32_e32 v7, 63, v7
	v_and_b32_e32 v8, 63, v8
	;; [unrolled: 1-line block ×4, first 2 shown]
	v_lshl_or_b32 v4, v4, 2, v5
	v_lshl_or_b32 v7, v7, 2, v5
	v_lshl_or_b32 v8, v8, 2, v5
	v_lshl_or_b32 v9, v9, 2, v5
	v_lshl_or_b32 v10, v10, 2, v5
	ds_read_b32 v4, v4
	ds_read_b32 v7, v7
	;; [unrolled: 1-line block ×5, first 2 shown]
	v_add_nc_u32_e32 v11, 8, v0
	v_add_nc_u32_e32 v12, 9, v0
	;; [unrolled: 1-line block ×3, first 2 shown]
	s_waitcnt lgkmcnt(7)
	v_add_f32_e32 v6, 0, v6
	v_add_nc_u32_e32 v14, 12, v0
	v_add_nc_u32_e32 v15, 13, v0
	v_and_b32_e32 v12, 63, v12
	v_and_b32_e32 v13, 63, v13
	s_waitcnt lgkmcnt(6)
	v_add_f32_e32 v1, v6, v1
	v_add_nc_u32_e32 v6, 11, v0
	v_add_nc_u32_e32 v16, 14, v0
	v_lshl_or_b32 v12, v12, 2, v5
	v_lshl_or_b32 v13, v13, 2, v5
	s_waitcnt lgkmcnt(5)
	v_add_f32_e32 v1, v1, v3
	v_and_b32_e32 v3, 63, v11
	v_add_nc_u32_e32 v11, 15, v0
	v_xor_b32_e32 v2, 32, v2
	s_waitcnt lgkmcnt(4)
	v_add_f32_e32 v1, v1, v4
	v_lshl_or_b32 v3, v3, 2, v5
	v_and_b32_e32 v4, 63, v6
	v_and_b32_e32 v6, 63, v14
	;; [unrolled: 1-line block ×3, first 2 shown]
	s_waitcnt lgkmcnt(3)
	v_add_f32_e32 v1, v1, v7
	ds_read_b32 v3, v3
	v_and_b32_e32 v7, 63, v15
	v_and_b32_e32 v11, 63, v11
	v_lshl_or_b32 v4, v4, 2, v5
	s_waitcnt lgkmcnt(3)
	v_add_f32_e32 v1, v1, v8
	ds_read_b32 v8, v12
	v_lshl_or_b32 v6, v6, 2, v5
	v_lshl_or_b32 v7, v7, 2, v5
	;; [unrolled: 1-line block ×3, first 2 shown]
	s_waitcnt lgkmcnt(3)
	v_add_f32_e32 v1, v1, v9
	ds_read_b32 v9, v13
	v_lshl_or_b32 v12, v14, 2, v5
	v_add_nc_u32_e32 v13, 19, v0
	v_add_nc_u32_e32 v14, 21, v0
	s_waitcnt lgkmcnt(3)
	v_add_f32_e32 v1, v1, v10
	ds_read_b32 v4, v4
	ds_read_b32 v6, v6
	;; [unrolled: 1-line block ×5, first 2 shown]
	v_add_nc_u32_e32 v12, 18, v0
	s_clause 0x1
	s_load_dwordx2 s[0:1], s[4:5], 0x70
	s_load_dword s4, s[4:5], 0x68
	v_add_nc_u32_e32 v15, 22, v0
	v_add_nc_u32_e32 v16, 23, v0
	s_waitcnt lgkmcnt(0)
	v_add_f32_e32 v1, v1, v3
	v_add_nc_u32_e32 v3, 16, v0
	v_lshl_or_b32 v2, v2, 2, v5
	v_add_f32_e32 v1, v1, v8
	v_add_nc_u32_e32 v8, 17, v0
	v_and_b32_e32 v3, 63, v3
	v_add_f32_e32 v1, v1, v9
	v_add_nc_u32_e32 v9, 20, v0
	v_lshl_or_b32 v3, v3, 2, v5
	v_add_f32_e32 v1, v1, v4
	v_and_b32_e32 v4, 63, v8
	v_and_b32_e32 v8, 63, v12
	;; [unrolled: 1-line block ×3, first 2 shown]
	s_mul_i32 s1, s1, s8
	v_add_f32_e32 v1, v1, v6
	v_lshl_or_b32 v4, v4, 2, v5
	v_lshl_or_b32 v6, v8, 2, v5
	v_and_b32_e32 v8, 63, v14
	s_mul_hi_u32 s5, s0, s8
	v_add_f32_e32 v1, v1, v7
	ds_read_b32 v3, v3
	ds_read_b32 v7, v4
	;; [unrolled: 1-line block ×3, first 2 shown]
	v_and_b32_e32 v4, 63, v9
	v_and_b32_e32 v9, 63, v15
	v_lshl_or_b32 v8, v8, 2, v5
	v_add_f32_e32 v1, v1, v10
	v_and_b32_e32 v10, 63, v16
	v_lshl_or_b32 v4, v4, 2, v5
	v_lshl_or_b32 v9, v9, 2, v5
	s_mul_i32 s0, s0, s8
	v_add_f32_e32 v1, v1, v11
	v_lshl_or_b32 v11, v12, 2, v5
	v_lshl_or_b32 v10, v10, 2, v5
	s_add_i32 s1, s5, s1
	ds_read_b32 v11, v11
	ds_read_b32 v12, v4
	;; [unrolled: 1-line block ×5, first 2 shown]
	s_lshl_b64 s[0:1], s[0:1], 2
	v_add_nc_u32_e32 v13, 30, v0
	s_waitcnt lgkmcnt(7)
	v_add_f32_e32 v1, v1, v3
	v_mad_i64_i32 v[3:4], null, s4, v0, 0
	s_add_u32 s5, s2, s0
	s_addc_u32 s2, s3, s1
	s_lshl_b64 s[0:1], s[12:13], 2
	s_waitcnt lgkmcnt(6)
	v_add_f32_e32 v1, v1, v7
	s_add_u32 s3, s5, s0
	s_mul_hi_i32 s5, s4, s10
	s_mul_i32 s4, s4, s10
	v_lshlrev_b64 v[3:4], 2, v[3:4]
	s_addc_u32 s2, s2, s1
	s_lshl_b64 s[0:1], s[4:5], 2
	s_waitcnt lgkmcnt(5)
	v_add_f32_e32 v1, v1, v6
	s_add_u32 s0, s3, s0
	s_addc_u32 s1, s2, s1
	v_add_co_u32 v3, vcc_lo, s0, v3
	s_waitcnt lgkmcnt(4)
	v_add_f32_e32 v1, v1, v11
	v_add_co_ci_u32_e64 v4, null, s1, v4, vcc_lo
	v_add_nc_u32_e32 v7, 24, v0
	v_add_nc_u32_e32 v11, 25, v0
	s_waitcnt lgkmcnt(3)
	v_add_f32_e32 v6, v1, v12
	global_load_dword v1, v[3:4], off
	v_add_nc_u32_e32 v12, 26, v0
	v_and_b32_e32 v7, 63, v7
	v_add_nc_u32_e32 v14, 31, v0
	s_waitcnt lgkmcnt(2)
	v_add_f32_e32 v6, v6, v8
	v_and_b32_e32 v8, 63, v11
	v_and_b32_e32 v11, 63, v12
	v_lshl_or_b32 v7, v7, 2, v5
	v_add_nc_u32_e32 v12, 29, v0
	s_waitcnt lgkmcnt(1)
	v_add_f32_e32 v6, v6, v9
	v_lshl_or_b32 v8, v8, 2, v5
	v_lshl_or_b32 v9, v11, 2, v5
	ds_read_b32 v7, v7
	ds_read_b32 v8, v8
	;; [unrolled: 1-line block ×3, first 2 shown]
	s_waitcnt lgkmcnt(3)
	v_add_f32_e32 v6, v6, v10
	v_add_nc_u32_e32 v10, 27, v0
	v_add_nc_u32_e32 v11, 28, v0
	v_and_b32_e32 v12, 63, v12
	v_and_b32_e32 v13, 63, v13
	;; [unrolled: 1-line block ×5, first 2 shown]
	v_lshl_or_b32 v12, v12, 2, v5
	v_lshl_or_b32 v13, v13, 2, v5
	;; [unrolled: 1-line block ×5, first 2 shown]
	ds_read_b32 v10, v10
	ds_read_b32 v11, v11
	;; [unrolled: 1-line block ×5, first 2 shown]
	s_waitcnt lgkmcnt(7)
	v_add_f32_e32 v6, v6, v7
	v_add_nc_u32_e32 v7, 33, v0
	s_waitcnt lgkmcnt(6)
	v_add_f32_e32 v6, v6, v8
	v_add_nc_u32_e32 v8, 34, v0
	v_and_b32_e32 v7, 63, v7
	s_waitcnt lgkmcnt(5)
	v_add_f32_e32 v6, v6, v9
	v_and_b32_e32 v8, 63, v8
	v_lshl_or_b32 v7, v7, 2, v5
	v_add_nc_u32_e32 v9, 35, v0
	s_waitcnt lgkmcnt(4)
	v_add_f32_e32 v6, v6, v10
	v_lshl_or_b32 v8, v8, 2, v5
	ds_read_b32 v2, v2
	ds_read_b32 v7, v7
	;; [unrolled: 1-line block ×3, first 2 shown]
	s_waitcnt lgkmcnt(6)
	v_add_f32_e32 v6, v6, v11
	v_add_nc_u32_e32 v10, 36, v0
	v_add_nc_u32_e32 v11, 37, v0
	v_and_b32_e32 v9, 63, v9
	s_waitcnt lgkmcnt(5)
	v_add_f32_e32 v6, v6, v12
	v_add_nc_u32_e32 v12, 38, v0
	v_and_b32_e32 v10, 63, v10
	v_and_b32_e32 v11, 63, v11
	v_lshl_or_b32 v9, v9, 2, v5
	s_waitcnt lgkmcnt(4)
	v_add_f32_e32 v6, v6, v13
	v_add_nc_u32_e32 v13, 39, v0
	v_and_b32_e32 v12, 63, v12
	v_lshl_or_b32 v10, v10, 2, v5
	v_lshl_or_b32 v11, v11, 2, v5
	s_waitcnt lgkmcnt(3)
	v_add_f32_e32 v6, v6, v14
	v_and_b32_e32 v13, 63, v13
	v_lshl_or_b32 v12, v12, 2, v5
	s_waitcnt lgkmcnt(2)
	v_add_f32_e32 v2, v6, v2
	v_lshl_or_b32 v13, v13, 2, v5
	ds_read_b32 v9, v9
	ds_read_b32 v10, v10
	;; [unrolled: 1-line block ×5, first 2 shown]
	v_add_nc_u32_e32 v6, 40, v0
	s_waitcnt lgkmcnt(6)
	v_add_f32_e32 v2, v2, v7
	v_add_nc_u32_e32 v7, 41, v0
	v_and_b32_e32 v6, 63, v6
	s_waitcnt lgkmcnt(5)
	v_add_f32_e32 v2, v2, v8
	v_add_nc_u32_e32 v8, 42, v0
	v_and_b32_e32 v7, 63, v7
	v_lshl_or_b32 v6, v6, 2, v5
	v_and_b32_e32 v8, 63, v8
	v_lshl_or_b32 v7, v7, 2, v5
	s_waitcnt lgkmcnt(4)
	v_add_f32_e32 v2, v2, v9
	v_add_nc_u32_e32 v9, 43, v0
	v_lshl_or_b32 v8, v8, 2, v5
	ds_read_b32 v6, v6
	ds_read_b32 v7, v7
	;; [unrolled: 1-line block ×3, first 2 shown]
	s_waitcnt lgkmcnt(6)
	v_add_f32_e32 v2, v2, v10
	v_add_nc_u32_e32 v10, 44, v0
	v_and_b32_e32 v9, 63, v9
	s_waitcnt lgkmcnt(5)
	v_add_f32_e32 v2, v2, v11
	v_add_nc_u32_e32 v11, 45, v0
	v_and_b32_e32 v10, 63, v10
	v_lshl_or_b32 v9, v9, 2, v5
	s_waitcnt lgkmcnt(4)
	v_add_f32_e32 v2, v2, v12
	v_add_nc_u32_e32 v12, 46, v0
	v_and_b32_e32 v11, 63, v11
	v_lshl_or_b32 v10, v10, 2, v5
	;; [unrolled: 5-line block ×3, first 2 shown]
	s_waitcnt lgkmcnt(2)
	v_add_f32_e32 v2, v2, v6
	v_and_b32_e32 v13, 63, v13
	v_lshl_or_b32 v12, v12, 2, v5
	v_add_nc_u32_e32 v6, 48, v0
	s_waitcnt lgkmcnt(1)
	v_add_f32_e32 v2, v2, v7
	v_lshl_or_b32 v13, v13, 2, v5
	ds_read_b32 v9, v9
	ds_read_b32 v10, v10
	;; [unrolled: 1-line block ×5, first 2 shown]
	v_add_nc_u32_e32 v7, 49, v0
	v_and_b32_e32 v6, 63, v6
	s_waitcnt lgkmcnt(5)
	v_add_f32_e32 v2, v2, v8
	v_add_nc_u32_e32 v8, 50, v0
	v_and_b32_e32 v7, 63, v7
	v_lshl_or_b32 v6, v6, 2, v5
	v_and_b32_e32 v8, 63, v8
	v_lshl_or_b32 v7, v7, 2, v5
	v_lshl_or_b32 v8, v8, 2, v5
	ds_read_b32 v6, v6
	ds_read_b32 v7, v7
	;; [unrolled: 1-line block ×3, first 2 shown]
	s_waitcnt lgkmcnt(7)
	v_add_f32_e32 v2, v2, v9
	v_add_nc_u32_e32 v9, 51, v0
	s_waitcnt lgkmcnt(6)
	v_add_f32_e32 v2, v2, v10
	v_add_nc_u32_e32 v10, 52, v0
	v_and_b32_e32 v9, 63, v9
	s_waitcnt lgkmcnt(5)
	v_add_f32_e32 v2, v2, v11
	v_add_nc_u32_e32 v11, 53, v0
	v_and_b32_e32 v10, 63, v10
	v_lshl_or_b32 v9, v9, 2, v5
	s_waitcnt lgkmcnt(4)
	v_add_f32_e32 v2, v2, v12
	v_add_nc_u32_e32 v12, 54, v0
	v_and_b32_e32 v11, 63, v11
	v_lshl_or_b32 v10, v10, 2, v5
	;; [unrolled: 5-line block ×3, first 2 shown]
	s_waitcnt lgkmcnt(2)
	v_add_f32_e32 v2, v2, v6
	v_and_b32_e32 v13, 63, v13
	v_lshl_or_b32 v12, v12, 2, v5
	v_add_nc_u32_e32 v6, 56, v0
	s_waitcnt lgkmcnt(1)
	v_add_f32_e32 v2, v2, v7
	v_lshl_or_b32 v13, v13, 2, v5
	ds_read_b32 v9, v9
	ds_read_b32 v10, v10
	;; [unrolled: 1-line block ×5, first 2 shown]
	v_add_nc_u32_e32 v7, 57, v0
	v_and_b32_e32 v6, 63, v6
	s_waitcnt lgkmcnt(5)
	v_add_f32_e32 v2, v2, v8
	v_add_nc_u32_e32 v8, 58, v0
	v_and_b32_e32 v7, 63, v7
	v_lshl_or_b32 v6, v6, 2, v5
	v_and_b32_e32 v8, 63, v8
	v_lshl_or_b32 v7, v7, 2, v5
	v_lshl_or_b32 v8, v8, 2, v5
	ds_read_b32 v6, v6
	ds_read_b32 v7, v7
	;; [unrolled: 1-line block ×3, first 2 shown]
	s_waitcnt lgkmcnt(7)
	v_add_f32_e32 v2, v2, v9
	v_add_nc_u32_e32 v9, 59, v0
	s_waitcnt lgkmcnt(6)
	v_add_f32_e32 v2, v2, v10
	v_add_nc_u32_e32 v10, 60, v0
	v_and_b32_e32 v9, 63, v9
	s_waitcnt lgkmcnt(5)
	v_add_f32_e32 v2, v2, v11
	v_add_nc_u32_e32 v11, 61, v0
	v_and_b32_e32 v10, 63, v10
	v_lshl_or_b32 v9, v9, 2, v5
	s_waitcnt lgkmcnt(4)
	v_add_f32_e32 v2, v2, v12
	v_add_nc_u32_e32 v12, 62, v0
	v_add_nc_u32_e32 v0, -1, v0
	v_and_b32_e32 v11, 63, v11
	v_lshl_or_b32 v10, v10, 2, v5
	s_waitcnt lgkmcnt(3)
	v_add_f32_e32 v2, v2, v13
	v_and_b32_e32 v12, 63, v12
	v_and_b32_e32 v0, 63, v0
	v_lshl_or_b32 v11, v11, 2, v5
	s_waitcnt lgkmcnt(2)
	v_add_f32_e32 v2, v2, v6
	v_lshl_or_b32 v12, v12, 2, v5
	v_lshl_or_b32 v0, v0, 2, v5
	ds_read_b32 v5, v9
	ds_read_b32 v9, v10
	;; [unrolled: 1-line block ×5, first 2 shown]
	s_waitcnt lgkmcnt(6)
	v_add_f32_e32 v2, v2, v7
	s_waitcnt lgkmcnt(5)
	v_add_f32_e32 v2, v2, v8
	;; [unrolled: 2-line block ×7, first 2 shown]
	v_mul_f32_e32 v2, s9, v0
.LBB42_11:                              ; =>This Inner Loop Header: Depth=1
	s_waitcnt vmcnt(0)
	v_add_f32_e32 v0, v1, v2
	global_atomic_cmpswap v0, v[3:4], v[0:1], off glc
	s_waitcnt vmcnt(0)
	v_cmp_eq_u32_e32 vcc_lo, v0, v1
	v_mov_b32_e32 v1, v0
	s_or_b32 s6, vcc_lo, s6
	s_andn2_b32 exec_lo, exec_lo, s6
	s_cbranch_execnz .LBB42_11
.LBB42_12:
	s_endpgm
	.section	.rodata,"a",@progbits
	.p2align	6, 0x0
	.amdhsa_kernel _ZL36rocblas_gemvt_double_buffered_kernelILb1ELi128ELi8ELi8EfPKffEviiT4_lPKT3_lilS5_lilPT5_lili
		.amdhsa_group_segment_fixed_size 32768
		.amdhsa_private_segment_fixed_size 0
		.amdhsa_kernarg_size 384
		.amdhsa_user_sgpr_count 6
		.amdhsa_user_sgpr_private_segment_buffer 1
		.amdhsa_user_sgpr_dispatch_ptr 0
		.amdhsa_user_sgpr_queue_ptr 0
		.amdhsa_user_sgpr_kernarg_segment_ptr 1
		.amdhsa_user_sgpr_dispatch_id 0
		.amdhsa_user_sgpr_flat_scratch_init 0
		.amdhsa_user_sgpr_private_segment_size 0
		.amdhsa_wavefront_size32 1
		.amdhsa_uses_dynamic_stack 0
		.amdhsa_system_sgpr_private_segment_wavefront_offset 0
		.amdhsa_system_sgpr_workgroup_id_x 1
		.amdhsa_system_sgpr_workgroup_id_y 1
		.amdhsa_system_sgpr_workgroup_id_z 1
		.amdhsa_system_sgpr_workgroup_info 0
		.amdhsa_system_vgpr_workitem_id 1
		.amdhsa_next_free_vgpr 62
		.amdhsa_next_free_sgpr 34
		.amdhsa_reserve_vcc 1
		.amdhsa_reserve_flat_scratch 0
		.amdhsa_float_round_mode_32 0
		.amdhsa_float_round_mode_16_64 0
		.amdhsa_float_denorm_mode_32 3
		.amdhsa_float_denorm_mode_16_64 3
		.amdhsa_dx10_clamp 1
		.amdhsa_ieee_mode 1
		.amdhsa_fp16_overflow 0
		.amdhsa_workgroup_processor_mode 1
		.amdhsa_memory_ordered 1
		.amdhsa_forward_progress 1
		.amdhsa_shared_vgpr_count 0
		.amdhsa_exception_fp_ieee_invalid_op 0
		.amdhsa_exception_fp_denorm_src 0
		.amdhsa_exception_fp_ieee_div_zero 0
		.amdhsa_exception_fp_ieee_overflow 0
		.amdhsa_exception_fp_ieee_underflow 0
		.amdhsa_exception_fp_ieee_inexact 0
		.amdhsa_exception_int_div_zero 0
	.end_amdhsa_kernel
	.section	.text._ZL36rocblas_gemvt_double_buffered_kernelILb1ELi128ELi8ELi8EfPKffEviiT4_lPKT3_lilS5_lilPT5_lili,"axG",@progbits,_ZL36rocblas_gemvt_double_buffered_kernelILb1ELi128ELi8ELi8EfPKffEviiT4_lPKT3_lilS5_lilPT5_lili,comdat
.Lfunc_end42:
	.size	_ZL36rocblas_gemvt_double_buffered_kernelILb1ELi128ELi8ELi8EfPKffEviiT4_lPKT3_lilS5_lilPT5_lili, .Lfunc_end42-_ZL36rocblas_gemvt_double_buffered_kernelILb1ELi128ELi8ELi8EfPKffEviiT4_lPKT3_lilS5_lilPT5_lili
                                        ; -- End function
	.set _ZL36rocblas_gemvt_double_buffered_kernelILb1ELi128ELi8ELi8EfPKffEviiT4_lPKT3_lilS5_lilPT5_lili.num_vgpr, 62
	.set _ZL36rocblas_gemvt_double_buffered_kernelILb1ELi128ELi8ELi8EfPKffEviiT4_lPKT3_lilS5_lilPT5_lili.num_agpr, 0
	.set _ZL36rocblas_gemvt_double_buffered_kernelILb1ELi128ELi8ELi8EfPKffEviiT4_lPKT3_lilS5_lilPT5_lili.numbered_sgpr, 34
	.set _ZL36rocblas_gemvt_double_buffered_kernelILb1ELi128ELi8ELi8EfPKffEviiT4_lPKT3_lilS5_lilPT5_lili.num_named_barrier, 0
	.set _ZL36rocblas_gemvt_double_buffered_kernelILb1ELi128ELi8ELi8EfPKffEviiT4_lPKT3_lilS5_lilPT5_lili.private_seg_size, 0
	.set _ZL36rocblas_gemvt_double_buffered_kernelILb1ELi128ELi8ELi8EfPKffEviiT4_lPKT3_lilS5_lilPT5_lili.uses_vcc, 1
	.set _ZL36rocblas_gemvt_double_buffered_kernelILb1ELi128ELi8ELi8EfPKffEviiT4_lPKT3_lilS5_lilPT5_lili.uses_flat_scratch, 0
	.set _ZL36rocblas_gemvt_double_buffered_kernelILb1ELi128ELi8ELi8EfPKffEviiT4_lPKT3_lilS5_lilPT5_lili.has_dyn_sized_stack, 0
	.set _ZL36rocblas_gemvt_double_buffered_kernelILb1ELi128ELi8ELi8EfPKffEviiT4_lPKT3_lilS5_lilPT5_lili.has_recursion, 0
	.set _ZL36rocblas_gemvt_double_buffered_kernelILb1ELi128ELi8ELi8EfPKffEviiT4_lPKT3_lilS5_lilPT5_lili.has_indirect_call, 0
	.section	.AMDGPU.csdata,"",@progbits
; Kernel info:
; codeLenInByte = 4496
; TotalNumSgprs: 36
; NumVgprs: 62
; ScratchSize: 0
; MemoryBound: 0
; FloatMode: 240
; IeeeMode: 1
; LDSByteSize: 32768 bytes/workgroup (compile time only)
; SGPRBlocks: 0
; VGPRBlocks: 7
; NumSGPRsForWavesPerEU: 36
; NumVGPRsForWavesPerEU: 62
; Occupancy: 16
; WaveLimiterHint : 0
; COMPUTE_PGM_RSRC2:SCRATCH_EN: 0
; COMPUTE_PGM_RSRC2:USER_SGPR: 6
; COMPUTE_PGM_RSRC2:TRAP_HANDLER: 0
; COMPUTE_PGM_RSRC2:TGID_X_EN: 1
; COMPUTE_PGM_RSRC2:TGID_Y_EN: 1
; COMPUTE_PGM_RSRC2:TGID_Z_EN: 1
; COMPUTE_PGM_RSRC2:TIDIG_COMP_CNT: 1
	.section	.text._ZL36rocblas_gemvt_double_buffered_kernelILb1ELi128ELi8ELi8EfffEviiT4_lPKT3_lilS3_lilPT5_lili,"axG",@progbits,_ZL36rocblas_gemvt_double_buffered_kernelILb1ELi128ELi8ELi8EfffEviiT4_lPKT3_lilS3_lilPT5_lili,comdat
	.globl	_ZL36rocblas_gemvt_double_buffered_kernelILb1ELi128ELi8ELi8EfffEviiT4_lPKT3_lilS3_lilPT5_lili ; -- Begin function _ZL36rocblas_gemvt_double_buffered_kernelILb1ELi128ELi8ELi8EfffEviiT4_lPKT3_lilS3_lilPT5_lili
	.p2align	8
	.type	_ZL36rocblas_gemvt_double_buffered_kernelILb1ELi128ELi8ELi8EfffEviiT4_lPKT3_lilS3_lilPT5_lili,@function
_ZL36rocblas_gemvt_double_buffered_kernelILb1ELi128ELi8ELi8EfffEviiT4_lPKT3_lilS3_lilPT5_lili: ; @_ZL36rocblas_gemvt_double_buffered_kernelILb1ELi128ELi8ELi8EfffEviiT4_lPKT3_lilS3_lilPT5_lili
; %bb.0:
	s_load_dword s9, s[4:5], 0x8
	s_waitcnt lgkmcnt(0)
	v_cmp_eq_f32_e64 s0, s9, 0
	s_and_b32 vcc_lo, exec_lo, s0
	s_cbranch_vccnz .LBB43_12
; %bb.1:
	s_clause 0x1
	s_load_dword s0, s[4:5], 0x84
	s_load_dword s1, s[4:5], 0x0
	s_waitcnt lgkmcnt(0)
	v_cvt_f32_u32_e32 v2, s0
	s_ashr_i32 s3, s1, 31
	s_sub_i32 s10, 0, s0
	s_lshr_b32 s3, s3, 25
	s_add_i32 s1, s1, s3
	v_rcp_iflag_f32_e32 v2, v2
	s_ashr_i32 s1, s1, 7
	v_mul_f32_e32 v2, 0x4f7ffffe, v2
	v_cvt_u32_f32_e32 v2, v2
	v_readfirstlane_b32 s2, v2
	s_mul_i32 s10, s10, s2
	s_mul_hi_u32 s3, s2, s10
	s_add_i32 s2, s2, s3
	s_mul_hi_u32 s2, s1, s2
	s_mul_i32 s3, s2, s0
	s_add_i32 s10, s2, 1
	s_sub_i32 s3, s1, s3
	s_sub_i32 s11, s3, s0
	s_cmp_ge_u32 s3, s0
	s_cselect_b32 s2, s10, s2
	s_cselect_b32 s3, s11, s3
	s_add_i32 s10, s2, 1
	s_cmp_ge_u32 s3, s0
	s_cselect_b32 s12, s10, s2
	s_mul_i32 s0, s12, s0
	s_sub_i32 s13, s1, s0
	s_cmp_lt_u32 s7, s13
	s_cselect_b32 s0, -1, 0
	s_cmp_lg_u32 s0, 0
	s_addc_u32 s24, s12, 0
	s_cmp_eq_u32 s24, 0
	s_cbranch_scc1 .LBB43_12
; %bb.2:
	s_clause 0x1
	s_load_dwordx4 s[0:3], s[4:5], 0x50
	s_load_dwordx2 s[16:17], s[4:5], 0x60
	v_lshl_add_u32 v4, v1, 7, v0
	v_and_b32_e32 v2, 63, v0
	s_lshl_b32 s10, s6, 7
	s_mov_b32 s25, 0
	s_ashr_i32 s11, s10, 31
	v_lshrrev_b32_e32 v13, 3, v4
	v_lshlrev_b32_e32 v12, 2, v2
	s_cmp_lt_i32 s24, 1
	v_and_b32_e32 v14, 0x7ff8, v13
	s_cbranch_scc1 .LBB43_8
; %bb.3:
	v_cvt_f64_i32_e32 v[5:6], s7
	v_cvt_f64_u32_e32 v[7:8], s13
	s_mul_i32 s12, s12, s7
	s_load_dwordx4 s[28:31], s[4:5], 0x30
	v_cvt_f64_u32_e32 v[9:10], s12
	s_clause 0x3
	s_load_dword s20, s[4:5], 0x28
	s_load_dword s18, s[4:5], 0x48
	s_load_dwordx4 s[12:15], s[4:5], 0x18
	s_load_dwordx2 s[6:7], s[4:5], 0x40
	s_waitcnt lgkmcnt(0)
	s_mul_i32 s1, s1, s8
	s_mul_hi_u32 s26, s0, s8
	v_mov_b32_e32 v3, 0
	s_mul_i32 s0, s0, s8
	v_lshrrev_b32_e32 v4, 1, v4
	v_mov_b32_e32 v39, v3
	v_mov_b32_e32 v37, v3
	v_and_b32_e32 v4, 0x1ffe0, v4
	v_mov_b32_e32 v38, v3
	s_mul_i32 s19, s29, s8
	v_min_f64 v[5:6], v[5:6], v[7:8]
	s_mul_hi_u32 s21, s28, s8
	s_mul_i32 s22, s28, s8
	s_add_i32 s23, s21, s19
	s_ashr_i32 s21, s20, 31
	s_lshl_b64 s[22:23], s[22:23], 2
	s_ashr_i32 s19, s18, 31
	s_add_u32 s27, s12, s22
	s_addc_u32 s28, s13, s23
	s_lshl_b64 s[34:35], s[14:15], 2
	s_mul_hi_i32 s15, s20, s10
	s_add_u32 s29, s27, s34
	s_addc_u32 s28, s28, s35
	s_add_i32 s1, s26, s1
	s_mul_i32 s14, s20, s10
	s_lshl_b64 s[0:1], s[0:1], 2
	s_add_u32 s26, s30, s0
	s_addc_u32 s27, s31, s1
	s_lshl_b64 s[0:1], s[6:7], 2
	s_add_u32 s26, s26, s0
	v_add_f64 v[5:6], v[5:6], v[9:10]
	s_addc_u32 s27, s27, s1
	s_lshl_b64 s[0:1], s[14:15], 2
	s_add_u32 s7, s29, s0
	s_addc_u32 s28, s28, s1
	v_cvt_i32_f64_e32 v7, v[5:6]
	v_mad_i64_i32 v[5:6], null, s20, v14, v[2:3]
	v_lshlrev_b64 v[5:6], 2, v[5:6]
	v_readfirstlane_b32 s6, v7
	s_lshl_b32 s0, s6, 7
	s_ashr_i32 s1, s0, 31
	s_lshl_b64 s[14:15], s[0:1], 2
	s_add_u32 s0, s7, s14
	s_addc_u32 s1, s28, s15
	v_add_co_u32 v5, vcc_lo, s0, v5
	v_add_co_ci_u32_e64 v6, null, s1, v6, vcc_lo
	s_lshl_b64 s[0:1], s[20:21], 2
	s_lshl_b64 s[30:31], s[10:11], 2
	v_add_co_u32 v7, vcc_lo, v5, s0
	v_add_co_ci_u32_e64 v8, null, s1, v6, vcc_lo
	v_add_co_u32 v33, s11, v4, s30
	v_add_co_u32 v9, vcc_lo, v7, s0
	v_add_co_ci_u32_e64 v10, null, s1, v8, vcc_lo
	s_add_i32 s28, s24, -1
	v_add_co_u32 v15, vcc_lo, v9, s0
	v_add_co_ci_u32_e64 v16, null, s1, v10, vcc_lo
	s_lshl_b64 s[6:7], s[18:19], 9
	v_add_co_u32 v17, vcc_lo, v15, s0
	v_add_co_ci_u32_e64 v18, null, s1, v16, vcc_lo
	v_add_co_ci_u32_e64 v34, null, 0, s31, s11
	v_add_co_u32 v26, vcc_lo, v17, s0
	v_add_co_ci_u32_e64 v27, null, s1, v18, vcc_lo
	s_add_u32 s11, s12, s14
	v_add_co_u32 v28, vcc_lo, v26, s0
	v_add_co_ci_u32_e64 v29, null, s1, v27, vcc_lo
	s_addc_u32 s12, s13, s15
	v_add_co_u32 v30, vcc_lo, v28, s0
	v_add_co_ci_u32_e64 v31, null, s1, v29, vcc_lo
	s_clause 0x5
	global_load_dword v19, v[5:6], off
	global_load_dword v21, v[7:8], off
	;; [unrolled: 1-line block ×8, first 2 shown]
	s_add_u32 s11, s11, s34
	v_add_co_u32 v8, vcc_lo, v33, 4
	s_addc_u32 s13, s12, s35
	s_add_u32 s12, s11, s22
	v_add_co_ci_u32_e64 v9, null, 0, v34, vcc_lo
	s_addc_u32 s13, s13, s23
	v_mul_lo_u32 v10, v33, s21
	v_mad_u64_u32 v[4:5], null, v33, s20, s[12:13]
	v_mul_lo_u32 v11, v34, s20
	v_add_co_u32 v17, vcc_lo, v33, 8
	v_mad_u64_u32 v[6:7], null, v8, s20, s[12:13]
	v_mul_lo_u32 v15, v8, s21
	v_mul_lo_u32 v16, v9, s20
	v_add_co_ci_u32_e64 v18, null, 0, v34, vcc_lo
	v_mad_u64_u32 v[8:9], null, v17, s20, s[12:13]
	v_mul_lo_u32 v17, v17, s21
	v_mul_lo_u32 v18, v18, s20
	v_add3_u32 v5, v11, v5, v10
	v_add_co_u32 v11, vcc_lo, v33, 12
	v_add3_u32 v7, v16, v7, v15
	v_add_co_ci_u32_e64 v15, null, 0, v34, vcc_lo
	s_mul_i32 s11, s15, s18
	v_add3_u32 v18, v18, v9, v17
	v_mad_u64_u32 v[9:10], null, v11, s20, s[12:13]
	v_mul_lo_u32 v11, v11, s21
	v_mul_lo_u32 v20, v15, s20
	v_add_co_u32 v15, vcc_lo, 0x200, v6
	v_add_co_ci_u32_e64 v16, null, 0, v7, vcc_lo
	v_add_co_u32 v17, vcc_lo, 0x200, v8
	v_add_co_ci_u32_e64 v18, null, 0, v18, vcc_lo
	v_add_co_u32 v8, vcc_lo, v33, 16
	v_add3_u32 v22, v20, v10, v11
	v_add_co_ci_u32_e64 v10, null, 0, v34, vcc_lo
	v_mad_u64_u32 v[6:7], null, v8, s20, s[12:13]
	v_mul_lo_u32 v8, v8, s21
	v_mul_lo_u32 v30, v10, s20
	v_add_co_u32 v20, vcc_lo, v33, 20
	v_add_co_ci_u32_e64 v29, null, 0, v34, vcc_lo
	v_mad_u64_u32 v[10:11], null, v20, s20, s[12:13]
	v_mul_lo_u32 v31, v20, s21
	v_add_co_u32 v20, vcc_lo, 0x200, v9
	v_add_co_ci_u32_e64 v22, null, 0, v22, vcc_lo
	v_add3_u32 v9, v30, v7, v8
	v_add_co_u32 v30, vcc_lo, v33, 24
	v_mul_lo_u32 v29, v29, s20
	v_add_co_ci_u32_e64 v32, null, 0, v34, vcc_lo
	v_mad_u64_u32 v[7:8], null, v30, s20, s[12:13]
	v_mul_lo_u32 v35, v30, s21
	v_mul_lo_u32 v36, v32, s20
	v_add3_u32 v11, v29, v11, v31
	v_add_co_u32 v29, vcc_lo, 0x200, v6
	v_add_co_ci_u32_e64 v30, null, 0, v9, vcc_lo
	v_add_co_u32 v31, vcc_lo, 0x200, v10
	v_add_co_ci_u32_e64 v32, null, 0, v11, vcc_lo
	v_add3_u32 v6, v36, v8, v35
	v_add_co_u32 v8, vcc_lo, v33, 28
	v_add_co_ci_u32_e64 v9, null, 0, v34, vcc_lo
	v_or_b32_e32 v33, s14, v12
	v_mad_u64_u32 v[10:11], null, v8, s20, s[12:13]
	v_mul_lo_u32 v34, v8, s21
	v_mul_lo_u32 v35, v9, s20
	v_or_b32_e32 v8, 0x100, v33
	v_add_co_u32 v40, vcc_lo, 0x200, v7
	v_add_co_ci_u32_e64 v41, null, 0, v6, vcc_lo
	v_mul_lo_u32 v36, v33, s19
	v_mad_u64_u32 v[6:7], null, v33, s18, 0
	v_mul_lo_u32 v33, v8, s19
	v_mad_u64_u32 v[8:9], null, v8, s18, 0
	v_add3_u32 v11, v35, v11, v34
	v_add_co_u32 v42, vcc_lo, 0x200, v10
	v_add3_u32 v7, v7, v36, s11
	v_mov_b32_e32 v35, v3
	v_add_co_ci_u32_e64 v43, null, 0, v11, vcc_lo
	v_add3_u32 v9, v9, v33, s11
	v_mov_b32_e32 v36, v3
	v_mov_b32_e32 v34, v3
	;; [unrolled: 1-line block ×3, first 2 shown]
	s_waitcnt vmcnt(7)
	v_mov_b32_e32 v44, v19
	s_waitcnt vmcnt(6)
	v_mov_b32_e32 v45, v21
	;; [unrolled: 2-line block ×8, first 2 shown]
.LBB43_4:                               ; =>This Inner Loop Header: Depth=1
	v_add_co_u32 v10, vcc_lo, v4, v12
	v_add_co_ci_u32_e64 v11, null, 0, v5, vcc_lo
	s_cmp_lg_u32 s28, s25
	v_add_co_u32 v53, vcc_lo, 0x100, v10
	v_add_co_ci_u32_e64 v55, null, 0, v11, vcc_lo
	global_load_dword v52, v[10:11], off offset:256
	v_add_co_u32 v54, vcc_lo, v53, s0
	v_add_co_ci_u32_e64 v55, null, s1, v55, vcc_lo
	v_add_co_u32 v56, vcc_lo, v54, s0
	v_add_co_ci_u32_e64 v57, null, s1, v55, vcc_lo
	s_clause 0x1
	global_load_dword v53, v[54:55], off
	global_load_dword v54, v[56:57], off
	v_add_co_u32 v56, vcc_lo, v56, s0
	v_add_co_ci_u32_e64 v57, null, s1, v57, vcc_lo
	v_add_co_u32 v58, vcc_lo, v56, s0
	v_add_co_ci_u32_e64 v59, null, s1, v57, vcc_lo
	s_clause 0x1
	global_load_dword v55, v[56:57], off
	global_load_dword v56, v[58:59], off
	v_add_co_u32 v58, vcc_lo, v58, s0
	v_add_co_ci_u32_e64 v59, null, s1, v59, vcc_lo
	v_add_co_u32 v60, vcc_lo, v58, s0
	v_add_co_ci_u32_e64 v61, null, s1, v59, vcc_lo
	global_load_dword v57, v[58:59], off
	v_add_co_u32 v59, vcc_lo, v60, s0
	global_load_dword v58, v[60:61], off
	v_add_co_ci_u32_e64 v60, null, s1, v61, vcc_lo
	global_load_dword v59, v[59:60], off
	v_add_co_u32 v60, vcc_lo, s26, v6
	v_add_co_ci_u32_e64 v61, null, s27, v7, vcc_lo
	global_load_dword v60, v[60:61], off
	s_cbranch_scc0 .LBB43_6
; %bb.5:                                ;   in Loop: Header=BB43_4 Depth=1
	global_load_dword v44, v[10:11], off offset:512
	v_add_co_u32 v10, vcc_lo, v15, v12
	v_add_co_ci_u32_e64 v11, null, 0, v16, vcc_lo
	global_load_dword v45, v[10:11], off
	v_add_co_u32 v10, vcc_lo, v17, v12
	v_add_co_ci_u32_e64 v11, null, 0, v18, vcc_lo
	global_load_dword v46, v[10:11], off
	;; [unrolled: 3-line block ×7, first 2 shown]
.LBB43_6:                               ;   in Loop: Header=BB43_4 Depth=1
	v_add_co_u32 v10, vcc_lo, s26, v8
	v_add_co_ci_u32_e64 v11, null, s27, v9, vcc_lo
	v_add_co_u32 v4, vcc_lo, 0x200, v4
	v_add_co_ci_u32_e64 v5, null, 0, v5, vcc_lo
	global_load_dword v10, v[10:11], off
	v_add_co_u32 v15, vcc_lo, 0x200, v15
	v_add_co_ci_u32_e64 v16, null, 0, v16, vcc_lo
	v_add_co_u32 v17, vcc_lo, 0x200, v17
	v_add_co_ci_u32_e64 v18, null, 0, v18, vcc_lo
	;; [unrolled: 2-line block ×4, first 2 shown]
	v_add_co_u32 v31, vcc_lo, 0x200, v31
	s_waitcnt vmcnt(1)
	v_fmac_f32_e32 v3, v19, v60
	v_fmac_f32_e32 v39, v21, v60
	v_fmac_f32_e32 v37, v23, v60
	v_fmac_f32_e32 v38, v24, v60
	v_fmac_f32_e32 v35, v25, v60
	v_fmac_f32_e32 v36, v26, v60
	v_fmac_f32_e32 v34, v27, v60
	v_fmac_f32_e32 v33, v28, v60
	v_add_co_ci_u32_e64 v32, null, 0, v32, vcc_lo
	v_add_co_u32 v40, vcc_lo, 0x200, v40
	v_add_co_ci_u32_e64 v41, null, 0, v41, vcc_lo
	v_add_co_u32 v42, vcc_lo, 0x200, v42
	s_add_i32 s25, s25, 1
	v_add_co_ci_u32_e64 v43, null, 0, v43, vcc_lo
	s_add_u32 s26, s26, s6
	s_addc_u32 s27, s27, s7
	s_cmp_ge_i32 s25, s24
	s_waitcnt vmcnt(0)
	v_fmac_f32_e32 v3, v52, v10
	v_fmac_f32_e32 v39, v53, v10
	;; [unrolled: 1-line block ×8, first 2 shown]
	s_cbranch_scc1 .LBB43_9
; %bb.7:                                ;   in Loop: Header=BB43_4 Depth=1
	v_mov_b32_e32 v19, v44
	v_mov_b32_e32 v21, v45
	;; [unrolled: 1-line block ×8, first 2 shown]
	s_branch .LBB43_4
.LBB43_8:
	v_mov_b32_e32 v33, 0
	v_mov_b32_e32 v34, 0
	;; [unrolled: 1-line block ×8, first 2 shown]
.LBB43_9:
	v_lshlrev_b32_e32 v4, 8, v13
	v_lshl_or_b32 v5, v14, 8, v12
	v_cmp_eq_u32_e32 vcc_lo, 0, v1
	s_mov_b32 s6, 0
	v_or3_b32 v1, v4, v12, 0x700
	ds_write2st64_b32 v5, v3, v39 offset1:1
	ds_write2st64_b32 v5, v37, v38 offset0:2 offset1:3
	ds_write2st64_b32 v5, v35, v36 offset0:4 offset1:5
	ds_write_b32 v5, v34 offset:1536
	ds_write_b32 v1, v33
	s_waitcnt lgkmcnt(0)
	s_barrier
	buffer_gl0_inv
	s_and_saveexec_b32 s0, vcc_lo
	s_cbranch_execz .LBB43_12
; %bb.10:
	v_lshlrev_b32_e32 v5, 8, v0
	v_add_nc_u32_e32 v1, 1, v0
	v_add_nc_u32_e32 v3, 2, v0
	;; [unrolled: 1-line block ×4, first 2 shown]
	v_lshl_or_b32 v6, v2, 2, v5
	v_and_b32_e32 v1, 63, v1
	v_and_b32_e32 v3, 63, v3
	v_add_nc_u32_e32 v8, 5, v0
	v_add_nc_u32_e32 v9, 6, v0
	ds_read_b32 v6, v6
	v_lshl_or_b32 v1, v1, 2, v5
	v_lshl_or_b32 v3, v3, 2, v5
	v_add_nc_u32_e32 v10, 7, v0
	v_and_b32_e32 v4, 63, v4
	ds_read_b32 v1, v1
	ds_read_b32 v3, v3
	v_and_b32_e32 v7, 63, v7
	v_and_b32_e32 v8, 63, v8
	v_and_b32_e32 v9, 63, v9
	v_and_b32_e32 v10, 63, v10
	v_lshl_or_b32 v4, v4, 2, v5
	v_lshl_or_b32 v7, v7, 2, v5
	v_lshl_or_b32 v8, v8, 2, v5
	v_lshl_or_b32 v9, v9, 2, v5
	v_lshl_or_b32 v10, v10, 2, v5
	ds_read_b32 v4, v4
	ds_read_b32 v7, v7
	;; [unrolled: 1-line block ×5, first 2 shown]
	v_add_nc_u32_e32 v11, 8, v0
	v_add_nc_u32_e32 v12, 9, v0
	;; [unrolled: 1-line block ×3, first 2 shown]
	s_waitcnt lgkmcnt(7)
	v_add_f32_e32 v6, 0, v6
	v_add_nc_u32_e32 v14, 12, v0
	v_add_nc_u32_e32 v15, 13, v0
	v_and_b32_e32 v12, 63, v12
	v_and_b32_e32 v13, 63, v13
	s_waitcnt lgkmcnt(6)
	v_add_f32_e32 v1, v6, v1
	v_add_nc_u32_e32 v6, 11, v0
	v_add_nc_u32_e32 v16, 14, v0
	v_lshl_or_b32 v12, v12, 2, v5
	v_lshl_or_b32 v13, v13, 2, v5
	s_waitcnt lgkmcnt(5)
	v_add_f32_e32 v1, v1, v3
	v_and_b32_e32 v3, 63, v11
	v_add_nc_u32_e32 v11, 15, v0
	v_xor_b32_e32 v2, 32, v2
	s_waitcnt lgkmcnt(4)
	v_add_f32_e32 v1, v1, v4
	v_lshl_or_b32 v3, v3, 2, v5
	v_and_b32_e32 v4, 63, v6
	v_and_b32_e32 v6, 63, v14
	v_and_b32_e32 v14, 63, v16
	s_waitcnt lgkmcnt(3)
	v_add_f32_e32 v1, v1, v7
	ds_read_b32 v3, v3
	v_and_b32_e32 v7, 63, v15
	v_and_b32_e32 v11, 63, v11
	v_lshl_or_b32 v4, v4, 2, v5
	s_waitcnt lgkmcnt(3)
	v_add_f32_e32 v1, v1, v8
	ds_read_b32 v8, v12
	v_lshl_or_b32 v6, v6, 2, v5
	v_lshl_or_b32 v7, v7, 2, v5
	;; [unrolled: 1-line block ×3, first 2 shown]
	s_waitcnt lgkmcnt(3)
	v_add_f32_e32 v1, v1, v9
	ds_read_b32 v9, v13
	v_lshl_or_b32 v12, v14, 2, v5
	v_add_nc_u32_e32 v13, 19, v0
	v_add_nc_u32_e32 v14, 21, v0
	s_waitcnt lgkmcnt(3)
	v_add_f32_e32 v1, v1, v10
	ds_read_b32 v4, v4
	ds_read_b32 v6, v6
	;; [unrolled: 1-line block ×5, first 2 shown]
	v_add_nc_u32_e32 v12, 18, v0
	s_clause 0x1
	s_load_dwordx2 s[0:1], s[4:5], 0x70
	s_load_dword s4, s[4:5], 0x68
	v_add_nc_u32_e32 v15, 22, v0
	v_add_nc_u32_e32 v16, 23, v0
	s_waitcnt lgkmcnt(0)
	v_add_f32_e32 v1, v1, v3
	v_add_nc_u32_e32 v3, 16, v0
	v_lshl_or_b32 v2, v2, 2, v5
	v_add_f32_e32 v1, v1, v8
	v_add_nc_u32_e32 v8, 17, v0
	v_and_b32_e32 v3, 63, v3
	v_add_f32_e32 v1, v1, v9
	v_add_nc_u32_e32 v9, 20, v0
	v_lshl_or_b32 v3, v3, 2, v5
	v_add_f32_e32 v1, v1, v4
	v_and_b32_e32 v4, 63, v8
	v_and_b32_e32 v8, 63, v12
	;; [unrolled: 1-line block ×3, first 2 shown]
	s_mul_i32 s1, s1, s8
	v_add_f32_e32 v1, v1, v6
	v_lshl_or_b32 v4, v4, 2, v5
	v_lshl_or_b32 v6, v8, 2, v5
	v_and_b32_e32 v8, 63, v14
	s_mul_hi_u32 s5, s0, s8
	v_add_f32_e32 v1, v1, v7
	ds_read_b32 v3, v3
	ds_read_b32 v7, v4
	;; [unrolled: 1-line block ×3, first 2 shown]
	v_and_b32_e32 v4, 63, v9
	v_and_b32_e32 v9, 63, v15
	v_lshl_or_b32 v8, v8, 2, v5
	v_add_f32_e32 v1, v1, v10
	v_and_b32_e32 v10, 63, v16
	v_lshl_or_b32 v4, v4, 2, v5
	v_lshl_or_b32 v9, v9, 2, v5
	s_mul_i32 s0, s0, s8
	v_add_f32_e32 v1, v1, v11
	v_lshl_or_b32 v11, v12, 2, v5
	v_lshl_or_b32 v10, v10, 2, v5
	s_add_i32 s1, s5, s1
	ds_read_b32 v11, v11
	ds_read_b32 v12, v4
	;; [unrolled: 1-line block ×5, first 2 shown]
	s_lshl_b64 s[0:1], s[0:1], 2
	v_add_nc_u32_e32 v13, 30, v0
	s_waitcnt lgkmcnt(7)
	v_add_f32_e32 v1, v1, v3
	v_mad_i64_i32 v[3:4], null, s4, v0, 0
	s_add_u32 s5, s2, s0
	s_addc_u32 s2, s3, s1
	s_lshl_b64 s[0:1], s[16:17], 2
	s_waitcnt lgkmcnt(6)
	v_add_f32_e32 v1, v1, v7
	s_add_u32 s3, s5, s0
	s_mul_hi_i32 s5, s4, s10
	s_mul_i32 s4, s4, s10
	v_lshlrev_b64 v[3:4], 2, v[3:4]
	s_addc_u32 s2, s2, s1
	s_lshl_b64 s[0:1], s[4:5], 2
	s_waitcnt lgkmcnt(5)
	v_add_f32_e32 v1, v1, v6
	s_add_u32 s0, s3, s0
	s_addc_u32 s1, s2, s1
	v_add_co_u32 v3, vcc_lo, s0, v3
	s_waitcnt lgkmcnt(4)
	v_add_f32_e32 v1, v1, v11
	v_add_co_ci_u32_e64 v4, null, s1, v4, vcc_lo
	v_add_nc_u32_e32 v7, 24, v0
	v_add_nc_u32_e32 v11, 25, v0
	s_waitcnt lgkmcnt(3)
	v_add_f32_e32 v6, v1, v12
	global_load_dword v1, v[3:4], off
	v_add_nc_u32_e32 v12, 26, v0
	v_and_b32_e32 v7, 63, v7
	v_add_nc_u32_e32 v14, 31, v0
	s_waitcnt lgkmcnt(2)
	v_add_f32_e32 v6, v6, v8
	v_and_b32_e32 v8, 63, v11
	v_and_b32_e32 v11, 63, v12
	v_lshl_or_b32 v7, v7, 2, v5
	v_add_nc_u32_e32 v12, 29, v0
	s_waitcnt lgkmcnt(1)
	v_add_f32_e32 v6, v6, v9
	v_lshl_or_b32 v8, v8, 2, v5
	v_lshl_or_b32 v9, v11, 2, v5
	ds_read_b32 v7, v7
	ds_read_b32 v8, v8
	;; [unrolled: 1-line block ×3, first 2 shown]
	s_waitcnt lgkmcnt(3)
	v_add_f32_e32 v6, v6, v10
	v_add_nc_u32_e32 v10, 27, v0
	v_add_nc_u32_e32 v11, 28, v0
	v_and_b32_e32 v12, 63, v12
	v_and_b32_e32 v13, 63, v13
	;; [unrolled: 1-line block ×5, first 2 shown]
	v_lshl_or_b32 v12, v12, 2, v5
	v_lshl_or_b32 v13, v13, 2, v5
	;; [unrolled: 1-line block ×5, first 2 shown]
	ds_read_b32 v10, v10
	ds_read_b32 v11, v11
	;; [unrolled: 1-line block ×5, first 2 shown]
	s_waitcnt lgkmcnt(7)
	v_add_f32_e32 v6, v6, v7
	v_add_nc_u32_e32 v7, 33, v0
	s_waitcnt lgkmcnt(6)
	v_add_f32_e32 v6, v6, v8
	v_add_nc_u32_e32 v8, 34, v0
	v_and_b32_e32 v7, 63, v7
	s_waitcnt lgkmcnt(5)
	v_add_f32_e32 v6, v6, v9
	v_and_b32_e32 v8, 63, v8
	v_lshl_or_b32 v7, v7, 2, v5
	v_add_nc_u32_e32 v9, 35, v0
	s_waitcnt lgkmcnt(4)
	v_add_f32_e32 v6, v6, v10
	v_lshl_or_b32 v8, v8, 2, v5
	ds_read_b32 v2, v2
	ds_read_b32 v7, v7
	;; [unrolled: 1-line block ×3, first 2 shown]
	s_waitcnt lgkmcnt(6)
	v_add_f32_e32 v6, v6, v11
	v_add_nc_u32_e32 v10, 36, v0
	v_add_nc_u32_e32 v11, 37, v0
	v_and_b32_e32 v9, 63, v9
	s_waitcnt lgkmcnt(5)
	v_add_f32_e32 v6, v6, v12
	v_add_nc_u32_e32 v12, 38, v0
	v_and_b32_e32 v10, 63, v10
	v_and_b32_e32 v11, 63, v11
	v_lshl_or_b32 v9, v9, 2, v5
	s_waitcnt lgkmcnt(4)
	v_add_f32_e32 v6, v6, v13
	v_add_nc_u32_e32 v13, 39, v0
	v_and_b32_e32 v12, 63, v12
	v_lshl_or_b32 v10, v10, 2, v5
	v_lshl_or_b32 v11, v11, 2, v5
	s_waitcnt lgkmcnt(3)
	v_add_f32_e32 v6, v6, v14
	v_and_b32_e32 v13, 63, v13
	v_lshl_or_b32 v12, v12, 2, v5
	s_waitcnt lgkmcnt(2)
	v_add_f32_e32 v2, v6, v2
	v_lshl_or_b32 v13, v13, 2, v5
	ds_read_b32 v9, v9
	ds_read_b32 v10, v10
	;; [unrolled: 1-line block ×5, first 2 shown]
	v_add_nc_u32_e32 v6, 40, v0
	s_waitcnt lgkmcnt(6)
	v_add_f32_e32 v2, v2, v7
	v_add_nc_u32_e32 v7, 41, v0
	v_and_b32_e32 v6, 63, v6
	s_waitcnt lgkmcnt(5)
	v_add_f32_e32 v2, v2, v8
	v_add_nc_u32_e32 v8, 42, v0
	v_and_b32_e32 v7, 63, v7
	v_lshl_or_b32 v6, v6, 2, v5
	v_and_b32_e32 v8, 63, v8
	v_lshl_or_b32 v7, v7, 2, v5
	s_waitcnt lgkmcnt(4)
	v_add_f32_e32 v2, v2, v9
	v_add_nc_u32_e32 v9, 43, v0
	v_lshl_or_b32 v8, v8, 2, v5
	ds_read_b32 v6, v6
	ds_read_b32 v7, v7
	;; [unrolled: 1-line block ×3, first 2 shown]
	s_waitcnt lgkmcnt(6)
	v_add_f32_e32 v2, v2, v10
	v_add_nc_u32_e32 v10, 44, v0
	v_and_b32_e32 v9, 63, v9
	s_waitcnt lgkmcnt(5)
	v_add_f32_e32 v2, v2, v11
	v_add_nc_u32_e32 v11, 45, v0
	v_and_b32_e32 v10, 63, v10
	v_lshl_or_b32 v9, v9, 2, v5
	s_waitcnt lgkmcnt(4)
	v_add_f32_e32 v2, v2, v12
	v_add_nc_u32_e32 v12, 46, v0
	v_and_b32_e32 v11, 63, v11
	v_lshl_or_b32 v10, v10, 2, v5
	;; [unrolled: 5-line block ×3, first 2 shown]
	s_waitcnt lgkmcnt(2)
	v_add_f32_e32 v2, v2, v6
	v_and_b32_e32 v13, 63, v13
	v_lshl_or_b32 v12, v12, 2, v5
	v_add_nc_u32_e32 v6, 48, v0
	s_waitcnt lgkmcnt(1)
	v_add_f32_e32 v2, v2, v7
	v_lshl_or_b32 v13, v13, 2, v5
	ds_read_b32 v9, v9
	ds_read_b32 v10, v10
	;; [unrolled: 1-line block ×5, first 2 shown]
	v_add_nc_u32_e32 v7, 49, v0
	v_and_b32_e32 v6, 63, v6
	s_waitcnt lgkmcnt(5)
	v_add_f32_e32 v2, v2, v8
	v_add_nc_u32_e32 v8, 50, v0
	v_and_b32_e32 v7, 63, v7
	v_lshl_or_b32 v6, v6, 2, v5
	v_and_b32_e32 v8, 63, v8
	v_lshl_or_b32 v7, v7, 2, v5
	v_lshl_or_b32 v8, v8, 2, v5
	ds_read_b32 v6, v6
	ds_read_b32 v7, v7
	;; [unrolled: 1-line block ×3, first 2 shown]
	s_waitcnt lgkmcnt(7)
	v_add_f32_e32 v2, v2, v9
	v_add_nc_u32_e32 v9, 51, v0
	s_waitcnt lgkmcnt(6)
	v_add_f32_e32 v2, v2, v10
	v_add_nc_u32_e32 v10, 52, v0
	v_and_b32_e32 v9, 63, v9
	s_waitcnt lgkmcnt(5)
	v_add_f32_e32 v2, v2, v11
	v_add_nc_u32_e32 v11, 53, v0
	v_and_b32_e32 v10, 63, v10
	v_lshl_or_b32 v9, v9, 2, v5
	s_waitcnt lgkmcnt(4)
	v_add_f32_e32 v2, v2, v12
	v_add_nc_u32_e32 v12, 54, v0
	v_and_b32_e32 v11, 63, v11
	v_lshl_or_b32 v10, v10, 2, v5
	;; [unrolled: 5-line block ×3, first 2 shown]
	s_waitcnt lgkmcnt(2)
	v_add_f32_e32 v2, v2, v6
	v_and_b32_e32 v13, 63, v13
	v_lshl_or_b32 v12, v12, 2, v5
	v_add_nc_u32_e32 v6, 56, v0
	s_waitcnt lgkmcnt(1)
	v_add_f32_e32 v2, v2, v7
	v_lshl_or_b32 v13, v13, 2, v5
	ds_read_b32 v9, v9
	ds_read_b32 v10, v10
	;; [unrolled: 1-line block ×5, first 2 shown]
	v_add_nc_u32_e32 v7, 57, v0
	v_and_b32_e32 v6, 63, v6
	s_waitcnt lgkmcnt(5)
	v_add_f32_e32 v2, v2, v8
	v_add_nc_u32_e32 v8, 58, v0
	v_and_b32_e32 v7, 63, v7
	v_lshl_or_b32 v6, v6, 2, v5
	v_and_b32_e32 v8, 63, v8
	v_lshl_or_b32 v7, v7, 2, v5
	v_lshl_or_b32 v8, v8, 2, v5
	ds_read_b32 v6, v6
	ds_read_b32 v7, v7
	;; [unrolled: 1-line block ×3, first 2 shown]
	s_waitcnt lgkmcnt(7)
	v_add_f32_e32 v2, v2, v9
	v_add_nc_u32_e32 v9, 59, v0
	s_waitcnt lgkmcnt(6)
	v_add_f32_e32 v2, v2, v10
	v_add_nc_u32_e32 v10, 60, v0
	v_and_b32_e32 v9, 63, v9
	s_waitcnt lgkmcnt(5)
	v_add_f32_e32 v2, v2, v11
	v_add_nc_u32_e32 v11, 61, v0
	v_and_b32_e32 v10, 63, v10
	v_lshl_or_b32 v9, v9, 2, v5
	s_waitcnt lgkmcnt(4)
	v_add_f32_e32 v2, v2, v12
	v_add_nc_u32_e32 v12, 62, v0
	v_add_nc_u32_e32 v0, -1, v0
	v_and_b32_e32 v11, 63, v11
	v_lshl_or_b32 v10, v10, 2, v5
	s_waitcnt lgkmcnt(3)
	v_add_f32_e32 v2, v2, v13
	v_and_b32_e32 v12, 63, v12
	v_and_b32_e32 v0, 63, v0
	v_lshl_or_b32 v11, v11, 2, v5
	s_waitcnt lgkmcnt(2)
	v_add_f32_e32 v2, v2, v6
	v_lshl_or_b32 v12, v12, 2, v5
	v_lshl_or_b32 v0, v0, 2, v5
	ds_read_b32 v5, v9
	ds_read_b32 v9, v10
	;; [unrolled: 1-line block ×5, first 2 shown]
	s_waitcnt lgkmcnt(6)
	v_add_f32_e32 v2, v2, v7
	s_waitcnt lgkmcnt(5)
	v_add_f32_e32 v2, v2, v8
	;; [unrolled: 2-line block ×7, first 2 shown]
	v_mul_f32_e32 v2, s9, v0
.LBB43_11:                              ; =>This Inner Loop Header: Depth=1
	s_waitcnt vmcnt(0)
	v_add_f32_e32 v0, v1, v2
	global_atomic_cmpswap v0, v[3:4], v[0:1], off glc
	s_waitcnt vmcnt(0)
	v_cmp_eq_u32_e32 vcc_lo, v0, v1
	v_mov_b32_e32 v1, v0
	s_or_b32 s6, vcc_lo, s6
	s_andn2_b32 exec_lo, exec_lo, s6
	s_cbranch_execnz .LBB43_11
.LBB43_12:
	s_endpgm
	.section	.rodata,"a",@progbits
	.p2align	6, 0x0
	.amdhsa_kernel _ZL36rocblas_gemvt_double_buffered_kernelILb1ELi128ELi8ELi8EfffEviiT4_lPKT3_lilS3_lilPT5_lili
		.amdhsa_group_segment_fixed_size 32768
		.amdhsa_private_segment_fixed_size 0
		.amdhsa_kernarg_size 384
		.amdhsa_user_sgpr_count 6
		.amdhsa_user_sgpr_private_segment_buffer 1
		.amdhsa_user_sgpr_dispatch_ptr 0
		.amdhsa_user_sgpr_queue_ptr 0
		.amdhsa_user_sgpr_kernarg_segment_ptr 1
		.amdhsa_user_sgpr_dispatch_id 0
		.amdhsa_user_sgpr_flat_scratch_init 0
		.amdhsa_user_sgpr_private_segment_size 0
		.amdhsa_wavefront_size32 1
		.amdhsa_uses_dynamic_stack 0
		.amdhsa_system_sgpr_private_segment_wavefront_offset 0
		.amdhsa_system_sgpr_workgroup_id_x 1
		.amdhsa_system_sgpr_workgroup_id_y 1
		.amdhsa_system_sgpr_workgroup_id_z 1
		.amdhsa_system_sgpr_workgroup_info 0
		.amdhsa_system_vgpr_workitem_id 1
		.amdhsa_next_free_vgpr 62
		.amdhsa_next_free_sgpr 36
		.amdhsa_reserve_vcc 1
		.amdhsa_reserve_flat_scratch 0
		.amdhsa_float_round_mode_32 0
		.amdhsa_float_round_mode_16_64 0
		.amdhsa_float_denorm_mode_32 3
		.amdhsa_float_denorm_mode_16_64 3
		.amdhsa_dx10_clamp 1
		.amdhsa_ieee_mode 1
		.amdhsa_fp16_overflow 0
		.amdhsa_workgroup_processor_mode 1
		.amdhsa_memory_ordered 1
		.amdhsa_forward_progress 1
		.amdhsa_shared_vgpr_count 0
		.amdhsa_exception_fp_ieee_invalid_op 0
		.amdhsa_exception_fp_denorm_src 0
		.amdhsa_exception_fp_ieee_div_zero 0
		.amdhsa_exception_fp_ieee_overflow 0
		.amdhsa_exception_fp_ieee_underflow 0
		.amdhsa_exception_fp_ieee_inexact 0
		.amdhsa_exception_int_div_zero 0
	.end_amdhsa_kernel
	.section	.text._ZL36rocblas_gemvt_double_buffered_kernelILb1ELi128ELi8ELi8EfffEviiT4_lPKT3_lilS3_lilPT5_lili,"axG",@progbits,_ZL36rocblas_gemvt_double_buffered_kernelILb1ELi128ELi8ELi8EfffEviiT4_lPKT3_lilS3_lilPT5_lili,comdat
.Lfunc_end43:
	.size	_ZL36rocblas_gemvt_double_buffered_kernelILb1ELi128ELi8ELi8EfffEviiT4_lPKT3_lilS3_lilPT5_lili, .Lfunc_end43-_ZL36rocblas_gemvt_double_buffered_kernelILb1ELi128ELi8ELi8EfffEviiT4_lPKT3_lilS3_lilPT5_lili
                                        ; -- End function
	.set _ZL36rocblas_gemvt_double_buffered_kernelILb1ELi128ELi8ELi8EfffEviiT4_lPKT3_lilS3_lilPT5_lili.num_vgpr, 62
	.set _ZL36rocblas_gemvt_double_buffered_kernelILb1ELi128ELi8ELi8EfffEviiT4_lPKT3_lilS3_lilPT5_lili.num_agpr, 0
	.set _ZL36rocblas_gemvt_double_buffered_kernelILb1ELi128ELi8ELi8EfffEviiT4_lPKT3_lilS3_lilPT5_lili.numbered_sgpr, 36
	.set _ZL36rocblas_gemvt_double_buffered_kernelILb1ELi128ELi8ELi8EfffEviiT4_lPKT3_lilS3_lilPT5_lili.num_named_barrier, 0
	.set _ZL36rocblas_gemvt_double_buffered_kernelILb1ELi128ELi8ELi8EfffEviiT4_lPKT3_lilS3_lilPT5_lili.private_seg_size, 0
	.set _ZL36rocblas_gemvt_double_buffered_kernelILb1ELi128ELi8ELi8EfffEviiT4_lPKT3_lilS3_lilPT5_lili.uses_vcc, 1
	.set _ZL36rocblas_gemvt_double_buffered_kernelILb1ELi128ELi8ELi8EfffEviiT4_lPKT3_lilS3_lilPT5_lili.uses_flat_scratch, 0
	.set _ZL36rocblas_gemvt_double_buffered_kernelILb1ELi128ELi8ELi8EfffEviiT4_lPKT3_lilS3_lilPT5_lili.has_dyn_sized_stack, 0
	.set _ZL36rocblas_gemvt_double_buffered_kernelILb1ELi128ELi8ELi8EfffEviiT4_lPKT3_lilS3_lilPT5_lili.has_recursion, 0
	.set _ZL36rocblas_gemvt_double_buffered_kernelILb1ELi128ELi8ELi8EfffEviiT4_lPKT3_lilS3_lilPT5_lili.has_indirect_call, 0
	.section	.AMDGPU.csdata,"",@progbits
; Kernel info:
; codeLenInByte = 4464
; TotalNumSgprs: 38
; NumVgprs: 62
; ScratchSize: 0
; MemoryBound: 0
; FloatMode: 240
; IeeeMode: 1
; LDSByteSize: 32768 bytes/workgroup (compile time only)
; SGPRBlocks: 0
; VGPRBlocks: 7
; NumSGPRsForWavesPerEU: 38
; NumVGPRsForWavesPerEU: 62
; Occupancy: 16
; WaveLimiterHint : 0
; COMPUTE_PGM_RSRC2:SCRATCH_EN: 0
; COMPUTE_PGM_RSRC2:USER_SGPR: 6
; COMPUTE_PGM_RSRC2:TRAP_HANDLER: 0
; COMPUTE_PGM_RSRC2:TGID_X_EN: 1
; COMPUTE_PGM_RSRC2:TGID_Y_EN: 1
; COMPUTE_PGM_RSRC2:TGID_Z_EN: 1
; COMPUTE_PGM_RSRC2:TIDIG_COMP_CNT: 1
	.section	.text._ZL20rocblas_gemvt_kernelILb1ELi256EfPKffEviiT2_lPKT1_lilS5_lilS2_lPT3_lili,"axG",@progbits,_ZL20rocblas_gemvt_kernelILb1ELi256EfPKffEviiT2_lPKT1_lilS5_lilS2_lPT3_lili,comdat
	.globl	_ZL20rocblas_gemvt_kernelILb1ELi256EfPKffEviiT2_lPKT1_lilS5_lilS2_lPT3_lili ; -- Begin function _ZL20rocblas_gemvt_kernelILb1ELi256EfPKffEviiT2_lPKT1_lilS5_lilS2_lPT3_lili
	.p2align	8
	.type	_ZL20rocblas_gemvt_kernelILb1ELi256EfPKffEviiT2_lPKT1_lilS5_lilS2_lPT3_lili,@function
_ZL20rocblas_gemvt_kernelILb1ELi256EfPKffEviiT2_lPKT1_lilS5_lilS2_lPT3_lili: ; @_ZL20rocblas_gemvt_kernelILb1ELi256EfPKffEviiT2_lPKT1_lilS5_lilS2_lPT3_lili
; %bb.0:
	s_clause 0x1
	s_load_dwordx8 s[8:15], s[4:5], 0x8
	s_load_dwordx8 s[16:23], s[4:5], 0x50
	s_waitcnt lgkmcnt(0)
	s_mul_i32 s1, s11, s7
	s_mul_hi_u32 s2, s10, s7
	s_mul_i32 s0, s10, s7
	s_add_i32 s1, s2, s1
	s_mul_i32 s2, s21, s7
	s_lshl_b64 s[0:1], s[0:1], 2
	s_mul_hi_u32 s3, s20, s7
	s_add_u32 s0, s8, s0
	s_addc_u32 s1, s9, s1
	s_add_i32 s3, s3, s2
	s_mul_i32 s2, s20, s7
	s_mov_b32 s21, 0
	s_lshl_b64 s[2:3], s[2:3], 2
	s_add_u32 s2, s18, s2
	s_addc_u32 s3, s19, s3
	s_load_dword s24, s[0:1], 0x0
	s_load_dword s20, s[2:3], 0x0
	s_waitcnt lgkmcnt(0)
	v_cmp_eq_f32_e64 s0, s24, 0
	v_cmp_eq_f32_e64 s1, s20, 1.0
	s_and_b32 s0, s0, s1
	s_and_b32 vcc_lo, exec_lo, s0
	s_cbranch_vccnz .LBB44_37
; %bb.1:
	s_clause 0x2
	s_load_dwordx2 s[0:1], s[4:5], 0x80
	s_load_dwordx2 s[2:3], s[4:5], 0x70
	s_load_dword s25, s[4:5], 0x78
	s_waitcnt lgkmcnt(0)
	s_mul_i32 s1, s1, s7
	s_mul_hi_u32 s8, s0, s7
	s_mul_i32 s0, s0, s7
	s_add_i32 s1, s8, s1
	v_cmp_neq_f32_e64 s8, s24, 0
	s_lshl_b64 s[0:1], s[0:1], 2
	s_add_u32 s9, s22, s0
	s_addc_u32 s10, s23, s1
	s_lshl_b64 s[0:1], s[2:3], 2
	s_add_u32 s18, s9, s0
	v_cmp_eq_u32_e64 s0, 0, v0
	s_addc_u32 s19, s10, s1
	s_and_b32 vcc_lo, exec_lo, s8
	s_cbranch_vccnz .LBB44_5
; %bb.2:
	s_mov_b32 s1, 0
                                        ; implicit-def: $vgpr1
                                        ; implicit-def: $sgpr2_sgpr3
	s_and_saveexec_b32 s8, s0
	s_cbranch_execz .LBB44_6
; %bb.3:
	v_cmp_eq_f32_e64 s0, s20, 0
	s_mul_hi_i32 s3, s25, s6
	s_mul_i32 s2, s25, s6
	s_and_b32 vcc_lo, exec_lo, s0
	s_cbranch_vccnz .LBB44_7
; %bb.4:
	s_lshl_b64 s[10:11], s[2:3], 2
	s_add_u32 s10, s18, s10
	s_addc_u32 s11, s19, s11
	s_load_dword s0, s[10:11], 0x0
	s_waitcnt lgkmcnt(0)
	v_mul_f32_e64 v1, s20, s0
	s_branch .LBB44_8
.LBB44_5:
                                        ; implicit-def: $vgpr1
                                        ; implicit-def: $sgpr2_sgpr3
	s_cbranch_execnz .LBB44_9
	s_branch .LBB44_35
.LBB44_6:
	s_or_b32 exec_lo, exec_lo, s8
	s_and_b32 vcc_lo, exec_lo, s1
	s_cbranch_vccnz .LBB44_9
	s_branch .LBB44_35
.LBB44_7:
	v_mov_b32_e32 v1, 0
.LBB44_8:
	s_mov_b32 s21, exec_lo
	s_or_b32 exec_lo, exec_lo, s8
	s_and_b32 vcc_lo, exec_lo, s1
	s_cbranch_vccz .LBB44_35
.LBB44_9:
	s_clause 0x4
	s_load_dwordx4 s[0:3], s[4:5], 0x30
	s_load_dword s22, s[4:5], 0x0
	s_load_dword s23, s[4:5], 0x28
	s_load_dwordx2 s[8:9], s[4:5], 0x40
	s_load_dword s4, s[4:5], 0x48
	s_mul_i32 s11, s17, s7
	s_mul_hi_u32 s17, s16, s7
	s_mul_i32 s10, s16, s7
	s_add_i32 s11, s17, s11
	v_mov_b32_e32 v7, 0
	s_waitcnt lgkmcnt(0)
	s_mul_i32 s1, s1, s7
	v_cmp_gt_i32_e32 vcc_lo, s22, v0
	s_mul_hi_u32 s5, s0, s7
	s_mul_i32 s0, s0, s7
	s_add_i32 s1, s5, s1
	s_mul_hi_i32 s17, s23, s6
	v_cndmask_b32_e32 v1, 0, v0, vcc_lo
	s_lshl_b64 s[0:1], s[0:1], 2
	s_mul_i32 s16, s23, s6
	s_add_u32 s5, s12, s0
	s_addc_u32 s7, s13, s1
	v_lshlrev_b32_e32 v1, 2, v1
	s_lshl_b64 s[0:1], s[14:15], 2
	s_add_u32 s5, s5, s0
	s_addc_u32 s7, s7, s1
	v_add_co_u32 v1, s5, s5, v1
	v_add_co_ci_u32_e64 v2, null, s7, 0, s5
	s_ashr_i32 s12, s22, 31
	s_lshl_b64 s[0:1], s[16:17], 2
	s_lshr_b32 s12, s12, 24
	v_add_co_u32 v1, vcc_lo, v1, s0
	s_add_i32 s5, s22, s12
	v_add_co_ci_u32_e64 v2, null, s1, v2, vcc_lo
	s_and_b32 s0, s5, 0xffffff00
	s_cmpk_lt_i32 s22, 0x100
	s_mov_b32 s1, 0
	s_cbranch_scc1 .LBB44_12
; %bb.10:
	v_mad_i64_i32 v[3:4], null, s4, v0, 0
	s_lshl_b64 s[14:15], s[8:9], 2
	s_ashr_i32 s5, s4, 31
	s_lshl_b64 s[12:13], s[10:11], 2
	s_add_u32 s7, s2, s14
	s_addc_u32 s14, s3, s15
	s_add_u32 s7, s7, s12
	v_lshlrev_b64 v[3:4], 2, v[3:4]
	s_addc_u32 s12, s14, s13
	v_mov_b32_e32 v6, v2
	v_mov_b32_e32 v7, 0
	;; [unrolled: 1-line block ×3, first 2 shown]
	v_add_co_u32 v3, vcc_lo, s7, v3
	v_add_co_ci_u32_e64 v4, null, s12, v4, vcc_lo
	s_lshl_b64 s[12:13], s[4:5], 10
	.p2align	6
.LBB44_11:                              ; =>This Inner Loop Header: Depth=1
	global_load_dword v8, v[5:6], off
	global_load_dword v9, v[3:4], off
	v_add_co_u32 v3, vcc_lo, v3, s12
	v_add_co_ci_u32_e64 v4, null, s13, v4, vcc_lo
	v_add_co_u32 v5, vcc_lo, 0x400, v5
	v_add_co_ci_u32_e64 v6, null, 0, v6, vcc_lo
	s_addk_i32 s1, 0x100
	s_cmp_ge_i32 s1, s0
	s_waitcnt vmcnt(0)
	v_fmac_f32_e32 v7, v8, v9
	s_cbranch_scc0 .LBB44_11
.LBB44_12:
	v_add_nc_u32_e32 v3, s0, v0
	s_mov_b32 s5, exec_lo
	v_cmpx_gt_i32_e64 s22, v3
	s_cbranch_execz .LBB44_14
; %bb.13:
	v_mad_i64_i32 v[3:4], null, s4, v3, 0
	s_lshl_b64 s[10:11], s[10:11], 2
	s_add_u32 s1, s2, s10
	s_addc_u32 s7, s3, s11
	s_lshl_b64 s[2:3], s[8:9], 2
	s_add_u32 s2, s1, s2
	s_addc_u32 s3, s7, s3
	s_ashr_i32 s1, s0, 31
	v_lshlrev_b64 v[3:4], 2, v[3:4]
	s_lshl_b64 s[0:1], s[0:1], 2
	v_add_co_u32 v1, vcc_lo, v1, s0
	v_add_co_ci_u32_e64 v2, null, s1, v2, vcc_lo
	v_add_co_u32 v3, vcc_lo, s2, v3
	v_add_co_ci_u32_e64 v4, null, s3, v4, vcc_lo
	global_load_dword v1, v[1:2], off
	global_load_dword v2, v[3:4], off
	s_waitcnt vmcnt(0)
	v_fmac_f32_e32 v7, v1, v2
.LBB44_14:
	s_or_b32 exec_lo, exec_lo, s5
	v_lshlrev_b32_e32 v1, 2, v0
	s_mov_b32 s0, exec_lo
	ds_write_b32 v1, v7
	s_waitcnt lgkmcnt(0)
	s_barrier
	buffer_gl0_inv
	v_cmpx_gt_u32_e32 0x80, v0
	s_cbranch_execz .LBB44_16
; %bb.15:
	ds_read2st64_b32 v[2:3], v1 offset1:2
	s_waitcnt lgkmcnt(0)
	v_add_f32_e32 v2, v3, v2
	ds_write_b32 v1, v2
.LBB44_16:
	s_or_b32 exec_lo, exec_lo, s0
	s_mov_b32 s0, exec_lo
	s_waitcnt lgkmcnt(0)
	s_barrier
	buffer_gl0_inv
	v_cmpx_gt_u32_e32 64, v0
	s_cbranch_execz .LBB44_18
; %bb.17:
	ds_read2st64_b32 v[2:3], v1 offset1:1
	s_waitcnt lgkmcnt(0)
	v_add_f32_e32 v2, v3, v2
	ds_write_b32 v1, v2
.LBB44_18:
	s_or_b32 exec_lo, exec_lo, s0
	s_mov_b32 s0, exec_lo
	s_waitcnt lgkmcnt(0)
	s_barrier
	buffer_gl0_inv
	v_cmpx_gt_u32_e32 32, v0
	s_cbranch_execz .LBB44_20
; %bb.19:
	ds_read2_b32 v[2:3], v1 offset1:32
	s_waitcnt lgkmcnt(0)
	v_add_f32_e32 v2, v3, v2
	ds_write_b32 v1, v2
.LBB44_20:
	s_or_b32 exec_lo, exec_lo, s0
	s_mov_b32 s0, exec_lo
	s_waitcnt lgkmcnt(0)
	s_barrier
	buffer_gl0_inv
	v_cmpx_gt_u32_e32 16, v0
	s_cbranch_execz .LBB44_22
; %bb.21:
	ds_read2_b32 v[2:3], v1 offset1:16
	s_waitcnt lgkmcnt(0)
	v_add_f32_e32 v2, v3, v2
	ds_write_b32 v1, v2
.LBB44_22:
	;; [unrolled: 13-line block ×5, first 2 shown]
	s_or_b32 exec_lo, exec_lo, s0
	v_cmp_eq_u32_e32 vcc_lo, 0, v0
	s_waitcnt lgkmcnt(0)
	s_barrier
	buffer_gl0_inv
	s_and_saveexec_b32 s0, vcc_lo
	s_cbranch_execz .LBB44_30
; %bb.29:
	v_mov_b32_e32 v2, 0
	ds_read_b64 v[0:1], v2
	s_waitcnt lgkmcnt(0)
	v_add_f32_e32 v0, v1, v0
	ds_write_b32 v2, v0
.LBB44_30:
	s_or_b32 exec_lo, exec_lo, s0
	s_waitcnt lgkmcnt(0)
	s_barrier
	buffer_gl0_inv
                                        ; implicit-def: $vgpr1
                                        ; implicit-def: $sgpr2_sgpr3
	s_and_saveexec_b32 s0, vcc_lo
	s_cbranch_execz .LBB44_34
; %bb.31:
	v_mov_b32_e32 v0, 0
	v_cmp_eq_f32_e64 s1, s20, 0
	s_mul_hi_i32 s3, s25, s6
	s_mul_i32 s2, s25, s6
	ds_read_b32 v0, v0
	s_and_b32 vcc_lo, exec_lo, s1
	s_waitcnt lgkmcnt(0)
	v_mul_f32_e32 v1, s24, v0
	s_cbranch_vccnz .LBB44_33
; %bb.32:
	s_lshl_b64 s[4:5], s[2:3], 2
	s_add_u32 s4, s18, s4
	s_addc_u32 s5, s19, s5
	s_load_dword s1, s[4:5], 0x0
	s_waitcnt lgkmcnt(0)
	v_fmac_f32_e64 v1, s20, s1
.LBB44_33:
	s_or_b32 s21, s21, exec_lo
.LBB44_34:
	s_or_b32 exec_lo, exec_lo, s0
.LBB44_35:
	s_and_saveexec_b32 s0, s21
	s_cbranch_execz .LBB44_37
; %bb.36:
	s_lshl_b64 s[0:1], s[2:3], 2
	v_mov_b32_e32 v0, 0
	s_add_u32 s0, s18, s0
	s_addc_u32 s1, s19, s1
	global_store_dword v0, v1, s[0:1]
.LBB44_37:
	s_endpgm
	.section	.rodata,"a",@progbits
	.p2align	6, 0x0
	.amdhsa_kernel _ZL20rocblas_gemvt_kernelILb1ELi256EfPKffEviiT2_lPKT1_lilS5_lilS2_lPT3_lili
		.amdhsa_group_segment_fixed_size 1024
		.amdhsa_private_segment_fixed_size 0
		.amdhsa_kernarg_size 140
		.amdhsa_user_sgpr_count 6
		.amdhsa_user_sgpr_private_segment_buffer 1
		.amdhsa_user_sgpr_dispatch_ptr 0
		.amdhsa_user_sgpr_queue_ptr 0
		.amdhsa_user_sgpr_kernarg_segment_ptr 1
		.amdhsa_user_sgpr_dispatch_id 0
		.amdhsa_user_sgpr_flat_scratch_init 0
		.amdhsa_user_sgpr_private_segment_size 0
		.amdhsa_wavefront_size32 1
		.amdhsa_uses_dynamic_stack 0
		.amdhsa_system_sgpr_private_segment_wavefront_offset 0
		.amdhsa_system_sgpr_workgroup_id_x 1
		.amdhsa_system_sgpr_workgroup_id_y 0
		.amdhsa_system_sgpr_workgroup_id_z 1
		.amdhsa_system_sgpr_workgroup_info 0
		.amdhsa_system_vgpr_workitem_id 0
		.amdhsa_next_free_vgpr 10
		.amdhsa_next_free_sgpr 26
		.amdhsa_reserve_vcc 1
		.amdhsa_reserve_flat_scratch 0
		.amdhsa_float_round_mode_32 0
		.amdhsa_float_round_mode_16_64 0
		.amdhsa_float_denorm_mode_32 3
		.amdhsa_float_denorm_mode_16_64 3
		.amdhsa_dx10_clamp 1
		.amdhsa_ieee_mode 1
		.amdhsa_fp16_overflow 0
		.amdhsa_workgroup_processor_mode 1
		.amdhsa_memory_ordered 1
		.amdhsa_forward_progress 1
		.amdhsa_shared_vgpr_count 0
		.amdhsa_exception_fp_ieee_invalid_op 0
		.amdhsa_exception_fp_denorm_src 0
		.amdhsa_exception_fp_ieee_div_zero 0
		.amdhsa_exception_fp_ieee_overflow 0
		.amdhsa_exception_fp_ieee_underflow 0
		.amdhsa_exception_fp_ieee_inexact 0
		.amdhsa_exception_int_div_zero 0
	.end_amdhsa_kernel
	.section	.text._ZL20rocblas_gemvt_kernelILb1ELi256EfPKffEviiT2_lPKT1_lilS5_lilS2_lPT3_lili,"axG",@progbits,_ZL20rocblas_gemvt_kernelILb1ELi256EfPKffEviiT2_lPKT1_lilS5_lilS2_lPT3_lili,comdat
.Lfunc_end44:
	.size	_ZL20rocblas_gemvt_kernelILb1ELi256EfPKffEviiT2_lPKT1_lilS5_lilS2_lPT3_lili, .Lfunc_end44-_ZL20rocblas_gemvt_kernelILb1ELi256EfPKffEviiT2_lPKT1_lilS5_lilS2_lPT3_lili
                                        ; -- End function
	.set _ZL20rocblas_gemvt_kernelILb1ELi256EfPKffEviiT2_lPKT1_lilS5_lilS2_lPT3_lili.num_vgpr, 10
	.set _ZL20rocblas_gemvt_kernelILb1ELi256EfPKffEviiT2_lPKT1_lilS5_lilS2_lPT3_lili.num_agpr, 0
	.set _ZL20rocblas_gemvt_kernelILb1ELi256EfPKffEviiT2_lPKT1_lilS5_lilS2_lPT3_lili.numbered_sgpr, 26
	.set _ZL20rocblas_gemvt_kernelILb1ELi256EfPKffEviiT2_lPKT1_lilS5_lilS2_lPT3_lili.num_named_barrier, 0
	.set _ZL20rocblas_gemvt_kernelILb1ELi256EfPKffEviiT2_lPKT1_lilS5_lilS2_lPT3_lili.private_seg_size, 0
	.set _ZL20rocblas_gemvt_kernelILb1ELi256EfPKffEviiT2_lPKT1_lilS5_lilS2_lPT3_lili.uses_vcc, 1
	.set _ZL20rocblas_gemvt_kernelILb1ELi256EfPKffEviiT2_lPKT1_lilS5_lilS2_lPT3_lili.uses_flat_scratch, 0
	.set _ZL20rocblas_gemvt_kernelILb1ELi256EfPKffEviiT2_lPKT1_lilS5_lilS2_lPT3_lili.has_dyn_sized_stack, 0
	.set _ZL20rocblas_gemvt_kernelILb1ELi256EfPKffEviiT2_lPKT1_lilS5_lilS2_lPT3_lili.has_recursion, 0
	.set _ZL20rocblas_gemvt_kernelILb1ELi256EfPKffEviiT2_lPKT1_lilS5_lilS2_lPT3_lili.has_indirect_call, 0
	.section	.AMDGPU.csdata,"",@progbits
; Kernel info:
; codeLenInByte = 1452
; TotalNumSgprs: 28
; NumVgprs: 10
; ScratchSize: 0
; MemoryBound: 0
; FloatMode: 240
; IeeeMode: 1
; LDSByteSize: 1024 bytes/workgroup (compile time only)
; SGPRBlocks: 0
; VGPRBlocks: 1
; NumSGPRsForWavesPerEU: 28
; NumVGPRsForWavesPerEU: 10
; Occupancy: 16
; WaveLimiterHint : 1
; COMPUTE_PGM_RSRC2:SCRATCH_EN: 0
; COMPUTE_PGM_RSRC2:USER_SGPR: 6
; COMPUTE_PGM_RSRC2:TRAP_HANDLER: 0
; COMPUTE_PGM_RSRC2:TGID_X_EN: 1
; COMPUTE_PGM_RSRC2:TGID_Y_EN: 0
; COMPUTE_PGM_RSRC2:TGID_Z_EN: 1
; COMPUTE_PGM_RSRC2:TIDIG_COMP_CNT: 0
	.section	.text._ZL20rocblas_gemvt_kernelILb1ELi256EfffEviiT2_lPKT1_lilS3_lilS0_lPT3_lili,"axG",@progbits,_ZL20rocblas_gemvt_kernelILb1ELi256EfffEviiT2_lPKT1_lilS3_lilS0_lPT3_lili,comdat
	.globl	_ZL20rocblas_gemvt_kernelILb1ELi256EfffEviiT2_lPKT1_lilS3_lilS0_lPT3_lili ; -- Begin function _ZL20rocblas_gemvt_kernelILb1ELi256EfffEviiT2_lPKT1_lilS3_lilS0_lPT3_lili
	.p2align	8
	.type	_ZL20rocblas_gemvt_kernelILb1ELi256EfffEviiT2_lPKT1_lilS3_lilS0_lPT3_lili,@function
_ZL20rocblas_gemvt_kernelILb1ELi256EfffEviiT2_lPKT1_lilS3_lilS0_lPT3_lili: ; @_ZL20rocblas_gemvt_kernelILb1ELi256EfffEviiT2_lPKT1_lilS3_lilS0_lPT3_lili
; %bb.0:
	s_clause 0x1
	s_load_dword s18, s[4:5], 0x8
	s_load_dword s16, s[4:5], 0x58
	s_mov_b32 s17, 0
	s_waitcnt lgkmcnt(0)
	v_cmp_eq_f32_e64 s0, s18, 0
	v_cmp_eq_f32_e64 s1, s16, 1.0
	s_and_b32 s0, s0, s1
	s_and_b32 vcc_lo, exec_lo, s0
	s_cbranch_vccnz .LBB45_37
; %bb.1:
	s_clause 0x2
	s_load_dwordx2 s[8:9], s[4:5], 0x80
	s_load_dwordx4 s[0:3], s[4:5], 0x68
	s_load_dword s19, s[4:5], 0x78
	s_waitcnt lgkmcnt(0)
	s_mul_i32 s9, s9, s7
	s_mul_hi_u32 s10, s8, s7
	s_mul_i32 s8, s8, s7
	s_add_i32 s9, s10, s9
	v_cmp_neq_f32_e64 s10, s18, 0
	s_lshl_b64 s[8:9], s[8:9], 2
	s_add_u32 s8, s0, s8
	s_addc_u32 s9, s1, s9
	s_lshl_b64 s[0:1], s[2:3], 2
	s_add_u32 s14, s8, s0
	v_cmp_eq_u32_e64 s0, 0, v0
	s_addc_u32 s15, s9, s1
	s_and_b32 vcc_lo, exec_lo, s10
	s_cbranch_vccnz .LBB45_5
; %bb.2:
	s_mov_b32 s1, 0
                                        ; implicit-def: $vgpr1
                                        ; implicit-def: $sgpr2_sgpr3
	s_and_saveexec_b32 s8, s0
	s_cbranch_execz .LBB45_6
; %bb.3:
	v_cmp_eq_f32_e64 s0, s16, 0
	s_mul_hi_i32 s3, s19, s6
	s_mul_i32 s2, s19, s6
	s_and_b32 vcc_lo, exec_lo, s0
	s_cbranch_vccnz .LBB45_7
; %bb.4:
	s_lshl_b64 s[10:11], s[2:3], 2
	s_add_u32 s10, s14, s10
	s_addc_u32 s11, s15, s11
	s_load_dword s0, s[10:11], 0x0
	s_waitcnt lgkmcnt(0)
	v_mul_f32_e64 v1, s16, s0
	s_branch .LBB45_8
.LBB45_5:
                                        ; implicit-def: $vgpr1
                                        ; implicit-def: $sgpr2_sgpr3
	s_cbranch_execnz .LBB45_9
	s_branch .LBB45_35
.LBB45_6:
	s_or_b32 exec_lo, exec_lo, s8
	s_and_b32 vcc_lo, exec_lo, s1
	s_cbranch_vccnz .LBB45_9
	s_branch .LBB45_35
.LBB45_7:
	v_mov_b32_e32 v1, 0
.LBB45_8:
	s_mov_b32 s17, exec_lo
	s_or_b32 exec_lo, exec_lo, s8
	s_and_b32 vcc_lo, exec_lo, s1
	s_cbranch_vccz .LBB45_35
.LBB45_9:
	s_clause 0x6
	s_load_dwordx2 s[10:11], s[4:5], 0x50
	s_load_dwordx4 s[0:3], s[4:5], 0x30
	s_load_dword s20, s[4:5], 0x0
	s_load_dword s12, s[4:5], 0x28
	s_load_dwordx4 s[24:27], s[4:5], 0x18
	s_load_dwordx2 s[8:9], s[4:5], 0x40
	s_load_dword s4, s[4:5], 0x48
	v_mov_b32_e32 v7, 0
	s_waitcnt lgkmcnt(0)
	s_mul_i32 s5, s11, s7
	s_mul_i32 s1, s1, s7
	v_cmp_gt_i32_e32 vcc_lo, s20, v0
	s_mul_hi_u32 s21, s0, s7
	s_mul_i32 s0, s0, s7
	s_add_i32 s1, s21, s1
	s_mul_hi_u32 s11, s10, s7
	v_cndmask_b32_e32 v1, 0, v0, vcc_lo
	s_lshl_b64 s[0:1], s[0:1], 2
	s_add_i32 s11, s11, s5
	s_add_u32 s5, s24, s0
	s_mul_i32 s10, s10, s7
	v_lshlrev_b32_e32 v1, 2, v1
	s_addc_u32 s7, s25, s1
	s_lshl_b64 s[0:1], s[26:27], 2
	s_mul_hi_i32 s13, s12, s6
	s_add_u32 s5, s5, s0
	s_addc_u32 s7, s7, s1
	v_add_co_u32 v1, s5, s5, v1
	s_mul_i32 s12, s12, s6
	v_add_co_ci_u32_e64 v2, null, s7, 0, s5
	s_ashr_i32 s21, s20, 31
	s_lshl_b64 s[0:1], s[12:13], 2
	s_lshr_b32 s12, s21, 24
	v_add_co_u32 v1, vcc_lo, v1, s0
	s_add_i32 s5, s20, s12
	v_add_co_ci_u32_e64 v2, null, s1, v2, vcc_lo
	s_and_b32 s0, s5, 0xffffff00
	s_cmpk_lt_i32 s20, 0x100
	s_mov_b32 s1, 0
	s_cbranch_scc1 .LBB45_12
; %bb.10:
	v_mad_i64_i32 v[3:4], null, s4, v0, 0
	s_lshl_b64 s[22:23], s[8:9], 2
	s_ashr_i32 s5, s4, 31
	s_lshl_b64 s[12:13], s[10:11], 2
	s_add_u32 s7, s2, s22
	s_addc_u32 s21, s3, s23
	s_add_u32 s7, s7, s12
	v_lshlrev_b64 v[3:4], 2, v[3:4]
	s_addc_u32 s12, s21, s13
	v_mov_b32_e32 v6, v2
	v_mov_b32_e32 v7, 0
	;; [unrolled: 1-line block ×3, first 2 shown]
	v_add_co_u32 v3, vcc_lo, s7, v3
	v_add_co_ci_u32_e64 v4, null, s12, v4, vcc_lo
	s_lshl_b64 s[12:13], s[4:5], 10
	.p2align	6
.LBB45_11:                              ; =>This Inner Loop Header: Depth=1
	global_load_dword v8, v[5:6], off
	global_load_dword v9, v[3:4], off
	v_add_co_u32 v3, vcc_lo, v3, s12
	v_add_co_ci_u32_e64 v4, null, s13, v4, vcc_lo
	v_add_co_u32 v5, vcc_lo, 0x400, v5
	v_add_co_ci_u32_e64 v6, null, 0, v6, vcc_lo
	s_addk_i32 s1, 0x100
	s_cmp_ge_i32 s1, s0
	s_waitcnt vmcnt(0)
	v_fmac_f32_e32 v7, v8, v9
	s_cbranch_scc0 .LBB45_11
.LBB45_12:
	v_add_nc_u32_e32 v3, s0, v0
	s_mov_b32 s5, exec_lo
	v_cmpx_gt_i32_e64 s20, v3
	s_cbranch_execz .LBB45_14
; %bb.13:
	v_mad_i64_i32 v[3:4], null, s4, v3, 0
	s_lshl_b64 s[10:11], s[10:11], 2
	s_add_u32 s1, s2, s10
	s_addc_u32 s7, s3, s11
	s_lshl_b64 s[2:3], s[8:9], 2
	s_add_u32 s2, s1, s2
	s_addc_u32 s3, s7, s3
	s_ashr_i32 s1, s0, 31
	v_lshlrev_b64 v[3:4], 2, v[3:4]
	s_lshl_b64 s[0:1], s[0:1], 2
	v_add_co_u32 v1, vcc_lo, v1, s0
	v_add_co_ci_u32_e64 v2, null, s1, v2, vcc_lo
	v_add_co_u32 v3, vcc_lo, s2, v3
	v_add_co_ci_u32_e64 v4, null, s3, v4, vcc_lo
	global_load_dword v1, v[1:2], off
	global_load_dword v2, v[3:4], off
	s_waitcnt vmcnt(0)
	v_fmac_f32_e32 v7, v1, v2
.LBB45_14:
	s_or_b32 exec_lo, exec_lo, s5
	v_lshlrev_b32_e32 v1, 2, v0
	s_mov_b32 s0, exec_lo
	ds_write_b32 v1, v7
	s_waitcnt lgkmcnt(0)
	s_barrier
	buffer_gl0_inv
	v_cmpx_gt_u32_e32 0x80, v0
	s_cbranch_execz .LBB45_16
; %bb.15:
	ds_read2st64_b32 v[2:3], v1 offset1:2
	s_waitcnt lgkmcnt(0)
	v_add_f32_e32 v2, v3, v2
	ds_write_b32 v1, v2
.LBB45_16:
	s_or_b32 exec_lo, exec_lo, s0
	s_mov_b32 s0, exec_lo
	s_waitcnt lgkmcnt(0)
	s_barrier
	buffer_gl0_inv
	v_cmpx_gt_u32_e32 64, v0
	s_cbranch_execz .LBB45_18
; %bb.17:
	ds_read2st64_b32 v[2:3], v1 offset1:1
	s_waitcnt lgkmcnt(0)
	v_add_f32_e32 v2, v3, v2
	ds_write_b32 v1, v2
.LBB45_18:
	s_or_b32 exec_lo, exec_lo, s0
	s_mov_b32 s0, exec_lo
	s_waitcnt lgkmcnt(0)
	s_barrier
	buffer_gl0_inv
	v_cmpx_gt_u32_e32 32, v0
	s_cbranch_execz .LBB45_20
; %bb.19:
	ds_read2_b32 v[2:3], v1 offset1:32
	s_waitcnt lgkmcnt(0)
	v_add_f32_e32 v2, v3, v2
	ds_write_b32 v1, v2
.LBB45_20:
	s_or_b32 exec_lo, exec_lo, s0
	s_mov_b32 s0, exec_lo
	s_waitcnt lgkmcnt(0)
	s_barrier
	buffer_gl0_inv
	v_cmpx_gt_u32_e32 16, v0
	s_cbranch_execz .LBB45_22
; %bb.21:
	ds_read2_b32 v[2:3], v1 offset1:16
	s_waitcnt lgkmcnt(0)
	v_add_f32_e32 v2, v3, v2
	ds_write_b32 v1, v2
.LBB45_22:
	;; [unrolled: 13-line block ×5, first 2 shown]
	s_or_b32 exec_lo, exec_lo, s0
	v_cmp_eq_u32_e32 vcc_lo, 0, v0
	s_waitcnt lgkmcnt(0)
	s_barrier
	buffer_gl0_inv
	s_and_saveexec_b32 s0, vcc_lo
	s_cbranch_execz .LBB45_30
; %bb.29:
	v_mov_b32_e32 v2, 0
	ds_read_b64 v[0:1], v2
	s_waitcnt lgkmcnt(0)
	v_add_f32_e32 v0, v1, v0
	ds_write_b32 v2, v0
.LBB45_30:
	s_or_b32 exec_lo, exec_lo, s0
	s_waitcnt lgkmcnt(0)
	s_barrier
	buffer_gl0_inv
                                        ; implicit-def: $vgpr1
                                        ; implicit-def: $sgpr2_sgpr3
	s_and_saveexec_b32 s0, vcc_lo
	s_cbranch_execz .LBB45_34
; %bb.31:
	v_mov_b32_e32 v0, 0
	v_cmp_eq_f32_e64 s1, s16, 0
	s_mul_hi_i32 s3, s19, s6
	s_mul_i32 s2, s19, s6
	ds_read_b32 v0, v0
	s_and_b32 vcc_lo, exec_lo, s1
	s_waitcnt lgkmcnt(0)
	v_mul_f32_e32 v1, s18, v0
	s_cbranch_vccnz .LBB45_33
; %bb.32:
	s_lshl_b64 s[4:5], s[2:3], 2
	s_add_u32 s4, s14, s4
	s_addc_u32 s5, s15, s5
	s_load_dword s1, s[4:5], 0x0
	s_waitcnt lgkmcnt(0)
	v_fmac_f32_e64 v1, s16, s1
.LBB45_33:
	s_or_b32 s17, s17, exec_lo
.LBB45_34:
	s_or_b32 exec_lo, exec_lo, s0
.LBB45_35:
	s_and_saveexec_b32 s0, s17
	s_cbranch_execz .LBB45_37
; %bb.36:
	s_lshl_b64 s[0:1], s[2:3], 2
	v_mov_b32_e32 v0, 0
	s_add_u32 s0, s14, s0
	s_addc_u32 s1, s15, s1
	global_store_dword v0, v1, s[0:1]
.LBB45_37:
	s_endpgm
	.section	.rodata,"a",@progbits
	.p2align	6, 0x0
	.amdhsa_kernel _ZL20rocblas_gemvt_kernelILb1ELi256EfffEviiT2_lPKT1_lilS3_lilS0_lPT3_lili
		.amdhsa_group_segment_fixed_size 1024
		.amdhsa_private_segment_fixed_size 0
		.amdhsa_kernarg_size 140
		.amdhsa_user_sgpr_count 6
		.amdhsa_user_sgpr_private_segment_buffer 1
		.amdhsa_user_sgpr_dispatch_ptr 0
		.amdhsa_user_sgpr_queue_ptr 0
		.amdhsa_user_sgpr_kernarg_segment_ptr 1
		.amdhsa_user_sgpr_dispatch_id 0
		.amdhsa_user_sgpr_flat_scratch_init 0
		.amdhsa_user_sgpr_private_segment_size 0
		.amdhsa_wavefront_size32 1
		.amdhsa_uses_dynamic_stack 0
		.amdhsa_system_sgpr_private_segment_wavefront_offset 0
		.amdhsa_system_sgpr_workgroup_id_x 1
		.amdhsa_system_sgpr_workgroup_id_y 0
		.amdhsa_system_sgpr_workgroup_id_z 1
		.amdhsa_system_sgpr_workgroup_info 0
		.amdhsa_system_vgpr_workitem_id 0
		.amdhsa_next_free_vgpr 10
		.amdhsa_next_free_sgpr 28
		.amdhsa_reserve_vcc 1
		.amdhsa_reserve_flat_scratch 0
		.amdhsa_float_round_mode_32 0
		.amdhsa_float_round_mode_16_64 0
		.amdhsa_float_denorm_mode_32 3
		.amdhsa_float_denorm_mode_16_64 3
		.amdhsa_dx10_clamp 1
		.amdhsa_ieee_mode 1
		.amdhsa_fp16_overflow 0
		.amdhsa_workgroup_processor_mode 1
		.amdhsa_memory_ordered 1
		.amdhsa_forward_progress 1
		.amdhsa_shared_vgpr_count 0
		.amdhsa_exception_fp_ieee_invalid_op 0
		.amdhsa_exception_fp_denorm_src 0
		.amdhsa_exception_fp_ieee_div_zero 0
		.amdhsa_exception_fp_ieee_overflow 0
		.amdhsa_exception_fp_ieee_underflow 0
		.amdhsa_exception_fp_ieee_inexact 0
		.amdhsa_exception_int_div_zero 0
	.end_amdhsa_kernel
	.section	.text._ZL20rocblas_gemvt_kernelILb1ELi256EfffEviiT2_lPKT1_lilS3_lilS0_lPT3_lili,"axG",@progbits,_ZL20rocblas_gemvt_kernelILb1ELi256EfffEviiT2_lPKT1_lilS3_lilS0_lPT3_lili,comdat
.Lfunc_end45:
	.size	_ZL20rocblas_gemvt_kernelILb1ELi256EfffEviiT2_lPKT1_lilS3_lilS0_lPT3_lili, .Lfunc_end45-_ZL20rocblas_gemvt_kernelILb1ELi256EfffEviiT2_lPKT1_lilS3_lilS0_lPT3_lili
                                        ; -- End function
	.set _ZL20rocblas_gemvt_kernelILb1ELi256EfffEviiT2_lPKT1_lilS3_lilS0_lPT3_lili.num_vgpr, 10
	.set _ZL20rocblas_gemvt_kernelILb1ELi256EfffEviiT2_lPKT1_lilS3_lilS0_lPT3_lili.num_agpr, 0
	.set _ZL20rocblas_gemvt_kernelILb1ELi256EfffEviiT2_lPKT1_lilS3_lilS0_lPT3_lili.numbered_sgpr, 28
	.set _ZL20rocblas_gemvt_kernelILb1ELi256EfffEviiT2_lPKT1_lilS3_lilS0_lPT3_lili.num_named_barrier, 0
	.set _ZL20rocblas_gemvt_kernelILb1ELi256EfffEviiT2_lPKT1_lilS3_lilS0_lPT3_lili.private_seg_size, 0
	.set _ZL20rocblas_gemvt_kernelILb1ELi256EfffEviiT2_lPKT1_lilS3_lilS0_lPT3_lili.uses_vcc, 1
	.set _ZL20rocblas_gemvt_kernelILb1ELi256EfffEviiT2_lPKT1_lilS3_lilS0_lPT3_lili.uses_flat_scratch, 0
	.set _ZL20rocblas_gemvt_kernelILb1ELi256EfffEviiT2_lPKT1_lilS3_lilS0_lPT3_lili.has_dyn_sized_stack, 0
	.set _ZL20rocblas_gemvt_kernelILb1ELi256EfffEviiT2_lPKT1_lilS3_lilS0_lPT3_lili.has_recursion, 0
	.set _ZL20rocblas_gemvt_kernelILb1ELi256EfffEviiT2_lPKT1_lilS3_lilS0_lPT3_lili.has_indirect_call, 0
	.section	.AMDGPU.csdata,"",@progbits
; Kernel info:
; codeLenInByte = 1388
; TotalNumSgprs: 30
; NumVgprs: 10
; ScratchSize: 0
; MemoryBound: 0
; FloatMode: 240
; IeeeMode: 1
; LDSByteSize: 1024 bytes/workgroup (compile time only)
; SGPRBlocks: 0
; VGPRBlocks: 1
; NumSGPRsForWavesPerEU: 30
; NumVGPRsForWavesPerEU: 10
; Occupancy: 16
; WaveLimiterHint : 1
; COMPUTE_PGM_RSRC2:SCRATCH_EN: 0
; COMPUTE_PGM_RSRC2:USER_SGPR: 6
; COMPUTE_PGM_RSRC2:TRAP_HANDLER: 0
; COMPUTE_PGM_RSRC2:TGID_X_EN: 1
; COMPUTE_PGM_RSRC2:TGID_Y_EN: 0
; COMPUTE_PGM_RSRC2:TGID_Z_EN: 1
; COMPUTE_PGM_RSRC2:TIDIG_COMP_CNT: 0
	.section	.text._ZL32rocblas_gemvt_warp_reduce_kernelILb1ELi1024EifPKffEviiT3_lPKT2_lT1_lS5_lS6_lS2_lPT4_lS6_li,"axG",@progbits,_ZL32rocblas_gemvt_warp_reduce_kernelILb1ELi1024EifPKffEviiT3_lPKT2_lT1_lS5_lS6_lS2_lPT4_lS6_li,comdat
	.globl	_ZL32rocblas_gemvt_warp_reduce_kernelILb1ELi1024EifPKffEviiT3_lPKT2_lT1_lS5_lS6_lS2_lPT4_lS6_li ; -- Begin function _ZL32rocblas_gemvt_warp_reduce_kernelILb1ELi1024EifPKffEviiT3_lPKT2_lT1_lS5_lS6_lS2_lPT4_lS6_li
	.p2align	8
	.type	_ZL32rocblas_gemvt_warp_reduce_kernelILb1ELi1024EifPKffEviiT3_lPKT2_lT1_lS5_lS6_lS2_lPT4_lS6_li,@function
_ZL32rocblas_gemvt_warp_reduce_kernelILb1ELi1024EifPKffEviiT3_lPKT2_lT1_lS5_lS6_lS2_lPT4_lS6_li: ; @_ZL32rocblas_gemvt_warp_reduce_kernelILb1ELi1024EifPKffEviiT3_lPKT2_lT1_lS5_lS6_lS2_lPT4_lS6_li
; %bb.0:
	s_clause 0x1
	s_load_dwordx8 s[8:15], s[4:5], 0x8
	s_load_dwordx8 s[16:23], s[4:5], 0x50
	s_waitcnt lgkmcnt(0)
	s_mul_i32 s1, s11, s7
	s_mul_hi_u32 s2, s10, s7
	s_mul_i32 s0, s10, s7
	s_add_i32 s1, s2, s1
	s_mul_i32 s2, s21, s7
	s_lshl_b64 s[0:1], s[0:1], 2
	s_mul_hi_u32 s3, s20, s7
	s_add_u32 s0, s8, s0
	s_addc_u32 s1, s9, s1
	s_add_i32 s3, s3, s2
	s_mul_i32 s2, s20, s7
	s_mov_b32 s10, 0
	s_lshl_b64 s[2:3], s[2:3], 2
	s_add_u32 s2, s18, s2
	s_addc_u32 s3, s19, s3
	s_load_dword s11, s[0:1], 0x0
	s_load_dword s9, s[2:3], 0x0
	s_waitcnt lgkmcnt(0)
	v_cmp_eq_f32_e64 s0, s11, 0
	v_cmp_eq_f32_e64 s1, s9, 1.0
	s_and_b32 s0, s0, s1
	s_and_b32 vcc_lo, exec_lo, s0
	s_cbranch_vccnz .LBB46_30
; %bb.1:
	s_clause 0x2
	s_load_dwordx2 s[0:1], s[4:5], 0x80
	s_load_dwordx2 s[2:3], s[4:5], 0x70
	s_load_dword s18, s[4:5], 0x78
	v_cmp_neq_f32_e64 s19, s11, 0
	s_waitcnt lgkmcnt(0)
	s_mul_i32 s1, s1, s7
	s_mul_hi_u32 s8, s0, s7
	s_mul_i32 s0, s0, s7
	s_add_i32 s1, s8, s1
	s_lshl_b64 s[0:1], s[0:1], 2
	s_add_u32 s0, s22, s0
	s_addc_u32 s8, s23, s1
	s_lshl_b64 s[2:3], s[2:3], 2
	s_add_u32 s1, s0, s2
	v_cmp_eq_u32_e64 s0, 0, v0
	s_addc_u32 s8, s8, s3
	s_and_b32 vcc_lo, exec_lo, s19
	s_cbranch_vccnz .LBB46_5
; %bb.2:
	s_mov_b32 s19, 0
                                        ; implicit-def: $vgpr1
                                        ; implicit-def: $sgpr2_sgpr3
	s_and_saveexec_b32 s20, s0
	s_cbranch_execz .LBB46_6
; %bb.3:
	v_cmp_eq_f32_e64 s0, s9, 0
	s_mul_i32 s2, s18, s6
	s_ashr_i32 s3, s2, 31
	s_and_b32 vcc_lo, exec_lo, s0
	s_cbranch_vccnz .LBB46_7
; %bb.4:
	s_lshl_b64 s[22:23], s[2:3], 2
	s_add_u32 s22, s1, s22
	s_addc_u32 s23, s8, s23
	s_load_dword s0, s[22:23], 0x0
	s_waitcnt lgkmcnt(0)
	v_mul_f32_e64 v1, s9, s0
	s_branch .LBB46_8
.LBB46_5:
                                        ; implicit-def: $vgpr1
                                        ; implicit-def: $sgpr2_sgpr3
	s_cbranch_execnz .LBB46_9
	s_branch .LBB46_28
.LBB46_6:
	s_or_b32 exec_lo, exec_lo, s20
	s_and_b32 vcc_lo, exec_lo, s19
	s_cbranch_vccnz .LBB46_9
	s_branch .LBB46_28
.LBB46_7:
	v_mov_b32_e32 v1, 0
.LBB46_8:
	s_mov_b32 s10, exec_lo
	s_or_b32 exec_lo, exec_lo, s20
	s_and_b32 vcc_lo, exec_lo, s19
	s_cbranch_vccz .LBB46_28
.LBB46_9:
	s_clause 0x3
	s_load_dwordx4 s[20:23], s[4:5], 0x30
	s_load_dwordx2 s[24:25], s[4:5], 0x40
	s_load_dword s3, s[4:5], 0x0
	s_load_dword s0, s[4:5], 0x28
	s_mul_i32 s2, s17, s7
	s_mul_hi_u32 s17, s16, s7
	s_mul_i32 s16, s16, s7
	s_add_i32 s17, s17, s2
	s_load_dword s4, s[4:5], 0x48
	s_lshl_b64 s[16:17], s[16:17], 2
	v_mov_b32_e32 v7, 0
	s_waitcnt lgkmcnt(0)
	s_add_u32 s2, s22, s16
	s_addc_u32 s22, s23, s17
	v_cmp_gt_i32_e32 vcc_lo, s3, v0
	s_lshl_b64 s[16:17], s[24:25], 2
	s_mul_i32 s19, s21, s7
	s_mul_hi_u32 s21, s20, s7
	s_add_u32 s5, s2, s16
	v_cndmask_b32_e32 v1, 0, v0, vcc_lo
	s_mul_i32 s20, s20, s7
	s_addc_u32 s7, s22, s17
	s_add_i32 s21, s21, s19
	s_lshl_b64 s[16:17], s[20:21], 2
	s_mul_i32 s20, s0, s6
	s_add_u32 s0, s12, s16
	v_lshlrev_b32_e32 v1, 2, v1
	s_addc_u32 s2, s13, s17
	s_lshl_b64 s[12:13], s[14:15], 2
	s_add_u32 s0, s0, s12
	s_addc_u32 s2, s2, s13
	v_add_co_u32 v1, s0, s0, v1
	s_ashr_i32 s12, s3, 31
	s_ashr_i32 s21, s20, 31
	v_add_co_ci_u32_e64 v2, null, s2, 0, s0
	s_lshr_b32 s0, s12, 22
	s_lshl_b64 s[12:13], s[20:21], 2
	s_add_i32 s0, s3, s0
	v_add_co_u32 v1, vcc_lo, v1, s12
	v_add_co_ci_u32_e64 v2, null, s13, v2, vcc_lo
	s_and_b32 s2, s0, 0xfffffc00
	s_mov_b32 s13, 0
	s_mov_b32 s12, exec_lo
	v_cmpx_gt_i32_e64 s2, v0
	s_cbranch_execz .LBB46_13
; %bb.10:
	v_mul_lo_u32 v3, v0, s4
	v_mov_b32_e32 v6, v2
	v_mov_b32_e32 v7, 0
	;; [unrolled: 1-line block ×4, first 2 shown]
	s_lshl_b32 s14, s4, 10
	.p2align	6
.LBB46_11:                              ; =>This Inner Loop Header: Depth=1
	v_ashrrev_i32_e32 v4, 31, v3
	v_add_nc_u32_e32 v8, 0x400, v8
	v_lshlrev_b64 v[9:10], 2, v[3:4]
	v_cmp_le_i32_e64 s0, s2, v8
	v_add_nc_u32_e32 v3, s14, v3
	s_or_b32 s13, s0, s13
	v_add_co_u32 v9, vcc_lo, s5, v9
	v_add_co_ci_u32_e64 v10, null, s7, v10, vcc_lo
	global_load_dword v4, v[5:6], off
	global_load_dword v9, v[9:10], off
	v_add_co_u32 v5, vcc_lo, 0x1000, v5
	v_add_co_ci_u32_e64 v6, null, 0, v6, vcc_lo
	s_waitcnt vmcnt(0)
	v_fmac_f32_e32 v7, v4, v9
	s_andn2_b32 exec_lo, exec_lo, s13
	s_cbranch_execnz .LBB46_11
; %bb.12:
	s_or_b32 exec_lo, exec_lo, s13
.LBB46_13:
	s_or_b32 exec_lo, exec_lo, s12
	v_or_b32_e32 v3, s2, v0
	s_mov_b32 s0, exec_lo
	v_cmpx_gt_i32_e64 s3, v3
	s_cbranch_execz .LBB46_15
; %bb.14:
	v_mul_lo_u32 v3, s4, v3
	s_ashr_i32 s3, s2, 31
	s_lshl_b64 s[2:3], s[2:3], 2
	v_add_co_u32 v1, vcc_lo, v1, s2
	v_add_co_ci_u32_e64 v2, null, s3, v2, vcc_lo
	v_ashrrev_i32_e32 v4, 31, v3
	v_lshlrev_b64 v[3:4], 2, v[3:4]
	v_add_co_u32 v3, vcc_lo, s5, v3
	v_add_co_ci_u32_e64 v4, null, s7, v4, vcc_lo
	global_load_dword v1, v[1:2], off
	global_load_dword v2, v[3:4], off
	s_waitcnt vmcnt(0)
	v_fmac_f32_e32 v7, v1, v2
.LBB46_15:
	s_or_b32 exec_lo, exec_lo, s0
	v_and_b32_e32 v8, 31, v0
	v_cmp_gt_u32_e32 vcc_lo, 32, v0
	v_lshlrev_b32_e32 v1, 2, v8
	s_and_saveexec_b32 s0, vcc_lo
; %bb.16:
	v_mov_b32_e32 v2, 0
	ds_write_b32 v1, v2
; %bb.17:
	s_or_b32 exec_lo, exec_lo, s0
	v_mbcnt_lo_u32_b32 v6, -1, 0
	s_mov_b32 s2, exec_lo
	s_waitcnt lgkmcnt(0)
	s_barrier
	buffer_gl0_inv
	v_lshl_or_b32 v2, v6, 2, 64
	v_cmp_gt_u32_e64 s0, 24, v6
	ds_bpermute_b32 v4, v2, v7
	v_cndmask_b32_e64 v3, 0, 8, s0
	v_cmp_gt_u32_e64 s0, 28, v6
	v_add_lshl_u32 v3, v3, v6, 2
	s_waitcnt lgkmcnt(0)
	v_add_f32_e32 v5, v7, v4
	v_cndmask_b32_e64 v4, 0, 4, s0
	v_cmp_gt_u32_e64 s0, 30, v6
	ds_bpermute_b32 v7, v3, v5
	v_add_lshl_u32 v4, v4, v6, 2
	s_waitcnt lgkmcnt(0)
	v_add_f32_e32 v7, v5, v7
	v_cndmask_b32_e64 v5, 0, 2, s0
	v_cmp_ne_u32_e64 s0, 31, v6
	ds_bpermute_b32 v9, v4, v7
	v_add_lshl_u32 v5, v5, v6, 2
	v_add_co_ci_u32_e64 v6, null, 0, v6, s0
	v_lshlrev_b32_e32 v6, 2, v6
	s_waitcnt lgkmcnt(0)
	v_add_f32_e32 v7, v7, v9
	ds_bpermute_b32 v9, v5, v7
	s_waitcnt lgkmcnt(0)
	v_add_f32_e32 v7, v7, v9
	ds_bpermute_b32 v9, v6, v7
	v_cmpx_eq_u32_e32 0, v8
	s_cbranch_execz .LBB46_19
; %bb.18:
	v_lshrrev_b32_e32 v8, 3, v0
	s_waitcnt lgkmcnt(0)
	v_add_f32_e32 v7, v7, v9
	v_and_b32_e32 v8, 0x7c, v8
	ds_write_b32 v8, v7
.LBB46_19:
	s_or_b32 exec_lo, exec_lo, s2
	v_mov_b32_e32 v7, 0
	s_waitcnt lgkmcnt(0)
	s_barrier
	buffer_gl0_inv
	s_and_saveexec_b32 s0, vcc_lo
; %bb.20:
	ds_read_b32 v7, v1
; %bb.21:
	s_or_b32 exec_lo, exec_lo, s0
	s_and_saveexec_b32 s0, vcc_lo
	s_cbranch_execz .LBB46_23
; %bb.22:
	s_waitcnt lgkmcnt(0)
	ds_bpermute_b32 v1, v2, v7
	s_waitcnt lgkmcnt(0)
	v_add_f32_e32 v1, v7, v1
	ds_bpermute_b32 v2, v3, v1
	s_waitcnt lgkmcnt(0)
	v_add_f32_e32 v1, v1, v2
	;; [unrolled: 3-line block ×5, first 2 shown]
.LBB46_23:
	s_or_b32 exec_lo, exec_lo, s0
	s_mov_b32 s0, exec_lo
                                        ; implicit-def: $vgpr1
                                        ; implicit-def: $sgpr2_sgpr3
	v_cmpx_eq_u32_e32 0, v0
	s_cbranch_execz .LBB46_27
; %bb.24:
	v_cmp_eq_f32_e64 s3, s9, 0
	s_waitcnt lgkmcnt(0)
	v_mul_f32_e32 v1, s11, v7
	s_mul_i32 s2, s18, s6
	s_and_b32 vcc_lo, exec_lo, s3
	s_ashr_i32 s3, s2, 31
	s_cbranch_vccnz .LBB46_26
; %bb.25:
	s_lshl_b64 s[4:5], s[2:3], 2
	s_add_u32 s4, s1, s4
	s_addc_u32 s5, s8, s5
	s_load_dword s4, s[4:5], 0x0
	s_waitcnt lgkmcnt(0)
	v_fmac_f32_e64 v1, s9, s4
.LBB46_26:
	s_or_b32 s10, s10, exec_lo
.LBB46_27:
	s_or_b32 exec_lo, exec_lo, s0
.LBB46_28:
	s_and_saveexec_b32 s0, s10
	s_cbranch_execz .LBB46_30
; %bb.29:
	s_lshl_b64 s[2:3], s[2:3], 2
	v_mov_b32_e32 v0, 0
	s_add_u32 s0, s1, s2
	s_addc_u32 s1, s8, s3
	global_store_dword v0, v1, s[0:1]
.LBB46_30:
	s_endpgm
	.section	.rodata,"a",@progbits
	.p2align	6, 0x0
	.amdhsa_kernel _ZL32rocblas_gemvt_warp_reduce_kernelILb1ELi1024EifPKffEviiT3_lPKT2_lT1_lS5_lS6_lS2_lPT4_lS6_li
		.amdhsa_group_segment_fixed_size 128
		.amdhsa_private_segment_fixed_size 0
		.amdhsa_kernarg_size 140
		.amdhsa_user_sgpr_count 6
		.amdhsa_user_sgpr_private_segment_buffer 1
		.amdhsa_user_sgpr_dispatch_ptr 0
		.amdhsa_user_sgpr_queue_ptr 0
		.amdhsa_user_sgpr_kernarg_segment_ptr 1
		.amdhsa_user_sgpr_dispatch_id 0
		.amdhsa_user_sgpr_flat_scratch_init 0
		.amdhsa_user_sgpr_private_segment_size 0
		.amdhsa_wavefront_size32 1
		.amdhsa_uses_dynamic_stack 0
		.amdhsa_system_sgpr_private_segment_wavefront_offset 0
		.amdhsa_system_sgpr_workgroup_id_x 1
		.amdhsa_system_sgpr_workgroup_id_y 0
		.amdhsa_system_sgpr_workgroup_id_z 1
		.amdhsa_system_sgpr_workgroup_info 0
		.amdhsa_system_vgpr_workitem_id 0
		.amdhsa_next_free_vgpr 11
		.amdhsa_next_free_sgpr 26
		.amdhsa_reserve_vcc 1
		.amdhsa_reserve_flat_scratch 0
		.amdhsa_float_round_mode_32 0
		.amdhsa_float_round_mode_16_64 0
		.amdhsa_float_denorm_mode_32 3
		.amdhsa_float_denorm_mode_16_64 3
		.amdhsa_dx10_clamp 1
		.amdhsa_ieee_mode 1
		.amdhsa_fp16_overflow 0
		.amdhsa_workgroup_processor_mode 1
		.amdhsa_memory_ordered 1
		.amdhsa_forward_progress 1
		.amdhsa_shared_vgpr_count 0
		.amdhsa_exception_fp_ieee_invalid_op 0
		.amdhsa_exception_fp_denorm_src 0
		.amdhsa_exception_fp_ieee_div_zero 0
		.amdhsa_exception_fp_ieee_overflow 0
		.amdhsa_exception_fp_ieee_underflow 0
		.amdhsa_exception_fp_ieee_inexact 0
		.amdhsa_exception_int_div_zero 0
	.end_amdhsa_kernel
	.section	.text._ZL32rocblas_gemvt_warp_reduce_kernelILb1ELi1024EifPKffEviiT3_lPKT2_lT1_lS5_lS6_lS2_lPT4_lS6_li,"axG",@progbits,_ZL32rocblas_gemvt_warp_reduce_kernelILb1ELi1024EifPKffEviiT3_lPKT2_lT1_lS5_lS6_lS2_lPT4_lS6_li,comdat
.Lfunc_end46:
	.size	_ZL32rocblas_gemvt_warp_reduce_kernelILb1ELi1024EifPKffEviiT3_lPKT2_lT1_lS5_lS6_lS2_lPT4_lS6_li, .Lfunc_end46-_ZL32rocblas_gemvt_warp_reduce_kernelILb1ELi1024EifPKffEviiT3_lPKT2_lT1_lS5_lS6_lS2_lPT4_lS6_li
                                        ; -- End function
	.set _ZL32rocblas_gemvt_warp_reduce_kernelILb1ELi1024EifPKffEviiT3_lPKT2_lT1_lS5_lS6_lS2_lPT4_lS6_li.num_vgpr, 11
	.set _ZL32rocblas_gemvt_warp_reduce_kernelILb1ELi1024EifPKffEviiT3_lPKT2_lT1_lS5_lS6_lS2_lPT4_lS6_li.num_agpr, 0
	.set _ZL32rocblas_gemvt_warp_reduce_kernelILb1ELi1024EifPKffEviiT3_lPKT2_lT1_lS5_lS6_lS2_lPT4_lS6_li.numbered_sgpr, 26
	.set _ZL32rocblas_gemvt_warp_reduce_kernelILb1ELi1024EifPKffEviiT3_lPKT2_lT1_lS5_lS6_lS2_lPT4_lS6_li.num_named_barrier, 0
	.set _ZL32rocblas_gemvt_warp_reduce_kernelILb1ELi1024EifPKffEviiT3_lPKT2_lT1_lS5_lS6_lS2_lPT4_lS6_li.private_seg_size, 0
	.set _ZL32rocblas_gemvt_warp_reduce_kernelILb1ELi1024EifPKffEviiT3_lPKT2_lT1_lS5_lS6_lS2_lPT4_lS6_li.uses_vcc, 1
	.set _ZL32rocblas_gemvt_warp_reduce_kernelILb1ELi1024EifPKffEviiT3_lPKT2_lT1_lS5_lS6_lS2_lPT4_lS6_li.uses_flat_scratch, 0
	.set _ZL32rocblas_gemvt_warp_reduce_kernelILb1ELi1024EifPKffEviiT3_lPKT2_lT1_lS5_lS6_lS2_lPT4_lS6_li.has_dyn_sized_stack, 0
	.set _ZL32rocblas_gemvt_warp_reduce_kernelILb1ELi1024EifPKffEviiT3_lPKT2_lT1_lS5_lS6_lS2_lPT4_lS6_li.has_recursion, 0
	.set _ZL32rocblas_gemvt_warp_reduce_kernelILb1ELi1024EifPKffEviiT3_lPKT2_lT1_lS5_lS6_lS2_lPT4_lS6_li.has_indirect_call, 0
	.section	.AMDGPU.csdata,"",@progbits
; Kernel info:
; codeLenInByte = 1384
; TotalNumSgprs: 28
; NumVgprs: 11
; ScratchSize: 0
; MemoryBound: 0
; FloatMode: 240
; IeeeMode: 1
; LDSByteSize: 128 bytes/workgroup (compile time only)
; SGPRBlocks: 0
; VGPRBlocks: 1
; NumSGPRsForWavesPerEU: 28
; NumVGPRsForWavesPerEU: 11
; Occupancy: 16
; WaveLimiterHint : 1
; COMPUTE_PGM_RSRC2:SCRATCH_EN: 0
; COMPUTE_PGM_RSRC2:USER_SGPR: 6
; COMPUTE_PGM_RSRC2:TRAP_HANDLER: 0
; COMPUTE_PGM_RSRC2:TGID_X_EN: 1
; COMPUTE_PGM_RSRC2:TGID_Y_EN: 0
; COMPUTE_PGM_RSRC2:TGID_Z_EN: 1
; COMPUTE_PGM_RSRC2:TIDIG_COMP_CNT: 0
	.section	.text._ZL32rocblas_gemvt_warp_reduce_kernelILb1ELi1024ElfPKffEviiT3_lPKT2_lT1_lS5_lS6_lS2_lPT4_lS6_li,"axG",@progbits,_ZL32rocblas_gemvt_warp_reduce_kernelILb1ELi1024ElfPKffEviiT3_lPKT2_lT1_lS5_lS6_lS2_lPT4_lS6_li,comdat
	.globl	_ZL32rocblas_gemvt_warp_reduce_kernelILb1ELi1024ElfPKffEviiT3_lPKT2_lT1_lS5_lS6_lS2_lPT4_lS6_li ; -- Begin function _ZL32rocblas_gemvt_warp_reduce_kernelILb1ELi1024ElfPKffEviiT3_lPKT2_lT1_lS5_lS6_lS2_lPT4_lS6_li
	.p2align	8
	.type	_ZL32rocblas_gemvt_warp_reduce_kernelILb1ELi1024ElfPKffEviiT3_lPKT2_lT1_lS5_lS6_lS2_lPT4_lS6_li,@function
_ZL32rocblas_gemvt_warp_reduce_kernelILb1ELi1024ElfPKffEviiT3_lPKT2_lT1_lS5_lS6_lS2_lPT4_lS6_li: ; @_ZL32rocblas_gemvt_warp_reduce_kernelILb1ELi1024ElfPKffEviiT3_lPKT2_lT1_lS5_lS6_lS2_lPT4_lS6_li
; %bb.0:
	s_clause 0x1
	s_load_dwordx16 s[36:51], s[4:5], 0x8
	s_load_dwordx16 s[8:23], s[4:5], 0x48
	s_waitcnt lgkmcnt(0)
	s_mul_i32 s1, s39, s7
	s_mul_hi_u32 s2, s38, s7
	s_mul_i32 s0, s38, s7
	s_add_i32 s1, s2, s1
	s_mul_i32 s2, s15, s7
	s_lshl_b64 s[0:1], s[0:1], 2
	s_mul_hi_u32 s3, s14, s7
	s_add_u32 s0, s36, s0
	s_addc_u32 s1, s37, s1
	s_add_i32 s3, s3, s2
	s_mul_i32 s2, s14, s7
	s_mov_b32 s14, 0
	s_lshl_b64 s[2:3], s[2:3], 2
	s_add_u32 s2, s12, s2
	s_addc_u32 s3, s13, s3
	s_load_dword s15, s[0:1], 0x0
	s_load_dword s13, s[2:3], 0x0
	s_waitcnt lgkmcnt(0)
	v_cmp_eq_f32_e64 s0, s15, 0
	v_cmp_eq_f32_e64 s1, s13, 1.0
	s_and_b32 s0, s0, s1
	s_and_b32 vcc_lo, exec_lo, s0
	s_cbranch_vccnz .LBB47_30
; %bb.1:
	s_mul_i32 s1, s23, s7
	s_mul_hi_u32 s2, s22, s7
	s_mul_i32 s0, s22, s7
	s_add_i32 s1, s2, s1
	v_cmp_neq_f32_e64 s22, s15, 0
	s_lshl_b64 s[0:1], s[0:1], 2
	s_add_u32 s0, s16, s0
	s_addc_u32 s12, s17, s1
	s_lshl_b64 s[2:3], s[18:19], 2
	s_add_u32 s1, s0, s2
	v_cmp_eq_u32_e64 s0, 0, v0
	s_addc_u32 s12, s12, s3
	s_and_b32 vcc_lo, exec_lo, s22
	s_cbranch_vccnz .LBB47_5
; %bb.2:
	s_mov_b32 s16, 0
                                        ; implicit-def: $vgpr1
                                        ; implicit-def: $sgpr2_sgpr3
	s_and_saveexec_b32 s17, s0
	s_cbranch_execz .LBB47_6
; %bb.3:
	s_ashr_i32 s2, s6, 31
	v_cmp_eq_f32_e64 s0, s13, 0
	s_mul_hi_u32 s3, s20, s6
	s_mul_i32 s2, s20, s2
	s_mul_i32 s14, s21, s6
	s_add_i32 s2, s3, s2
	s_and_b32 vcc_lo, exec_lo, s0
	s_add_i32 s3, s2, s14
	s_mul_i32 s2, s20, s6
	s_cbranch_vccnz .LBB47_7
; %bb.4:
	s_lshl_b64 s[18:19], s[2:3], 2
	s_add_u32 s18, s1, s18
	s_addc_u32 s19, s12, s19
	s_load_dword s0, s[18:19], 0x0
	s_waitcnt lgkmcnt(0)
	v_mul_f32_e64 v1, s13, s0
	s_branch .LBB47_8
.LBB47_5:
                                        ; implicit-def: $vgpr1
                                        ; implicit-def: $sgpr2_sgpr3
	s_cbranch_execnz .LBB47_9
	s_branch .LBB47_28
.LBB47_6:
	s_or_b32 exec_lo, exec_lo, s17
	s_and_b32 vcc_lo, exec_lo, s16
	s_cbranch_vccnz .LBB47_9
	s_branch .LBB47_28
.LBB47_7:
	v_mov_b32_e32 v1, 0
.LBB47_8:
	s_mov_b32 s14, exec_lo
	s_or_b32 exec_lo, exec_lo, s17
	s_and_b32 vcc_lo, exec_lo, s16
	s_cbranch_vccz .LBB47_28
.LBB47_9:
	s_load_dword s5, s[4:5], 0x0
	s_mul_i32 s0, s11, s7
	s_mul_i32 s3, s47, s7
	s_mul_hi_u32 s11, s46, s7
	s_mul_i32 s2, s46, s7
	s_add_i32 s3, s11, s3
	s_mul_hi_u32 s4, s10, s7
	s_lshl_b64 s[16:17], s[2:3], 2
	s_add_i32 s3, s4, s0
	s_add_u32 s0, s40, s16
	s_addc_u32 s2, s41, s17
	s_lshl_b64 s[16:17], s[42:43], 2
	s_mul_hi_u32 s4, s44, s6
	s_add_u32 s0, s0, s16
	s_addc_u32 s2, s2, s17
	s_ashr_i32 s16, s6, 31
	s_mul_i32 s11, s45, s6
	s_mul_i32 s17, s44, s16
	;; [unrolled: 1-line block ×3, first 2 shown]
	s_add_i32 s4, s4, s17
	s_waitcnt lgkmcnt(0)
	v_cmp_gt_i32_e32 vcc_lo, s5, v0
	s_add_i32 s19, s4, s11
	s_ashr_i32 s4, s5, 31
	s_lshl_b64 s[18:19], s[18:19], 2
	s_lshr_b32 s4, s4, 22
	v_cndmask_b32_e32 v1, 0, v0, vcc_lo
	v_mov_b32_e32 v7, 0
	s_add_i32 s4, s5, s4
	s_mov_b32 s17, 0
	s_and_b32 s4, s4, 0xfffffc00
	v_lshlrev_b32_e32 v1, 2, v1
	v_add_co_u32 v1, s0, s0, v1
	v_add_co_ci_u32_e64 v2, null, s2, 0, s0
	s_mul_i32 s2, s10, s7
	v_add_co_u32 v1, vcc_lo, v1, s18
	v_add_co_ci_u32_e64 v2, null, s19, v2, vcc_lo
	s_mov_b32 s7, exec_lo
	v_cmpx_gt_i32_e64 s4, v0
	s_cbranch_execz .LBB47_13
; %bb.10:
	v_mad_u64_u32 v[5:6], null, s8, v0, 0
	s_lshl_b64 s[18:19], s[50:51], 2
	s_lshl_b64 s[10:11], s[2:3], 2
	s_add_u32 s0, s48, s18
	s_addc_u32 s18, s49, s19
	s_add_u32 s0, s0, s10
	s_addc_u32 s10, s18, s11
	v_mov_b32_e32 v3, v6
	v_mov_b32_e32 v7, 0
	;; [unrolled: 1-line block ×3, first 2 shown]
	v_mad_u64_u32 v[3:4], null, s9, v0, v[3:4]
	v_mov_b32_e32 v6, v3
	v_mov_b32_e32 v4, v2
	;; [unrolled: 1-line block ×3, first 2 shown]
	v_lshlrev_b64 v[5:6], 2, v[5:6]
	v_add_co_u32 v5, vcc_lo, s0, v5
	v_add_co_ci_u32_e64 v6, null, s10, v6, vcc_lo
	s_lshl_b64 s[10:11], s[8:9], 12
	.p2align	6
.LBB47_11:                              ; =>This Inner Loop Header: Depth=1
	global_load_dword v9, v[3:4], off
	global_load_dword v10, v[5:6], off
	v_add_nc_u32_e32 v8, 0x400, v8
	v_add_co_u32 v3, vcc_lo, 0x1000, v3
	v_add_co_ci_u32_e64 v4, null, 0, v4, vcc_lo
	v_add_co_u32 v5, vcc_lo, v5, s10
	v_cmp_le_i32_e64 s0, s4, v8
	v_add_co_ci_u32_e64 v6, null, s11, v6, vcc_lo
	s_or_b32 s17, s0, s17
	s_waitcnt vmcnt(0)
	v_fmac_f32_e32 v7, v9, v10
	s_andn2_b32 exec_lo, exec_lo, s17
	s_cbranch_execnz .LBB47_11
; %bb.12:
	s_or_b32 exec_lo, exec_lo, s17
.LBB47_13:
	s_or_b32 exec_lo, exec_lo, s7
	v_or_b32_e32 v3, s4, v0
	s_mov_b32 s0, exec_lo
	v_cmpx_gt_i32_e64 s5, v3
	s_cbranch_execz .LBB47_15
; %bb.14:
	v_ashrrev_i32_e32 v5, 31, v3
	v_mul_lo_u32 v6, s9, v3
	v_mad_u64_u32 v[3:4], null, s8, v3, 0
	s_lshl_b64 s[2:3], s[2:3], 2
	v_mul_lo_u32 v5, s8, v5
	s_add_u32 s5, s48, s2
	s_addc_u32 s7, s49, s3
	s_lshl_b64 s[2:3], s[50:51], 2
	s_add_u32 s8, s5, s2
	s_addc_u32 s7, s7, s3
	s_ashr_i32 s5, s4, 31
	v_add3_u32 v4, v4, v5, v6
	s_lshl_b64 s[2:3], s[4:5], 2
	v_add_co_u32 v1, vcc_lo, v1, s2
	v_lshlrev_b64 v[3:4], 2, v[3:4]
	v_add_co_ci_u32_e64 v2, null, s3, v2, vcc_lo
	v_add_co_u32 v3, vcc_lo, s8, v3
	v_add_co_ci_u32_e64 v4, null, s7, v4, vcc_lo
	global_load_dword v1, v[1:2], off
	global_load_dword v2, v[3:4], off
	s_waitcnt vmcnt(0)
	v_fmac_f32_e32 v7, v1, v2
.LBB47_15:
	s_or_b32 exec_lo, exec_lo, s0
	v_and_b32_e32 v8, 31, v0
	v_cmp_gt_u32_e32 vcc_lo, 32, v0
	v_lshlrev_b32_e32 v1, 2, v8
	s_and_saveexec_b32 s0, vcc_lo
; %bb.16:
	v_mov_b32_e32 v2, 0
	ds_write_b32 v1, v2
; %bb.17:
	s_or_b32 exec_lo, exec_lo, s0
	v_mbcnt_lo_u32_b32 v6, -1, 0
	s_mov_b32 s2, exec_lo
	s_waitcnt lgkmcnt(0)
	s_barrier
	buffer_gl0_inv
	v_lshl_or_b32 v2, v6, 2, 64
	v_cmp_gt_u32_e64 s0, 24, v6
	ds_bpermute_b32 v4, v2, v7
	v_cndmask_b32_e64 v3, 0, 8, s0
	v_cmp_gt_u32_e64 s0, 28, v6
	v_add_lshl_u32 v3, v3, v6, 2
	s_waitcnt lgkmcnt(0)
	v_add_f32_e32 v5, v7, v4
	v_cndmask_b32_e64 v4, 0, 4, s0
	v_cmp_gt_u32_e64 s0, 30, v6
	ds_bpermute_b32 v7, v3, v5
	v_add_lshl_u32 v4, v4, v6, 2
	s_waitcnt lgkmcnt(0)
	v_add_f32_e32 v7, v5, v7
	v_cndmask_b32_e64 v5, 0, 2, s0
	v_cmp_ne_u32_e64 s0, 31, v6
	ds_bpermute_b32 v9, v4, v7
	v_add_lshl_u32 v5, v5, v6, 2
	v_add_co_ci_u32_e64 v6, null, 0, v6, s0
	v_lshlrev_b32_e32 v6, 2, v6
	s_waitcnt lgkmcnt(0)
	v_add_f32_e32 v7, v7, v9
	ds_bpermute_b32 v9, v5, v7
	s_waitcnt lgkmcnt(0)
	v_add_f32_e32 v7, v7, v9
	ds_bpermute_b32 v9, v6, v7
	v_cmpx_eq_u32_e32 0, v8
	s_cbranch_execz .LBB47_19
; %bb.18:
	v_lshrrev_b32_e32 v8, 3, v0
	s_waitcnt lgkmcnt(0)
	v_add_f32_e32 v7, v7, v9
	v_and_b32_e32 v8, 0x7c, v8
	ds_write_b32 v8, v7
.LBB47_19:
	s_or_b32 exec_lo, exec_lo, s2
	v_mov_b32_e32 v7, 0
	s_waitcnt lgkmcnt(0)
	s_barrier
	buffer_gl0_inv
	s_and_saveexec_b32 s0, vcc_lo
; %bb.20:
	ds_read_b32 v7, v1
; %bb.21:
	s_or_b32 exec_lo, exec_lo, s0
	s_and_saveexec_b32 s0, vcc_lo
	s_cbranch_execz .LBB47_23
; %bb.22:
	s_waitcnt lgkmcnt(0)
	ds_bpermute_b32 v1, v2, v7
	s_waitcnt lgkmcnt(0)
	v_add_f32_e32 v1, v7, v1
	ds_bpermute_b32 v2, v3, v1
	s_waitcnt lgkmcnt(0)
	v_add_f32_e32 v1, v1, v2
	;; [unrolled: 3-line block ×5, first 2 shown]
.LBB47_23:
	s_or_b32 exec_lo, exec_lo, s0
	s_mov_b32 s0, exec_lo
                                        ; implicit-def: $vgpr1
                                        ; implicit-def: $sgpr2_sgpr3
	v_cmpx_eq_u32_e32 0, v0
	s_cbranch_execz .LBB47_27
; %bb.24:
	v_cmp_eq_f32_e64 s4, s13, 0
	s_mul_i32 s2, s20, s16
	s_mul_hi_u32 s3, s20, s6
	s_waitcnt lgkmcnt(0)
	v_mul_f32_e32 v1, s15, v7
	s_add_i32 s2, s3, s2
	s_mul_i32 s3, s21, s6
	s_and_b32 vcc_lo, exec_lo, s4
	s_add_i32 s3, s2, s3
	s_mul_i32 s2, s20, s6
	s_cbranch_vccnz .LBB47_26
; %bb.25:
	s_lshl_b64 s[4:5], s[2:3], 2
	s_add_u32 s4, s1, s4
	s_addc_u32 s5, s12, s5
	s_load_dword s4, s[4:5], 0x0
	s_waitcnt lgkmcnt(0)
	v_fmac_f32_e64 v1, s13, s4
.LBB47_26:
	s_or_b32 s14, s14, exec_lo
.LBB47_27:
	s_or_b32 exec_lo, exec_lo, s0
.LBB47_28:
	s_and_saveexec_b32 s0, s14
	s_cbranch_execz .LBB47_30
; %bb.29:
	s_lshl_b64 s[2:3], s[2:3], 2
	v_mov_b32_e32 v0, 0
	s_add_u32 s0, s1, s2
	s_addc_u32 s1, s12, s3
	global_store_dword v0, v1, s[0:1]
.LBB47_30:
	s_endpgm
	.section	.rodata,"a",@progbits
	.p2align	6, 0x0
	.amdhsa_kernel _ZL32rocblas_gemvt_warp_reduce_kernelILb1ELi1024ElfPKffEviiT3_lPKT2_lT1_lS5_lS6_lS2_lPT4_lS6_li
		.amdhsa_group_segment_fixed_size 128
		.amdhsa_private_segment_fixed_size 0
		.amdhsa_kernarg_size 140
		.amdhsa_user_sgpr_count 6
		.amdhsa_user_sgpr_private_segment_buffer 1
		.amdhsa_user_sgpr_dispatch_ptr 0
		.amdhsa_user_sgpr_queue_ptr 0
		.amdhsa_user_sgpr_kernarg_segment_ptr 1
		.amdhsa_user_sgpr_dispatch_id 0
		.amdhsa_user_sgpr_flat_scratch_init 0
		.amdhsa_user_sgpr_private_segment_size 0
		.amdhsa_wavefront_size32 1
		.amdhsa_uses_dynamic_stack 0
		.amdhsa_system_sgpr_private_segment_wavefront_offset 0
		.amdhsa_system_sgpr_workgroup_id_x 1
		.amdhsa_system_sgpr_workgroup_id_y 0
		.amdhsa_system_sgpr_workgroup_id_z 1
		.amdhsa_system_sgpr_workgroup_info 0
		.amdhsa_system_vgpr_workitem_id 0
		.amdhsa_next_free_vgpr 11
		.amdhsa_next_free_sgpr 52
		.amdhsa_reserve_vcc 1
		.amdhsa_reserve_flat_scratch 0
		.amdhsa_float_round_mode_32 0
		.amdhsa_float_round_mode_16_64 0
		.amdhsa_float_denorm_mode_32 3
		.amdhsa_float_denorm_mode_16_64 3
		.amdhsa_dx10_clamp 1
		.amdhsa_ieee_mode 1
		.amdhsa_fp16_overflow 0
		.amdhsa_workgroup_processor_mode 1
		.amdhsa_memory_ordered 1
		.amdhsa_forward_progress 1
		.amdhsa_shared_vgpr_count 0
		.amdhsa_exception_fp_ieee_invalid_op 0
		.amdhsa_exception_fp_denorm_src 0
		.amdhsa_exception_fp_ieee_div_zero 0
		.amdhsa_exception_fp_ieee_overflow 0
		.amdhsa_exception_fp_ieee_underflow 0
		.amdhsa_exception_fp_ieee_inexact 0
		.amdhsa_exception_int_div_zero 0
	.end_amdhsa_kernel
	.section	.text._ZL32rocblas_gemvt_warp_reduce_kernelILb1ELi1024ElfPKffEviiT3_lPKT2_lT1_lS5_lS6_lS2_lPT4_lS6_li,"axG",@progbits,_ZL32rocblas_gemvt_warp_reduce_kernelILb1ELi1024ElfPKffEviiT3_lPKT2_lT1_lS5_lS6_lS2_lPT4_lS6_li,comdat
.Lfunc_end47:
	.size	_ZL32rocblas_gemvt_warp_reduce_kernelILb1ELi1024ElfPKffEviiT3_lPKT2_lT1_lS5_lS6_lS2_lPT4_lS6_li, .Lfunc_end47-_ZL32rocblas_gemvt_warp_reduce_kernelILb1ELi1024ElfPKffEviiT3_lPKT2_lT1_lS5_lS6_lS2_lPT4_lS6_li
                                        ; -- End function
	.set _ZL32rocblas_gemvt_warp_reduce_kernelILb1ELi1024ElfPKffEviiT3_lPKT2_lT1_lS5_lS6_lS2_lPT4_lS6_li.num_vgpr, 11
	.set _ZL32rocblas_gemvt_warp_reduce_kernelILb1ELi1024ElfPKffEviiT3_lPKT2_lT1_lS5_lS6_lS2_lPT4_lS6_li.num_agpr, 0
	.set _ZL32rocblas_gemvt_warp_reduce_kernelILb1ELi1024ElfPKffEviiT3_lPKT2_lT1_lS5_lS6_lS2_lPT4_lS6_li.numbered_sgpr, 52
	.set _ZL32rocblas_gemvt_warp_reduce_kernelILb1ELi1024ElfPKffEviiT3_lPKT2_lT1_lS5_lS6_lS2_lPT4_lS6_li.num_named_barrier, 0
	.set _ZL32rocblas_gemvt_warp_reduce_kernelILb1ELi1024ElfPKffEviiT3_lPKT2_lT1_lS5_lS6_lS2_lPT4_lS6_li.private_seg_size, 0
	.set _ZL32rocblas_gemvt_warp_reduce_kernelILb1ELi1024ElfPKffEviiT3_lPKT2_lT1_lS5_lS6_lS2_lPT4_lS6_li.uses_vcc, 1
	.set _ZL32rocblas_gemvt_warp_reduce_kernelILb1ELi1024ElfPKffEviiT3_lPKT2_lT1_lS5_lS6_lS2_lPT4_lS6_li.uses_flat_scratch, 0
	.set _ZL32rocblas_gemvt_warp_reduce_kernelILb1ELi1024ElfPKffEviiT3_lPKT2_lT1_lS5_lS6_lS2_lPT4_lS6_li.has_dyn_sized_stack, 0
	.set _ZL32rocblas_gemvt_warp_reduce_kernelILb1ELi1024ElfPKffEviiT3_lPKT2_lT1_lS5_lS6_lS2_lPT4_lS6_li.has_recursion, 0
	.set _ZL32rocblas_gemvt_warp_reduce_kernelILb1ELi1024ElfPKffEviiT3_lPKT2_lT1_lS5_lS6_lS2_lPT4_lS6_li.has_indirect_call, 0
	.section	.AMDGPU.csdata,"",@progbits
; Kernel info:
; codeLenInByte = 1432
; TotalNumSgprs: 54
; NumVgprs: 11
; ScratchSize: 0
; MemoryBound: 0
; FloatMode: 240
; IeeeMode: 1
; LDSByteSize: 128 bytes/workgroup (compile time only)
; SGPRBlocks: 0
; VGPRBlocks: 1
; NumSGPRsForWavesPerEU: 54
; NumVGPRsForWavesPerEU: 11
; Occupancy: 16
; WaveLimiterHint : 0
; COMPUTE_PGM_RSRC2:SCRATCH_EN: 0
; COMPUTE_PGM_RSRC2:USER_SGPR: 6
; COMPUTE_PGM_RSRC2:TRAP_HANDLER: 0
; COMPUTE_PGM_RSRC2:TGID_X_EN: 1
; COMPUTE_PGM_RSRC2:TGID_Y_EN: 0
; COMPUTE_PGM_RSRC2:TGID_Z_EN: 1
; COMPUTE_PGM_RSRC2:TIDIG_COMP_CNT: 0
	.section	.text._ZL32rocblas_gemvt_warp_reduce_kernelILb1ELi1024EifffEviiT3_lPKT2_lT1_lS3_lS4_lS0_lPT4_lS4_li,"axG",@progbits,_ZL32rocblas_gemvt_warp_reduce_kernelILb1ELi1024EifffEviiT3_lPKT2_lT1_lS3_lS4_lS0_lPT4_lS4_li,comdat
	.globl	_ZL32rocblas_gemvt_warp_reduce_kernelILb1ELi1024EifffEviiT3_lPKT2_lT1_lS3_lS4_lS0_lPT4_lS4_li ; -- Begin function _ZL32rocblas_gemvt_warp_reduce_kernelILb1ELi1024EifffEviiT3_lPKT2_lT1_lS3_lS4_lS0_lPT4_lS4_li
	.p2align	8
	.type	_ZL32rocblas_gemvt_warp_reduce_kernelILb1ELi1024EifffEviiT3_lPKT2_lT1_lS3_lS4_lS0_lPT4_lS4_li,@function
_ZL32rocblas_gemvt_warp_reduce_kernelILb1ELi1024EifffEviiT3_lPKT2_lT1_lS3_lS4_lS0_lPT4_lS4_li: ; @_ZL32rocblas_gemvt_warp_reduce_kernelILb1ELi1024EifffEviiT3_lPKT2_lT1_lS3_lS4_lS0_lPT4_lS4_li
; %bb.0:
	s_clause 0x1
	s_load_dword s12, s[4:5], 0x8
	s_load_dword s10, s[4:5], 0x58
	s_mov_b32 s11, 0
	s_waitcnt lgkmcnt(0)
	v_cmp_eq_f32_e64 s0, s12, 0
	v_cmp_eq_f32_e64 s1, s10, 1.0
	s_and_b32 s0, s0, s1
	s_and_b32 vcc_lo, exec_lo, s0
	s_cbranch_vccnz .LBB48_30
; %bb.1:
	s_clause 0x2
	s_load_dwordx2 s[8:9], s[4:5], 0x80
	s_load_dwordx4 s[0:3], s[4:5], 0x68
	s_load_dword s13, s[4:5], 0x78
	s_waitcnt lgkmcnt(0)
	s_mul_i32 s9, s9, s7
	s_mul_hi_u32 s14, s8, s7
	s_mul_i32 s8, s8, s7
	s_add_i32 s9, s14, s9
	v_cmp_neq_f32_e64 s14, s12, 0
	s_lshl_b64 s[8:9], s[8:9], 2
	s_add_u32 s8, s0, s8
	s_addc_u32 s9, s1, s9
	s_lshl_b64 s[0:1], s[2:3], 2
	s_add_u32 s8, s8, s0
	v_cmp_eq_u32_e64 s0, 0, v0
	s_addc_u32 s9, s9, s1
	s_and_b32 vcc_lo, exec_lo, s14
	s_cbranch_vccnz .LBB48_5
; %bb.2:
	s_mov_b32 s1, 0
                                        ; implicit-def: $vgpr1
                                        ; implicit-def: $sgpr2_sgpr3
	s_and_saveexec_b32 s14, s0
	s_cbranch_execz .LBB48_6
; %bb.3:
	v_cmp_eq_f32_e64 s0, s10, 0
	s_mul_i32 s2, s13, s6
	s_ashr_i32 s3, s2, 31
	s_and_b32 vcc_lo, exec_lo, s0
	s_cbranch_vccnz .LBB48_7
; %bb.4:
	s_lshl_b64 s[16:17], s[2:3], 2
	s_add_u32 s16, s8, s16
	s_addc_u32 s17, s9, s17
	s_load_dword s0, s[16:17], 0x0
	s_waitcnt lgkmcnt(0)
	v_mul_f32_e64 v1, s10, s0
	s_branch .LBB48_8
.LBB48_5:
                                        ; implicit-def: $vgpr1
                                        ; implicit-def: $sgpr2_sgpr3
	s_cbranch_execnz .LBB48_9
	s_branch .LBB48_28
.LBB48_6:
	s_or_b32 exec_lo, exec_lo, s14
	s_and_b32 vcc_lo, exec_lo, s1
	s_cbranch_vccnz .LBB48_9
	s_branch .LBB48_28
.LBB48_7:
	v_mov_b32_e32 v1, 0
.LBB48_8:
	s_mov_b32 s11, exec_lo
	s_or_b32 exec_lo, exec_lo, s14
	s_and_b32 vcc_lo, exec_lo, s1
	s_cbranch_vccz .LBB48_28
.LBB48_9:
	s_clause 0x6
	s_load_dwordx2 s[20:21], s[4:5], 0x50
	s_load_dwordx4 s[16:19], s[4:5], 0x30
	s_load_dwordx2 s[22:23], s[4:5], 0x40
	s_load_dword s14, s[4:5], 0x0
	s_load_dwordx4 s[0:3], s[4:5], 0x18
	s_load_dword s15, s[4:5], 0x28
	s_load_dword s4, s[4:5], 0x48
	v_mov_b32_e32 v7, 0
	s_waitcnt lgkmcnt(0)
	s_mul_i32 s5, s21, s7
	s_mul_hi_u32 s21, s20, s7
	s_mul_i32 s20, s20, s7
	s_add_i32 s21, s21, s5
	v_cmp_gt_i32_e32 vcc_lo, s14, v0
	s_lshl_b64 s[20:21], s[20:21], 2
	s_mul_i32 s17, s17, s7
	s_add_u32 s5, s18, s20
	s_addc_u32 s20, s19, s21
	s_lshl_b64 s[18:19], s[22:23], 2
	s_mul_hi_u32 s24, s16, s7
	s_add_u32 s5, s5, s18
	v_cndmask_b32_e32 v1, 0, v0, vcc_lo
	s_mul_i32 s16, s16, s7
	s_addc_u32 s7, s20, s19
	s_add_i32 s17, s24, s17
	s_mul_i32 s18, s15, s6
	s_lshl_b64 s[16:17], s[16:17], 2
	v_lshlrev_b32_e32 v1, 2, v1
	s_add_u32 s15, s0, s16
	s_addc_u32 s16, s1, s17
	s_lshl_b64 s[0:1], s[2:3], 2
	s_mov_b32 s3, 0
	s_add_u32 s0, s15, s0
	s_addc_u32 s1, s16, s1
	v_add_co_u32 v1, s0, s0, v1
	s_ashr_i32 s19, s18, 31
	v_add_co_ci_u32_e64 v2, null, s1, 0, s0
	s_lshl_b64 s[0:1], s[18:19], 2
	s_ashr_i32 s2, s14, 31
	v_add_co_u32 v1, vcc_lo, v1, s0
	s_lshr_b32 s2, s2, 22
	v_add_co_ci_u32_e64 v2, null, s1, v2, vcc_lo
	s_add_i32 s2, s14, s2
	s_mov_b32 s1, exec_lo
	s_and_b32 s2, s2, 0xfffffc00
	v_cmpx_gt_i32_e64 s2, v0
	s_cbranch_execz .LBB48_13
; %bb.10:
	v_mul_lo_u32 v3, v0, s4
	v_mov_b32_e32 v6, v2
	v_mov_b32_e32 v7, 0
	;; [unrolled: 1-line block ×4, first 2 shown]
	s_lshl_b32 s15, s4, 10
	.p2align	6
.LBB48_11:                              ; =>This Inner Loop Header: Depth=1
	v_ashrrev_i32_e32 v4, 31, v3
	v_add_nc_u32_e32 v8, 0x400, v8
	v_lshlrev_b64 v[9:10], 2, v[3:4]
	v_cmp_le_i32_e64 s0, s2, v8
	v_add_nc_u32_e32 v3, s15, v3
	s_or_b32 s3, s0, s3
	v_add_co_u32 v9, vcc_lo, s5, v9
	v_add_co_ci_u32_e64 v10, null, s7, v10, vcc_lo
	global_load_dword v4, v[5:6], off
	global_load_dword v9, v[9:10], off
	v_add_co_u32 v5, vcc_lo, 0x1000, v5
	v_add_co_ci_u32_e64 v6, null, 0, v6, vcc_lo
	s_waitcnt vmcnt(0)
	v_fmac_f32_e32 v7, v4, v9
	s_andn2_b32 exec_lo, exec_lo, s3
	s_cbranch_execnz .LBB48_11
; %bb.12:
	s_or_b32 exec_lo, exec_lo, s3
.LBB48_13:
	s_or_b32 exec_lo, exec_lo, s1
	v_or_b32_e32 v3, s2, v0
	s_mov_b32 s0, exec_lo
	v_cmpx_gt_i32_e64 s14, v3
	s_cbranch_execz .LBB48_15
; %bb.14:
	v_mul_lo_u32 v3, s4, v3
	s_ashr_i32 s3, s2, 31
	s_lshl_b64 s[2:3], s[2:3], 2
	v_add_co_u32 v1, vcc_lo, v1, s2
	v_add_co_ci_u32_e64 v2, null, s3, v2, vcc_lo
	v_ashrrev_i32_e32 v4, 31, v3
	v_lshlrev_b64 v[3:4], 2, v[3:4]
	v_add_co_u32 v3, vcc_lo, s5, v3
	v_add_co_ci_u32_e64 v4, null, s7, v4, vcc_lo
	global_load_dword v1, v[1:2], off
	global_load_dword v2, v[3:4], off
	s_waitcnt vmcnt(0)
	v_fmac_f32_e32 v7, v1, v2
.LBB48_15:
	s_or_b32 exec_lo, exec_lo, s0
	v_and_b32_e32 v8, 31, v0
	v_cmp_gt_u32_e32 vcc_lo, 32, v0
	v_lshlrev_b32_e32 v1, 2, v8
	s_and_saveexec_b32 s0, vcc_lo
; %bb.16:
	v_mov_b32_e32 v2, 0
	ds_write_b32 v1, v2
; %bb.17:
	s_or_b32 exec_lo, exec_lo, s0
	v_mbcnt_lo_u32_b32 v6, -1, 0
	s_mov_b32 s1, exec_lo
	s_waitcnt lgkmcnt(0)
	s_barrier
	buffer_gl0_inv
	v_lshl_or_b32 v2, v6, 2, 64
	v_cmp_gt_u32_e64 s0, 24, v6
	ds_bpermute_b32 v4, v2, v7
	v_cndmask_b32_e64 v3, 0, 8, s0
	v_cmp_gt_u32_e64 s0, 28, v6
	v_add_lshl_u32 v3, v3, v6, 2
	s_waitcnt lgkmcnt(0)
	v_add_f32_e32 v5, v7, v4
	v_cndmask_b32_e64 v4, 0, 4, s0
	v_cmp_gt_u32_e64 s0, 30, v6
	ds_bpermute_b32 v7, v3, v5
	v_add_lshl_u32 v4, v4, v6, 2
	s_waitcnt lgkmcnt(0)
	v_add_f32_e32 v7, v5, v7
	v_cndmask_b32_e64 v5, 0, 2, s0
	v_cmp_ne_u32_e64 s0, 31, v6
	ds_bpermute_b32 v9, v4, v7
	v_add_lshl_u32 v5, v5, v6, 2
	v_add_co_ci_u32_e64 v6, null, 0, v6, s0
	v_lshlrev_b32_e32 v6, 2, v6
	s_waitcnt lgkmcnt(0)
	v_add_f32_e32 v7, v7, v9
	ds_bpermute_b32 v9, v5, v7
	s_waitcnt lgkmcnt(0)
	v_add_f32_e32 v7, v7, v9
	ds_bpermute_b32 v9, v6, v7
	v_cmpx_eq_u32_e32 0, v8
	s_cbranch_execz .LBB48_19
; %bb.18:
	v_lshrrev_b32_e32 v8, 3, v0
	s_waitcnt lgkmcnt(0)
	v_add_f32_e32 v7, v7, v9
	v_and_b32_e32 v8, 0x7c, v8
	ds_write_b32 v8, v7
.LBB48_19:
	s_or_b32 exec_lo, exec_lo, s1
	v_mov_b32_e32 v7, 0
	s_waitcnt lgkmcnt(0)
	s_barrier
	buffer_gl0_inv
	s_and_saveexec_b32 s0, vcc_lo
; %bb.20:
	ds_read_b32 v7, v1
; %bb.21:
	s_or_b32 exec_lo, exec_lo, s0
	s_and_saveexec_b32 s0, vcc_lo
	s_cbranch_execz .LBB48_23
; %bb.22:
	s_waitcnt lgkmcnt(0)
	ds_bpermute_b32 v1, v2, v7
	s_waitcnt lgkmcnt(0)
	v_add_f32_e32 v1, v7, v1
	ds_bpermute_b32 v2, v3, v1
	s_waitcnt lgkmcnt(0)
	v_add_f32_e32 v1, v1, v2
	;; [unrolled: 3-line block ×5, first 2 shown]
.LBB48_23:
	s_or_b32 exec_lo, exec_lo, s0
	s_mov_b32 s0, exec_lo
                                        ; implicit-def: $vgpr1
                                        ; implicit-def: $sgpr2_sgpr3
	v_cmpx_eq_u32_e32 0, v0
	s_cbranch_execz .LBB48_27
; %bb.24:
	v_cmp_eq_f32_e64 s1, s10, 0
	s_waitcnt lgkmcnt(0)
	v_mul_f32_e32 v1, s12, v7
	s_mul_i32 s2, s13, s6
	s_ashr_i32 s3, s2, 31
	s_and_b32 vcc_lo, exec_lo, s1
	s_cbranch_vccnz .LBB48_26
; %bb.25:
	s_lshl_b64 s[4:5], s[2:3], 2
	s_add_u32 s4, s8, s4
	s_addc_u32 s5, s9, s5
	s_load_dword s1, s[4:5], 0x0
	s_waitcnt lgkmcnt(0)
	v_fmac_f32_e64 v1, s10, s1
.LBB48_26:
	s_or_b32 s11, s11, exec_lo
.LBB48_27:
	s_or_b32 exec_lo, exec_lo, s0
.LBB48_28:
	s_and_saveexec_b32 s0, s11
	s_cbranch_execz .LBB48_30
; %bb.29:
	s_lshl_b64 s[0:1], s[2:3], 2
	v_mov_b32_e32 v0, 0
	s_add_u32 s0, s8, s0
	s_addc_u32 s1, s9, s1
	global_store_dword v0, v1, s[0:1]
.LBB48_30:
	s_endpgm
	.section	.rodata,"a",@progbits
	.p2align	6, 0x0
	.amdhsa_kernel _ZL32rocblas_gemvt_warp_reduce_kernelILb1ELi1024EifffEviiT3_lPKT2_lT1_lS3_lS4_lS0_lPT4_lS4_li
		.amdhsa_group_segment_fixed_size 128
		.amdhsa_private_segment_fixed_size 0
		.amdhsa_kernarg_size 140
		.amdhsa_user_sgpr_count 6
		.amdhsa_user_sgpr_private_segment_buffer 1
		.amdhsa_user_sgpr_dispatch_ptr 0
		.amdhsa_user_sgpr_queue_ptr 0
		.amdhsa_user_sgpr_kernarg_segment_ptr 1
		.amdhsa_user_sgpr_dispatch_id 0
		.amdhsa_user_sgpr_flat_scratch_init 0
		.amdhsa_user_sgpr_private_segment_size 0
		.amdhsa_wavefront_size32 1
		.amdhsa_uses_dynamic_stack 0
		.amdhsa_system_sgpr_private_segment_wavefront_offset 0
		.amdhsa_system_sgpr_workgroup_id_x 1
		.amdhsa_system_sgpr_workgroup_id_y 0
		.amdhsa_system_sgpr_workgroup_id_z 1
		.amdhsa_system_sgpr_workgroup_info 0
		.amdhsa_system_vgpr_workitem_id 0
		.amdhsa_next_free_vgpr 11
		.amdhsa_next_free_sgpr 25
		.amdhsa_reserve_vcc 1
		.amdhsa_reserve_flat_scratch 0
		.amdhsa_float_round_mode_32 0
		.amdhsa_float_round_mode_16_64 0
		.amdhsa_float_denorm_mode_32 3
		.amdhsa_float_denorm_mode_16_64 3
		.amdhsa_dx10_clamp 1
		.amdhsa_ieee_mode 1
		.amdhsa_fp16_overflow 0
		.amdhsa_workgroup_processor_mode 1
		.amdhsa_memory_ordered 1
		.amdhsa_forward_progress 1
		.amdhsa_shared_vgpr_count 0
		.amdhsa_exception_fp_ieee_invalid_op 0
		.amdhsa_exception_fp_denorm_src 0
		.amdhsa_exception_fp_ieee_div_zero 0
		.amdhsa_exception_fp_ieee_overflow 0
		.amdhsa_exception_fp_ieee_underflow 0
		.amdhsa_exception_fp_ieee_inexact 0
		.amdhsa_exception_int_div_zero 0
	.end_amdhsa_kernel
	.section	.text._ZL32rocblas_gemvt_warp_reduce_kernelILb1ELi1024EifffEviiT3_lPKT2_lT1_lS3_lS4_lS0_lPT4_lS4_li,"axG",@progbits,_ZL32rocblas_gemvt_warp_reduce_kernelILb1ELi1024EifffEviiT3_lPKT2_lT1_lS3_lS4_lS0_lPT4_lS4_li,comdat
.Lfunc_end48:
	.size	_ZL32rocblas_gemvt_warp_reduce_kernelILb1ELi1024EifffEviiT3_lPKT2_lT1_lS3_lS4_lS0_lPT4_lS4_li, .Lfunc_end48-_ZL32rocblas_gemvt_warp_reduce_kernelILb1ELi1024EifffEviiT3_lPKT2_lT1_lS3_lS4_lS0_lPT4_lS4_li
                                        ; -- End function
	.set _ZL32rocblas_gemvt_warp_reduce_kernelILb1ELi1024EifffEviiT3_lPKT2_lT1_lS3_lS4_lS0_lPT4_lS4_li.num_vgpr, 11
	.set _ZL32rocblas_gemvt_warp_reduce_kernelILb1ELi1024EifffEviiT3_lPKT2_lT1_lS3_lS4_lS0_lPT4_lS4_li.num_agpr, 0
	.set _ZL32rocblas_gemvt_warp_reduce_kernelILb1ELi1024EifffEviiT3_lPKT2_lT1_lS3_lS4_lS0_lPT4_lS4_li.numbered_sgpr, 25
	.set _ZL32rocblas_gemvt_warp_reduce_kernelILb1ELi1024EifffEviiT3_lPKT2_lT1_lS3_lS4_lS0_lPT4_lS4_li.num_named_barrier, 0
	.set _ZL32rocblas_gemvt_warp_reduce_kernelILb1ELi1024EifffEviiT3_lPKT2_lT1_lS3_lS4_lS0_lPT4_lS4_li.private_seg_size, 0
	.set _ZL32rocblas_gemvt_warp_reduce_kernelILb1ELi1024EifffEviiT3_lPKT2_lT1_lS3_lS4_lS0_lPT4_lS4_li.uses_vcc, 1
	.set _ZL32rocblas_gemvt_warp_reduce_kernelILb1ELi1024EifffEviiT3_lPKT2_lT1_lS3_lS4_lS0_lPT4_lS4_li.uses_flat_scratch, 0
	.set _ZL32rocblas_gemvt_warp_reduce_kernelILb1ELi1024EifffEviiT3_lPKT2_lT1_lS3_lS4_lS0_lPT4_lS4_li.has_dyn_sized_stack, 0
	.set _ZL32rocblas_gemvt_warp_reduce_kernelILb1ELi1024EifffEviiT3_lPKT2_lT1_lS3_lS4_lS0_lPT4_lS4_li.has_recursion, 0
	.set _ZL32rocblas_gemvt_warp_reduce_kernelILb1ELi1024EifffEviiT3_lPKT2_lT1_lS3_lS4_lS0_lPT4_lS4_li.has_indirect_call, 0
	.section	.AMDGPU.csdata,"",@progbits
; Kernel info:
; codeLenInByte = 1320
; TotalNumSgprs: 27
; NumVgprs: 11
; ScratchSize: 0
; MemoryBound: 0
; FloatMode: 240
; IeeeMode: 1
; LDSByteSize: 128 bytes/workgroup (compile time only)
; SGPRBlocks: 0
; VGPRBlocks: 1
; NumSGPRsForWavesPerEU: 27
; NumVGPRsForWavesPerEU: 11
; Occupancy: 16
; WaveLimiterHint : 1
; COMPUTE_PGM_RSRC2:SCRATCH_EN: 0
; COMPUTE_PGM_RSRC2:USER_SGPR: 6
; COMPUTE_PGM_RSRC2:TRAP_HANDLER: 0
; COMPUTE_PGM_RSRC2:TGID_X_EN: 1
; COMPUTE_PGM_RSRC2:TGID_Y_EN: 0
; COMPUTE_PGM_RSRC2:TGID_Z_EN: 1
; COMPUTE_PGM_RSRC2:TIDIG_COMP_CNT: 0
	.section	.text._ZL32rocblas_gemvt_warp_reduce_kernelILb1ELi1024ElfffEviiT3_lPKT2_lT1_lS3_lS4_lS0_lPT4_lS4_li,"axG",@progbits,_ZL32rocblas_gemvt_warp_reduce_kernelILb1ELi1024ElfffEviiT3_lPKT2_lT1_lS3_lS4_lS0_lPT4_lS4_li,comdat
	.globl	_ZL32rocblas_gemvt_warp_reduce_kernelILb1ELi1024ElfffEviiT3_lPKT2_lT1_lS3_lS4_lS0_lPT4_lS4_li ; -- Begin function _ZL32rocblas_gemvt_warp_reduce_kernelILb1ELi1024ElfffEviiT3_lPKT2_lT1_lS3_lS4_lS0_lPT4_lS4_li
	.p2align	8
	.type	_ZL32rocblas_gemvt_warp_reduce_kernelILb1ELi1024ElfffEviiT3_lPKT2_lT1_lS3_lS4_lS0_lPT4_lS4_li,@function
_ZL32rocblas_gemvt_warp_reduce_kernelILb1ELi1024ElfffEviiT3_lPKT2_lT1_lS3_lS4_lS0_lPT4_lS4_li: ; @_ZL32rocblas_gemvt_warp_reduce_kernelILb1ELi1024ElfffEviiT3_lPKT2_lT1_lS3_lS4_lS0_lPT4_lS4_li
; %bb.0:
	s_clause 0x1
	s_load_dword s30, s[4:5], 0x8
	s_load_dword s28, s[4:5], 0x58
	s_mov_b32 s29, 0
	s_waitcnt lgkmcnt(0)
	v_cmp_eq_f32_e64 s0, s30, 0
	v_cmp_eq_f32_e64 s1, s28, 1.0
	s_and_b32 s0, s0, s1
	s_and_b32 vcc_lo, exec_lo, s0
	s_cbranch_vccnz .LBB49_30
; %bb.1:
	s_load_dwordx8 s[20:27], s[4:5], 0x68
	v_cmp_neq_f32_e64 s8, s30, 0
	s_waitcnt lgkmcnt(0)
	s_mul_i32 s1, s27, s7
	s_mul_hi_u32 s2, s26, s7
	s_mul_i32 s0, s26, s7
	s_add_i32 s1, s2, s1
	s_lshl_b64 s[0:1], s[0:1], 2
	s_add_u32 s0, s20, s0
	s_addc_u32 s9, s21, s1
	s_lshl_b64 s[2:3], s[22:23], 2
	s_add_u32 s1, s0, s2
	v_cmp_eq_u32_e64 s0, 0, v0
	s_addc_u32 s26, s9, s3
	s_and_b32 vcc_lo, exec_lo, s8
	s_cbranch_vccnz .LBB49_5
; %bb.2:
	s_mov_b32 s8, 0
                                        ; implicit-def: $vgpr1
                                        ; implicit-def: $sgpr2_sgpr3
	s_and_saveexec_b32 s9, s0
	s_cbranch_execz .LBB49_6
; %bb.3:
	s_ashr_i32 s2, s6, 31
	v_cmp_eq_f32_e64 s0, s28, 0
	s_mul_hi_u32 s3, s24, s6
	s_mul_i32 s2, s24, s2
	s_mul_i32 s10, s25, s6
	s_add_i32 s2, s3, s2
	s_and_b32 vcc_lo, exec_lo, s0
	s_add_i32 s3, s2, s10
	s_mul_i32 s2, s24, s6
	s_cbranch_vccnz .LBB49_7
; %bb.4:
	s_lshl_b64 s[10:11], s[2:3], 2
	s_add_u32 s10, s1, s10
	s_addc_u32 s11, s26, s11
	s_load_dword s0, s[10:11], 0x0
	s_waitcnt lgkmcnt(0)
	v_mul_f32_e64 v1, s28, s0
	s_branch .LBB49_8
.LBB49_5:
                                        ; implicit-def: $vgpr1
                                        ; implicit-def: $sgpr2_sgpr3
	s_cbranch_execnz .LBB49_9
	s_branch .LBB49_28
.LBB49_6:
	s_or_b32 exec_lo, exec_lo, s9
	s_and_b32 vcc_lo, exec_lo, s8
	s_cbranch_vccnz .LBB49_9
	s_branch .LBB49_28
.LBB49_7:
	v_mov_b32_e32 v1, 0
.LBB49_8:
	s_mov_b32 s29, exec_lo
	s_or_b32 exec_lo, exec_lo, s9
	s_and_b32 vcc_lo, exec_lo, s8
	s_cbranch_vccz .LBB49_28
.LBB49_9:
	s_clause 0x1
	s_load_dwordx16 s[8:23], s[4:5], 0x18
	s_load_dword s5, s[4:5], 0x0
	v_mov_b32_e32 v7, 0
	s_waitcnt lgkmcnt(0)
	s_mul_i32 s3, s15, s7
	v_cmp_gt_i32_e32 vcc_lo, s5, v0
	s_mul_hi_u32 s15, s14, s7
	s_mul_i32 s2, s14, s7
	s_add_i32 s3, s15, s3
	s_mul_i32 s0, s23, s7
	v_cndmask_b32_e32 v1, 0, v0, vcc_lo
	s_mul_hi_u32 s4, s22, s7
	s_lshl_b64 s[34:35], s[2:3], 2
	s_add_i32 s3, s4, s0
	s_add_u32 s0, s8, s34
	v_lshlrev_b32_e32 v1, 2, v1
	s_addc_u32 s2, s9, s35
	s_lshl_b64 s[8:9], s[10:11], 2
	s_mul_hi_u32 s23, s12, s6
	s_add_u32 s0, s0, s8
	s_addc_u32 s2, s2, s9
	s_ashr_i32 s10, s6, 31
	v_add_co_u32 v1, s0, s0, v1
	v_add_co_ci_u32_e64 v2, null, s2, 0, s0
	s_mul_i32 s0, s12, s10
	s_mul_i32 s13, s13, s6
	s_add_i32 s0, s23, s0
	s_mul_i32 s14, s12, s6
	s_add_i32 s15, s0, s13
	s_ashr_i32 s4, s5, 31
	s_lshl_b64 s[8:9], s[14:15], 2
	s_lshr_b32 s2, s4, 22
	v_add_co_u32 v1, vcc_lo, v1, s8
	v_add_co_ci_u32_e64 v2, null, s9, v2, vcc_lo
	s_add_i32 s2, s5, s2
	s_mov_b32 s11, 0
	s_and_b32 s4, s2, 0xfffffc00
	s_mul_i32 s2, s22, s7
	s_mov_b32 s7, exec_lo
	v_cmpx_gt_i32_e64 s4, v0
	s_cbranch_execz .LBB49_13
; %bb.10:
	v_mad_u64_u32 v[5:6], null, s20, v0, 0
	s_lshl_b64 s[12:13], s[18:19], 2
	s_lshl_b64 s[8:9], s[2:3], 2
	s_add_u32 s0, s16, s12
	s_addc_u32 s12, s17, s13
	s_add_u32 s0, s0, s8
	s_addc_u32 s8, s12, s9
	v_mov_b32_e32 v3, v6
	v_mov_b32_e32 v7, 0
	;; [unrolled: 1-line block ×3, first 2 shown]
	v_mad_u64_u32 v[3:4], null, s21, v0, v[3:4]
	v_mov_b32_e32 v6, v3
	v_mov_b32_e32 v4, v2
	;; [unrolled: 1-line block ×3, first 2 shown]
	v_lshlrev_b64 v[5:6], 2, v[5:6]
	v_add_co_u32 v5, vcc_lo, s0, v5
	v_add_co_ci_u32_e64 v6, null, s8, v6, vcc_lo
	s_lshl_b64 s[8:9], s[20:21], 12
	.p2align	6
.LBB49_11:                              ; =>This Inner Loop Header: Depth=1
	global_load_dword v9, v[3:4], off
	global_load_dword v10, v[5:6], off
	v_add_nc_u32_e32 v8, 0x400, v8
	v_add_co_u32 v3, vcc_lo, 0x1000, v3
	v_add_co_ci_u32_e64 v4, null, 0, v4, vcc_lo
	v_add_co_u32 v5, vcc_lo, v5, s8
	v_cmp_le_i32_e64 s0, s4, v8
	v_add_co_ci_u32_e64 v6, null, s9, v6, vcc_lo
	s_or_b32 s11, s0, s11
	s_waitcnt vmcnt(0)
	v_fmac_f32_e32 v7, v9, v10
	s_andn2_b32 exec_lo, exec_lo, s11
	s_cbranch_execnz .LBB49_11
; %bb.12:
	s_or_b32 exec_lo, exec_lo, s11
.LBB49_13:
	s_or_b32 exec_lo, exec_lo, s7
	v_or_b32_e32 v3, s4, v0
	s_mov_b32 s0, exec_lo
	v_cmpx_gt_i32_e64 s5, v3
	s_cbranch_execz .LBB49_15
; %bb.14:
	v_ashrrev_i32_e32 v5, 31, v3
	v_mul_lo_u32 v6, s21, v3
	v_mad_u64_u32 v[3:4], null, s20, v3, 0
	s_lshl_b64 s[2:3], s[2:3], 2
	v_mul_lo_u32 v5, s20, v5
	s_add_u32 s5, s16, s2
	s_addc_u32 s7, s17, s3
	s_lshl_b64 s[2:3], s[18:19], 2
	s_add_u32 s8, s5, s2
	s_addc_u32 s7, s7, s3
	s_ashr_i32 s5, s4, 31
	v_add3_u32 v4, v4, v5, v6
	s_lshl_b64 s[2:3], s[4:5], 2
	v_add_co_u32 v1, vcc_lo, v1, s2
	v_lshlrev_b64 v[3:4], 2, v[3:4]
	v_add_co_ci_u32_e64 v2, null, s3, v2, vcc_lo
	v_add_co_u32 v3, vcc_lo, s8, v3
	v_add_co_ci_u32_e64 v4, null, s7, v4, vcc_lo
	global_load_dword v1, v[1:2], off
	global_load_dword v2, v[3:4], off
	s_waitcnt vmcnt(0)
	v_fmac_f32_e32 v7, v1, v2
.LBB49_15:
	s_or_b32 exec_lo, exec_lo, s0
	v_and_b32_e32 v8, 31, v0
	v_cmp_gt_u32_e32 vcc_lo, 32, v0
	v_lshlrev_b32_e32 v1, 2, v8
	s_and_saveexec_b32 s0, vcc_lo
; %bb.16:
	v_mov_b32_e32 v2, 0
	ds_write_b32 v1, v2
; %bb.17:
	s_or_b32 exec_lo, exec_lo, s0
	v_mbcnt_lo_u32_b32 v6, -1, 0
	s_mov_b32 s2, exec_lo
	s_waitcnt lgkmcnt(0)
	s_barrier
	buffer_gl0_inv
	v_lshl_or_b32 v2, v6, 2, 64
	v_cmp_gt_u32_e64 s0, 24, v6
	ds_bpermute_b32 v4, v2, v7
	v_cndmask_b32_e64 v3, 0, 8, s0
	v_cmp_gt_u32_e64 s0, 28, v6
	v_add_lshl_u32 v3, v3, v6, 2
	s_waitcnt lgkmcnt(0)
	v_add_f32_e32 v5, v7, v4
	v_cndmask_b32_e64 v4, 0, 4, s0
	v_cmp_gt_u32_e64 s0, 30, v6
	ds_bpermute_b32 v7, v3, v5
	v_add_lshl_u32 v4, v4, v6, 2
	s_waitcnt lgkmcnt(0)
	v_add_f32_e32 v7, v5, v7
	v_cndmask_b32_e64 v5, 0, 2, s0
	v_cmp_ne_u32_e64 s0, 31, v6
	ds_bpermute_b32 v9, v4, v7
	v_add_lshl_u32 v5, v5, v6, 2
	v_add_co_ci_u32_e64 v6, null, 0, v6, s0
	v_lshlrev_b32_e32 v6, 2, v6
	s_waitcnt lgkmcnt(0)
	v_add_f32_e32 v7, v7, v9
	ds_bpermute_b32 v9, v5, v7
	s_waitcnt lgkmcnt(0)
	v_add_f32_e32 v7, v7, v9
	ds_bpermute_b32 v9, v6, v7
	v_cmpx_eq_u32_e32 0, v8
	s_cbranch_execz .LBB49_19
; %bb.18:
	v_lshrrev_b32_e32 v8, 3, v0
	s_waitcnt lgkmcnt(0)
	v_add_f32_e32 v7, v7, v9
	v_and_b32_e32 v8, 0x7c, v8
	ds_write_b32 v8, v7
.LBB49_19:
	s_or_b32 exec_lo, exec_lo, s2
	v_mov_b32_e32 v7, 0
	s_waitcnt lgkmcnt(0)
	s_barrier
	buffer_gl0_inv
	s_and_saveexec_b32 s0, vcc_lo
; %bb.20:
	ds_read_b32 v7, v1
; %bb.21:
	s_or_b32 exec_lo, exec_lo, s0
	s_and_saveexec_b32 s0, vcc_lo
	s_cbranch_execz .LBB49_23
; %bb.22:
	s_waitcnt lgkmcnt(0)
	ds_bpermute_b32 v1, v2, v7
	s_waitcnt lgkmcnt(0)
	v_add_f32_e32 v1, v7, v1
	ds_bpermute_b32 v2, v3, v1
	s_waitcnt lgkmcnt(0)
	v_add_f32_e32 v1, v1, v2
	;; [unrolled: 3-line block ×5, first 2 shown]
.LBB49_23:
	s_or_b32 exec_lo, exec_lo, s0
	s_mov_b32 s0, exec_lo
                                        ; implicit-def: $vgpr1
                                        ; implicit-def: $sgpr2_sgpr3
	v_cmpx_eq_u32_e32 0, v0
	s_cbranch_execz .LBB49_27
; %bb.24:
	v_cmp_eq_f32_e64 s4, s28, 0
	s_mul_i32 s2, s24, s10
	s_mul_hi_u32 s3, s24, s6
	s_waitcnt lgkmcnt(0)
	v_mul_f32_e32 v1, s30, v7
	s_add_i32 s2, s3, s2
	s_mul_i32 s3, s25, s6
	s_and_b32 vcc_lo, exec_lo, s4
	s_add_i32 s3, s2, s3
	s_mul_i32 s2, s24, s6
	s_cbranch_vccnz .LBB49_26
; %bb.25:
	s_lshl_b64 s[4:5], s[2:3], 2
	s_add_u32 s4, s1, s4
	s_addc_u32 s5, s26, s5
	s_load_dword s4, s[4:5], 0x0
	s_waitcnt lgkmcnt(0)
	v_fmac_f32_e64 v1, s28, s4
.LBB49_26:
	s_or_b32 s29, s29, exec_lo
.LBB49_27:
	s_or_b32 exec_lo, exec_lo, s0
.LBB49_28:
	s_and_saveexec_b32 s0, s29
	s_cbranch_execz .LBB49_30
; %bb.29:
	s_lshl_b64 s[2:3], s[2:3], 2
	v_mov_b32_e32 v0, 0
	s_add_u32 s0, s1, s2
	s_addc_u32 s1, s26, s3
	global_store_dword v0, v1, s[0:1]
.LBB49_30:
	s_endpgm
	.section	.rodata,"a",@progbits
	.p2align	6, 0x0
	.amdhsa_kernel _ZL32rocblas_gemvt_warp_reduce_kernelILb1ELi1024ElfffEviiT3_lPKT2_lT1_lS3_lS4_lS0_lPT4_lS4_li
		.amdhsa_group_segment_fixed_size 128
		.amdhsa_private_segment_fixed_size 0
		.amdhsa_kernarg_size 140
		.amdhsa_user_sgpr_count 6
		.amdhsa_user_sgpr_private_segment_buffer 1
		.amdhsa_user_sgpr_dispatch_ptr 0
		.amdhsa_user_sgpr_queue_ptr 0
		.amdhsa_user_sgpr_kernarg_segment_ptr 1
		.amdhsa_user_sgpr_dispatch_id 0
		.amdhsa_user_sgpr_flat_scratch_init 0
		.amdhsa_user_sgpr_private_segment_size 0
		.amdhsa_wavefront_size32 1
		.amdhsa_uses_dynamic_stack 0
		.amdhsa_system_sgpr_private_segment_wavefront_offset 0
		.amdhsa_system_sgpr_workgroup_id_x 1
		.amdhsa_system_sgpr_workgroup_id_y 0
		.amdhsa_system_sgpr_workgroup_id_z 1
		.amdhsa_system_sgpr_workgroup_info 0
		.amdhsa_system_vgpr_workitem_id 0
		.amdhsa_next_free_vgpr 11
		.amdhsa_next_free_sgpr 36
		.amdhsa_reserve_vcc 1
		.amdhsa_reserve_flat_scratch 0
		.amdhsa_float_round_mode_32 0
		.amdhsa_float_round_mode_16_64 0
		.amdhsa_float_denorm_mode_32 3
		.amdhsa_float_denorm_mode_16_64 3
		.amdhsa_dx10_clamp 1
		.amdhsa_ieee_mode 1
		.amdhsa_fp16_overflow 0
		.amdhsa_workgroup_processor_mode 1
		.amdhsa_memory_ordered 1
		.amdhsa_forward_progress 1
		.amdhsa_shared_vgpr_count 0
		.amdhsa_exception_fp_ieee_invalid_op 0
		.amdhsa_exception_fp_denorm_src 0
		.amdhsa_exception_fp_ieee_div_zero 0
		.amdhsa_exception_fp_ieee_overflow 0
		.amdhsa_exception_fp_ieee_underflow 0
		.amdhsa_exception_fp_ieee_inexact 0
		.amdhsa_exception_int_div_zero 0
	.end_amdhsa_kernel
	.section	.text._ZL32rocblas_gemvt_warp_reduce_kernelILb1ELi1024ElfffEviiT3_lPKT2_lT1_lS3_lS4_lS0_lPT4_lS4_li,"axG",@progbits,_ZL32rocblas_gemvt_warp_reduce_kernelILb1ELi1024ElfffEviiT3_lPKT2_lT1_lS3_lS4_lS0_lPT4_lS4_li,comdat
.Lfunc_end49:
	.size	_ZL32rocblas_gemvt_warp_reduce_kernelILb1ELi1024ElfffEviiT3_lPKT2_lT1_lS3_lS4_lS0_lPT4_lS4_li, .Lfunc_end49-_ZL32rocblas_gemvt_warp_reduce_kernelILb1ELi1024ElfffEviiT3_lPKT2_lT1_lS3_lS4_lS0_lPT4_lS4_li
                                        ; -- End function
	.set _ZL32rocblas_gemvt_warp_reduce_kernelILb1ELi1024ElfffEviiT3_lPKT2_lT1_lS3_lS4_lS0_lPT4_lS4_li.num_vgpr, 11
	.set _ZL32rocblas_gemvt_warp_reduce_kernelILb1ELi1024ElfffEviiT3_lPKT2_lT1_lS3_lS4_lS0_lPT4_lS4_li.num_agpr, 0
	.set _ZL32rocblas_gemvt_warp_reduce_kernelILb1ELi1024ElfffEviiT3_lPKT2_lT1_lS3_lS4_lS0_lPT4_lS4_li.numbered_sgpr, 36
	.set _ZL32rocblas_gemvt_warp_reduce_kernelILb1ELi1024ElfffEviiT3_lPKT2_lT1_lS3_lS4_lS0_lPT4_lS4_li.num_named_barrier, 0
	.set _ZL32rocblas_gemvt_warp_reduce_kernelILb1ELi1024ElfffEviiT3_lPKT2_lT1_lS3_lS4_lS0_lPT4_lS4_li.private_seg_size, 0
	.set _ZL32rocblas_gemvt_warp_reduce_kernelILb1ELi1024ElfffEviiT3_lPKT2_lT1_lS3_lS4_lS0_lPT4_lS4_li.uses_vcc, 1
	.set _ZL32rocblas_gemvt_warp_reduce_kernelILb1ELi1024ElfffEviiT3_lPKT2_lT1_lS3_lS4_lS0_lPT4_lS4_li.uses_flat_scratch, 0
	.set _ZL32rocblas_gemvt_warp_reduce_kernelILb1ELi1024ElfffEviiT3_lPKT2_lT1_lS3_lS4_lS0_lPT4_lS4_li.has_dyn_sized_stack, 0
	.set _ZL32rocblas_gemvt_warp_reduce_kernelILb1ELi1024ElfffEviiT3_lPKT2_lT1_lS3_lS4_lS0_lPT4_lS4_li.has_recursion, 0
	.set _ZL32rocblas_gemvt_warp_reduce_kernelILb1ELi1024ElfffEviiT3_lPKT2_lT1_lS3_lS4_lS0_lPT4_lS4_li.has_indirect_call, 0
	.section	.AMDGPU.csdata,"",@progbits
; Kernel info:
; codeLenInByte = 1368
; TotalNumSgprs: 38
; NumVgprs: 11
; ScratchSize: 0
; MemoryBound: 0
; FloatMode: 240
; IeeeMode: 1
; LDSByteSize: 128 bytes/workgroup (compile time only)
; SGPRBlocks: 0
; VGPRBlocks: 1
; NumSGPRsForWavesPerEU: 38
; NumVGPRsForWavesPerEU: 11
; Occupancy: 16
; WaveLimiterHint : 1
; COMPUTE_PGM_RSRC2:SCRATCH_EN: 0
; COMPUTE_PGM_RSRC2:USER_SGPR: 6
; COMPUTE_PGM_RSRC2:TRAP_HANDLER: 0
; COMPUTE_PGM_RSRC2:TGID_X_EN: 1
; COMPUTE_PGM_RSRC2:TGID_Y_EN: 0
; COMPUTE_PGM_RSRC2:TGID_Z_EN: 1
; COMPUTE_PGM_RSRC2:TIDIG_COMP_CNT: 0
	.section	.text._ZL34rocblas_gemvn_sm_mn_batched_kernelILi32ELi24EdPKddEviiT2_lPKT1_lilS5_lilS2_lPT3_lili,"axG",@progbits,_ZL34rocblas_gemvn_sm_mn_batched_kernelILi32ELi24EdPKddEviiT2_lPKT1_lilS5_lilS2_lPT3_lili,comdat
	.globl	_ZL34rocblas_gemvn_sm_mn_batched_kernelILi32ELi24EdPKddEviiT2_lPKT1_lilS5_lilS2_lPT3_lili ; -- Begin function _ZL34rocblas_gemvn_sm_mn_batched_kernelILi32ELi24EdPKddEviiT2_lPKT1_lilS5_lilS2_lPT3_lili
	.p2align	8
	.type	_ZL34rocblas_gemvn_sm_mn_batched_kernelILi32ELi24EdPKddEviiT2_lPKT1_lilS5_lilS2_lPT3_lili,@function
_ZL34rocblas_gemvn_sm_mn_batched_kernelILi32ELi24EdPKddEviiT2_lPKT1_lilS5_lilS2_lPT3_lili: ; @_ZL34rocblas_gemvn_sm_mn_batched_kernelILi32ELi24EdPKddEviiT2_lPKT1_lilS5_lilS2_lPT3_lili
; %bb.0:
	s_endpgm
	.section	.rodata,"a",@progbits
	.p2align	6, 0x0
	.amdhsa_kernel _ZL34rocblas_gemvn_sm_mn_batched_kernelILi32ELi24EdPKddEviiT2_lPKT1_lilS5_lilS2_lPT3_lili
		.amdhsa_group_segment_fixed_size 0
		.amdhsa_private_segment_fixed_size 0
		.amdhsa_kernarg_size 140
		.amdhsa_user_sgpr_count 6
		.amdhsa_user_sgpr_private_segment_buffer 1
		.amdhsa_user_sgpr_dispatch_ptr 0
		.amdhsa_user_sgpr_queue_ptr 0
		.amdhsa_user_sgpr_kernarg_segment_ptr 1
		.amdhsa_user_sgpr_dispatch_id 0
		.amdhsa_user_sgpr_flat_scratch_init 0
		.amdhsa_user_sgpr_private_segment_size 0
		.amdhsa_wavefront_size32 1
		.amdhsa_uses_dynamic_stack 0
		.amdhsa_system_sgpr_private_segment_wavefront_offset 0
		.amdhsa_system_sgpr_workgroup_id_x 1
		.amdhsa_system_sgpr_workgroup_id_y 0
		.amdhsa_system_sgpr_workgroup_id_z 0
		.amdhsa_system_sgpr_workgroup_info 0
		.amdhsa_system_vgpr_workitem_id 0
		.amdhsa_next_free_vgpr 1
		.amdhsa_next_free_sgpr 1
		.amdhsa_reserve_vcc 0
		.amdhsa_reserve_flat_scratch 0
		.amdhsa_float_round_mode_32 0
		.amdhsa_float_round_mode_16_64 0
		.amdhsa_float_denorm_mode_32 3
		.amdhsa_float_denorm_mode_16_64 3
		.amdhsa_dx10_clamp 1
		.amdhsa_ieee_mode 1
		.amdhsa_fp16_overflow 0
		.amdhsa_workgroup_processor_mode 1
		.amdhsa_memory_ordered 1
		.amdhsa_forward_progress 1
		.amdhsa_shared_vgpr_count 0
		.amdhsa_exception_fp_ieee_invalid_op 0
		.amdhsa_exception_fp_denorm_src 0
		.amdhsa_exception_fp_ieee_div_zero 0
		.amdhsa_exception_fp_ieee_overflow 0
		.amdhsa_exception_fp_ieee_underflow 0
		.amdhsa_exception_fp_ieee_inexact 0
		.amdhsa_exception_int_div_zero 0
	.end_amdhsa_kernel
	.section	.text._ZL34rocblas_gemvn_sm_mn_batched_kernelILi32ELi24EdPKddEviiT2_lPKT1_lilS5_lilS2_lPT3_lili,"axG",@progbits,_ZL34rocblas_gemvn_sm_mn_batched_kernelILi32ELi24EdPKddEviiT2_lPKT1_lilS5_lilS2_lPT3_lili,comdat
.Lfunc_end50:
	.size	_ZL34rocblas_gemvn_sm_mn_batched_kernelILi32ELi24EdPKddEviiT2_lPKT1_lilS5_lilS2_lPT3_lili, .Lfunc_end50-_ZL34rocblas_gemvn_sm_mn_batched_kernelILi32ELi24EdPKddEviiT2_lPKT1_lilS5_lilS2_lPT3_lili
                                        ; -- End function
	.set _ZL34rocblas_gemvn_sm_mn_batched_kernelILi32ELi24EdPKddEviiT2_lPKT1_lilS5_lilS2_lPT3_lili.num_vgpr, 0
	.set _ZL34rocblas_gemvn_sm_mn_batched_kernelILi32ELi24EdPKddEviiT2_lPKT1_lilS5_lilS2_lPT3_lili.num_agpr, 0
	.set _ZL34rocblas_gemvn_sm_mn_batched_kernelILi32ELi24EdPKddEviiT2_lPKT1_lilS5_lilS2_lPT3_lili.numbered_sgpr, 0
	.set _ZL34rocblas_gemvn_sm_mn_batched_kernelILi32ELi24EdPKddEviiT2_lPKT1_lilS5_lilS2_lPT3_lili.num_named_barrier, 0
	.set _ZL34rocblas_gemvn_sm_mn_batched_kernelILi32ELi24EdPKddEviiT2_lPKT1_lilS5_lilS2_lPT3_lili.private_seg_size, 0
	.set _ZL34rocblas_gemvn_sm_mn_batched_kernelILi32ELi24EdPKddEviiT2_lPKT1_lilS5_lilS2_lPT3_lili.uses_vcc, 0
	.set _ZL34rocblas_gemvn_sm_mn_batched_kernelILi32ELi24EdPKddEviiT2_lPKT1_lilS5_lilS2_lPT3_lili.uses_flat_scratch, 0
	.set _ZL34rocblas_gemvn_sm_mn_batched_kernelILi32ELi24EdPKddEviiT2_lPKT1_lilS5_lilS2_lPT3_lili.has_dyn_sized_stack, 0
	.set _ZL34rocblas_gemvn_sm_mn_batched_kernelILi32ELi24EdPKddEviiT2_lPKT1_lilS5_lilS2_lPT3_lili.has_recursion, 0
	.set _ZL34rocblas_gemvn_sm_mn_batched_kernelILi32ELi24EdPKddEviiT2_lPKT1_lilS5_lilS2_lPT3_lili.has_indirect_call, 0
	.section	.AMDGPU.csdata,"",@progbits
; Kernel info:
; codeLenInByte = 4
; TotalNumSgprs: 0
; NumVgprs: 0
; ScratchSize: 0
; MemoryBound: 0
; FloatMode: 240
; IeeeMode: 1
; LDSByteSize: 0 bytes/workgroup (compile time only)
; SGPRBlocks: 0
; VGPRBlocks: 0
; NumSGPRsForWavesPerEU: 1
; NumVGPRsForWavesPerEU: 1
; Occupancy: 16
; WaveLimiterHint : 0
; COMPUTE_PGM_RSRC2:SCRATCH_EN: 0
; COMPUTE_PGM_RSRC2:USER_SGPR: 6
; COMPUTE_PGM_RSRC2:TRAP_HANDLER: 0
; COMPUTE_PGM_RSRC2:TGID_X_EN: 1
; COMPUTE_PGM_RSRC2:TGID_Y_EN: 0
; COMPUTE_PGM_RSRC2:TGID_Z_EN: 0
; COMPUTE_PGM_RSRC2:TIDIG_COMP_CNT: 0
	.section	.text._ZL34rocblas_gemvn_sm_mn_batched_kernelILi32ELi24EdddEviiT2_lPKT1_lilS3_lilS0_lPT3_lili,"axG",@progbits,_ZL34rocblas_gemvn_sm_mn_batched_kernelILi32ELi24EdddEviiT2_lPKT1_lilS3_lilS0_lPT3_lili,comdat
	.globl	_ZL34rocblas_gemvn_sm_mn_batched_kernelILi32ELi24EdddEviiT2_lPKT1_lilS3_lilS0_lPT3_lili ; -- Begin function _ZL34rocblas_gemvn_sm_mn_batched_kernelILi32ELi24EdddEviiT2_lPKT1_lilS3_lilS0_lPT3_lili
	.p2align	8
	.type	_ZL34rocblas_gemvn_sm_mn_batched_kernelILi32ELi24EdddEviiT2_lPKT1_lilS3_lilS0_lPT3_lili,@function
_ZL34rocblas_gemvn_sm_mn_batched_kernelILi32ELi24EdddEviiT2_lPKT1_lilS3_lilS0_lPT3_lili: ; @_ZL34rocblas_gemvn_sm_mn_batched_kernelILi32ELi24EdddEviiT2_lPKT1_lilS3_lilS0_lPT3_lili
; %bb.0:
	s_endpgm
	.section	.rodata,"a",@progbits
	.p2align	6, 0x0
	.amdhsa_kernel _ZL34rocblas_gemvn_sm_mn_batched_kernelILi32ELi24EdddEviiT2_lPKT1_lilS3_lilS0_lPT3_lili
		.amdhsa_group_segment_fixed_size 0
		.amdhsa_private_segment_fixed_size 0
		.amdhsa_kernarg_size 140
		.amdhsa_user_sgpr_count 6
		.amdhsa_user_sgpr_private_segment_buffer 1
		.amdhsa_user_sgpr_dispatch_ptr 0
		.amdhsa_user_sgpr_queue_ptr 0
		.amdhsa_user_sgpr_kernarg_segment_ptr 1
		.amdhsa_user_sgpr_dispatch_id 0
		.amdhsa_user_sgpr_flat_scratch_init 0
		.amdhsa_user_sgpr_private_segment_size 0
		.amdhsa_wavefront_size32 1
		.amdhsa_uses_dynamic_stack 0
		.amdhsa_system_sgpr_private_segment_wavefront_offset 0
		.amdhsa_system_sgpr_workgroup_id_x 1
		.amdhsa_system_sgpr_workgroup_id_y 0
		.amdhsa_system_sgpr_workgroup_id_z 0
		.amdhsa_system_sgpr_workgroup_info 0
		.amdhsa_system_vgpr_workitem_id 0
		.amdhsa_next_free_vgpr 1
		.amdhsa_next_free_sgpr 1
		.amdhsa_reserve_vcc 0
		.amdhsa_reserve_flat_scratch 0
		.amdhsa_float_round_mode_32 0
		.amdhsa_float_round_mode_16_64 0
		.amdhsa_float_denorm_mode_32 3
		.amdhsa_float_denorm_mode_16_64 3
		.amdhsa_dx10_clamp 1
		.amdhsa_ieee_mode 1
		.amdhsa_fp16_overflow 0
		.amdhsa_workgroup_processor_mode 1
		.amdhsa_memory_ordered 1
		.amdhsa_forward_progress 1
		.amdhsa_shared_vgpr_count 0
		.amdhsa_exception_fp_ieee_invalid_op 0
		.amdhsa_exception_fp_denorm_src 0
		.amdhsa_exception_fp_ieee_div_zero 0
		.amdhsa_exception_fp_ieee_overflow 0
		.amdhsa_exception_fp_ieee_underflow 0
		.amdhsa_exception_fp_ieee_inexact 0
		.amdhsa_exception_int_div_zero 0
	.end_amdhsa_kernel
	.section	.text._ZL34rocblas_gemvn_sm_mn_batched_kernelILi32ELi24EdddEviiT2_lPKT1_lilS3_lilS0_lPT3_lili,"axG",@progbits,_ZL34rocblas_gemvn_sm_mn_batched_kernelILi32ELi24EdddEviiT2_lPKT1_lilS3_lilS0_lPT3_lili,comdat
.Lfunc_end51:
	.size	_ZL34rocblas_gemvn_sm_mn_batched_kernelILi32ELi24EdddEviiT2_lPKT1_lilS3_lilS0_lPT3_lili, .Lfunc_end51-_ZL34rocblas_gemvn_sm_mn_batched_kernelILi32ELi24EdddEviiT2_lPKT1_lilS3_lilS0_lPT3_lili
                                        ; -- End function
	.set _ZL34rocblas_gemvn_sm_mn_batched_kernelILi32ELi24EdddEviiT2_lPKT1_lilS3_lilS0_lPT3_lili.num_vgpr, 0
	.set _ZL34rocblas_gemvn_sm_mn_batched_kernelILi32ELi24EdddEviiT2_lPKT1_lilS3_lilS0_lPT3_lili.num_agpr, 0
	.set _ZL34rocblas_gemvn_sm_mn_batched_kernelILi32ELi24EdddEviiT2_lPKT1_lilS3_lilS0_lPT3_lili.numbered_sgpr, 0
	.set _ZL34rocblas_gemvn_sm_mn_batched_kernelILi32ELi24EdddEviiT2_lPKT1_lilS3_lilS0_lPT3_lili.num_named_barrier, 0
	.set _ZL34rocblas_gemvn_sm_mn_batched_kernelILi32ELi24EdddEviiT2_lPKT1_lilS3_lilS0_lPT3_lili.private_seg_size, 0
	.set _ZL34rocblas_gemvn_sm_mn_batched_kernelILi32ELi24EdddEviiT2_lPKT1_lilS3_lilS0_lPT3_lili.uses_vcc, 0
	.set _ZL34rocblas_gemvn_sm_mn_batched_kernelILi32ELi24EdddEviiT2_lPKT1_lilS3_lilS0_lPT3_lili.uses_flat_scratch, 0
	.set _ZL34rocblas_gemvn_sm_mn_batched_kernelILi32ELi24EdddEviiT2_lPKT1_lilS3_lilS0_lPT3_lili.has_dyn_sized_stack, 0
	.set _ZL34rocblas_gemvn_sm_mn_batched_kernelILi32ELi24EdddEviiT2_lPKT1_lilS3_lilS0_lPT3_lili.has_recursion, 0
	.set _ZL34rocblas_gemvn_sm_mn_batched_kernelILi32ELi24EdddEviiT2_lPKT1_lilS3_lilS0_lPT3_lili.has_indirect_call, 0
	.section	.AMDGPU.csdata,"",@progbits
; Kernel info:
; codeLenInByte = 4
; TotalNumSgprs: 0
; NumVgprs: 0
; ScratchSize: 0
; MemoryBound: 0
; FloatMode: 240
; IeeeMode: 1
; LDSByteSize: 0 bytes/workgroup (compile time only)
; SGPRBlocks: 0
; VGPRBlocks: 0
; NumSGPRsForWavesPerEU: 1
; NumVGPRsForWavesPerEU: 1
; Occupancy: 16
; WaveLimiterHint : 0
; COMPUTE_PGM_RSRC2:SCRATCH_EN: 0
; COMPUTE_PGM_RSRC2:USER_SGPR: 6
; COMPUTE_PGM_RSRC2:TRAP_HANDLER: 0
; COMPUTE_PGM_RSRC2:TGID_X_EN: 1
; COMPUTE_PGM_RSRC2:TGID_Y_EN: 0
; COMPUTE_PGM_RSRC2:TGID_Z_EN: 0
; COMPUTE_PGM_RSRC2:TIDIG_COMP_CNT: 0
	.section	.text._ZL20rocblas_gemvn_kernelILi64ELi4EidPKddEviiT3_lPKT2_lT1_lS5_lS6_lS2_lPT4_lS6_li,"axG",@progbits,_ZL20rocblas_gemvn_kernelILi64ELi4EidPKddEviiT3_lPKT2_lT1_lS5_lS6_lS2_lPT4_lS6_li,comdat
	.globl	_ZL20rocblas_gemvn_kernelILi64ELi4EidPKddEviiT3_lPKT2_lT1_lS5_lS6_lS2_lPT4_lS6_li ; -- Begin function _ZL20rocblas_gemvn_kernelILi64ELi4EidPKddEviiT3_lPKT2_lT1_lS5_lS6_lS2_lPT4_lS6_li
	.p2align	8
	.type	_ZL20rocblas_gemvn_kernelILi64ELi4EidPKddEviiT3_lPKT2_lT1_lS5_lS6_lS2_lPT4_lS6_li,@function
_ZL20rocblas_gemvn_kernelILi64ELi4EidPKddEviiT3_lPKT2_lT1_lS5_lS6_lS2_lPT4_lS6_li: ; @_ZL20rocblas_gemvn_kernelILi64ELi4EidPKddEviiT3_lPKT2_lT1_lS5_lS6_lS2_lPT4_lS6_li
; %bb.0:
	s_load_dwordx2 s[0:1], s[4:5], 0x9c
	s_waitcnt lgkmcnt(0)
	s_lshr_b32 s2, s0, 16
	s_and_b32 s0, s0, 0xffff
	s_and_b32 s1, s1, 0xffff
	s_mul_i32 s0, s2, s0
	s_mul_i32 s0, s0, s1
	s_cmpk_lg_i32 s0, 0x100
	s_cbranch_scc1 .LBB52_50
; %bb.1:
	s_clause 0x1
	s_load_dwordx8 s[16:23], s[4:5], 0x8
	s_load_dwordx8 s[8:15], s[4:5], 0x50
	s_waitcnt lgkmcnt(0)
	s_mul_i32 s1, s19, s7
	s_mul_hi_u32 s2, s18, s7
	s_mul_i32 s0, s18, s7
	s_add_i32 s1, s2, s1
	s_mul_i32 s2, s13, s7
	s_lshl_b64 s[0:1], s[0:1], 3
	s_mul_hi_u32 s3, s12, s7
	s_add_u32 s0, s16, s0
	s_addc_u32 s1, s17, s1
	s_add_i32 s3, s3, s2
	s_mul_i32 s2, s12, s7
	s_lshl_b64 s[2:3], s[2:3], 3
	s_add_u32 s2, s10, s2
	s_addc_u32 s3, s11, s3
	s_load_dwordx2 s[12:13], s[0:1], 0x0
	s_load_dwordx2 s[10:11], s[2:3], 0x0
	s_waitcnt lgkmcnt(0)
	v_cmp_eq_f64_e64 s0, s[12:13], 0
	v_cmp_eq_f64_e64 s1, s[10:11], 1.0
	s_and_b32 s0, s0, s1
	s_and_b32 vcc_lo, exec_lo, s0
	s_cbranch_vccnz .LBB52_50
; %bb.2:
	s_clause 0x1
	s_load_dwordx2 s[0:1], s[4:5], 0x80
	s_load_dwordx2 s[2:3], s[4:5], 0x70
	v_cmp_neq_f64_e64 s19, s[12:13], 0
	s_clause 0x1
	s_load_dword s18, s[4:5], 0x78
	s_load_dwordx2 s[16:17], s[4:5], 0x0
	v_lshlrev_b32_e32 v54, 6, v1
	v_add_nc_u32_e32 v53, v54, v0
	s_waitcnt lgkmcnt(0)
	s_mul_i32 s1, s1, s7
	s_mul_hi_u32 s24, s0, s7
	s_mul_i32 s0, s0, s7
	s_add_i32 s1, s24, s1
	s_lshl_b64 s[0:1], s[0:1], 3
	s_add_u32 s14, s14, s0
	s_addc_u32 s15, s15, s1
	s_lshl_b64 s[0:1], s[2:3], 3
	s_add_u32 s14, s14, s0
	v_cmp_gt_u32_e64 s0, 0x100, v53
	s_addc_u32 s15, s15, s1
	s_and_b32 vcc_lo, exec_lo, s19
	s_mov_b32 s19, 0
	s_cbranch_vccnz .LBB52_9
; %bb.3:
	s_mov_b32 s1, 0
                                        ; implicit-def: $vgpr4_vgpr5
                                        ; implicit-def: $vgpr2_vgpr3
	s_and_saveexec_b32 s2, s0
	s_cbranch_execz .LBB52_10
; %bb.4:
	v_lshl_or_b32 v6, s6, 8, v53
	v_mov_b32_e32 v7, 0
	s_ashr_i32 s25, s16, 31
	s_mov_b32 s24, s16
	s_mov_b32 s3, 0
	s_mov_b32 s0, exec_lo
                                        ; implicit-def: $vgpr4_vgpr5
                                        ; implicit-def: $vgpr2_vgpr3
	v_cmpx_gt_i64_e64 s[24:25], v[6:7]
	s_cbranch_execz .LBB52_8
; %bb.5:
	v_cmp_eq_f64_e64 s3, s[10:11], 0
	v_mad_u64_u32 v[2:3], null, s18, v6, 0
	s_ashr_i32 s19, s18, 31
	v_mad_u64_u32 v[3:4], null, s19, v6, v[3:4]
	v_mov_b32_e32 v4, 0
	v_mov_b32_e32 v5, 0
	s_and_b32 vcc_lo, exec_lo, s3
	s_cbranch_vccnz .LBB52_7
; %bb.6:
	v_lshlrev_b64 v[4:5], 3, v[2:3]
	v_add_co_u32 v4, vcc_lo, s14, v4
	v_add_co_ci_u32_e64 v5, null, s15, v5, vcc_lo
	global_load_dwordx2 v[4:5], v[4:5], off
	s_waitcnt vmcnt(0)
	v_mul_f64 v[4:5], s[10:11], v[4:5]
.LBB52_7:
	s_mov_b32 s3, exec_lo
.LBB52_8:
	s_or_b32 exec_lo, exec_lo, s0
	s_and_b32 s19, s3, exec_lo
	s_or_b32 exec_lo, exec_lo, s2
	s_and_b32 vcc_lo, exec_lo, s1
	s_cbranch_vccnz .LBB52_11
	s_branch .LBB52_48
.LBB52_9:
                                        ; implicit-def: $vgpr4_vgpr5
                                        ; implicit-def: $vgpr2_vgpr3
	s_cbranch_execnz .LBB52_11
	s_branch .LBB52_48
.LBB52_10:
	s_or_b32 exec_lo, exec_lo, s2
	s_and_b32 vcc_lo, exec_lo, s1
	s_cbranch_vccz .LBB52_48
.LBB52_11:
	s_clause 0x3
	s_load_dwordx4 s[0:3], s[4:5], 0x30
	s_load_dword s24, s[4:5], 0x28
	s_load_dwordx2 s[26:27], s[4:5], 0x40
	s_load_dword s4, s[4:5], 0x48
	s_mul_i32 s9, s9, s7
	v_mov_b32_e32 v8, 0
	v_mov_b32_e32 v6, 0
	;; [unrolled: 1-line block ×4, first 2 shown]
	v_lshlrev_b32_e32 v56, 2, v1
	v_mov_b32_e32 v9, 0
	v_mov_b32_e32 v7, 0
	;; [unrolled: 1-line block ×4, first 2 shown]
	s_waitcnt lgkmcnt(0)
	s_mul_i32 s1, s1, s7
	s_mul_hi_u32 s25, s0, s7
	s_mul_i32 s0, s0, s7
	s_add_i32 s1, s25, s1
	s_mul_hi_u32 s25, s8, s7
	s_lshl_b64 s[0:1], s[0:1], 3
	s_add_u32 s28, s20, s0
	s_addc_u32 s21, s21, s1
	s_lshl_b64 s[0:1], s[22:23], 3
	s_mul_i32 s20, s8, s7
	s_add_u32 s7, s28, s0
	s_addc_u32 s8, s21, s1
	s_add_i32 s21, s25, s9
	s_lshl_b64 s[0:1], s[20:21], 3
	s_mov_b32 s21, exec_lo
	s_add_u32 s2, s2, s0
	s_addc_u32 s3, s3, s1
	s_lshl_b64 s[0:1], s[26:27], 3
	s_add_u32 s9, s2, s0
	s_addc_u32 s20, s3, s1
	s_ashr_i32 s0, s17, 31
	s_lshl_b32 s5, s6, 8
	s_lshr_b32 s0, s0, 28
	v_or_b32_e32 v55, s5, v0
	s_add_i32 s0, s17, s0
	s_and_b32 s6, s0, -16
	v_cmpx_gt_i32_e64 s6, v56
	s_cbranch_execz .LBB52_23
; %bb.12:
	v_add_nc_u32_e32 v2, 64, v55
	v_add_nc_u32_e32 v3, 0x80, v55
	;; [unrolled: 1-line block ×3, first 2 shown]
	v_mul_lo_u32 v5, s24, v56
	v_mul_lo_u32 v14, v1, s4
	v_cmp_gt_i32_e64 s0, s16, v2
	v_add_nc_u32_e32 v2, 2, v56
	v_cmp_gt_i32_e64 s1, s16, v3
	v_cmp_gt_i32_e64 s2, s16, v4
	v_mul_lo_u32 v3, v1, s24
	v_add_nc_u32_e32 v4, 3, v56
	v_mad_u64_u32 v[10:11], null, s24, v2, v[0:1]
	v_mul_lo_u32 v59, s4, v2
	v_add3_u32 v57, v5, s24, v0
	v_mad_u64_u32 v[11:12], null, s24, v4, v[0:1]
	v_mad_u64_u32 v[12:13], null, s4, v56, s[4:5]
	v_mul_lo_u32 v60, s4, v4
	v_lshl_add_u32 v58, v3, 2, v0
	v_mov_b32_e32 v8, 0
	v_mov_b32_e32 v6, 0
	;; [unrolled: 1-line block ×8, first 2 shown]
	v_lshlrev_b32_e32 v61, 2, v14
	s_lshl_b32 s22, s24, 4
	s_lshl_b32 s25, s4, 4
	s_mov_b32 s23, 0
	s_mov_b32 s26, 0
	v_cmp_gt_i32_e32 vcc_lo, s16, v55
	s_branch .LBB52_17
.LBB52_13:                              ;   in Loop: Header=BB52_17 Depth=1
	s_or_b32 exec_lo, exec_lo, s29
	s_waitcnt vmcnt(3)
	v_fma_f64 v[4:5], v[13:14], v[45:46], v[4:5]
	s_waitcnt vmcnt(2)
	v_fma_f64 v[4:5], v[15:16], v[47:48], v[4:5]
	;; [unrolled: 2-line block ×4, first 2 shown]
.LBB52_14:                              ;   in Loop: Header=BB52_17 Depth=1
	s_or_b32 exec_lo, exec_lo, s28
	s_waitcnt vmcnt(3)
	v_fma_f64 v[6:7], v[13:14], v[37:38], v[6:7]
	s_waitcnt vmcnt(2)
	v_fma_f64 v[6:7], v[15:16], v[39:40], v[6:7]
	;; [unrolled: 2-line block ×4, first 2 shown]
.LBB52_15:                              ;   in Loop: Header=BB52_17 Depth=1
	s_or_b32 exec_lo, exec_lo, s3
	s_waitcnt vmcnt(3)
	v_fma_f64 v[8:9], v[13:14], v[21:22], v[8:9]
	s_waitcnt vmcnt(2)
	v_fma_f64 v[8:9], v[15:16], v[23:24], v[8:9]
	;; [unrolled: 2-line block ×4, first 2 shown]
.LBB52_16:                              ;   in Loop: Header=BB52_17 Depth=1
	s_or_b32 exec_lo, exec_lo, s27
	v_add_nc_u32_e32 v56, 16, v56
	v_add_nc_u32_e32 v57, s22, v57
	v_add_nc_u32_e32 v10, s22, v10
	v_add_nc_u32_e32 v11, s22, v11
	v_add_nc_u32_e32 v58, s22, v58
	v_cmp_le_i32_e64 s3, s6, v56
	s_add_i32 s26, s26, s25
	s_or_b32 s23, s3, s23
	s_andn2_b32 exec_lo, exec_lo, s23
	s_cbranch_execz .LBB52_22
.LBB52_17:                              ; =>This Inner Loop Header: Depth=1
	s_and_saveexec_b32 s27, vcc_lo
	s_cbranch_execz .LBB52_16
; %bb.18:                               ;   in Loop: Header=BB52_17 Depth=1
	v_add_nc_u32_e32 v13, s26, v61
	v_add_nc_u32_e32 v15, s26, v12
	;; [unrolled: 1-line block ×5, first 2 shown]
	v_ashrrev_i32_e32 v14, 31, v13
	v_ashrrev_i32_e32 v16, 31, v15
	;; [unrolled: 1-line block ×3, first 2 shown]
	v_add_nc_u32_e32 v23, s5, v57
	v_ashrrev_i32_e32 v20, 31, v19
	v_lshlrev_b64 v[13:14], 3, v[13:14]
	v_lshlrev_b64 v[15:16], 3, v[15:16]
	v_ashrrev_i32_e32 v22, 31, v21
	v_lshlrev_b64 v[17:18], 3, v[17:18]
	v_ashrrev_i32_e32 v24, 31, v23
	v_lshlrev_b64 v[19:20], 3, v[19:20]
	v_add_co_u32 v13, s3, s9, v13
	v_add_nc_u32_e32 v25, s5, v10
	v_add_co_ci_u32_e64 v14, null, s20, v14, s3
	v_add_co_u32 v15, s3, s9, v15
	v_lshlrev_b64 v[21:22], 3, v[21:22]
	v_add_nc_u32_e32 v27, s5, v11
	v_add_co_ci_u32_e64 v16, null, s20, v16, s3
	v_add_co_u32 v17, s3, s9, v17
	v_lshlrev_b64 v[23:24], 3, v[23:24]
	v_ashrrev_i32_e32 v26, 31, v25
	v_add_co_ci_u32_e64 v18, null, s20, v18, s3
	v_add_co_u32 v19, s3, s9, v19
	v_ashrrev_i32_e32 v28, 31, v27
	v_add_co_ci_u32_e64 v20, null, s20, v20, s3
	v_add_co_u32 v29, s3, s7, v21
	v_add_co_ci_u32_e64 v30, null, s8, v22, s3
	v_lshlrev_b64 v[21:22], 3, v[25:26]
	v_add_co_u32 v31, s3, s7, v23
	v_add_co_ci_u32_e64 v32, null, s8, v24, s3
	v_lshlrev_b64 v[23:24], 3, v[27:28]
	v_add_co_u32 v33, s3, s7, v21
	v_add_co_ci_u32_e64 v34, null, s8, v22, s3
	v_add_co_u32 v35, s3, s7, v23
	v_add_co_ci_u32_e64 v36, null, s8, v24, s3
	s_clause 0x3
	global_load_dwordx2 v[13:14], v[13:14], off
	global_load_dwordx2 v[15:16], v[15:16], off
	;; [unrolled: 1-line block ×4, first 2 shown]
	s_clause 0x3
	global_load_dwordx2 v[21:22], v[29:30], off
	global_load_dwordx2 v[23:24], v[31:32], off
	;; [unrolled: 1-line block ×4, first 2 shown]
	s_and_saveexec_b32 s3, s0
	s_cbranch_execz .LBB52_15
; %bb.19:                               ;   in Loop: Header=BB52_17 Depth=1
	s_clause 0x3
	global_load_dwordx2 v[37:38], v[29:30], off offset:512
	global_load_dwordx2 v[39:40], v[31:32], off offset:512
	global_load_dwordx2 v[41:42], v[33:34], off offset:512
	global_load_dwordx2 v[43:44], v[35:36], off offset:512
	s_and_saveexec_b32 s28, s1
	s_cbranch_execz .LBB52_14
; %bb.20:                               ;   in Loop: Header=BB52_17 Depth=1
	s_clause 0x3
	global_load_dwordx2 v[45:46], v[29:30], off offset:1024
	global_load_dwordx2 v[47:48], v[31:32], off offset:1024
	global_load_dwordx2 v[49:50], v[33:34], off offset:1024
	global_load_dwordx2 v[51:52], v[35:36], off offset:1024
	;; [unrolled: 8-line block ×3, first 2 shown]
	s_waitcnt vmcnt(3)
	v_fma_f64 v[2:3], v[13:14], v[29:30], v[2:3]
	s_waitcnt vmcnt(2)
	v_fma_f64 v[2:3], v[15:16], v[31:32], v[2:3]
	;; [unrolled: 2-line block ×4, first 2 shown]
	s_branch .LBB52_13
.LBB52_22:
	s_or_b32 exec_lo, exec_lo, s23
.LBB52_23:
	s_or_b32 exec_lo, exec_lo, s21
	s_sub_i32 s0, s17, s6
	s_cmp_lt_i32 s0, 1
	s_cbranch_scc1 .LBB52_41
; %bb.24:
	v_mov_b32_e32 v14, 0
	v_mov_b32_e32 v16, 0
	;; [unrolled: 1-line block ×4, first 2 shown]
	v_cmp_gt_i32_e32 vcc_lo, s17, v56
	v_mov_b32_e32 v15, 0
	v_mov_b32_e32 v17, 0
	;; [unrolled: 1-line block ×4, first 2 shown]
	v_or_b32_e32 v18, 1, v56
	s_and_saveexec_b32 s1, vcc_lo
	s_cbranch_execz .LBB52_32
; %bb.25:
	v_mul_lo_u32 v10, v56, s4
	v_mov_b32_e32 v12, 0
	v_mov_b32_e32 v16, 0
	;; [unrolled: 1-line block ×6, first 2 shown]
	s_mov_b32 s2, exec_lo
	v_ashrrev_i32_e32 v11, 31, v10
	v_lshlrev_b64 v[10:11], 3, v[10:11]
	v_add_co_u32 v10, s0, s9, v10
	v_add_co_ci_u32_e64 v11, null, s20, v11, s0
	global_load_dwordx2 v[10:11], v[10:11], off
	v_cmpx_gt_i32_e64 s17, v18
	s_cbranch_execz .LBB52_31
; %bb.26:
	v_mul_lo_u32 v12, v18, s4
	v_mov_b32_e32 v16, 0
	v_mov_b32_e32 v14, 0
	v_or_b32_e32 v19, 2, v56
	v_mov_b32_e32 v17, 0
	v_mov_b32_e32 v15, 0
	s_mov_b32 s3, exec_lo
	v_ashrrev_i32_e32 v13, 31, v12
	v_lshlrev_b64 v[12:13], 3, v[12:13]
	v_add_co_u32 v12, s0, s9, v12
	v_add_co_ci_u32_e64 v13, null, s20, v13, s0
	global_load_dwordx2 v[12:13], v[12:13], off
	v_cmpx_gt_i32_e64 s17, v19
	s_cbranch_execz .LBB52_30
; %bb.27:
	v_mul_lo_u32 v14, v19, s4
	v_or_b32_e32 v19, 3, v56
	s_mov_b32 s6, exec_lo
	v_ashrrev_i32_e32 v15, 31, v14
	v_lshlrev_b64 v[14:15], 3, v[14:15]
	v_add_co_u32 v14, s0, s9, v14
	v_add_co_ci_u32_e64 v15, null, s20, v15, s0
	global_load_dwordx2 v[16:17], v[14:15], off
	v_mov_b32_e32 v14, 0
	v_mov_b32_e32 v15, 0
	v_cmpx_gt_i32_e64 s17, v19
	s_cbranch_execz .LBB52_29
; %bb.28:
	v_mul_lo_u32 v14, v19, s4
	v_ashrrev_i32_e32 v15, 31, v14
	v_lshlrev_b64 v[14:15], 3, v[14:15]
	v_add_co_u32 v14, s0, s9, v14
	v_add_co_ci_u32_e64 v15, null, s20, v15, s0
	global_load_dwordx2 v[14:15], v[14:15], off
.LBB52_29:
	s_or_b32 exec_lo, exec_lo, s6
.LBB52_30:
	s_or_b32 exec_lo, exec_lo, s3
.LBB52_31:
	s_or_b32 exec_lo, exec_lo, s2
.LBB52_32:
	s_or_b32 exec_lo, exec_lo, s1
	s_mov_b32 s1, exec_lo
	v_cmpx_gt_i32_e64 s16, v55
	s_cbranch_execz .LBB52_40
; %bb.33:
	v_mul_lo_u32 v19, v56, s24
	v_mul_lo_u32 v21, v18, s24
	v_or_b32_e32 v22, 2, v56
	v_or_b32_e32 v24, 3, v56
	s_mov_b32 s0, exec_lo
	v_mul_lo_u32 v23, v22, s24
	v_cndmask_b32_e32 v19, 0, v19, vcc_lo
	v_cmp_gt_i32_e32 vcc_lo, s17, v18
	v_mul_lo_u32 v25, v24, s24
	v_add_nc_u32_e32 v19, v19, v55
	v_cndmask_b32_e32 v21, 0, v21, vcc_lo
	v_ashrrev_i32_e32 v20, 31, v19
	v_lshlrev_b64 v[19:20], 3, v[19:20]
	v_add_co_u32 v18, vcc_lo, s7, v19
	v_add_co_ci_u32_e64 v19, null, s8, v20, vcc_lo
	v_add_nc_u32_e32 v20, v21, v55
	global_load_dwordx2 v[28:29], v[18:19], off
	v_ashrrev_i32_e32 v21, 31, v20
	v_lshlrev_b64 v[20:21], 3, v[20:21]
	v_add_co_u32 v20, vcc_lo, s7, v20
	v_add_co_ci_u32_e64 v21, null, s8, v21, vcc_lo
	v_cmp_gt_i32_e32 vcc_lo, s17, v22
	global_load_dwordx2 v[30:31], v[20:21], off
	v_cndmask_b32_e32 v22, 0, v23, vcc_lo
	v_cmp_gt_i32_e32 vcc_lo, s17, v24
	v_add_nc_u32_e32 v22, v22, v55
	v_cndmask_b32_e32 v26, 0, v25, vcc_lo
	v_ashrrev_i32_e32 v23, 31, v22
	v_lshlrev_b64 v[22:23], 3, v[22:23]
	v_add_co_u32 v24, vcc_lo, s7, v22
	v_add_co_ci_u32_e64 v25, null, s8, v23, vcc_lo
	v_add_nc_u32_e32 v22, v26, v55
	global_load_dwordx2 v[32:33], v[24:25], off
	v_ashrrev_i32_e32 v23, 31, v22
	v_lshlrev_b64 v[22:23], 3, v[22:23]
	v_add_co_u32 v26, vcc_lo, s7, v22
	v_add_co_ci_u32_e64 v27, null, s8, v23, vcc_lo
	global_load_dwordx2 v[22:23], v[26:27], off
	s_waitcnt vmcnt(3)
	v_fma_f64 v[8:9], v[10:11], v[28:29], v[8:9]
	v_add_nc_u32_e32 v28, 64, v55
	s_waitcnt vmcnt(2)
	v_fma_f64 v[8:9], v[12:13], v[30:31], v[8:9]
	s_waitcnt vmcnt(1)
	v_fma_f64 v[8:9], v[16:17], v[32:33], v[8:9]
	v_cmpx_gt_i32_e64 s16, v28
	s_cbranch_execz .LBB52_39
; %bb.34:
	s_clause 0x3
	global_load_dwordx2 v[30:31], v[18:19], off offset:512
	global_load_dwordx2 v[32:33], v[20:21], off offset:512
	;; [unrolled: 1-line block ×4, first 2 shown]
	s_mov_b32 s2, exec_lo
	s_waitcnt vmcnt(3)
	v_fma_f64 v[6:7], v[10:11], v[30:31], v[6:7]
	v_add_nc_u32_e32 v30, 0x80, v55
	s_waitcnt vmcnt(2)
	v_fma_f64 v[6:7], v[12:13], v[32:33], v[6:7]
	s_waitcnt vmcnt(1)
	v_fma_f64 v[6:7], v[16:17], v[34:35], v[6:7]
	v_cmpx_gt_i32_e64 s16, v30
	s_cbranch_execz .LBB52_38
; %bb.35:
	s_clause 0x3
	global_load_dwordx2 v[32:33], v[18:19], off offset:1024
	global_load_dwordx2 v[34:35], v[20:21], off offset:1024
	;; [unrolled: 1-line block ×4, first 2 shown]
	s_mov_b32 s3, exec_lo
	s_waitcnt vmcnt(3)
	v_fma_f64 v[4:5], v[10:11], v[32:33], v[4:5]
	v_add_nc_u32_e32 v32, 0xc0, v55
	s_waitcnt vmcnt(2)
	v_fma_f64 v[4:5], v[12:13], v[34:35], v[4:5]
	s_waitcnt vmcnt(1)
	v_fma_f64 v[4:5], v[16:17], v[36:37], v[4:5]
	v_cmpx_gt_i32_e64 s16, v32
	s_cbranch_execz .LBB52_37
; %bb.36:
	s_clause 0x3
	global_load_dwordx2 v[18:19], v[18:19], off offset:1536
	global_load_dwordx2 v[20:21], v[20:21], off offset:1536
	;; [unrolled: 1-line block ×4, first 2 shown]
	s_waitcnt vmcnt(3)
	v_fma_f64 v[2:3], v[10:11], v[18:19], v[2:3]
	s_waitcnt vmcnt(2)
	v_fma_f64 v[2:3], v[12:13], v[20:21], v[2:3]
	;; [unrolled: 2-line block ×4, first 2 shown]
.LBB52_37:
	s_or_b32 exec_lo, exec_lo, s3
	s_waitcnt vmcnt(0)
	v_fma_f64 v[4:5], v[14:15], v[30:31], v[4:5]
.LBB52_38:
	s_or_b32 exec_lo, exec_lo, s2
	s_waitcnt vmcnt(0)
	v_fma_f64 v[6:7], v[14:15], v[28:29], v[6:7]
.LBB52_39:
	s_or_b32 exec_lo, exec_lo, s0
	s_waitcnt vmcnt(0)
	v_fma_f64 v[8:9], v[14:15], v[22:23], v[8:9]
.LBB52_40:
	s_or_b32 exec_lo, exec_lo, s1
.LBB52_41:
	v_lshlrev_b32_e32 v0, 3, v0
	s_mov_b32 s0, exec_lo
	v_lshl_or_b32 v1, v1, 11, v0
	ds_write2st64_b64 v1, v[8:9], v[6:7] offset1:1
	ds_write2st64_b64 v1, v[4:5], v[2:3] offset0:2 offset1:3
	s_waitcnt vmcnt(0) lgkmcnt(0)
	s_barrier
	buffer_gl0_inv
                                        ; implicit-def: $vgpr4_vgpr5
                                        ; implicit-def: $vgpr2_vgpr3
	v_cmpx_gt_u32_e32 0x100, v53
	s_cbranch_execz .LBB52_47
; %bb.42:
	v_lshl_add_u32 v7, v54, 3, v0
	v_or_b32_e32 v6, s5, v53
	s_mov_b32 s2, s19
	s_mov_b32 s1, exec_lo
	ds_read2st64_b64 v[0:3], v7 offset1:4
	s_waitcnt lgkmcnt(0)
	v_add_f64 v[4:5], v[0:1], v[2:3]
	ds_read2st64_b64 v[0:3], v7 offset0:8 offset1:12
	s_waitcnt lgkmcnt(0)
	v_add_f64 v[0:1], v[0:1], v[4:5]
                                        ; implicit-def: $vgpr4_vgpr5
	v_add_f64 v[0:1], v[2:3], v[0:1]
                                        ; implicit-def: $vgpr2_vgpr3
	ds_write_b64 v7, v[0:1]
	v_cmpx_gt_i32_e64 s16, v6
	s_cbranch_execz .LBB52_46
; %bb.43:
	v_cmp_eq_f64_e64 s2, s[10:11], 0
	v_mul_f64 v[4:5], s[12:13], v[0:1]
	v_mul_lo_u32 v2, s18, v6
	v_ashrrev_i32_e32 v3, 31, v2
	s_and_b32 vcc_lo, exec_lo, s2
	s_cbranch_vccnz .LBB52_45
; %bb.44:
	v_lshlrev_b64 v[0:1], 3, v[2:3]
	v_add_co_u32 v0, vcc_lo, s14, v0
	v_add_co_ci_u32_e64 v1, null, s15, v1, vcc_lo
	global_load_dwordx2 v[0:1], v[0:1], off
	s_waitcnt vmcnt(0)
	v_fma_f64 v[4:5], s[10:11], v[0:1], v[4:5]
.LBB52_45:
	s_or_b32 s2, s19, exec_lo
.LBB52_46:
	s_or_b32 exec_lo, exec_lo, s1
	s_andn2_b32 s1, s19, exec_lo
	s_and_b32 s2, s2, exec_lo
	s_or_b32 s19, s1, s2
.LBB52_47:
	s_or_b32 exec_lo, exec_lo, s0
.LBB52_48:
	s_and_saveexec_b32 s0, s19
	s_cbranch_execz .LBB52_50
; %bb.49:
	v_lshlrev_b64 v[0:1], 3, v[2:3]
	v_add_co_u32 v0, vcc_lo, s14, v0
	v_add_co_ci_u32_e64 v1, null, s15, v1, vcc_lo
	global_store_dwordx2 v[0:1], v[4:5], off
.LBB52_50:
	s_endpgm
	.section	.rodata,"a",@progbits
	.p2align	6, 0x0
	.amdhsa_kernel _ZL20rocblas_gemvn_kernelILi64ELi4EidPKddEviiT3_lPKT2_lT1_lS5_lS6_lS2_lPT4_lS6_li
		.amdhsa_group_segment_fixed_size 8192
		.amdhsa_private_segment_fixed_size 0
		.amdhsa_kernarg_size 400
		.amdhsa_user_sgpr_count 6
		.amdhsa_user_sgpr_private_segment_buffer 1
		.amdhsa_user_sgpr_dispatch_ptr 0
		.amdhsa_user_sgpr_queue_ptr 0
		.amdhsa_user_sgpr_kernarg_segment_ptr 1
		.amdhsa_user_sgpr_dispatch_id 0
		.amdhsa_user_sgpr_flat_scratch_init 0
		.amdhsa_user_sgpr_private_segment_size 0
		.amdhsa_wavefront_size32 1
		.amdhsa_uses_dynamic_stack 0
		.amdhsa_system_sgpr_private_segment_wavefront_offset 0
		.amdhsa_system_sgpr_workgroup_id_x 1
		.amdhsa_system_sgpr_workgroup_id_y 0
		.amdhsa_system_sgpr_workgroup_id_z 1
		.amdhsa_system_sgpr_workgroup_info 0
		.amdhsa_system_vgpr_workitem_id 1
		.amdhsa_next_free_vgpr 62
		.amdhsa_next_free_sgpr 30
		.amdhsa_reserve_vcc 1
		.amdhsa_reserve_flat_scratch 0
		.amdhsa_float_round_mode_32 0
		.amdhsa_float_round_mode_16_64 0
		.amdhsa_float_denorm_mode_32 3
		.amdhsa_float_denorm_mode_16_64 3
		.amdhsa_dx10_clamp 1
		.amdhsa_ieee_mode 1
		.amdhsa_fp16_overflow 0
		.amdhsa_workgroup_processor_mode 1
		.amdhsa_memory_ordered 1
		.amdhsa_forward_progress 1
		.amdhsa_shared_vgpr_count 0
		.amdhsa_exception_fp_ieee_invalid_op 0
		.amdhsa_exception_fp_denorm_src 0
		.amdhsa_exception_fp_ieee_div_zero 0
		.amdhsa_exception_fp_ieee_overflow 0
		.amdhsa_exception_fp_ieee_underflow 0
		.amdhsa_exception_fp_ieee_inexact 0
		.amdhsa_exception_int_div_zero 0
	.end_amdhsa_kernel
	.section	.text._ZL20rocblas_gemvn_kernelILi64ELi4EidPKddEviiT3_lPKT2_lT1_lS5_lS6_lS2_lPT4_lS6_li,"axG",@progbits,_ZL20rocblas_gemvn_kernelILi64ELi4EidPKddEviiT3_lPKT2_lT1_lS5_lS6_lS2_lPT4_lS6_li,comdat
.Lfunc_end52:
	.size	_ZL20rocblas_gemvn_kernelILi64ELi4EidPKddEviiT3_lPKT2_lT1_lS5_lS6_lS2_lPT4_lS6_li, .Lfunc_end52-_ZL20rocblas_gemvn_kernelILi64ELi4EidPKddEviiT3_lPKT2_lT1_lS5_lS6_lS2_lPT4_lS6_li
                                        ; -- End function
	.set _ZL20rocblas_gemvn_kernelILi64ELi4EidPKddEviiT3_lPKT2_lT1_lS5_lS6_lS2_lPT4_lS6_li.num_vgpr, 62
	.set _ZL20rocblas_gemvn_kernelILi64ELi4EidPKddEviiT3_lPKT2_lT1_lS5_lS6_lS2_lPT4_lS6_li.num_agpr, 0
	.set _ZL20rocblas_gemvn_kernelILi64ELi4EidPKddEviiT3_lPKT2_lT1_lS5_lS6_lS2_lPT4_lS6_li.numbered_sgpr, 30
	.set _ZL20rocblas_gemvn_kernelILi64ELi4EidPKddEviiT3_lPKT2_lT1_lS5_lS6_lS2_lPT4_lS6_li.num_named_barrier, 0
	.set _ZL20rocblas_gemvn_kernelILi64ELi4EidPKddEviiT3_lPKT2_lT1_lS5_lS6_lS2_lPT4_lS6_li.private_seg_size, 0
	.set _ZL20rocblas_gemvn_kernelILi64ELi4EidPKddEviiT3_lPKT2_lT1_lS5_lS6_lS2_lPT4_lS6_li.uses_vcc, 1
	.set _ZL20rocblas_gemvn_kernelILi64ELi4EidPKddEviiT3_lPKT2_lT1_lS5_lS6_lS2_lPT4_lS6_li.uses_flat_scratch, 0
	.set _ZL20rocblas_gemvn_kernelILi64ELi4EidPKddEviiT3_lPKT2_lT1_lS5_lS6_lS2_lPT4_lS6_li.has_dyn_sized_stack, 0
	.set _ZL20rocblas_gemvn_kernelILi64ELi4EidPKddEviiT3_lPKT2_lT1_lS5_lS6_lS2_lPT4_lS6_li.has_recursion, 0
	.set _ZL20rocblas_gemvn_kernelILi64ELi4EidPKddEviiT3_lPKT2_lT1_lS5_lS6_lS2_lPT4_lS6_li.has_indirect_call, 0
	.section	.AMDGPU.csdata,"",@progbits
; Kernel info:
; codeLenInByte = 2888
; TotalNumSgprs: 32
; NumVgprs: 62
; ScratchSize: 0
; MemoryBound: 0
; FloatMode: 240
; IeeeMode: 1
; LDSByteSize: 8192 bytes/workgroup (compile time only)
; SGPRBlocks: 0
; VGPRBlocks: 7
; NumSGPRsForWavesPerEU: 32
; NumVGPRsForWavesPerEU: 62
; Occupancy: 16
; WaveLimiterHint : 1
; COMPUTE_PGM_RSRC2:SCRATCH_EN: 0
; COMPUTE_PGM_RSRC2:USER_SGPR: 6
; COMPUTE_PGM_RSRC2:TRAP_HANDLER: 0
; COMPUTE_PGM_RSRC2:TGID_X_EN: 1
; COMPUTE_PGM_RSRC2:TGID_Y_EN: 0
; COMPUTE_PGM_RSRC2:TGID_Z_EN: 1
; COMPUTE_PGM_RSRC2:TIDIG_COMP_CNT: 1
	.section	.text._ZL20rocblas_gemvn_kernelILi64ELi4EldPKddEviiT3_lPKT2_lT1_lS5_lS6_lS2_lPT4_lS6_li,"axG",@progbits,_ZL20rocblas_gemvn_kernelILi64ELi4EldPKddEviiT3_lPKT2_lT1_lS5_lS6_lS2_lPT4_lS6_li,comdat
	.globl	_ZL20rocblas_gemvn_kernelILi64ELi4EldPKddEviiT3_lPKT2_lT1_lS5_lS6_lS2_lPT4_lS6_li ; -- Begin function _ZL20rocblas_gemvn_kernelILi64ELi4EldPKddEviiT3_lPKT2_lT1_lS5_lS6_lS2_lPT4_lS6_li
	.p2align	8
	.type	_ZL20rocblas_gemvn_kernelILi64ELi4EldPKddEviiT3_lPKT2_lT1_lS5_lS6_lS2_lPT4_lS6_li,@function
_ZL20rocblas_gemvn_kernelILi64ELi4EldPKddEviiT3_lPKT2_lT1_lS5_lS6_lS2_lPT4_lS6_li: ; @_ZL20rocblas_gemvn_kernelILi64ELi4EldPKddEviiT3_lPKT2_lT1_lS5_lS6_lS2_lPT4_lS6_li
; %bb.0:
	s_load_dwordx2 s[0:1], s[4:5], 0x9c
	s_waitcnt lgkmcnt(0)
	s_lshr_b32 s2, s0, 16
	s_and_b32 s0, s0, 0xffff
	s_and_b32 s1, s1, 0xffff
	s_mul_i32 s0, s2, s0
	s_mul_i32 s0, s0, s1
	s_cmpk_lg_i32 s0, 0x100
	s_cbranch_scc1 .LBB53_50
; %bb.1:
	s_clause 0x1
	s_load_dwordx16 s[36:51], s[4:5], 0x8
	s_load_dwordx16 s[8:23], s[4:5], 0x48
	s_waitcnt lgkmcnt(0)
	s_mul_i32 s1, s39, s7
	s_mul_hi_u32 s2, s38, s7
	s_mul_i32 s0, s38, s7
	s_add_i32 s1, s2, s1
	s_mul_i32 s2, s15, s7
	s_lshl_b64 s[0:1], s[0:1], 3
	s_mul_hi_u32 s3, s14, s7
	s_add_u32 s0, s36, s0
	s_addc_u32 s1, s37, s1
	s_add_i32 s3, s3, s2
	s_mul_i32 s2, s14, s7
	s_lshl_b64 s[2:3], s[2:3], 3
	s_add_u32 s2, s12, s2
	s_addc_u32 s3, s13, s3
	s_load_dwordx2 s[14:15], s[0:1], 0x0
	s_load_dwordx2 s[12:13], s[2:3], 0x0
	s_waitcnt lgkmcnt(0)
	v_cmp_eq_f64_e64 s0, s[14:15], 0
	v_cmp_eq_f64_e64 s1, s[12:13], 1.0
	s_and_b32 s0, s0, s1
	s_and_b32 vcc_lo, exec_lo, s0
	s_cbranch_vccnz .LBB53_50
; %bb.2:
	v_cmp_neq_f64_e64 s2, s[14:15], 0
	s_load_dwordx2 s[24:25], s[4:5], 0x0
	v_lshlrev_b32_e32 v55, 6, v1
	s_mul_i32 s1, s23, s7
	s_mul_hi_u32 s3, s22, s7
	s_mul_i32 s0, s22, s7
	s_add_i32 s1, s3, s1
	v_add_nc_u32_e32 v54, v55, v0
	s_lshl_b64 s[0:1], s[0:1], 3
	s_mov_b32 s27, 0
	s_add_u32 s3, s16, s0
	s_addc_u32 s4, s17, s1
	s_lshl_b64 s[0:1], s[18:19], 3
	s_add_u32 s5, s3, s0
	v_cmp_gt_u32_e64 s0, 0x100, v54
	s_addc_u32 s26, s4, s1
	s_and_b32 vcc_lo, exec_lo, s2
	s_cbranch_vccnz .LBB53_9
; %bb.3:
	s_mov_b32 s1, 0
                                        ; implicit-def: $vgpr2_vgpr3
                                        ; implicit-def: $vgpr4_vgpr5
	s_and_saveexec_b32 s2, s0
	s_cbranch_execz .LBB53_10
; %bb.4:
	v_lshl_or_b32 v6, s6, 8, v54
	v_mov_b32_e32 v7, 0
	s_waitcnt lgkmcnt(0)
	s_ashr_i32 s17, s24, 31
	s_mov_b32 s16, s24
	s_mov_b32 s3, 0
	s_mov_b32 s0, exec_lo
                                        ; implicit-def: $vgpr2_vgpr3
                                        ; implicit-def: $vgpr4_vgpr5
	v_cmpx_gt_i64_e64 s[16:17], v[6:7]
	s_cbranch_execz .LBB53_8
; %bb.5:
	v_cmp_eq_f64_e64 s3, s[12:13], 0
	v_mad_u64_u32 v[4:5], null, s20, v6, 0
	v_mov_b32_e32 v2, v5
	v_mad_u64_u32 v[5:6], null, s21, v6, v[2:3]
	v_mov_b32_e32 v2, 0
	v_mov_b32_e32 v3, 0
	s_and_b32 vcc_lo, exec_lo, s3
	s_cbranch_vccnz .LBB53_7
; %bb.6:
	v_lshlrev_b64 v[2:3], 3, v[4:5]
	v_add_co_u32 v2, vcc_lo, s5, v2
	v_add_co_ci_u32_e64 v3, null, s26, v3, vcc_lo
	global_load_dwordx2 v[2:3], v[2:3], off
	s_waitcnt vmcnt(0)
	v_mul_f64 v[2:3], s[12:13], v[2:3]
.LBB53_7:
	s_mov_b32 s3, exec_lo
.LBB53_8:
	s_or_b32 exec_lo, exec_lo, s0
	s_and_b32 s27, s3, exec_lo
	s_or_b32 exec_lo, exec_lo, s2
	s_and_b32 vcc_lo, exec_lo, s1
	s_cbranch_vccnz .LBB53_11
	s_branch .LBB53_48
.LBB53_9:
                                        ; implicit-def: $vgpr2_vgpr3
                                        ; implicit-def: $vgpr4_vgpr5
	s_cbranch_execnz .LBB53_11
	s_branch .LBB53_48
.LBB53_10:
	s_or_b32 exec_lo, exec_lo, s2
	s_and_b32 vcc_lo, exec_lo, s1
	s_cbranch_vccz .LBB53_48
.LBB53_11:
	s_mul_i32 s0, s47, s7
	s_mul_hi_u32 s1, s46, s7
	s_lshl_b32 s28, s6, 8
	s_add_i32 s17, s1, s0
	s_waitcnt lgkmcnt(0)
	s_ashr_i32 s1, s25, 31
	v_mov_b32_e32 v10, 0
	s_lshr_b32 s1, s1, 28
	v_mov_b32_e32 v8, 0
	v_mov_b32_e32 v6, 0
	;; [unrolled: 1-line block ×3, first 2 shown]
	v_or_b32_e32 v2, s28, v0
	v_lshlrev_b32_e32 v56, 2, v1
	v_mov_b32_e32 v11, 0
	v_mov_b32_e32 v9, 0
	;; [unrolled: 1-line block ×4, first 2 shown]
	s_mul_i32 s0, s11, s7
	s_mul_hi_u32 s2, s10, s7
	s_add_i32 s1, s25, s1
	s_mul_i32 s16, s46, s7
	s_and_b32 s29, s1, -16
	s_add_i32 s11, s2, s0
	s_mul_i32 s10, s10, s7
	s_mov_b32 s30, exec_lo
	v_cmpx_gt_i32_e64 s29, v56
	s_cbranch_execz .LBB53_23
; %bb.12:
	v_lshlrev_b32_e32 v20, 2, v1
	v_mad_u64_u32 v[4:5], null, s8, v1, 0
	v_ashrrev_i32_e32 v3, 31, v2
	v_add_nc_u32_e32 v12, 64, v2
	v_or_b32_e32 v11, 3, v20
	v_add_nc_u32_e32 v13, 0x80, v2
	s_lshl_b64 s[0:1], s[10:11], 3
	s_lshl_b64 s[6:7], s[50:51], 3
	v_add_nc_u32_e32 v14, 0xc0, v2
	v_mad_u64_u32 v[6:7], null, s44, v11, 0
	s_add_u32 s4, s48, s0
	v_or_b32_e32 v21, 2, v20
	s_addc_u32 s31, s49, s1
	v_cmp_gt_i32_e64 s0, s24, v12
	v_cmp_gt_i32_e64 s1, s24, v13
	v_lshlrev_b64 v[12:13], 3, v[2:3]
	v_mad_u64_u32 v[8:9], null, s9, v1, v[5:6]
	v_mad_u64_u32 v[9:10], null, s8, v11, 0
	v_cmp_gt_i32_e64 s2, s24, v14
	s_lshl_b64 s[22:23], s[42:43], 3
	v_mad_u64_u32 v[14:15], null, s44, v21, 0
	v_mov_b32_e32 v5, v8
	v_mad_u64_u32 v[7:8], null, s45, v11, v[7:8]
	v_mov_b32_e32 v8, v10
	v_mad_u64_u32 v[16:17], null, s8, v21, 0
	v_lshlrev_b64 v[4:5], 5, v[4:5]
	s_lshl_b64 s[18:19], s[8:9], 7
	v_mad_u64_u32 v[10:11], null, s9, v11, v[8:9]
	s_lshl_b64 s[34:35], s[16:17], 3
	v_mad_u64_u32 v[18:19], null, s8, v20, s[8:9]
	v_add_co_u32 v3, s3, s4, v4
	v_add_co_ci_u32_e64 v57, null, s31, v5, s3
	v_lshlrev_b64 v[4:5], 3, v[6:7]
	v_mad_u64_u32 v[6:7], null, s44, v1, 0
	s_add_u32 s3, s40, s22
	s_addc_u32 s22, s41, s23
	s_add_u32 s23, s3, s34
	s_addc_u32 s22, s22, s35
	v_add_co_u32 v58, s3, s23, v4
	v_mad_u64_u32 v[7:8], null, s45, v1, v[7:8]
	v_add_co_ci_u32_e64 v59, null, s22, v5, s3
	v_mov_b32_e32 v4, v15
	v_lshlrev_b64 v[8:9], 3, v[9:10]
	v_mov_b32_e32 v5, v17
	v_cmp_gt_i32_e32 vcc_lo, s24, v2
	v_mad_u64_u32 v[10:11], null, s45, v21, v[4:5]
	v_add_co_u32 v60, s3, s4, v8
	v_add_co_ci_u32_e64 v61, null, s31, v9, s3
	v_mad_u64_u32 v[8:9], null, s44, v20, s[44:45]
	v_mad_u64_u32 v[4:5], null, s9, v21, v[5:6]
	v_lshlrev_b64 v[5:6], 5, v[6:7]
	v_mov_b32_e32 v7, v19
	v_mov_b32_e32 v15, v10
	v_mad_u64_u32 v[10:11], null, s9, v20, v[7:8]
	v_add_co_u32 v62, s3, s23, v5
	v_add_co_ci_u32_e64 v63, null, s22, v6, s3
	v_lshlrev_b64 v[5:6], 3, v[14:15]
	v_mov_b32_e32 v17, v4
	v_mov_b32_e32 v4, v9
	;; [unrolled: 1-line block ×3, first 2 shown]
	v_lshlrev_b64 v[14:15], 3, v[16:17]
	v_mad_u64_u32 v[9:10], null, s45, v20, v[4:5]
	v_add_co_u32 v64, s3, s23, v5
	v_add_co_ci_u32_e64 v65, null, s22, v6, s3
	v_lshlrev_b64 v[4:5], 3, v[18:19]
	v_add_co_u32 v66, s3, s4, v14
	v_add_co_ci_u32_e64 v67, null, s31, v15, s3
	v_lshlrev_b64 v[14:15], 3, v[8:9]
	v_add_co_u32 v68, s3, s4, v4
	v_add_co_ci_u32_e64 v69, null, s31, v5, s3
	v_mov_b32_e32 v10, 0
	v_add_co_u32 v70, s3, s23, v14
	v_mov_b32_e32 v8, 0
	v_mov_b32_e32 v6, 0
	;; [unrolled: 1-line block ×7, first 2 shown]
	v_add_co_ci_u32_e64 v71, null, s22, v15, s3
	s_lshl_b64 s[22:23], s[44:45], 7
	s_mov_b32 s31, 0
	s_branch .LBB53_17
.LBB53_13:                              ;   in Loop: Header=BB53_17 Depth=1
	s_or_b32 exec_lo, exec_lo, s34
	s_waitcnt vmcnt(3)
	v_fma_f64 v[6:7], v[14:15], v[46:47], v[6:7]
	s_waitcnt vmcnt(2)
	v_fma_f64 v[6:7], v[16:17], v[48:49], v[6:7]
	;; [unrolled: 2-line block ×4, first 2 shown]
.LBB53_14:                              ;   in Loop: Header=BB53_17 Depth=1
	s_or_b32 exec_lo, exec_lo, s33
	s_waitcnt vmcnt(3)
	v_fma_f64 v[8:9], v[14:15], v[36:37], v[8:9]
	s_waitcnt vmcnt(2)
	v_fma_f64 v[8:9], v[16:17], v[38:39], v[8:9]
	;; [unrolled: 2-line block ×4, first 2 shown]
.LBB53_15:                              ;   in Loop: Header=BB53_17 Depth=1
	s_or_b32 exec_lo, exec_lo, s3
	s_waitcnt vmcnt(3)
	v_fma_f64 v[10:11], v[14:15], v[22:23], v[10:11]
	s_waitcnt vmcnt(2)
	v_fma_f64 v[10:11], v[16:17], v[24:25], v[10:11]
	s_waitcnt vmcnt(1)
	v_fma_f64 v[10:11], v[18:19], v[26:27], v[10:11]
	s_waitcnt vmcnt(0)
	v_fma_f64 v[10:11], v[20:21], v[28:29], v[10:11]
.LBB53_16:                              ;   in Loop: Header=BB53_17 Depth=1
	s_or_b32 exec_lo, exec_lo, s4
	v_add_co_u32 v3, s3, v3, s18
	v_add_co_ci_u32_e64 v57, null, s19, v57, s3
	v_add_co_u32 v58, s3, v58, s22
	v_add_co_ci_u32_e64 v59, null, s23, v59, s3
	;; [unrolled: 2-line block ×4, first 2 shown]
	v_add_co_u32 v64, s3, v64, s22
	v_add_nc_u32_e32 v56, 16, v56
	v_add_co_ci_u32_e64 v65, null, s23, v65, s3
	v_add_co_u32 v66, s3, v66, s18
	v_add_co_ci_u32_e64 v67, null, s19, v67, s3
	v_add_co_u32 v68, s3, v68, s18
	v_add_co_ci_u32_e64 v69, null, s19, v69, s3
	v_cmp_le_i32_e64 s3, s29, v56
	v_add_co_u32 v70, s4, v70, s22
	v_add_co_ci_u32_e64 v71, null, s23, v71, s4
	s_or_b32 s31, s3, s31
	s_andn2_b32 exec_lo, exec_lo, s31
	s_cbranch_execz .LBB53_22
.LBB53_17:                              ; =>This Inner Loop Header: Depth=1
	s_and_saveexec_b32 s4, vcc_lo
	s_cbranch_execz .LBB53_16
; %bb.18:                               ;   in Loop: Header=BB53_17 Depth=1
	v_add_co_u32 v14, s3, v3, s6
	v_add_co_ci_u32_e64 v15, null, s7, v57, s3
	v_add_co_u32 v16, s3, v68, s6
	v_add_co_ci_u32_e64 v17, null, s7, v69, s3
	;; [unrolled: 2-line block ×8, first 2 shown]
	global_load_dwordx2 v[14:15], v[14:15], off
	global_load_dwordx2 v[16:17], v[16:17], off
	;; [unrolled: 1-line block ×8, first 2 shown]
	s_and_saveexec_b32 s3, s0
	s_cbranch_execz .LBB53_15
; %bb.19:                               ;   in Loop: Header=BB53_17 Depth=1
	global_load_dwordx2 v[36:37], v[30:31], off offset:512
	global_load_dwordx2 v[38:39], v[32:33], off offset:512
	global_load_dwordx2 v[40:41], v[34:35], off offset:512
	global_load_dwordx2 v[42:43], v[44:45], off offset:512
	s_and_saveexec_b32 s33, s1
	s_cbranch_execz .LBB53_14
; %bb.20:                               ;   in Loop: Header=BB53_17 Depth=1
	global_load_dwordx2 v[46:47], v[30:31], off offset:1024
	global_load_dwordx2 v[48:49], v[32:33], off offset:1024
	global_load_dwordx2 v[50:51], v[34:35], off offset:1024
	global_load_dwordx2 v[52:53], v[44:45], off offset:1024
	;; [unrolled: 7-line block ×3, first 2 shown]
	s_waitcnt vmcnt(3)
	v_fma_f64 v[4:5], v[14:15], v[30:31], v[4:5]
	s_waitcnt vmcnt(2)
	v_fma_f64 v[4:5], v[16:17], v[32:33], v[4:5]
	;; [unrolled: 2-line block ×4, first 2 shown]
	s_branch .LBB53_13
.LBB53_22:
	s_or_b32 exec_lo, exec_lo, s31
.LBB53_23:
	s_or_b32 exec_lo, exec_lo, s30
	s_sub_i32 s0, s25, s29
	s_cmp_lt_i32 s0, 1
	s_cbranch_scc1 .LBB53_41
; %bb.24:
	v_mov_b32_e32 v16, 0
	v_mov_b32_e32 v18, 0
	;; [unrolled: 1-line block ×4, first 2 shown]
	v_cmp_gt_i32_e32 vcc_lo, s25, v56
	v_mov_b32_e32 v17, 0
	v_mov_b32_e32 v19, 0
	;; [unrolled: 1-line block ×4, first 2 shown]
	v_or_b32_e32 v20, 1, v56
	s_and_saveexec_b32 s1, vcc_lo
	s_cbranch_execz .LBB53_32
; %bb.25:
	v_mad_u64_u32 v[12:13], null, s8, v56, 0
	s_lshl_b64 s[2:3], s[10:11], 3
	v_mov_b32_e32 v18, 0
	s_add_u32 s0, s48, s2
	s_addc_u32 s2, s49, s3
	s_lshl_b64 s[6:7], s[50:51], 3
	v_mov_b32_e32 v16, 0
	v_mov_b32_e32 v3, v13
	s_add_u32 s3, s0, s6
	s_addc_u32 s4, s2, s7
	v_mov_b32_e32 v19, 0
	v_mov_b32_e32 v17, 0
	v_mad_u64_u32 v[13:14], null, s9, v56, v[3:4]
	v_mov_b32_e32 v14, 0
	v_mov_b32_e32 v15, 0
	s_mov_b32 s2, exec_lo
	v_lshlrev_b64 v[12:13], 3, v[12:13]
	v_add_co_u32 v12, s0, s3, v12
	v_add_co_ci_u32_e64 v13, null, s4, v13, s0
	global_load_dwordx2 v[12:13], v[12:13], off
	v_cmpx_gt_i32_e64 s25, v20
	s_cbranch_execz .LBB53_31
; %bb.26:
	v_mad_u64_u32 v[14:15], null, s8, v20, 0
	v_mov_b32_e32 v18, 0
	v_mov_b32_e32 v19, 0
	s_mov_b32 s6, exec_lo
	v_mov_b32_e32 v3, v15
	v_mad_u64_u32 v[15:16], null, s9, v20, v[3:4]
	v_mov_b32_e32 v16, 0
	v_or_b32_e32 v3, 2, v56
	v_mov_b32_e32 v17, 0
	v_lshlrev_b64 v[14:15], 3, v[14:15]
	v_add_co_u32 v14, s0, s3, v14
	v_add_co_ci_u32_e64 v15, null, s4, v15, s0
	global_load_dwordx2 v[14:15], v[14:15], off
	v_cmpx_gt_i32_e64 s25, v3
	s_cbranch_execz .LBB53_30
; %bb.27:
	v_mad_u64_u32 v[16:17], null, s8, v3, 0
	s_mov_b32 s7, exec_lo
	v_mad_u64_u32 v[17:18], null, s9, v3, v[17:18]
	v_or_b32_e32 v3, 3, v56
	v_lshlrev_b64 v[16:17], 3, v[16:17]
	v_add_co_u32 v16, s0, s3, v16
	v_add_co_ci_u32_e64 v17, null, s4, v17, s0
	global_load_dwordx2 v[18:19], v[16:17], off
	v_mov_b32_e32 v16, 0
	v_mov_b32_e32 v17, 0
	v_cmpx_gt_i32_e64 s25, v3
	s_cbranch_execz .LBB53_29
; %bb.28:
	v_mad_u64_u32 v[16:17], null, s8, v3, 0
	s_waitcnt vmcnt(0)
	v_mad_u64_u32 v[21:22], null, s9, v3, v[17:18]
	v_mov_b32_e32 v17, v21
	v_lshlrev_b64 v[16:17], 3, v[16:17]
	v_add_co_u32 v16, s0, s3, v16
	v_add_co_ci_u32_e64 v17, null, s4, v17, s0
	global_load_dwordx2 v[16:17], v[16:17], off
.LBB53_29:
	s_or_b32 exec_lo, exec_lo, s7
.LBB53_30:
	s_or_b32 exec_lo, exec_lo, s6
.LBB53_31:
	s_or_b32 exec_lo, exec_lo, s2
.LBB53_32:
	s_or_b32 exec_lo, exec_lo, s1
	s_mov_b32 s1, exec_lo
	v_cmpx_gt_i32_e64 s24, v2
	s_cbranch_execz .LBB53_40
; %bb.33:
	v_mad_u64_u32 v[21:22], null, s44, v56, 0
	s_lshl_b64 s[2:3], s[16:17], 3
	v_or_b32_e32 v32, 2, v56
	s_add_u32 s0, s40, s2
	s_addc_u32 s4, s41, s3
	s_lshl_b64 s[2:3], s[42:43], 3
	v_or_b32_e32 v36, 3, v56
	v_mov_b32_e32 v3, v22
	v_cndmask_b32_e32 v21, 0, v21, vcc_lo
	s_add_u32 s2, s0, s2
	s_addc_u32 s3, s4, s3
	v_mad_u64_u32 v[26:27], null, s44, v32, 0
	v_mad_u64_u32 v[22:23], null, s45, v56, v[3:4]
	;; [unrolled: 1-line block ×3, first 2 shown]
	v_ashrrev_i32_e32 v3, 31, v2
	v_cndmask_b32_e32 v22, 0, v22, vcc_lo
	v_lshlrev_b64 v[28:29], 3, v[2:3]
	v_mad_u64_u32 v[24:25], null, s45, v20, v[24:25]
	v_cmp_gt_i32_e32 vcc_lo, s25, v20
	v_lshlrev_b64 v[21:22], 3, v[21:22]
	v_cndmask_b32_e32 v23, 0, v23, vcc_lo
	v_cndmask_b32_e32 v24, 0, v24, vcc_lo
	v_add_co_u32 v3, s0, s2, v21
	v_add_co_ci_u32_e64 v21, null, s3, v22, s0
	v_lshlrev_b64 v[22:23], 3, v[23:24]
	v_add_co_u32 v20, vcc_lo, v3, v28
	v_add_co_ci_u32_e64 v21, null, v21, v29, vcc_lo
	v_mov_b32_e32 v3, v27
	v_add_co_u32 v24, vcc_lo, s2, v22
	global_load_dwordx2 v[30:31], v[20:21], off
	v_add_co_ci_u32_e64 v25, null, s3, v23, vcc_lo
	v_mad_u64_u32 v[22:23], null, s45, v32, v[3:4]
	v_add_co_u32 v24, s0, v24, v28
	v_cmp_gt_i32_e32 vcc_lo, s25, v32
	v_add_co_ci_u32_e64 v25, null, v25, v29, s0
	v_cndmask_b32_e32 v26, 0, v26, vcc_lo
	v_cndmask_b32_e32 v27, 0, v22, vcc_lo
	v_mad_u64_u32 v[22:23], null, s44, v36, 0
	global_load_dwordx2 v[32:33], v[24:25], off
	v_lshlrev_b64 v[26:27], 3, v[26:27]
	v_mov_b32_e32 v3, v23
	v_add_co_u32 v23, vcc_lo, s2, v26
	v_add_co_ci_u32_e64 v27, null, s3, v27, vcc_lo
	v_mad_u64_u32 v[34:35], null, s45, v36, v[3:4]
	v_add_co_u32 v26, s0, v23, v28
	v_cmp_gt_i32_e32 vcc_lo, s25, v36
	v_add_co_ci_u32_e64 v27, null, v27, v29, s0
	s_mov_b32 s0, exec_lo
	v_cndmask_b32_e32 v22, 0, v22, vcc_lo
	v_cndmask_b32_e32 v23, 0, v34, vcc_lo
	global_load_dwordx2 v[34:35], v[26:27], off
	v_lshlrev_b64 v[22:23], 3, v[22:23]
	v_add_co_u32 v3, vcc_lo, s2, v22
	v_add_co_ci_u32_e64 v22, null, s3, v23, vcc_lo
	v_add_co_u32 v28, vcc_lo, v3, v28
	v_add_co_ci_u32_e64 v29, null, v22, v29, vcc_lo
	v_add_nc_u32_e32 v3, 64, v2
	global_load_dwordx2 v[22:23], v[28:29], off
	s_waitcnt vmcnt(3)
	v_fma_f64 v[10:11], v[12:13], v[30:31], v[10:11]
	s_waitcnt vmcnt(2)
	v_fma_f64 v[10:11], v[14:15], v[32:33], v[10:11]
	;; [unrolled: 2-line block ×3, first 2 shown]
	v_cmpx_gt_i32_e64 s24, v3
	s_cbranch_execz .LBB53_39
; %bb.34:
	s_clause 0x3
	global_load_dwordx2 v[32:33], v[20:21], off offset:512
	global_load_dwordx2 v[34:35], v[24:25], off offset:512
	;; [unrolled: 1-line block ×4, first 2 shown]
	v_add_nc_u32_e32 v3, 0x80, v2
	s_mov_b32 s2, exec_lo
	s_waitcnt vmcnt(3)
	v_fma_f64 v[8:9], v[12:13], v[32:33], v[8:9]
	s_waitcnt vmcnt(2)
	v_fma_f64 v[8:9], v[14:15], v[34:35], v[8:9]
	s_waitcnt vmcnt(1)
	v_fma_f64 v[8:9], v[18:19], v[36:37], v[8:9]
	v_cmpx_gt_i32_e64 s24, v3
	s_cbranch_execz .LBB53_38
; %bb.35:
	s_clause 0x3
	global_load_dwordx2 v[34:35], v[20:21], off offset:1024
	global_load_dwordx2 v[36:37], v[24:25], off offset:1024
	;; [unrolled: 1-line block ×4, first 2 shown]
	v_add_nc_u32_e32 v2, 0xc0, v2
	s_mov_b32 s3, exec_lo
	s_waitcnt vmcnt(3)
	v_fma_f64 v[6:7], v[12:13], v[34:35], v[6:7]
	s_waitcnt vmcnt(2)
	v_fma_f64 v[6:7], v[14:15], v[36:37], v[6:7]
	;; [unrolled: 2-line block ×3, first 2 shown]
	v_cmpx_gt_i32_e64 s24, v2
	s_cbranch_execz .LBB53_37
; %bb.36:
	s_clause 0x3
	global_load_dwordx2 v[2:3], v[20:21], off offset:1536
	global_load_dwordx2 v[20:21], v[24:25], off offset:1536
	;; [unrolled: 1-line block ×4, first 2 shown]
	s_waitcnt vmcnt(3)
	v_fma_f64 v[2:3], v[12:13], v[2:3], v[4:5]
	s_waitcnt vmcnt(2)
	v_fma_f64 v[2:3], v[14:15], v[20:21], v[2:3]
	;; [unrolled: 2-line block ×4, first 2 shown]
.LBB53_37:
	s_or_b32 exec_lo, exec_lo, s3
	s_waitcnt vmcnt(0)
	v_fma_f64 v[6:7], v[16:17], v[32:33], v[6:7]
.LBB53_38:
	s_or_b32 exec_lo, exec_lo, s2
	s_waitcnt vmcnt(0)
	v_fma_f64 v[8:9], v[16:17], v[30:31], v[8:9]
.LBB53_39:
	s_or_b32 exec_lo, exec_lo, s0
	s_waitcnt vmcnt(0)
	v_fma_f64 v[10:11], v[16:17], v[22:23], v[10:11]
.LBB53_40:
	s_or_b32 exec_lo, exec_lo, s1
.LBB53_41:
	v_lshlrev_b32_e32 v0, 3, v0
	s_mov_b32 s0, exec_lo
                                        ; implicit-def: $vgpr2_vgpr3
	v_lshl_or_b32 v1, v1, 11, v0
	ds_write2st64_b64 v1, v[10:11], v[8:9] offset1:1
	ds_write2st64_b64 v1, v[6:7], v[4:5] offset0:2 offset1:3
	s_waitcnt vmcnt(0) lgkmcnt(0)
	s_barrier
	buffer_gl0_inv
                                        ; implicit-def: $vgpr4_vgpr5
	v_cmpx_gt_u32_e32 0x100, v54
	s_cbranch_execz .LBB53_47
; %bb.42:
	v_lshl_add_u32 v7, v55, 3, v0
	v_or_b32_e32 v6, s28, v54
	s_mov_b32 s2, s27
	s_mov_b32 s1, exec_lo
	ds_read2st64_b64 v[0:3], v7 offset1:4
	s_waitcnt lgkmcnt(0)
	v_add_f64 v[4:5], v[0:1], v[2:3]
	ds_read2st64_b64 v[0:3], v7 offset0:8 offset1:12
	s_waitcnt lgkmcnt(0)
	v_add_f64 v[0:1], v[0:1], v[4:5]
                                        ; implicit-def: $vgpr4_vgpr5
	v_add_f64 v[0:1], v[2:3], v[0:1]
                                        ; implicit-def: $vgpr2_vgpr3
	ds_write_b64 v7, v[0:1]
	v_cmpx_gt_i32_e64 s24, v6
	s_cbranch_execz .LBB53_46
; %bb.43:
	v_cmp_eq_f64_e64 s2, s[12:13], 0
	v_mul_f64 v[2:3], s[14:15], v[0:1]
	v_ashrrev_i32_e32 v0, 31, v6
	v_mul_lo_u32 v1, s21, v6
	v_mad_u64_u32 v[4:5], null, s20, v6, 0
	v_mul_lo_u32 v0, s20, v0
	v_add3_u32 v5, v5, v0, v1
	s_and_b32 vcc_lo, exec_lo, s2
	s_cbranch_vccnz .LBB53_45
; %bb.44:
	v_lshlrev_b64 v[0:1], 3, v[4:5]
	v_add_co_u32 v0, vcc_lo, s5, v0
	v_add_co_ci_u32_e64 v1, null, s26, v1, vcc_lo
	global_load_dwordx2 v[0:1], v[0:1], off
	s_waitcnt vmcnt(0)
	v_fma_f64 v[2:3], s[12:13], v[0:1], v[2:3]
.LBB53_45:
	s_or_b32 s2, s27, exec_lo
.LBB53_46:
	s_or_b32 exec_lo, exec_lo, s1
	s_andn2_b32 s1, s27, exec_lo
	s_and_b32 s2, s2, exec_lo
	s_or_b32 s27, s1, s2
.LBB53_47:
	s_or_b32 exec_lo, exec_lo, s0
.LBB53_48:
	s_and_saveexec_b32 s0, s27
	s_cbranch_execz .LBB53_50
; %bb.49:
	v_lshlrev_b64 v[0:1], 3, v[4:5]
	v_add_co_u32 v0, vcc_lo, s5, v0
	v_add_co_ci_u32_e64 v1, null, s26, v1, vcc_lo
	global_store_dwordx2 v[0:1], v[2:3], off
.LBB53_50:
	s_endpgm
	.section	.rodata,"a",@progbits
	.p2align	6, 0x0
	.amdhsa_kernel _ZL20rocblas_gemvn_kernelILi64ELi4EldPKddEviiT3_lPKT2_lT1_lS5_lS6_lS2_lPT4_lS6_li
		.amdhsa_group_segment_fixed_size 8192
		.amdhsa_private_segment_fixed_size 0
		.amdhsa_kernarg_size 400
		.amdhsa_user_sgpr_count 6
		.amdhsa_user_sgpr_private_segment_buffer 1
		.amdhsa_user_sgpr_dispatch_ptr 0
		.amdhsa_user_sgpr_queue_ptr 0
		.amdhsa_user_sgpr_kernarg_segment_ptr 1
		.amdhsa_user_sgpr_dispatch_id 0
		.amdhsa_user_sgpr_flat_scratch_init 0
		.amdhsa_user_sgpr_private_segment_size 0
		.amdhsa_wavefront_size32 1
		.amdhsa_uses_dynamic_stack 0
		.amdhsa_system_sgpr_private_segment_wavefront_offset 0
		.amdhsa_system_sgpr_workgroup_id_x 1
		.amdhsa_system_sgpr_workgroup_id_y 0
		.amdhsa_system_sgpr_workgroup_id_z 1
		.amdhsa_system_sgpr_workgroup_info 0
		.amdhsa_system_vgpr_workitem_id 1
		.amdhsa_next_free_vgpr 72
		.amdhsa_next_free_sgpr 52
		.amdhsa_reserve_vcc 1
		.amdhsa_reserve_flat_scratch 0
		.amdhsa_float_round_mode_32 0
		.amdhsa_float_round_mode_16_64 0
		.amdhsa_float_denorm_mode_32 3
		.amdhsa_float_denorm_mode_16_64 3
		.amdhsa_dx10_clamp 1
		.amdhsa_ieee_mode 1
		.amdhsa_fp16_overflow 0
		.amdhsa_workgroup_processor_mode 1
		.amdhsa_memory_ordered 1
		.amdhsa_forward_progress 1
		.amdhsa_shared_vgpr_count 0
		.amdhsa_exception_fp_ieee_invalid_op 0
		.amdhsa_exception_fp_denorm_src 0
		.amdhsa_exception_fp_ieee_div_zero 0
		.amdhsa_exception_fp_ieee_overflow 0
		.amdhsa_exception_fp_ieee_underflow 0
		.amdhsa_exception_fp_ieee_inexact 0
		.amdhsa_exception_int_div_zero 0
	.end_amdhsa_kernel
	.section	.text._ZL20rocblas_gemvn_kernelILi64ELi4EldPKddEviiT3_lPKT2_lT1_lS5_lS6_lS2_lPT4_lS6_li,"axG",@progbits,_ZL20rocblas_gemvn_kernelILi64ELi4EldPKddEviiT3_lPKT2_lT1_lS5_lS6_lS2_lPT4_lS6_li,comdat
.Lfunc_end53:
	.size	_ZL20rocblas_gemvn_kernelILi64ELi4EldPKddEviiT3_lPKT2_lT1_lS5_lS6_lS2_lPT4_lS6_li, .Lfunc_end53-_ZL20rocblas_gemvn_kernelILi64ELi4EldPKddEviiT3_lPKT2_lT1_lS5_lS6_lS2_lPT4_lS6_li
                                        ; -- End function
	.set _ZL20rocblas_gemvn_kernelILi64ELi4EldPKddEviiT3_lPKT2_lT1_lS5_lS6_lS2_lPT4_lS6_li.num_vgpr, 72
	.set _ZL20rocblas_gemvn_kernelILi64ELi4EldPKddEviiT3_lPKT2_lT1_lS5_lS6_lS2_lPT4_lS6_li.num_agpr, 0
	.set _ZL20rocblas_gemvn_kernelILi64ELi4EldPKddEviiT3_lPKT2_lT1_lS5_lS6_lS2_lPT4_lS6_li.numbered_sgpr, 52
	.set _ZL20rocblas_gemvn_kernelILi64ELi4EldPKddEviiT3_lPKT2_lT1_lS5_lS6_lS2_lPT4_lS6_li.num_named_barrier, 0
	.set _ZL20rocblas_gemvn_kernelILi64ELi4EldPKddEviiT3_lPKT2_lT1_lS5_lS6_lS2_lPT4_lS6_li.private_seg_size, 0
	.set _ZL20rocblas_gemvn_kernelILi64ELi4EldPKddEviiT3_lPKT2_lT1_lS5_lS6_lS2_lPT4_lS6_li.uses_vcc, 1
	.set _ZL20rocblas_gemvn_kernelILi64ELi4EldPKddEviiT3_lPKT2_lT1_lS5_lS6_lS2_lPT4_lS6_li.uses_flat_scratch, 0
	.set _ZL20rocblas_gemvn_kernelILi64ELi4EldPKddEviiT3_lPKT2_lT1_lS5_lS6_lS2_lPT4_lS6_li.has_dyn_sized_stack, 0
	.set _ZL20rocblas_gemvn_kernelILi64ELi4EldPKddEviiT3_lPKT2_lT1_lS5_lS6_lS2_lPT4_lS6_li.has_recursion, 0
	.set _ZL20rocblas_gemvn_kernelILi64ELi4EldPKddEviiT3_lPKT2_lT1_lS5_lS6_lS2_lPT4_lS6_li.has_indirect_call, 0
	.section	.AMDGPU.csdata,"",@progbits
; Kernel info:
; codeLenInByte = 3264
; TotalNumSgprs: 54
; NumVgprs: 72
; ScratchSize: 0
; MemoryBound: 1
; FloatMode: 240
; IeeeMode: 1
; LDSByteSize: 8192 bytes/workgroup (compile time only)
; SGPRBlocks: 0
; VGPRBlocks: 8
; NumSGPRsForWavesPerEU: 54
; NumVGPRsForWavesPerEU: 72
; Occupancy: 12
; WaveLimiterHint : 0
; COMPUTE_PGM_RSRC2:SCRATCH_EN: 0
; COMPUTE_PGM_RSRC2:USER_SGPR: 6
; COMPUTE_PGM_RSRC2:TRAP_HANDLER: 0
; COMPUTE_PGM_RSRC2:TGID_X_EN: 1
; COMPUTE_PGM_RSRC2:TGID_Y_EN: 0
; COMPUTE_PGM_RSRC2:TGID_Z_EN: 1
; COMPUTE_PGM_RSRC2:TIDIG_COMP_CNT: 1
	.section	.text._ZL20rocblas_gemvn_kernelILi64ELi4EidddEviiT3_lPKT2_lT1_lS3_lS4_lS0_lPT4_lS4_li,"axG",@progbits,_ZL20rocblas_gemvn_kernelILi64ELi4EidddEviiT3_lPKT2_lT1_lS3_lS4_lS0_lPT4_lS4_li,comdat
	.globl	_ZL20rocblas_gemvn_kernelILi64ELi4EidddEviiT3_lPKT2_lT1_lS3_lS4_lS0_lPT4_lS4_li ; -- Begin function _ZL20rocblas_gemvn_kernelILi64ELi4EidddEviiT3_lPKT2_lT1_lS3_lS4_lS0_lPT4_lS4_li
	.p2align	8
	.type	_ZL20rocblas_gemvn_kernelILi64ELi4EidddEviiT3_lPKT2_lT1_lS3_lS4_lS0_lPT4_lS4_li,@function
_ZL20rocblas_gemvn_kernelILi64ELi4EidddEviiT3_lPKT2_lT1_lS3_lS4_lS0_lPT4_lS4_li: ; @_ZL20rocblas_gemvn_kernelILi64ELi4EidddEviiT3_lPKT2_lT1_lS3_lS4_lS0_lPT4_lS4_li
; %bb.0:
	s_load_dwordx2 s[0:1], s[4:5], 0x9c
	s_waitcnt lgkmcnt(0)
	s_lshr_b32 s2, s0, 16
	s_and_b32 s0, s0, 0xffff
	s_and_b32 s1, s1, 0xffff
	s_mul_i32 s0, s2, s0
	s_mul_i32 s0, s0, s1
	s_cmpk_lg_i32 s0, 0x100
	s_cbranch_scc1 .LBB54_50
; %bb.1:
	s_clause 0x1
	s_load_dwordx2 s[12:13], s[4:5], 0x8
	s_load_dwordx4 s[8:11], s[4:5], 0x50
	s_waitcnt lgkmcnt(0)
	v_cmp_eq_f64_e64 s0, s[12:13], 0
	v_cmp_eq_f64_e64 s1, s[10:11], 1.0
	s_and_b32 s0, s0, s1
	s_and_b32 vcc_lo, exec_lo, s0
	s_cbranch_vccnz .LBB54_50
; %bb.2:
	s_clause 0x1
	s_load_dwordx2 s[16:17], s[4:5], 0x80
	s_load_dwordx4 s[0:3], s[4:5], 0x68
	v_cmp_neq_f64_e64 s19, s[12:13], 0
	s_clause 0x1
	s_load_dword s18, s[4:5], 0x78
	s_load_dwordx2 s[14:15], s[4:5], 0x0
	v_lshlrev_b32_e32 v54, 6, v1
	v_add_nc_u32_e32 v53, v54, v0
	s_waitcnt lgkmcnt(0)
	s_mul_i32 s17, s17, s7
	s_mul_hi_u32 s20, s16, s7
	s_mul_i32 s16, s16, s7
	s_add_i32 s17, s20, s17
	s_lshl_b64 s[16:17], s[16:17], 3
	s_add_u32 s16, s0, s16
	s_addc_u32 s17, s1, s17
	s_lshl_b64 s[0:1], s[2:3], 3
	s_add_u32 s16, s16, s0
	v_cmp_gt_u32_e64 s0, 0x100, v53
	s_addc_u32 s17, s17, s1
	s_and_b32 vcc_lo, exec_lo, s19
	s_mov_b32 s19, 0
	s_cbranch_vccnz .LBB54_9
; %bb.3:
	s_mov_b32 s1, 0
                                        ; implicit-def: $vgpr4_vgpr5
                                        ; implicit-def: $vgpr2_vgpr3
	s_and_saveexec_b32 s2, s0
	s_cbranch_execz .LBB54_10
; %bb.4:
	v_lshl_or_b32 v6, s6, 8, v53
	v_mov_b32_e32 v7, 0
	s_ashr_i32 s21, s14, 31
	s_mov_b32 s20, s14
	s_mov_b32 s3, 0
	s_mov_b32 s0, exec_lo
                                        ; implicit-def: $vgpr4_vgpr5
                                        ; implicit-def: $vgpr2_vgpr3
	v_cmpx_gt_i64_e64 s[20:21], v[6:7]
	s_cbranch_execz .LBB54_8
; %bb.5:
	v_cmp_eq_f64_e64 s3, s[10:11], 0
	v_mad_u64_u32 v[2:3], null, s18, v6, 0
	s_ashr_i32 s19, s18, 31
	v_mad_u64_u32 v[3:4], null, s19, v6, v[3:4]
	v_mov_b32_e32 v4, 0
	v_mov_b32_e32 v5, 0
	s_and_b32 vcc_lo, exec_lo, s3
	s_cbranch_vccnz .LBB54_7
; %bb.6:
	v_lshlrev_b64 v[4:5], 3, v[2:3]
	v_add_co_u32 v4, vcc_lo, s16, v4
	v_add_co_ci_u32_e64 v5, null, s17, v5, vcc_lo
	global_load_dwordx2 v[4:5], v[4:5], off
	s_waitcnt vmcnt(0)
	v_mul_f64 v[4:5], s[10:11], v[4:5]
.LBB54_7:
	s_mov_b32 s3, exec_lo
.LBB54_8:
	s_or_b32 exec_lo, exec_lo, s0
	s_and_b32 s19, s3, exec_lo
	s_or_b32 exec_lo, exec_lo, s2
	s_and_b32 vcc_lo, exec_lo, s1
	s_cbranch_vccnz .LBB54_11
	s_branch .LBB54_48
.LBB54_9:
                                        ; implicit-def: $vgpr4_vgpr5
                                        ; implicit-def: $vgpr2_vgpr3
	s_cbranch_execnz .LBB54_11
	s_branch .LBB54_48
.LBB54_10:
	s_or_b32 exec_lo, exec_lo, s2
	s_and_b32 vcc_lo, exec_lo, s1
	s_cbranch_vccz .LBB54_48
.LBB54_11:
	s_clause 0x4
	s_load_dwordx4 s[0:3], s[4:5], 0x30
	s_load_dwordx4 s[24:27], s[4:5], 0x18
	s_load_dword s20, s[4:5], 0x28
	s_load_dwordx2 s[22:23], s[4:5], 0x40
	s_load_dword s4, s[4:5], 0x48
	s_mul_i32 s9, s9, s7
	v_mov_b32_e32 v8, 0
	v_mov_b32_e32 v6, 0
	;; [unrolled: 1-line block ×4, first 2 shown]
	v_lshlrev_b32_e32 v56, 2, v1
	v_mov_b32_e32 v9, 0
	v_mov_b32_e32 v7, 0
	;; [unrolled: 1-line block ×4, first 2 shown]
	s_waitcnt lgkmcnt(0)
	s_mul_i32 s1, s1, s7
	s_mul_hi_u32 s21, s0, s7
	s_mul_i32 s0, s0, s7
	s_add_i32 s1, s21, s1
	s_mul_hi_u32 s21, s8, s7
	s_lshl_b64 s[0:1], s[0:1], 3
	s_add_u32 s28, s24, s0
	s_addc_u32 s25, s25, s1
	s_lshl_b64 s[0:1], s[26:27], 3
	s_mul_i32 s24, s8, s7
	s_add_u32 s7, s28, s0
	s_addc_u32 s8, s25, s1
	s_add_i32 s25, s21, s9
	s_lshl_b64 s[0:1], s[24:25], 3
	s_add_u32 s2, s2, s0
	s_addc_u32 s3, s3, s1
	s_lshl_b64 s[0:1], s[22:23], 3
	s_mov_b32 s22, exec_lo
	s_add_u32 s9, s2, s0
	s_addc_u32 s21, s3, s1
	s_ashr_i32 s0, s15, 31
	s_lshl_b32 s5, s6, 8
	s_lshr_b32 s0, s0, 28
	v_or_b32_e32 v55, s5, v0
	s_add_i32 s0, s15, s0
	s_and_b32 s6, s0, -16
	v_cmpx_gt_i32_e64 s6, v56
	s_cbranch_execz .LBB54_23
; %bb.12:
	v_add_nc_u32_e32 v2, 64, v55
	v_add_nc_u32_e32 v3, 0x80, v55
	;; [unrolled: 1-line block ×3, first 2 shown]
	v_mul_lo_u32 v5, s20, v56
	v_mul_lo_u32 v14, v1, s4
	v_cmp_gt_i32_e64 s0, s14, v2
	v_add_nc_u32_e32 v2, 2, v56
	v_cmp_gt_i32_e64 s1, s14, v3
	v_cmp_gt_i32_e64 s2, s14, v4
	v_mul_lo_u32 v3, v1, s20
	v_add_nc_u32_e32 v4, 3, v56
	v_mad_u64_u32 v[10:11], null, s20, v2, v[0:1]
	v_mul_lo_u32 v59, s4, v2
	v_add3_u32 v57, v5, s20, v0
	v_mad_u64_u32 v[11:12], null, s20, v4, v[0:1]
	v_mad_u64_u32 v[12:13], null, s4, v56, s[4:5]
	v_mul_lo_u32 v60, s4, v4
	v_lshl_add_u32 v58, v3, 2, v0
	v_mov_b32_e32 v8, 0
	v_mov_b32_e32 v6, 0
	;; [unrolled: 1-line block ×8, first 2 shown]
	v_lshlrev_b32_e32 v61, 2, v14
	s_lshl_b32 s23, s20, 4
	s_lshl_b32 s25, s4, 4
	s_mov_b32 s24, 0
	s_mov_b32 s26, 0
	v_cmp_gt_i32_e32 vcc_lo, s14, v55
	s_branch .LBB54_17
.LBB54_13:                              ;   in Loop: Header=BB54_17 Depth=1
	s_or_b32 exec_lo, exec_lo, s29
	s_waitcnt vmcnt(3)
	v_fma_f64 v[4:5], v[13:14], v[45:46], v[4:5]
	s_waitcnt vmcnt(2)
	v_fma_f64 v[4:5], v[15:16], v[47:48], v[4:5]
	;; [unrolled: 2-line block ×4, first 2 shown]
.LBB54_14:                              ;   in Loop: Header=BB54_17 Depth=1
	s_or_b32 exec_lo, exec_lo, s28
	s_waitcnt vmcnt(3)
	v_fma_f64 v[6:7], v[13:14], v[37:38], v[6:7]
	s_waitcnt vmcnt(2)
	v_fma_f64 v[6:7], v[15:16], v[39:40], v[6:7]
	;; [unrolled: 2-line block ×4, first 2 shown]
.LBB54_15:                              ;   in Loop: Header=BB54_17 Depth=1
	s_or_b32 exec_lo, exec_lo, s3
	s_waitcnt vmcnt(3)
	v_fma_f64 v[8:9], v[13:14], v[21:22], v[8:9]
	s_waitcnt vmcnt(2)
	v_fma_f64 v[8:9], v[15:16], v[23:24], v[8:9]
	;; [unrolled: 2-line block ×4, first 2 shown]
.LBB54_16:                              ;   in Loop: Header=BB54_17 Depth=1
	s_or_b32 exec_lo, exec_lo, s27
	v_add_nc_u32_e32 v56, 16, v56
	v_add_nc_u32_e32 v57, s23, v57
	;; [unrolled: 1-line block ×5, first 2 shown]
	v_cmp_le_i32_e64 s3, s6, v56
	s_add_i32 s26, s26, s25
	s_or_b32 s24, s3, s24
	s_andn2_b32 exec_lo, exec_lo, s24
	s_cbranch_execz .LBB54_22
.LBB54_17:                              ; =>This Inner Loop Header: Depth=1
	s_and_saveexec_b32 s27, vcc_lo
	s_cbranch_execz .LBB54_16
; %bb.18:                               ;   in Loop: Header=BB54_17 Depth=1
	v_add_nc_u32_e32 v13, s26, v61
	v_add_nc_u32_e32 v15, s26, v12
	;; [unrolled: 1-line block ×5, first 2 shown]
	v_ashrrev_i32_e32 v14, 31, v13
	v_ashrrev_i32_e32 v16, 31, v15
	;; [unrolled: 1-line block ×3, first 2 shown]
	v_add_nc_u32_e32 v23, s5, v57
	v_ashrrev_i32_e32 v20, 31, v19
	v_lshlrev_b64 v[13:14], 3, v[13:14]
	v_lshlrev_b64 v[15:16], 3, v[15:16]
	v_ashrrev_i32_e32 v22, 31, v21
	v_lshlrev_b64 v[17:18], 3, v[17:18]
	v_ashrrev_i32_e32 v24, 31, v23
	v_lshlrev_b64 v[19:20], 3, v[19:20]
	v_add_co_u32 v13, s3, s9, v13
	v_add_nc_u32_e32 v25, s5, v10
	v_add_co_ci_u32_e64 v14, null, s21, v14, s3
	v_add_co_u32 v15, s3, s9, v15
	v_lshlrev_b64 v[21:22], 3, v[21:22]
	v_add_nc_u32_e32 v27, s5, v11
	v_add_co_ci_u32_e64 v16, null, s21, v16, s3
	v_add_co_u32 v17, s3, s9, v17
	v_lshlrev_b64 v[23:24], 3, v[23:24]
	v_ashrrev_i32_e32 v26, 31, v25
	v_add_co_ci_u32_e64 v18, null, s21, v18, s3
	v_add_co_u32 v19, s3, s9, v19
	v_ashrrev_i32_e32 v28, 31, v27
	v_add_co_ci_u32_e64 v20, null, s21, v20, s3
	v_add_co_u32 v29, s3, s7, v21
	v_add_co_ci_u32_e64 v30, null, s8, v22, s3
	v_lshlrev_b64 v[21:22], 3, v[25:26]
	v_add_co_u32 v31, s3, s7, v23
	v_add_co_ci_u32_e64 v32, null, s8, v24, s3
	v_lshlrev_b64 v[23:24], 3, v[27:28]
	v_add_co_u32 v33, s3, s7, v21
	v_add_co_ci_u32_e64 v34, null, s8, v22, s3
	v_add_co_u32 v35, s3, s7, v23
	v_add_co_ci_u32_e64 v36, null, s8, v24, s3
	s_clause 0x3
	global_load_dwordx2 v[13:14], v[13:14], off
	global_load_dwordx2 v[15:16], v[15:16], off
	;; [unrolled: 1-line block ×4, first 2 shown]
	s_clause 0x3
	global_load_dwordx2 v[21:22], v[29:30], off
	global_load_dwordx2 v[23:24], v[31:32], off
	;; [unrolled: 1-line block ×4, first 2 shown]
	s_and_saveexec_b32 s3, s0
	s_cbranch_execz .LBB54_15
; %bb.19:                               ;   in Loop: Header=BB54_17 Depth=1
	s_clause 0x3
	global_load_dwordx2 v[37:38], v[29:30], off offset:512
	global_load_dwordx2 v[39:40], v[31:32], off offset:512
	global_load_dwordx2 v[41:42], v[33:34], off offset:512
	global_load_dwordx2 v[43:44], v[35:36], off offset:512
	s_and_saveexec_b32 s28, s1
	s_cbranch_execz .LBB54_14
; %bb.20:                               ;   in Loop: Header=BB54_17 Depth=1
	s_clause 0x3
	global_load_dwordx2 v[45:46], v[29:30], off offset:1024
	global_load_dwordx2 v[47:48], v[31:32], off offset:1024
	global_load_dwordx2 v[49:50], v[33:34], off offset:1024
	global_load_dwordx2 v[51:52], v[35:36], off offset:1024
	s_and_saveexec_b32 s29, s2
	s_cbranch_execz .LBB54_13
; %bb.21:                               ;   in Loop: Header=BB54_17 Depth=1
	s_clause 0x3
	global_load_dwordx2 v[29:30], v[29:30], off offset:1536
	global_load_dwordx2 v[31:32], v[31:32], off offset:1536
	global_load_dwordx2 v[33:34], v[33:34], off offset:1536
	global_load_dwordx2 v[35:36], v[35:36], off offset:1536
	s_waitcnt vmcnt(3)
	v_fma_f64 v[2:3], v[13:14], v[29:30], v[2:3]
	s_waitcnt vmcnt(2)
	v_fma_f64 v[2:3], v[15:16], v[31:32], v[2:3]
	;; [unrolled: 2-line block ×4, first 2 shown]
	s_branch .LBB54_13
.LBB54_22:
	s_or_b32 exec_lo, exec_lo, s24
.LBB54_23:
	s_or_b32 exec_lo, exec_lo, s22
	s_sub_i32 s0, s15, s6
	s_cmp_lt_i32 s0, 1
	s_cbranch_scc1 .LBB54_41
; %bb.24:
	v_mov_b32_e32 v14, 0
	v_mov_b32_e32 v16, 0
	;; [unrolled: 1-line block ×4, first 2 shown]
	v_cmp_gt_i32_e32 vcc_lo, s15, v56
	v_mov_b32_e32 v15, 0
	v_mov_b32_e32 v17, 0
	;; [unrolled: 1-line block ×4, first 2 shown]
	v_or_b32_e32 v18, 1, v56
	s_and_saveexec_b32 s1, vcc_lo
	s_cbranch_execz .LBB54_32
; %bb.25:
	v_mul_lo_u32 v10, v56, s4
	v_mov_b32_e32 v12, 0
	v_mov_b32_e32 v16, 0
	;; [unrolled: 1-line block ×6, first 2 shown]
	s_mov_b32 s2, exec_lo
	v_ashrrev_i32_e32 v11, 31, v10
	v_lshlrev_b64 v[10:11], 3, v[10:11]
	v_add_co_u32 v10, s0, s9, v10
	v_add_co_ci_u32_e64 v11, null, s21, v11, s0
	global_load_dwordx2 v[10:11], v[10:11], off
	v_cmpx_gt_i32_e64 s15, v18
	s_cbranch_execz .LBB54_31
; %bb.26:
	v_mul_lo_u32 v12, v18, s4
	v_mov_b32_e32 v16, 0
	v_mov_b32_e32 v14, 0
	v_or_b32_e32 v19, 2, v56
	v_mov_b32_e32 v17, 0
	v_mov_b32_e32 v15, 0
	s_mov_b32 s3, exec_lo
	v_ashrrev_i32_e32 v13, 31, v12
	v_lshlrev_b64 v[12:13], 3, v[12:13]
	v_add_co_u32 v12, s0, s9, v12
	v_add_co_ci_u32_e64 v13, null, s21, v13, s0
	global_load_dwordx2 v[12:13], v[12:13], off
	v_cmpx_gt_i32_e64 s15, v19
	s_cbranch_execz .LBB54_30
; %bb.27:
	v_mul_lo_u32 v14, v19, s4
	v_or_b32_e32 v19, 3, v56
	s_mov_b32 s6, exec_lo
	v_ashrrev_i32_e32 v15, 31, v14
	v_lshlrev_b64 v[14:15], 3, v[14:15]
	v_add_co_u32 v14, s0, s9, v14
	v_add_co_ci_u32_e64 v15, null, s21, v15, s0
	global_load_dwordx2 v[16:17], v[14:15], off
	v_mov_b32_e32 v14, 0
	v_mov_b32_e32 v15, 0
	v_cmpx_gt_i32_e64 s15, v19
	s_cbranch_execz .LBB54_29
; %bb.28:
	v_mul_lo_u32 v14, v19, s4
	v_ashrrev_i32_e32 v15, 31, v14
	v_lshlrev_b64 v[14:15], 3, v[14:15]
	v_add_co_u32 v14, s0, s9, v14
	v_add_co_ci_u32_e64 v15, null, s21, v15, s0
	global_load_dwordx2 v[14:15], v[14:15], off
.LBB54_29:
	s_or_b32 exec_lo, exec_lo, s6
.LBB54_30:
	s_or_b32 exec_lo, exec_lo, s3
.LBB54_31:
	s_or_b32 exec_lo, exec_lo, s2
.LBB54_32:
	s_or_b32 exec_lo, exec_lo, s1
	s_mov_b32 s1, exec_lo
	v_cmpx_gt_i32_e64 s14, v55
	s_cbranch_execz .LBB54_40
; %bb.33:
	v_mul_lo_u32 v19, v56, s20
	v_mul_lo_u32 v21, v18, s20
	v_or_b32_e32 v22, 2, v56
	v_or_b32_e32 v24, 3, v56
	s_mov_b32 s0, exec_lo
	v_mul_lo_u32 v23, v22, s20
	v_cndmask_b32_e32 v19, 0, v19, vcc_lo
	v_cmp_gt_i32_e32 vcc_lo, s15, v18
	v_mul_lo_u32 v25, v24, s20
	v_add_nc_u32_e32 v19, v19, v55
	v_cndmask_b32_e32 v21, 0, v21, vcc_lo
	v_ashrrev_i32_e32 v20, 31, v19
	v_lshlrev_b64 v[19:20], 3, v[19:20]
	v_add_co_u32 v18, vcc_lo, s7, v19
	v_add_co_ci_u32_e64 v19, null, s8, v20, vcc_lo
	v_add_nc_u32_e32 v20, v21, v55
	global_load_dwordx2 v[28:29], v[18:19], off
	v_ashrrev_i32_e32 v21, 31, v20
	v_lshlrev_b64 v[20:21], 3, v[20:21]
	v_add_co_u32 v20, vcc_lo, s7, v20
	v_add_co_ci_u32_e64 v21, null, s8, v21, vcc_lo
	v_cmp_gt_i32_e32 vcc_lo, s15, v22
	global_load_dwordx2 v[30:31], v[20:21], off
	v_cndmask_b32_e32 v22, 0, v23, vcc_lo
	v_cmp_gt_i32_e32 vcc_lo, s15, v24
	v_add_nc_u32_e32 v22, v22, v55
	v_cndmask_b32_e32 v26, 0, v25, vcc_lo
	v_ashrrev_i32_e32 v23, 31, v22
	v_lshlrev_b64 v[22:23], 3, v[22:23]
	v_add_co_u32 v24, vcc_lo, s7, v22
	v_add_co_ci_u32_e64 v25, null, s8, v23, vcc_lo
	v_add_nc_u32_e32 v22, v26, v55
	global_load_dwordx2 v[32:33], v[24:25], off
	v_ashrrev_i32_e32 v23, 31, v22
	v_lshlrev_b64 v[22:23], 3, v[22:23]
	v_add_co_u32 v26, vcc_lo, s7, v22
	v_add_co_ci_u32_e64 v27, null, s8, v23, vcc_lo
	global_load_dwordx2 v[22:23], v[26:27], off
	s_waitcnt vmcnt(3)
	v_fma_f64 v[8:9], v[10:11], v[28:29], v[8:9]
	v_add_nc_u32_e32 v28, 64, v55
	s_waitcnt vmcnt(2)
	v_fma_f64 v[8:9], v[12:13], v[30:31], v[8:9]
	s_waitcnt vmcnt(1)
	v_fma_f64 v[8:9], v[16:17], v[32:33], v[8:9]
	v_cmpx_gt_i32_e64 s14, v28
	s_cbranch_execz .LBB54_39
; %bb.34:
	s_clause 0x3
	global_load_dwordx2 v[30:31], v[18:19], off offset:512
	global_load_dwordx2 v[32:33], v[20:21], off offset:512
	;; [unrolled: 1-line block ×4, first 2 shown]
	s_mov_b32 s2, exec_lo
	s_waitcnt vmcnt(3)
	v_fma_f64 v[6:7], v[10:11], v[30:31], v[6:7]
	v_add_nc_u32_e32 v30, 0x80, v55
	s_waitcnt vmcnt(2)
	v_fma_f64 v[6:7], v[12:13], v[32:33], v[6:7]
	s_waitcnt vmcnt(1)
	v_fma_f64 v[6:7], v[16:17], v[34:35], v[6:7]
	v_cmpx_gt_i32_e64 s14, v30
	s_cbranch_execz .LBB54_38
; %bb.35:
	s_clause 0x3
	global_load_dwordx2 v[32:33], v[18:19], off offset:1024
	global_load_dwordx2 v[34:35], v[20:21], off offset:1024
	;; [unrolled: 1-line block ×4, first 2 shown]
	s_mov_b32 s3, exec_lo
	s_waitcnt vmcnt(3)
	v_fma_f64 v[4:5], v[10:11], v[32:33], v[4:5]
	v_add_nc_u32_e32 v32, 0xc0, v55
	s_waitcnt vmcnt(2)
	v_fma_f64 v[4:5], v[12:13], v[34:35], v[4:5]
	s_waitcnt vmcnt(1)
	v_fma_f64 v[4:5], v[16:17], v[36:37], v[4:5]
	v_cmpx_gt_i32_e64 s14, v32
	s_cbranch_execz .LBB54_37
; %bb.36:
	s_clause 0x3
	global_load_dwordx2 v[18:19], v[18:19], off offset:1536
	global_load_dwordx2 v[20:21], v[20:21], off offset:1536
	;; [unrolled: 1-line block ×4, first 2 shown]
	s_waitcnt vmcnt(3)
	v_fma_f64 v[2:3], v[10:11], v[18:19], v[2:3]
	s_waitcnt vmcnt(2)
	v_fma_f64 v[2:3], v[12:13], v[20:21], v[2:3]
	s_waitcnt vmcnt(1)
	v_fma_f64 v[2:3], v[16:17], v[24:25], v[2:3]
	s_waitcnt vmcnt(0)
	v_fma_f64 v[2:3], v[14:15], v[26:27], v[2:3]
.LBB54_37:
	s_or_b32 exec_lo, exec_lo, s3
	s_waitcnt vmcnt(0)
	v_fma_f64 v[4:5], v[14:15], v[30:31], v[4:5]
.LBB54_38:
	s_or_b32 exec_lo, exec_lo, s2
	s_waitcnt vmcnt(0)
	v_fma_f64 v[6:7], v[14:15], v[28:29], v[6:7]
.LBB54_39:
	s_or_b32 exec_lo, exec_lo, s0
	s_waitcnt vmcnt(0)
	v_fma_f64 v[8:9], v[14:15], v[22:23], v[8:9]
.LBB54_40:
	s_or_b32 exec_lo, exec_lo, s1
.LBB54_41:
	v_lshlrev_b32_e32 v0, 3, v0
	s_mov_b32 s0, exec_lo
	v_lshl_or_b32 v1, v1, 11, v0
	ds_write2st64_b64 v1, v[8:9], v[6:7] offset1:1
	ds_write2st64_b64 v1, v[4:5], v[2:3] offset0:2 offset1:3
	s_waitcnt vmcnt(0) lgkmcnt(0)
	s_barrier
	buffer_gl0_inv
                                        ; implicit-def: $vgpr4_vgpr5
                                        ; implicit-def: $vgpr2_vgpr3
	v_cmpx_gt_u32_e32 0x100, v53
	s_cbranch_execz .LBB54_47
; %bb.42:
	v_lshl_add_u32 v7, v54, 3, v0
	v_or_b32_e32 v6, s5, v53
	s_mov_b32 s2, s19
	s_mov_b32 s1, exec_lo
	ds_read2st64_b64 v[0:3], v7 offset1:4
	s_waitcnt lgkmcnt(0)
	v_add_f64 v[4:5], v[0:1], v[2:3]
	ds_read2st64_b64 v[0:3], v7 offset0:8 offset1:12
	s_waitcnt lgkmcnt(0)
	v_add_f64 v[0:1], v[0:1], v[4:5]
                                        ; implicit-def: $vgpr4_vgpr5
	v_add_f64 v[0:1], v[2:3], v[0:1]
                                        ; implicit-def: $vgpr2_vgpr3
	ds_write_b64 v7, v[0:1]
	v_cmpx_gt_i32_e64 s14, v6
	s_cbranch_execz .LBB54_46
; %bb.43:
	v_cmp_eq_f64_e64 s2, s[10:11], 0
	v_mul_f64 v[4:5], s[12:13], v[0:1]
	v_mul_lo_u32 v2, s18, v6
	v_ashrrev_i32_e32 v3, 31, v2
	s_and_b32 vcc_lo, exec_lo, s2
	s_cbranch_vccnz .LBB54_45
; %bb.44:
	v_lshlrev_b64 v[0:1], 3, v[2:3]
	v_add_co_u32 v0, vcc_lo, s16, v0
	v_add_co_ci_u32_e64 v1, null, s17, v1, vcc_lo
	global_load_dwordx2 v[0:1], v[0:1], off
	s_waitcnt vmcnt(0)
	v_fma_f64 v[4:5], s[10:11], v[0:1], v[4:5]
.LBB54_45:
	s_or_b32 s2, s19, exec_lo
.LBB54_46:
	s_or_b32 exec_lo, exec_lo, s1
	s_andn2_b32 s1, s19, exec_lo
	s_and_b32 s2, s2, exec_lo
	s_or_b32 s19, s1, s2
.LBB54_47:
	s_or_b32 exec_lo, exec_lo, s0
.LBB54_48:
	s_and_saveexec_b32 s0, s19
	s_cbranch_execz .LBB54_50
; %bb.49:
	v_lshlrev_b64 v[0:1], 3, v[2:3]
	v_add_co_u32 v0, vcc_lo, s16, v0
	v_add_co_ci_u32_e64 v1, null, s17, v1, vcc_lo
	global_store_dwordx2 v[0:1], v[4:5], off
.LBB54_50:
	s_endpgm
	.section	.rodata,"a",@progbits
	.p2align	6, 0x0
	.amdhsa_kernel _ZL20rocblas_gemvn_kernelILi64ELi4EidddEviiT3_lPKT2_lT1_lS3_lS4_lS0_lPT4_lS4_li
		.amdhsa_group_segment_fixed_size 8192
		.amdhsa_private_segment_fixed_size 0
		.amdhsa_kernarg_size 400
		.amdhsa_user_sgpr_count 6
		.amdhsa_user_sgpr_private_segment_buffer 1
		.amdhsa_user_sgpr_dispatch_ptr 0
		.amdhsa_user_sgpr_queue_ptr 0
		.amdhsa_user_sgpr_kernarg_segment_ptr 1
		.amdhsa_user_sgpr_dispatch_id 0
		.amdhsa_user_sgpr_flat_scratch_init 0
		.amdhsa_user_sgpr_private_segment_size 0
		.amdhsa_wavefront_size32 1
		.amdhsa_uses_dynamic_stack 0
		.amdhsa_system_sgpr_private_segment_wavefront_offset 0
		.amdhsa_system_sgpr_workgroup_id_x 1
		.amdhsa_system_sgpr_workgroup_id_y 0
		.amdhsa_system_sgpr_workgroup_id_z 1
		.amdhsa_system_sgpr_workgroup_info 0
		.amdhsa_system_vgpr_workitem_id 1
		.amdhsa_next_free_vgpr 62
		.amdhsa_next_free_sgpr 30
		.amdhsa_reserve_vcc 1
		.amdhsa_reserve_flat_scratch 0
		.amdhsa_float_round_mode_32 0
		.amdhsa_float_round_mode_16_64 0
		.amdhsa_float_denorm_mode_32 3
		.amdhsa_float_denorm_mode_16_64 3
		.amdhsa_dx10_clamp 1
		.amdhsa_ieee_mode 1
		.amdhsa_fp16_overflow 0
		.amdhsa_workgroup_processor_mode 1
		.amdhsa_memory_ordered 1
		.amdhsa_forward_progress 1
		.amdhsa_shared_vgpr_count 0
		.amdhsa_exception_fp_ieee_invalid_op 0
		.amdhsa_exception_fp_denorm_src 0
		.amdhsa_exception_fp_ieee_div_zero 0
		.amdhsa_exception_fp_ieee_overflow 0
		.amdhsa_exception_fp_ieee_underflow 0
		.amdhsa_exception_fp_ieee_inexact 0
		.amdhsa_exception_int_div_zero 0
	.end_amdhsa_kernel
	.section	.text._ZL20rocblas_gemvn_kernelILi64ELi4EidddEviiT3_lPKT2_lT1_lS3_lS4_lS0_lPT4_lS4_li,"axG",@progbits,_ZL20rocblas_gemvn_kernelILi64ELi4EidddEviiT3_lPKT2_lT1_lS3_lS4_lS0_lPT4_lS4_li,comdat
.Lfunc_end54:
	.size	_ZL20rocblas_gemvn_kernelILi64ELi4EidddEviiT3_lPKT2_lT1_lS3_lS4_lS0_lPT4_lS4_li, .Lfunc_end54-_ZL20rocblas_gemvn_kernelILi64ELi4EidddEviiT3_lPKT2_lT1_lS3_lS4_lS0_lPT4_lS4_li
                                        ; -- End function
	.set _ZL20rocblas_gemvn_kernelILi64ELi4EidddEviiT3_lPKT2_lT1_lS3_lS4_lS0_lPT4_lS4_li.num_vgpr, 62
	.set _ZL20rocblas_gemvn_kernelILi64ELi4EidddEviiT3_lPKT2_lT1_lS3_lS4_lS0_lPT4_lS4_li.num_agpr, 0
	.set _ZL20rocblas_gemvn_kernelILi64ELi4EidddEviiT3_lPKT2_lT1_lS3_lS4_lS0_lPT4_lS4_li.numbered_sgpr, 30
	.set _ZL20rocblas_gemvn_kernelILi64ELi4EidddEviiT3_lPKT2_lT1_lS3_lS4_lS0_lPT4_lS4_li.num_named_barrier, 0
	.set _ZL20rocblas_gemvn_kernelILi64ELi4EidddEviiT3_lPKT2_lT1_lS3_lS4_lS0_lPT4_lS4_li.private_seg_size, 0
	.set _ZL20rocblas_gemvn_kernelILi64ELi4EidddEviiT3_lPKT2_lT1_lS3_lS4_lS0_lPT4_lS4_li.uses_vcc, 1
	.set _ZL20rocblas_gemvn_kernelILi64ELi4EidddEviiT3_lPKT2_lT1_lS3_lS4_lS0_lPT4_lS4_li.uses_flat_scratch, 0
	.set _ZL20rocblas_gemvn_kernelILi64ELi4EidddEviiT3_lPKT2_lT1_lS3_lS4_lS0_lPT4_lS4_li.has_dyn_sized_stack, 0
	.set _ZL20rocblas_gemvn_kernelILi64ELi4EidddEviiT3_lPKT2_lT1_lS3_lS4_lS0_lPT4_lS4_li.has_recursion, 0
	.set _ZL20rocblas_gemvn_kernelILi64ELi4EidddEviiT3_lPKT2_lT1_lS3_lS4_lS0_lPT4_lS4_li.has_indirect_call, 0
	.section	.AMDGPU.csdata,"",@progbits
; Kernel info:
; codeLenInByte = 2820
; TotalNumSgprs: 32
; NumVgprs: 62
; ScratchSize: 0
; MemoryBound: 0
; FloatMode: 240
; IeeeMode: 1
; LDSByteSize: 8192 bytes/workgroup (compile time only)
; SGPRBlocks: 0
; VGPRBlocks: 7
; NumSGPRsForWavesPerEU: 32
; NumVGPRsForWavesPerEU: 62
; Occupancy: 16
; WaveLimiterHint : 1
; COMPUTE_PGM_RSRC2:SCRATCH_EN: 0
; COMPUTE_PGM_RSRC2:USER_SGPR: 6
; COMPUTE_PGM_RSRC2:TRAP_HANDLER: 0
; COMPUTE_PGM_RSRC2:TGID_X_EN: 1
; COMPUTE_PGM_RSRC2:TGID_Y_EN: 0
; COMPUTE_PGM_RSRC2:TGID_Z_EN: 1
; COMPUTE_PGM_RSRC2:TIDIG_COMP_CNT: 1
	.section	.text._ZL20rocblas_gemvn_kernelILi64ELi4EldddEviiT3_lPKT2_lT1_lS3_lS4_lS0_lPT4_lS4_li,"axG",@progbits,_ZL20rocblas_gemvn_kernelILi64ELi4EldddEviiT3_lPKT2_lT1_lS3_lS4_lS0_lPT4_lS4_li,comdat
	.globl	_ZL20rocblas_gemvn_kernelILi64ELi4EldddEviiT3_lPKT2_lT1_lS3_lS4_lS0_lPT4_lS4_li ; -- Begin function _ZL20rocblas_gemvn_kernelILi64ELi4EldddEviiT3_lPKT2_lT1_lS3_lS4_lS0_lPT4_lS4_li
	.p2align	8
	.type	_ZL20rocblas_gemvn_kernelILi64ELi4EldddEviiT3_lPKT2_lT1_lS3_lS4_lS0_lPT4_lS4_li,@function
_ZL20rocblas_gemvn_kernelILi64ELi4EldddEviiT3_lPKT2_lT1_lS3_lS4_lS0_lPT4_lS4_li: ; @_ZL20rocblas_gemvn_kernelILi64ELi4EldddEviiT3_lPKT2_lT1_lS3_lS4_lS0_lPT4_lS4_li
; %bb.0:
	s_load_dwordx2 s[0:1], s[4:5], 0x9c
	s_waitcnt lgkmcnt(0)
	s_lshr_b32 s2, s0, 16
	s_and_b32 s0, s0, 0xffff
	s_and_b32 s1, s1, 0xffff
	s_mul_i32 s0, s2, s0
	s_mul_i32 s0, s0, s1
	s_cmpk_lg_i32 s0, 0x100
	s_cbranch_scc1 .LBB55_50
; %bb.1:
	s_clause 0x1
	s_load_dwordx2 s[30:31], s[4:5], 0x8
	s_load_dwordx2 s[28:29], s[4:5], 0x58
	s_waitcnt lgkmcnt(0)
	v_cmp_eq_f64_e64 s0, s[30:31], 0
	v_cmp_eq_f64_e64 s1, s[28:29], 1.0
	s_and_b32 s0, s0, s1
	s_and_b32 vcc_lo, exec_lo, s0
	s_cbranch_vccnz .LBB55_50
; %bb.2:
	s_load_dwordx8 s[20:27], s[4:5], 0x68
	v_cmp_neq_f64_e64 s2, s[30:31], 0
	s_load_dwordx2 s[34:35], s[4:5], 0x0
	v_lshlrev_b32_e32 v55, 6, v1
	s_mov_b32 s39, 0
	v_add_nc_u32_e32 v54, v55, v0
	s_waitcnt lgkmcnt(0)
	s_mul_i32 s1, s27, s7
	s_mul_hi_u32 s3, s26, s7
	s_mul_i32 s0, s26, s7
	s_add_i32 s1, s3, s1
	s_lshl_b64 s[0:1], s[0:1], 3
	s_add_u32 s3, s20, s0
	s_addc_u32 s8, s21, s1
	s_lshl_b64 s[0:1], s[22:23], 3
	s_add_u32 s33, s3, s0
	v_cmp_gt_u32_e64 s0, 0x100, v54
	s_addc_u32 s38, s8, s1
	s_and_b32 vcc_lo, exec_lo, s2
	s_cbranch_vccnz .LBB55_9
; %bb.3:
	s_mov_b32 s1, 0
                                        ; implicit-def: $vgpr2_vgpr3
                                        ; implicit-def: $vgpr4_vgpr5
	s_and_saveexec_b32 s2, s0
	s_cbranch_execz .LBB55_10
; %bb.4:
	v_lshl_or_b32 v6, s6, 8, v54
	v_mov_b32_e32 v7, 0
	s_ashr_i32 s9, s34, 31
	s_mov_b32 s8, s34
	s_mov_b32 s3, 0
	s_mov_b32 s0, exec_lo
                                        ; implicit-def: $vgpr2_vgpr3
                                        ; implicit-def: $vgpr4_vgpr5
	v_cmpx_gt_i64_e64 s[8:9], v[6:7]
	s_cbranch_execz .LBB55_8
; %bb.5:
	v_cmp_eq_f64_e64 s3, s[28:29], 0
	v_mad_u64_u32 v[4:5], null, s24, v6, 0
	v_mov_b32_e32 v2, v5
	v_mad_u64_u32 v[5:6], null, s25, v6, v[2:3]
	v_mov_b32_e32 v2, 0
	v_mov_b32_e32 v3, 0
	s_and_b32 vcc_lo, exec_lo, s3
	s_cbranch_vccnz .LBB55_7
; %bb.6:
	v_lshlrev_b64 v[2:3], 3, v[4:5]
	v_add_co_u32 v2, vcc_lo, s33, v2
	v_add_co_ci_u32_e64 v3, null, s38, v3, vcc_lo
	global_load_dwordx2 v[2:3], v[2:3], off
	s_waitcnt vmcnt(0)
	v_mul_f64 v[2:3], s[28:29], v[2:3]
.LBB55_7:
	s_mov_b32 s3, exec_lo
.LBB55_8:
	s_or_b32 exec_lo, exec_lo, s0
	s_and_b32 s39, s3, exec_lo
	s_or_b32 exec_lo, exec_lo, s2
	s_and_b32 vcc_lo, exec_lo, s1
	s_cbranch_vccnz .LBB55_11
	s_branch .LBB55_48
.LBB55_9:
                                        ; implicit-def: $vgpr2_vgpr3
                                        ; implicit-def: $vgpr4_vgpr5
	s_cbranch_execnz .LBB55_11
	s_branch .LBB55_48
.LBB55_10:
	s_or_b32 exec_lo, exec_lo, s2
	s_and_b32 vcc_lo, exec_lo, s1
	s_cbranch_vccz .LBB55_48
.LBB55_11:
	s_load_dwordx16 s[8:23], s[4:5], 0x18
	s_ashr_i32 s0, s35, 31
	s_lshl_b32 s5, s6, 8
	s_lshr_b32 s0, s0, 28
	v_mov_b32_e32 v10, 0
	v_mov_b32_e32 v8, 0
	;; [unrolled: 1-line block ×3, first 2 shown]
	s_add_i32 s0, s35, s0
	v_mov_b32_e32 v4, 0
	v_lshlrev_b32_e32 v56, 2, v1
	v_mov_b32_e32 v11, 0
	v_mov_b32_e32 v9, 0
	;; [unrolled: 1-line block ×4, first 2 shown]
	v_or_b32_e32 v2, s5, v0
	s_and_b32 s40, s0, -16
	s_mov_b32 s41, exec_lo
	s_waitcnt lgkmcnt(0)
	s_mul_i32 s0, s15, s7
	s_mul_hi_u32 s1, s14, s7
	s_mul_i32 s2, s23, s7
	s_mul_hi_u32 s3, s22, s7
	s_mul_i32 s14, s14, s7
	s_add_i32 s15, s1, s0
	s_add_i32 s23, s3, s2
	s_mul_i32 s22, s22, s7
	v_cmpx_gt_i32_e64 s40, v56
	s_cbranch_execz .LBB55_23
; %bb.12:
	v_lshlrev_b32_e32 v20, 2, v1
	v_mad_u64_u32 v[4:5], null, s20, v1, 0
	v_ashrrev_i32_e32 v3, 31, v2
	v_add_nc_u32_e32 v12, 64, v2
	v_or_b32_e32 v11, 3, v20
	v_add_nc_u32_e32 v13, 0x80, v2
	s_lshl_b64 s[0:1], s[22:23], 3
	s_lshl_b64 s[6:7], s[18:19], 3
	v_add_nc_u32_e32 v14, 0xc0, v2
	v_mad_u64_u32 v[6:7], null, s12, v11, 0
	s_add_u32 s4, s16, s0
	v_or_b32_e32 v21, 2, v20
	s_addc_u32 s44, s17, s1
	v_cmp_gt_i32_e64 s0, s34, v12
	v_cmp_gt_i32_e64 s1, s34, v13
	v_lshlrev_b64 v[12:13], 3, v[2:3]
	v_mad_u64_u32 v[8:9], null, s21, v1, v[5:6]
	v_mad_u64_u32 v[9:10], null, s20, v11, 0
	v_cmp_gt_i32_e64 s2, s34, v14
	s_lshl_b64 s[36:37], s[10:11], 3
	v_mad_u64_u32 v[14:15], null, s12, v21, 0
	v_mov_b32_e32 v5, v8
	v_mad_u64_u32 v[7:8], null, s13, v11, v[7:8]
	v_mov_b32_e32 v8, v10
	v_mad_u64_u32 v[16:17], null, s20, v21, 0
	v_lshlrev_b64 v[4:5], 5, v[4:5]
	s_lshl_b64 s[26:27], s[20:21], 7
	v_mad_u64_u32 v[10:11], null, s21, v11, v[8:9]
	s_lshl_b64 s[42:43], s[14:15], 3
	v_mad_u64_u32 v[18:19], null, s20, v20, s[20:21]
	v_add_co_u32 v3, s3, s4, v4
	v_add_co_ci_u32_e64 v57, null, s44, v5, s3
	v_lshlrev_b64 v[4:5], 3, v[6:7]
	v_mad_u64_u32 v[6:7], null, s12, v1, 0
	s_add_u32 s3, s8, s36
	s_addc_u32 s36, s9, s37
	s_add_u32 s37, s3, s42
	s_addc_u32 s36, s36, s43
	v_add_co_u32 v58, s3, s37, v4
	v_mad_u64_u32 v[7:8], null, s13, v1, v[7:8]
	v_add_co_ci_u32_e64 v59, null, s36, v5, s3
	v_mov_b32_e32 v4, v15
	v_lshlrev_b64 v[8:9], 3, v[9:10]
	v_mov_b32_e32 v5, v17
	s_mov_b32 s42, 0
	v_cmp_gt_i32_e32 vcc_lo, s34, v2
	v_mad_u64_u32 v[10:11], null, s13, v21, v[4:5]
	v_add_co_u32 v60, s3, s4, v8
	v_add_co_ci_u32_e64 v61, null, s44, v9, s3
	v_mad_u64_u32 v[8:9], null, s12, v20, s[12:13]
	v_mad_u64_u32 v[4:5], null, s21, v21, v[5:6]
	v_lshlrev_b64 v[5:6], 5, v[6:7]
	v_mov_b32_e32 v7, v19
	v_mov_b32_e32 v15, v10
	v_mad_u64_u32 v[10:11], null, s21, v20, v[7:8]
	v_add_co_u32 v62, s3, s37, v5
	v_add_co_ci_u32_e64 v63, null, s36, v6, s3
	v_lshlrev_b64 v[5:6], 3, v[14:15]
	v_mov_b32_e32 v17, v4
	v_mov_b32_e32 v4, v9
	;; [unrolled: 1-line block ×3, first 2 shown]
	v_lshlrev_b64 v[14:15], 3, v[16:17]
	v_mad_u64_u32 v[9:10], null, s13, v20, v[4:5]
	v_add_co_u32 v64, s3, s37, v5
	v_add_co_ci_u32_e64 v65, null, s36, v6, s3
	v_lshlrev_b64 v[4:5], 3, v[18:19]
	v_add_co_u32 v66, s3, s4, v14
	v_add_co_ci_u32_e64 v67, null, s44, v15, s3
	v_lshlrev_b64 v[14:15], 3, v[8:9]
	v_add_co_u32 v68, s3, s4, v4
	v_add_co_ci_u32_e64 v69, null, s44, v5, s3
	v_mov_b32_e32 v10, 0
	v_add_co_u32 v70, s3, s37, v14
	v_mov_b32_e32 v8, 0
	v_mov_b32_e32 v6, 0
	;; [unrolled: 1-line block ×7, first 2 shown]
	v_add_co_ci_u32_e64 v71, null, s36, v15, s3
	s_lshl_b64 s[36:37], s[12:13], 7
	s_branch .LBB55_17
.LBB55_13:                              ;   in Loop: Header=BB55_17 Depth=1
	s_or_b32 exec_lo, exec_lo, s44
	s_waitcnt vmcnt(3)
	v_fma_f64 v[6:7], v[14:15], v[46:47], v[6:7]
	s_waitcnt vmcnt(2)
	v_fma_f64 v[6:7], v[16:17], v[48:49], v[6:7]
	;; [unrolled: 2-line block ×4, first 2 shown]
.LBB55_14:                              ;   in Loop: Header=BB55_17 Depth=1
	s_or_b32 exec_lo, exec_lo, s43
	s_waitcnt vmcnt(3)
	v_fma_f64 v[8:9], v[14:15], v[36:37], v[8:9]
	s_waitcnt vmcnt(2)
	v_fma_f64 v[8:9], v[16:17], v[38:39], v[8:9]
	;; [unrolled: 2-line block ×4, first 2 shown]
.LBB55_15:                              ;   in Loop: Header=BB55_17 Depth=1
	s_or_b32 exec_lo, exec_lo, s3
	s_waitcnt vmcnt(3)
	v_fma_f64 v[10:11], v[14:15], v[22:23], v[10:11]
	s_waitcnt vmcnt(2)
	v_fma_f64 v[10:11], v[16:17], v[24:25], v[10:11]
	;; [unrolled: 2-line block ×4, first 2 shown]
.LBB55_16:                              ;   in Loop: Header=BB55_17 Depth=1
	s_or_b32 exec_lo, exec_lo, s4
	v_add_co_u32 v3, s3, v3, s26
	v_add_co_ci_u32_e64 v57, null, s27, v57, s3
	v_add_co_u32 v58, s3, v58, s36
	v_add_co_ci_u32_e64 v59, null, s37, v59, s3
	;; [unrolled: 2-line block ×4, first 2 shown]
	v_add_co_u32 v64, s3, v64, s36
	v_add_nc_u32_e32 v56, 16, v56
	v_add_co_ci_u32_e64 v65, null, s37, v65, s3
	v_add_co_u32 v66, s3, v66, s26
	v_add_co_ci_u32_e64 v67, null, s27, v67, s3
	v_add_co_u32 v68, s3, v68, s26
	v_add_co_ci_u32_e64 v69, null, s27, v69, s3
	v_cmp_le_i32_e64 s3, s40, v56
	v_add_co_u32 v70, s4, v70, s36
	v_add_co_ci_u32_e64 v71, null, s37, v71, s4
	s_or_b32 s42, s3, s42
	s_andn2_b32 exec_lo, exec_lo, s42
	s_cbranch_execz .LBB55_22
.LBB55_17:                              ; =>This Inner Loop Header: Depth=1
	s_and_saveexec_b32 s4, vcc_lo
	s_cbranch_execz .LBB55_16
; %bb.18:                               ;   in Loop: Header=BB55_17 Depth=1
	v_add_co_u32 v14, s3, v3, s6
	v_add_co_ci_u32_e64 v15, null, s7, v57, s3
	v_add_co_u32 v16, s3, v68, s6
	v_add_co_ci_u32_e64 v17, null, s7, v69, s3
	;; [unrolled: 2-line block ×8, first 2 shown]
	global_load_dwordx2 v[14:15], v[14:15], off
	global_load_dwordx2 v[16:17], v[16:17], off
	;; [unrolled: 1-line block ×8, first 2 shown]
	s_and_saveexec_b32 s3, s0
	s_cbranch_execz .LBB55_15
; %bb.19:                               ;   in Loop: Header=BB55_17 Depth=1
	global_load_dwordx2 v[36:37], v[30:31], off offset:512
	global_load_dwordx2 v[38:39], v[32:33], off offset:512
	global_load_dwordx2 v[40:41], v[34:35], off offset:512
	global_load_dwordx2 v[42:43], v[44:45], off offset:512
	s_and_saveexec_b32 s43, s1
	s_cbranch_execz .LBB55_14
; %bb.20:                               ;   in Loop: Header=BB55_17 Depth=1
	global_load_dwordx2 v[46:47], v[30:31], off offset:1024
	global_load_dwordx2 v[48:49], v[32:33], off offset:1024
	global_load_dwordx2 v[50:51], v[34:35], off offset:1024
	global_load_dwordx2 v[52:53], v[44:45], off offset:1024
	;; [unrolled: 7-line block ×3, first 2 shown]
	s_waitcnt vmcnt(3)
	v_fma_f64 v[4:5], v[14:15], v[30:31], v[4:5]
	s_waitcnt vmcnt(2)
	v_fma_f64 v[4:5], v[16:17], v[32:33], v[4:5]
	;; [unrolled: 2-line block ×4, first 2 shown]
	s_branch .LBB55_13
.LBB55_22:
	s_or_b32 exec_lo, exec_lo, s42
.LBB55_23:
	s_or_b32 exec_lo, exec_lo, s41
	s_sub_i32 s0, s35, s40
	s_cmp_lt_i32 s0, 1
	s_cbranch_scc1 .LBB55_41
; %bb.24:
	v_mov_b32_e32 v16, 0
	v_mov_b32_e32 v18, 0
	;; [unrolled: 1-line block ×4, first 2 shown]
	v_cmp_gt_i32_e32 vcc_lo, s35, v56
	v_mov_b32_e32 v17, 0
	v_mov_b32_e32 v19, 0
	v_mov_b32_e32 v15, 0
	v_mov_b32_e32 v13, 0
	v_or_b32_e32 v20, 1, v56
	s_and_saveexec_b32 s1, vcc_lo
	s_cbranch_execz .LBB55_32
; %bb.25:
	v_mad_u64_u32 v[12:13], null, s20, v56, 0
	s_lshl_b64 s[2:3], s[22:23], 3
	v_mov_b32_e32 v18, 0
	s_add_u32 s0, s16, s2
	s_addc_u32 s2, s17, s3
	s_lshl_b64 s[6:7], s[18:19], 3
	v_mov_b32_e32 v16, 0
	v_mov_b32_e32 v3, v13
	s_add_u32 s3, s0, s6
	s_addc_u32 s4, s2, s7
	v_mov_b32_e32 v19, 0
	v_mov_b32_e32 v17, 0
	v_mad_u64_u32 v[13:14], null, s21, v56, v[3:4]
	v_mov_b32_e32 v14, 0
	v_mov_b32_e32 v15, 0
	s_mov_b32 s2, exec_lo
	v_lshlrev_b64 v[12:13], 3, v[12:13]
	v_add_co_u32 v12, s0, s3, v12
	v_add_co_ci_u32_e64 v13, null, s4, v13, s0
	global_load_dwordx2 v[12:13], v[12:13], off
	v_cmpx_gt_i32_e64 s35, v20
	s_cbranch_execz .LBB55_31
; %bb.26:
	v_mad_u64_u32 v[14:15], null, s20, v20, 0
	v_mov_b32_e32 v18, 0
	v_mov_b32_e32 v19, 0
	s_mov_b32 s6, exec_lo
	v_mov_b32_e32 v3, v15
	v_mad_u64_u32 v[15:16], null, s21, v20, v[3:4]
	v_mov_b32_e32 v16, 0
	v_or_b32_e32 v3, 2, v56
	v_mov_b32_e32 v17, 0
	v_lshlrev_b64 v[14:15], 3, v[14:15]
	v_add_co_u32 v14, s0, s3, v14
	v_add_co_ci_u32_e64 v15, null, s4, v15, s0
	global_load_dwordx2 v[14:15], v[14:15], off
	v_cmpx_gt_i32_e64 s35, v3
	s_cbranch_execz .LBB55_30
; %bb.27:
	v_mad_u64_u32 v[16:17], null, s20, v3, 0
	s_mov_b32 s7, exec_lo
	v_mad_u64_u32 v[17:18], null, s21, v3, v[17:18]
	v_or_b32_e32 v3, 3, v56
	v_lshlrev_b64 v[16:17], 3, v[16:17]
	v_add_co_u32 v16, s0, s3, v16
	v_add_co_ci_u32_e64 v17, null, s4, v17, s0
	global_load_dwordx2 v[18:19], v[16:17], off
	v_mov_b32_e32 v16, 0
	v_mov_b32_e32 v17, 0
	v_cmpx_gt_i32_e64 s35, v3
	s_cbranch_execz .LBB55_29
; %bb.28:
	v_mad_u64_u32 v[16:17], null, s20, v3, 0
	s_waitcnt vmcnt(0)
	v_mad_u64_u32 v[21:22], null, s21, v3, v[17:18]
	v_mov_b32_e32 v17, v21
	v_lshlrev_b64 v[16:17], 3, v[16:17]
	v_add_co_u32 v16, s0, s3, v16
	v_add_co_ci_u32_e64 v17, null, s4, v17, s0
	global_load_dwordx2 v[16:17], v[16:17], off
.LBB55_29:
	s_or_b32 exec_lo, exec_lo, s7
.LBB55_30:
	s_or_b32 exec_lo, exec_lo, s6
.LBB55_31:
	s_or_b32 exec_lo, exec_lo, s2
.LBB55_32:
	s_or_b32 exec_lo, exec_lo, s1
	s_mov_b32 s1, exec_lo
	v_cmpx_gt_i32_e64 s34, v2
	s_cbranch_execz .LBB55_40
; %bb.33:
	v_mad_u64_u32 v[21:22], null, s12, v56, 0
	s_lshl_b64 s[2:3], s[14:15], 3
	v_or_b32_e32 v32, 2, v56
	s_add_u32 s0, s8, s2
	s_addc_u32 s4, s9, s3
	s_lshl_b64 s[2:3], s[10:11], 3
	v_or_b32_e32 v36, 3, v56
	v_mov_b32_e32 v3, v22
	v_cndmask_b32_e32 v21, 0, v21, vcc_lo
	s_add_u32 s2, s0, s2
	s_addc_u32 s3, s4, s3
	v_mad_u64_u32 v[26:27], null, s12, v32, 0
	v_mad_u64_u32 v[22:23], null, s13, v56, v[3:4]
	;; [unrolled: 1-line block ×3, first 2 shown]
	v_ashrrev_i32_e32 v3, 31, v2
	v_cndmask_b32_e32 v22, 0, v22, vcc_lo
	v_lshlrev_b64 v[28:29], 3, v[2:3]
	v_mad_u64_u32 v[24:25], null, s13, v20, v[24:25]
	v_cmp_gt_i32_e32 vcc_lo, s35, v20
	v_lshlrev_b64 v[21:22], 3, v[21:22]
	v_cndmask_b32_e32 v23, 0, v23, vcc_lo
	v_cndmask_b32_e32 v24, 0, v24, vcc_lo
	v_add_co_u32 v3, s0, s2, v21
	v_add_co_ci_u32_e64 v21, null, s3, v22, s0
	v_lshlrev_b64 v[22:23], 3, v[23:24]
	v_add_co_u32 v20, vcc_lo, v3, v28
	v_add_co_ci_u32_e64 v21, null, v21, v29, vcc_lo
	v_mov_b32_e32 v3, v27
	v_add_co_u32 v24, vcc_lo, s2, v22
	global_load_dwordx2 v[30:31], v[20:21], off
	v_add_co_ci_u32_e64 v25, null, s3, v23, vcc_lo
	v_mad_u64_u32 v[22:23], null, s13, v32, v[3:4]
	v_add_co_u32 v24, s0, v24, v28
	v_cmp_gt_i32_e32 vcc_lo, s35, v32
	v_add_co_ci_u32_e64 v25, null, v25, v29, s0
	v_cndmask_b32_e32 v26, 0, v26, vcc_lo
	v_cndmask_b32_e32 v27, 0, v22, vcc_lo
	v_mad_u64_u32 v[22:23], null, s12, v36, 0
	global_load_dwordx2 v[32:33], v[24:25], off
	v_lshlrev_b64 v[26:27], 3, v[26:27]
	v_mov_b32_e32 v3, v23
	v_add_co_u32 v23, vcc_lo, s2, v26
	v_add_co_ci_u32_e64 v27, null, s3, v27, vcc_lo
	v_mad_u64_u32 v[34:35], null, s13, v36, v[3:4]
	v_add_co_u32 v26, s0, v23, v28
	v_cmp_gt_i32_e32 vcc_lo, s35, v36
	v_add_co_ci_u32_e64 v27, null, v27, v29, s0
	s_mov_b32 s0, exec_lo
	v_cndmask_b32_e32 v22, 0, v22, vcc_lo
	v_cndmask_b32_e32 v23, 0, v34, vcc_lo
	global_load_dwordx2 v[34:35], v[26:27], off
	v_lshlrev_b64 v[22:23], 3, v[22:23]
	v_add_co_u32 v3, vcc_lo, s2, v22
	v_add_co_ci_u32_e64 v22, null, s3, v23, vcc_lo
	v_add_co_u32 v28, vcc_lo, v3, v28
	v_add_co_ci_u32_e64 v29, null, v22, v29, vcc_lo
	v_add_nc_u32_e32 v3, 64, v2
	global_load_dwordx2 v[22:23], v[28:29], off
	s_waitcnt vmcnt(3)
	v_fma_f64 v[10:11], v[12:13], v[30:31], v[10:11]
	s_waitcnt vmcnt(2)
	v_fma_f64 v[10:11], v[14:15], v[32:33], v[10:11]
	;; [unrolled: 2-line block ×3, first 2 shown]
	v_cmpx_gt_i32_e64 s34, v3
	s_cbranch_execz .LBB55_39
; %bb.34:
	s_clause 0x3
	global_load_dwordx2 v[32:33], v[20:21], off offset:512
	global_load_dwordx2 v[34:35], v[24:25], off offset:512
	;; [unrolled: 1-line block ×4, first 2 shown]
	v_add_nc_u32_e32 v3, 0x80, v2
	s_mov_b32 s2, exec_lo
	s_waitcnt vmcnt(3)
	v_fma_f64 v[8:9], v[12:13], v[32:33], v[8:9]
	s_waitcnt vmcnt(2)
	v_fma_f64 v[8:9], v[14:15], v[34:35], v[8:9]
	;; [unrolled: 2-line block ×3, first 2 shown]
	v_cmpx_gt_i32_e64 s34, v3
	s_cbranch_execz .LBB55_38
; %bb.35:
	s_clause 0x3
	global_load_dwordx2 v[34:35], v[20:21], off offset:1024
	global_load_dwordx2 v[36:37], v[24:25], off offset:1024
	;; [unrolled: 1-line block ×4, first 2 shown]
	v_add_nc_u32_e32 v2, 0xc0, v2
	s_mov_b32 s3, exec_lo
	s_waitcnt vmcnt(3)
	v_fma_f64 v[6:7], v[12:13], v[34:35], v[6:7]
	s_waitcnt vmcnt(2)
	v_fma_f64 v[6:7], v[14:15], v[36:37], v[6:7]
	;; [unrolled: 2-line block ×3, first 2 shown]
	v_cmpx_gt_i32_e64 s34, v2
	s_cbranch_execz .LBB55_37
; %bb.36:
	s_clause 0x3
	global_load_dwordx2 v[2:3], v[20:21], off offset:1536
	global_load_dwordx2 v[20:21], v[24:25], off offset:1536
	;; [unrolled: 1-line block ×4, first 2 shown]
	s_waitcnt vmcnt(3)
	v_fma_f64 v[2:3], v[12:13], v[2:3], v[4:5]
	s_waitcnt vmcnt(2)
	v_fma_f64 v[2:3], v[14:15], v[20:21], v[2:3]
	;; [unrolled: 2-line block ×4, first 2 shown]
.LBB55_37:
	s_or_b32 exec_lo, exec_lo, s3
	s_waitcnt vmcnt(0)
	v_fma_f64 v[6:7], v[16:17], v[32:33], v[6:7]
.LBB55_38:
	s_or_b32 exec_lo, exec_lo, s2
	s_waitcnt vmcnt(0)
	v_fma_f64 v[8:9], v[16:17], v[30:31], v[8:9]
.LBB55_39:
	s_or_b32 exec_lo, exec_lo, s0
	s_waitcnt vmcnt(0)
	v_fma_f64 v[10:11], v[16:17], v[22:23], v[10:11]
.LBB55_40:
	s_or_b32 exec_lo, exec_lo, s1
.LBB55_41:
	v_lshlrev_b32_e32 v0, 3, v0
	s_mov_b32 s0, exec_lo
                                        ; implicit-def: $vgpr2_vgpr3
	v_lshl_or_b32 v1, v1, 11, v0
	ds_write2st64_b64 v1, v[10:11], v[8:9] offset1:1
	ds_write2st64_b64 v1, v[6:7], v[4:5] offset0:2 offset1:3
	s_waitcnt vmcnt(0) lgkmcnt(0)
	s_barrier
	buffer_gl0_inv
                                        ; implicit-def: $vgpr4_vgpr5
	v_cmpx_gt_u32_e32 0x100, v54
	s_cbranch_execz .LBB55_47
; %bb.42:
	v_lshl_add_u32 v7, v55, 3, v0
	v_or_b32_e32 v6, s5, v54
	s_mov_b32 s2, s39
	s_mov_b32 s1, exec_lo
	ds_read2st64_b64 v[0:3], v7 offset1:4
	s_waitcnt lgkmcnt(0)
	v_add_f64 v[4:5], v[0:1], v[2:3]
	ds_read2st64_b64 v[0:3], v7 offset0:8 offset1:12
	s_waitcnt lgkmcnt(0)
	v_add_f64 v[0:1], v[0:1], v[4:5]
                                        ; implicit-def: $vgpr4_vgpr5
	v_add_f64 v[0:1], v[2:3], v[0:1]
                                        ; implicit-def: $vgpr2_vgpr3
	ds_write_b64 v7, v[0:1]
	v_cmpx_gt_i32_e64 s34, v6
	s_cbranch_execz .LBB55_46
; %bb.43:
	v_cmp_eq_f64_e64 s2, s[28:29], 0
	v_mul_f64 v[2:3], s[30:31], v[0:1]
	v_ashrrev_i32_e32 v0, 31, v6
	v_mul_lo_u32 v1, s25, v6
	v_mad_u64_u32 v[4:5], null, s24, v6, 0
	v_mul_lo_u32 v0, s24, v0
	v_add3_u32 v5, v5, v0, v1
	s_and_b32 vcc_lo, exec_lo, s2
	s_cbranch_vccnz .LBB55_45
; %bb.44:
	v_lshlrev_b64 v[0:1], 3, v[4:5]
	v_add_co_u32 v0, vcc_lo, s33, v0
	v_add_co_ci_u32_e64 v1, null, s38, v1, vcc_lo
	global_load_dwordx2 v[0:1], v[0:1], off
	s_waitcnt vmcnt(0)
	v_fma_f64 v[2:3], s[28:29], v[0:1], v[2:3]
.LBB55_45:
	s_or_b32 s2, s39, exec_lo
.LBB55_46:
	s_or_b32 exec_lo, exec_lo, s1
	s_andn2_b32 s1, s39, exec_lo
	s_and_b32 s2, s2, exec_lo
	s_or_b32 s39, s1, s2
.LBB55_47:
	s_or_b32 exec_lo, exec_lo, s0
.LBB55_48:
	s_and_saveexec_b32 s0, s39
	s_cbranch_execz .LBB55_50
; %bb.49:
	v_lshlrev_b64 v[0:1], 3, v[4:5]
	v_add_co_u32 v0, vcc_lo, s33, v0
	v_add_co_ci_u32_e64 v1, null, s38, v1, vcc_lo
	global_store_dwordx2 v[0:1], v[2:3], off
.LBB55_50:
	s_endpgm
	.section	.rodata,"a",@progbits
	.p2align	6, 0x0
	.amdhsa_kernel _ZL20rocblas_gemvn_kernelILi64ELi4EldddEviiT3_lPKT2_lT1_lS3_lS4_lS0_lPT4_lS4_li
		.amdhsa_group_segment_fixed_size 8192
		.amdhsa_private_segment_fixed_size 0
		.amdhsa_kernarg_size 400
		.amdhsa_user_sgpr_count 6
		.amdhsa_user_sgpr_private_segment_buffer 1
		.amdhsa_user_sgpr_dispatch_ptr 0
		.amdhsa_user_sgpr_queue_ptr 0
		.amdhsa_user_sgpr_kernarg_segment_ptr 1
		.amdhsa_user_sgpr_dispatch_id 0
		.amdhsa_user_sgpr_flat_scratch_init 0
		.amdhsa_user_sgpr_private_segment_size 0
		.amdhsa_wavefront_size32 1
		.amdhsa_uses_dynamic_stack 0
		.amdhsa_system_sgpr_private_segment_wavefront_offset 0
		.amdhsa_system_sgpr_workgroup_id_x 1
		.amdhsa_system_sgpr_workgroup_id_y 0
		.amdhsa_system_sgpr_workgroup_id_z 1
		.amdhsa_system_sgpr_workgroup_info 0
		.amdhsa_system_vgpr_workitem_id 1
		.amdhsa_next_free_vgpr 72
		.amdhsa_next_free_sgpr 45
		.amdhsa_reserve_vcc 1
		.amdhsa_reserve_flat_scratch 0
		.amdhsa_float_round_mode_32 0
		.amdhsa_float_round_mode_16_64 0
		.amdhsa_float_denorm_mode_32 3
		.amdhsa_float_denorm_mode_16_64 3
		.amdhsa_dx10_clamp 1
		.amdhsa_ieee_mode 1
		.amdhsa_fp16_overflow 0
		.amdhsa_workgroup_processor_mode 1
		.amdhsa_memory_ordered 1
		.amdhsa_forward_progress 1
		.amdhsa_shared_vgpr_count 0
		.amdhsa_exception_fp_ieee_invalid_op 0
		.amdhsa_exception_fp_denorm_src 0
		.amdhsa_exception_fp_ieee_div_zero 0
		.amdhsa_exception_fp_ieee_overflow 0
		.amdhsa_exception_fp_ieee_underflow 0
		.amdhsa_exception_fp_ieee_inexact 0
		.amdhsa_exception_int_div_zero 0
	.end_amdhsa_kernel
	.section	.text._ZL20rocblas_gemvn_kernelILi64ELi4EldddEviiT3_lPKT2_lT1_lS3_lS4_lS0_lPT4_lS4_li,"axG",@progbits,_ZL20rocblas_gemvn_kernelILi64ELi4EldddEviiT3_lPKT2_lT1_lS3_lS4_lS0_lPT4_lS4_li,comdat
.Lfunc_end55:
	.size	_ZL20rocblas_gemvn_kernelILi64ELi4EldddEviiT3_lPKT2_lT1_lS3_lS4_lS0_lPT4_lS4_li, .Lfunc_end55-_ZL20rocblas_gemvn_kernelILi64ELi4EldddEviiT3_lPKT2_lT1_lS3_lS4_lS0_lPT4_lS4_li
                                        ; -- End function
	.set _ZL20rocblas_gemvn_kernelILi64ELi4EldddEviiT3_lPKT2_lT1_lS3_lS4_lS0_lPT4_lS4_li.num_vgpr, 72
	.set _ZL20rocblas_gemvn_kernelILi64ELi4EldddEviiT3_lPKT2_lT1_lS3_lS4_lS0_lPT4_lS4_li.num_agpr, 0
	.set _ZL20rocblas_gemvn_kernelILi64ELi4EldddEviiT3_lPKT2_lT1_lS3_lS4_lS0_lPT4_lS4_li.numbered_sgpr, 45
	.set _ZL20rocblas_gemvn_kernelILi64ELi4EldddEviiT3_lPKT2_lT1_lS3_lS4_lS0_lPT4_lS4_li.num_named_barrier, 0
	.set _ZL20rocblas_gemvn_kernelILi64ELi4EldddEviiT3_lPKT2_lT1_lS3_lS4_lS0_lPT4_lS4_li.private_seg_size, 0
	.set _ZL20rocblas_gemvn_kernelILi64ELi4EldddEviiT3_lPKT2_lT1_lS3_lS4_lS0_lPT4_lS4_li.uses_vcc, 1
	.set _ZL20rocblas_gemvn_kernelILi64ELi4EldddEviiT3_lPKT2_lT1_lS3_lS4_lS0_lPT4_lS4_li.uses_flat_scratch, 0
	.set _ZL20rocblas_gemvn_kernelILi64ELi4EldddEviiT3_lPKT2_lT1_lS3_lS4_lS0_lPT4_lS4_li.has_dyn_sized_stack, 0
	.set _ZL20rocblas_gemvn_kernelILi64ELi4EldddEviiT3_lPKT2_lT1_lS3_lS4_lS0_lPT4_lS4_li.has_recursion, 0
	.set _ZL20rocblas_gemvn_kernelILi64ELi4EldddEviiT3_lPKT2_lT1_lS3_lS4_lS0_lPT4_lS4_li.has_indirect_call, 0
	.section	.AMDGPU.csdata,"",@progbits
; Kernel info:
; codeLenInByte = 3204
; TotalNumSgprs: 47
; NumVgprs: 72
; ScratchSize: 0
; MemoryBound: 1
; FloatMode: 240
; IeeeMode: 1
; LDSByteSize: 8192 bytes/workgroup (compile time only)
; SGPRBlocks: 0
; VGPRBlocks: 8
; NumSGPRsForWavesPerEU: 47
; NumVGPRsForWavesPerEU: 72
; Occupancy: 12
; WaveLimiterHint : 1
; COMPUTE_PGM_RSRC2:SCRATCH_EN: 0
; COMPUTE_PGM_RSRC2:USER_SGPR: 6
; COMPUTE_PGM_RSRC2:TRAP_HANDLER: 0
; COMPUTE_PGM_RSRC2:TGID_X_EN: 1
; COMPUTE_PGM_RSRC2:TGID_Y_EN: 0
; COMPUTE_PGM_RSRC2:TGID_Z_EN: 1
; COMPUTE_PGM_RSRC2:TIDIG_COMP_CNT: 1
	.section	.text._ZL24rocblas_gemv_scal_kernelILi256EPKdPdEviT0_lT1_lili,"axG",@progbits,_ZL24rocblas_gemv_scal_kernelILi256EPKdPdEviT0_lT1_lili,comdat
	.globl	_ZL24rocblas_gemv_scal_kernelILi256EPKdPdEviT0_lT1_lili ; -- Begin function _ZL24rocblas_gemv_scal_kernelILi256EPKdPdEviT0_lT1_lili
	.p2align	8
	.type	_ZL24rocblas_gemv_scal_kernelILi256EPKdPdEviT0_lT1_lili,@function
_ZL24rocblas_gemv_scal_kernelILi256EPKdPdEviT0_lT1_lili: ; @_ZL24rocblas_gemv_scal_kernelILi256EPKdPdEviT0_lT1_lili
; %bb.0:
	s_load_dwordx8 s[8:15], s[4:5], 0x8
	s_waitcnt lgkmcnt(0)
	s_mul_i32 s0, s11, s7
	s_mul_hi_u32 s1, s10, s7
	s_add_i32 s1, s1, s0
	s_mul_i32 s0, s10, s7
	s_lshl_b64 s[0:1], s[0:1], 3
	s_add_u32 s0, s8, s0
	s_addc_u32 s1, s9, s1
	s_load_dwordx2 s[0:1], s[0:1], 0x0
	s_waitcnt lgkmcnt(0)
	v_cmp_eq_f64_e64 s2, s[0:1], 1.0
	s_and_b32 vcc_lo, exec_lo, s2
	s_cbranch_vccnz .LBB56_5
; %bb.1:
	s_clause 0x1
	s_load_dword s3, s[4:5], 0x4c
	s_load_dword s2, s[4:5], 0x0
	s_waitcnt lgkmcnt(0)
	s_and_b32 s3, s3, 0xffff
	v_mad_u64_u32 v[0:1], null, s6, s3, v[0:1]
	v_mov_b32_e32 v1, 0
	s_ashr_i32 s3, s2, 31
	v_cmp_gt_i64_e32 vcc_lo, s[2:3], v[0:1]
	s_and_saveexec_b32 s2, vcc_lo
	s_cbranch_execz .LBB56_5
; %bb.2:
	s_clause 0x1
	s_load_dword s6, s[4:5], 0x28
	s_load_dwordx2 s[2:3], s[4:5], 0x30
	v_cmp_eq_f64_e64 s4, s[0:1], 0
	s_waitcnt lgkmcnt(0)
	v_mad_u64_u32 v[1:2], null, v0, s6, 0
	s_ashr_i32 s5, s6, 31
	s_mul_i32 s3, s3, s7
	v_mad_u64_u32 v[2:3], null, v0, s5, v[2:3]
	s_mul_hi_u32 s5, s2, s7
	s_mul_i32 s2, s2, s7
	s_add_i32 s3, s5, s3
	s_lshl_b64 s[2:3], s[2:3], 3
	s_add_u32 s5, s12, s2
	v_lshlrev_b64 v[2:3], 3, v[1:2]
	s_addc_u32 s6, s13, s3
	s_lshl_b64 s[2:3], s[14:15], 3
	v_mov_b32_e32 v0, 0
	s_add_u32 s2, s5, s2
	s_addc_u32 s3, s6, s3
	v_add_co_u32 v2, vcc_lo, s2, v2
	v_mov_b32_e32 v1, 0
	v_add_co_ci_u32_e64 v3, null, s3, v3, vcc_lo
	s_and_b32 vcc_lo, exec_lo, s4
	s_cbranch_vccnz .LBB56_4
; %bb.3:
	global_load_dwordx2 v[0:1], v[2:3], off
	s_waitcnt vmcnt(0)
	v_mul_f64 v[0:1], s[0:1], v[0:1]
.LBB56_4:
	global_store_dwordx2 v[2:3], v[0:1], off
.LBB56_5:
	s_endpgm
	.section	.rodata,"a",@progbits
	.p2align	6, 0x0
	.amdhsa_kernel _ZL24rocblas_gemv_scal_kernelILi256EPKdPdEviT0_lT1_lili
		.amdhsa_group_segment_fixed_size 0
		.amdhsa_private_segment_fixed_size 0
		.amdhsa_kernarg_size 320
		.amdhsa_user_sgpr_count 6
		.amdhsa_user_sgpr_private_segment_buffer 1
		.amdhsa_user_sgpr_dispatch_ptr 0
		.amdhsa_user_sgpr_queue_ptr 0
		.amdhsa_user_sgpr_kernarg_segment_ptr 1
		.amdhsa_user_sgpr_dispatch_id 0
		.amdhsa_user_sgpr_flat_scratch_init 0
		.amdhsa_user_sgpr_private_segment_size 0
		.amdhsa_wavefront_size32 1
		.amdhsa_uses_dynamic_stack 0
		.amdhsa_system_sgpr_private_segment_wavefront_offset 0
		.amdhsa_system_sgpr_workgroup_id_x 1
		.amdhsa_system_sgpr_workgroup_id_y 0
		.amdhsa_system_sgpr_workgroup_id_z 1
		.amdhsa_system_sgpr_workgroup_info 0
		.amdhsa_system_vgpr_workitem_id 0
		.amdhsa_next_free_vgpr 4
		.amdhsa_next_free_sgpr 16
		.amdhsa_reserve_vcc 1
		.amdhsa_reserve_flat_scratch 0
		.amdhsa_float_round_mode_32 0
		.amdhsa_float_round_mode_16_64 0
		.amdhsa_float_denorm_mode_32 3
		.amdhsa_float_denorm_mode_16_64 3
		.amdhsa_dx10_clamp 1
		.amdhsa_ieee_mode 1
		.amdhsa_fp16_overflow 0
		.amdhsa_workgroup_processor_mode 1
		.amdhsa_memory_ordered 1
		.amdhsa_forward_progress 1
		.amdhsa_shared_vgpr_count 0
		.amdhsa_exception_fp_ieee_invalid_op 0
		.amdhsa_exception_fp_denorm_src 0
		.amdhsa_exception_fp_ieee_div_zero 0
		.amdhsa_exception_fp_ieee_overflow 0
		.amdhsa_exception_fp_ieee_underflow 0
		.amdhsa_exception_fp_ieee_inexact 0
		.amdhsa_exception_int_div_zero 0
	.end_amdhsa_kernel
	.section	.text._ZL24rocblas_gemv_scal_kernelILi256EPKdPdEviT0_lT1_lili,"axG",@progbits,_ZL24rocblas_gemv_scal_kernelILi256EPKdPdEviT0_lT1_lili,comdat
.Lfunc_end56:
	.size	_ZL24rocblas_gemv_scal_kernelILi256EPKdPdEviT0_lT1_lili, .Lfunc_end56-_ZL24rocblas_gemv_scal_kernelILi256EPKdPdEviT0_lT1_lili
                                        ; -- End function
	.set _ZL24rocblas_gemv_scal_kernelILi256EPKdPdEviT0_lT1_lili.num_vgpr, 4
	.set _ZL24rocblas_gemv_scal_kernelILi256EPKdPdEviT0_lT1_lili.num_agpr, 0
	.set _ZL24rocblas_gemv_scal_kernelILi256EPKdPdEviT0_lT1_lili.numbered_sgpr, 16
	.set _ZL24rocblas_gemv_scal_kernelILi256EPKdPdEviT0_lT1_lili.num_named_barrier, 0
	.set _ZL24rocblas_gemv_scal_kernelILi256EPKdPdEviT0_lT1_lili.private_seg_size, 0
	.set _ZL24rocblas_gemv_scal_kernelILi256EPKdPdEviT0_lT1_lili.uses_vcc, 1
	.set _ZL24rocblas_gemv_scal_kernelILi256EPKdPdEviT0_lT1_lili.uses_flat_scratch, 0
	.set _ZL24rocblas_gemv_scal_kernelILi256EPKdPdEviT0_lT1_lili.has_dyn_sized_stack, 0
	.set _ZL24rocblas_gemv_scal_kernelILi256EPKdPdEviT0_lT1_lili.has_recursion, 0
	.set _ZL24rocblas_gemv_scal_kernelILi256EPKdPdEviT0_lT1_lili.has_indirect_call, 0
	.section	.AMDGPU.csdata,"",@progbits
; Kernel info:
; codeLenInByte = 292
; TotalNumSgprs: 18
; NumVgprs: 4
; ScratchSize: 0
; MemoryBound: 1
; FloatMode: 240
; IeeeMode: 1
; LDSByteSize: 0 bytes/workgroup (compile time only)
; SGPRBlocks: 0
; VGPRBlocks: 0
; NumSGPRsForWavesPerEU: 18
; NumVGPRsForWavesPerEU: 4
; Occupancy: 16
; WaveLimiterHint : 0
; COMPUTE_PGM_RSRC2:SCRATCH_EN: 0
; COMPUTE_PGM_RSRC2:USER_SGPR: 6
; COMPUTE_PGM_RSRC2:TRAP_HANDLER: 0
; COMPUTE_PGM_RSRC2:TGID_X_EN: 1
; COMPUTE_PGM_RSRC2:TGID_Y_EN: 0
; COMPUTE_PGM_RSRC2:TGID_Z_EN: 1
; COMPUTE_PGM_RSRC2:TIDIG_COMP_CNT: 0
	.section	.text._ZL24rocblas_gemv_scal_kernelILi256EdPdEviT0_lT1_lili,"axG",@progbits,_ZL24rocblas_gemv_scal_kernelILi256EdPdEviT0_lT1_lili,comdat
	.globl	_ZL24rocblas_gemv_scal_kernelILi256EdPdEviT0_lT1_lili ; -- Begin function _ZL24rocblas_gemv_scal_kernelILi256EdPdEviT0_lT1_lili
	.p2align	8
	.type	_ZL24rocblas_gemv_scal_kernelILi256EdPdEviT0_lT1_lili,@function
_ZL24rocblas_gemv_scal_kernelILi256EdPdEviT0_lT1_lili: ; @_ZL24rocblas_gemv_scal_kernelILi256EdPdEviT0_lT1_lili
; %bb.0:
	s_load_dwordx2 s[0:1], s[4:5], 0x8
	s_waitcnt lgkmcnt(0)
	v_cmp_eq_f64_e64 s2, s[0:1], 1.0
	s_and_b32 vcc_lo, exec_lo, s2
	s_cbranch_vccnz .LBB57_5
; %bb.1:
	s_clause 0x1
	s_load_dword s3, s[4:5], 0x4c
	s_load_dword s2, s[4:5], 0x0
	s_waitcnt lgkmcnt(0)
	s_and_b32 s3, s3, 0xffff
	v_mad_u64_u32 v[0:1], null, s6, s3, v[0:1]
	v_mov_b32_e32 v1, 0
	s_ashr_i32 s3, s2, 31
	v_cmp_gt_i64_e32 vcc_lo, s[2:3], v[0:1]
	s_and_saveexec_b32 s2, vcc_lo
	s_cbranch_execz .LBB57_5
; %bb.2:
	s_clause 0x2
	s_load_dword s6, s[4:5], 0x28
	s_load_dwordx2 s[2:3], s[4:5], 0x30
	s_load_dwordx4 s[8:11], s[4:5], 0x18
	v_cmp_eq_f64_e64 s4, s[0:1], 0
	s_waitcnt lgkmcnt(0)
	v_mad_u64_u32 v[1:2], null, v0, s6, 0
	s_ashr_i32 s5, s6, 31
	s_mul_i32 s3, s3, s7
	v_mad_u64_u32 v[2:3], null, v0, s5, v[2:3]
	s_mul_hi_u32 s5, s2, s7
	s_mul_i32 s2, s2, s7
	s_add_i32 s3, s5, s3
	s_lshl_b64 s[2:3], s[2:3], 3
	s_add_u32 s5, s8, s2
	v_lshlrev_b64 v[2:3], 3, v[1:2]
	s_addc_u32 s6, s9, s3
	s_lshl_b64 s[2:3], s[10:11], 3
	v_mov_b32_e32 v0, 0
	s_add_u32 s2, s5, s2
	s_addc_u32 s3, s6, s3
	v_add_co_u32 v2, vcc_lo, s2, v2
	v_mov_b32_e32 v1, 0
	v_add_co_ci_u32_e64 v3, null, s3, v3, vcc_lo
	s_and_b32 vcc_lo, exec_lo, s4
	s_cbranch_vccnz .LBB57_4
; %bb.3:
	global_load_dwordx2 v[0:1], v[2:3], off
	s_waitcnt vmcnt(0)
	v_mul_f64 v[0:1], s[0:1], v[0:1]
.LBB57_4:
	global_store_dwordx2 v[2:3], v[0:1], off
.LBB57_5:
	s_endpgm
	.section	.rodata,"a",@progbits
	.p2align	6, 0x0
	.amdhsa_kernel _ZL24rocblas_gemv_scal_kernelILi256EdPdEviT0_lT1_lili
		.amdhsa_group_segment_fixed_size 0
		.amdhsa_private_segment_fixed_size 0
		.amdhsa_kernarg_size 320
		.amdhsa_user_sgpr_count 6
		.amdhsa_user_sgpr_private_segment_buffer 1
		.amdhsa_user_sgpr_dispatch_ptr 0
		.amdhsa_user_sgpr_queue_ptr 0
		.amdhsa_user_sgpr_kernarg_segment_ptr 1
		.amdhsa_user_sgpr_dispatch_id 0
		.amdhsa_user_sgpr_flat_scratch_init 0
		.amdhsa_user_sgpr_private_segment_size 0
		.amdhsa_wavefront_size32 1
		.amdhsa_uses_dynamic_stack 0
		.amdhsa_system_sgpr_private_segment_wavefront_offset 0
		.amdhsa_system_sgpr_workgroup_id_x 1
		.amdhsa_system_sgpr_workgroup_id_y 0
		.amdhsa_system_sgpr_workgroup_id_z 1
		.amdhsa_system_sgpr_workgroup_info 0
		.amdhsa_system_vgpr_workitem_id 0
		.amdhsa_next_free_vgpr 4
		.amdhsa_next_free_sgpr 12
		.amdhsa_reserve_vcc 1
		.amdhsa_reserve_flat_scratch 0
		.amdhsa_float_round_mode_32 0
		.amdhsa_float_round_mode_16_64 0
		.amdhsa_float_denorm_mode_32 3
		.amdhsa_float_denorm_mode_16_64 3
		.amdhsa_dx10_clamp 1
		.amdhsa_ieee_mode 1
		.amdhsa_fp16_overflow 0
		.amdhsa_workgroup_processor_mode 1
		.amdhsa_memory_ordered 1
		.amdhsa_forward_progress 1
		.amdhsa_shared_vgpr_count 0
		.amdhsa_exception_fp_ieee_invalid_op 0
		.amdhsa_exception_fp_denorm_src 0
		.amdhsa_exception_fp_ieee_div_zero 0
		.amdhsa_exception_fp_ieee_overflow 0
		.amdhsa_exception_fp_ieee_underflow 0
		.amdhsa_exception_fp_ieee_inexact 0
		.amdhsa_exception_int_div_zero 0
	.end_amdhsa_kernel
	.section	.text._ZL24rocblas_gemv_scal_kernelILi256EdPdEviT0_lT1_lili,"axG",@progbits,_ZL24rocblas_gemv_scal_kernelILi256EdPdEviT0_lT1_lili,comdat
.Lfunc_end57:
	.size	_ZL24rocblas_gemv_scal_kernelILi256EdPdEviT0_lT1_lili, .Lfunc_end57-_ZL24rocblas_gemv_scal_kernelILi256EdPdEviT0_lT1_lili
                                        ; -- End function
	.set _ZL24rocblas_gemv_scal_kernelILi256EdPdEviT0_lT1_lili.num_vgpr, 4
	.set _ZL24rocblas_gemv_scal_kernelILi256EdPdEviT0_lT1_lili.num_agpr, 0
	.set _ZL24rocblas_gemv_scal_kernelILi256EdPdEviT0_lT1_lili.numbered_sgpr, 12
	.set _ZL24rocblas_gemv_scal_kernelILi256EdPdEviT0_lT1_lili.num_named_barrier, 0
	.set _ZL24rocblas_gemv_scal_kernelILi256EdPdEviT0_lT1_lili.private_seg_size, 0
	.set _ZL24rocblas_gemv_scal_kernelILi256EdPdEviT0_lT1_lili.uses_vcc, 1
	.set _ZL24rocblas_gemv_scal_kernelILi256EdPdEviT0_lT1_lili.uses_flat_scratch, 0
	.set _ZL24rocblas_gemv_scal_kernelILi256EdPdEviT0_lT1_lili.has_dyn_sized_stack, 0
	.set _ZL24rocblas_gemv_scal_kernelILi256EdPdEviT0_lT1_lili.has_recursion, 0
	.set _ZL24rocblas_gemv_scal_kernelILi256EdPdEviT0_lT1_lili.has_indirect_call, 0
	.section	.AMDGPU.csdata,"",@progbits
; Kernel info:
; codeLenInByte = 260
; TotalNumSgprs: 14
; NumVgprs: 4
; ScratchSize: 0
; MemoryBound: 1
; FloatMode: 240
; IeeeMode: 1
; LDSByteSize: 0 bytes/workgroup (compile time only)
; SGPRBlocks: 0
; VGPRBlocks: 0
; NumSGPRsForWavesPerEU: 14
; NumVGPRsForWavesPerEU: 4
; Occupancy: 16
; WaveLimiterHint : 0
; COMPUTE_PGM_RSRC2:SCRATCH_EN: 0
; COMPUTE_PGM_RSRC2:USER_SGPR: 6
; COMPUTE_PGM_RSRC2:TRAP_HANDLER: 0
; COMPUTE_PGM_RSRC2:TGID_X_EN: 1
; COMPUTE_PGM_RSRC2:TGID_Y_EN: 0
; COMPUTE_PGM_RSRC2:TGID_Z_EN: 1
; COMPUTE_PGM_RSRC2:TIDIG_COMP_CNT: 0
	.section	.text._ZL36rocblas_gemvn_double_buffered_kernelILi128ELi4ELi16EdPKddEviiT3_lPKT2_lilS5_lilPT4_lili,"axG",@progbits,_ZL36rocblas_gemvn_double_buffered_kernelILi128ELi4ELi16EdPKddEviiT3_lPKT2_lilS5_lilPT4_lili,comdat
	.globl	_ZL36rocblas_gemvn_double_buffered_kernelILi128ELi4ELi16EdPKddEviiT3_lPKT2_lilS5_lilPT4_lili ; -- Begin function _ZL36rocblas_gemvn_double_buffered_kernelILi128ELi4ELi16EdPKddEviiT3_lPKT2_lilS5_lilPT4_lili
	.p2align	8
	.type	_ZL36rocblas_gemvn_double_buffered_kernelILi128ELi4ELi16EdPKddEviiT3_lPKT2_lilS5_lilPT4_lili,@function
_ZL36rocblas_gemvn_double_buffered_kernelILi128ELi4ELi16EdPKddEviiT3_lPKT2_lilS5_lilPT4_lili: ; @_ZL36rocblas_gemvn_double_buffered_kernelILi128ELi4ELi16EdPKddEviiT3_lPKT2_lilS5_lilPT4_lili
; %bb.0:
	s_load_dwordx8 s[12:19], s[4:5], 0x8
	s_waitcnt lgkmcnt(0)
	s_mul_i32 s0, s15, s8
	s_mul_hi_u32 s1, s14, s8
	s_add_i32 s1, s1, s0
	s_mul_i32 s0, s14, s8
	s_lshl_b64 s[0:1], s[0:1], 3
	s_add_u32 s0, s12, s0
	s_addc_u32 s1, s13, s1
	s_load_dwordx2 s[10:11], s[0:1], 0x0
	s_waitcnt lgkmcnt(0)
	v_cmp_eq_f64_e64 s0, s[10:11], 0
	s_and_b32 vcc_lo, exec_lo, s0
	s_cbranch_vccnz .LBB58_12
; %bb.1:
	s_clause 0x1
	s_load_dword s0, s[4:5], 0x84
	s_load_dword s1, s[4:5], 0x4
	s_waitcnt lgkmcnt(0)
	v_cvt_f32_u32_e32 v2, s0
	s_ashr_i32 s3, s1, 31
	s_sub_i32 s9, 0, s0
	s_lshr_b32 s3, s3, 25
	s_add_i32 s1, s1, s3
	v_rcp_iflag_f32_e32 v2, v2
	s_ashr_i32 s1, s1, 7
	v_mul_f32_e32 v2, 0x4f7ffffe, v2
	v_cvt_u32_f32_e32 v2, v2
	v_readfirstlane_b32 s2, v2
	s_mul_i32 s9, s9, s2
	s_mul_hi_u32 s3, s2, s9
	s_add_i32 s2, s2, s3
	s_mul_hi_u32 s2, s1, s2
	s_mul_i32 s3, s2, s0
	s_add_i32 s9, s2, 1
	s_sub_i32 s3, s1, s3
	s_sub_i32 s12, s3, s0
	s_cmp_ge_u32 s3, s0
	s_cselect_b32 s2, s9, s2
	s_cselect_b32 s3, s12, s3
	s_add_i32 s9, s2, 1
	s_cmp_ge_u32 s3, s0
	s_cselect_b32 s12, s9, s2
	s_mul_i32 s0, s12, s0
	s_sub_i32 s13, s1, s0
	s_cmp_lt_u32 s7, s13
	s_cselect_b32 s0, -1, 0
	s_cmp_lg_u32 s0, 0
	s_addc_u32 s9, s12, 0
	s_cmp_eq_u32 s9, 0
	s_cbranch_scc1 .LBB58_12
; %bb.2:
	s_clause 0x1
	s_load_dwordx4 s[0:3], s[4:5], 0x50
	s_load_dwordx2 s[20:21], s[4:5], 0x60
	v_lshl_add_u32 v34, v1, 7, v0
	v_and_b32_e32 v2, 63, v0
	s_lshl_b32 s22, s6, 7
	s_ashr_i32 s23, s22, 31
	v_lshrrev_b32_e32 v168, 6, v34
	v_lshlrev_b32_e32 v169, 3, v2
	s_cmp_lt_i32 s9, 1
	s_cbranch_scc1 .LBB58_8
; %bb.3:
	v_cvt_f64_i32_e32 v[3:4], s7
	v_cvt_f64_u32_e32 v[5:6], s13
	s_mul_i32 s12, s12, s7
	v_lshlrev_b32_e32 v34, 1, v34
	v_cvt_f64_u32_e32 v[7:8], s12
	s_clause 0x3
	s_load_dwordx4 s[12:15], s[4:5], 0x30
	s_load_dword s26, s[4:5], 0x28
	s_load_dword s24, s[4:5], 0x48
	s_load_dwordx2 s[28:29], s[4:5], 0x40
	s_waitcnt lgkmcnt(0)
	s_mul_hi_u32 s39, s0, s8
	v_and_b32_e32 v34, 0x3ff80, v34
	s_mul_i32 s38, s0, s8
	s_mul_i32 s33, s1, s8
	v_mov_b32_e32 v66, 0
	v_mov_b32_e32 v102, 0
	;; [unrolled: 1-line block ×4, first 2 shown]
	s_mul_i32 s7, s13, s8
	v_min_f64 v[3:4], v[3:4], v[5:6]
	s_mul_hi_u32 s13, s12, s8
	v_lshlrev_b32_e32 v5, 4, v168
	s_mul_i32 s6, s12, s8
	s_add_i32 s7, s13, s7
	s_ashr_i32 s27, s26, 31
	s_lshl_b64 s[30:31], s[6:7], 3
	s_ashr_i32 s25, s24, 31
	s_add_u32 s6, s16, s30
	s_addc_u32 s7, s17, s31
	s_lshl_b64 s[18:19], s[18:19], 3
	s_add_u32 s6, s6, s18
	s_addc_u32 s7, s7, s19
	s_lshl_b64 s[34:35], s[22:23], 3
	s_add_u32 s13, s6, s34
	s_addc_u32 s23, s7, s35
	v_add_f64 v[3:4], v[3:4], v[7:8]
	v_cvt_i32_f64_e32 v4, v[3:4]
	v_mov_b32_e32 v3, 0
	v_mad_i64_i32 v[2:3], null, s26, v5, v[2:3]
	v_lshlrev_b64 v[2:3], 3, v[2:3]
	v_readfirstlane_b32 s12, v4
	s_lshl_b32 s36, s12, 7
	s_mul_hi_i32 s7, s36, s26
	s_mul_i32 s6, s36, s26
	s_ashr_i32 s37, s36, 31
	s_lshl_b64 s[6:7], s[6:7], 3
	s_add_u32 s6, s13, s6
	s_addc_u32 s7, s23, s7
	v_add_co_u32 v2, vcc_lo, s6, v2
	v_add_co_ci_u32_e64 v3, null, s7, v3, vcc_lo
	s_lshl_b64 s[6:7], s[26:27], 3
	s_lshl_b64 s[36:37], s[36:37], 3
	v_add_co_u32 v4, vcc_lo, v2, s6
	v_add_co_ci_u32_e64 v5, null, s7, v3, vcc_lo
	v_add_co_u32 v34, s36, v34, s36
	v_add_co_u32 v6, vcc_lo, v4, s6
	v_add_co_ci_u32_e64 v7, null, s7, v5, vcc_lo
	v_add_co_ci_u32_e64 v35, null, 0, s37, s36
	v_add_co_u32 v8, vcc_lo, v6, s6
	v_add_co_ci_u32_e64 v9, null, s7, v7, vcc_lo
	s_lshl_b32 s0, s24, 7
	v_add_co_u32 v10, vcc_lo, v8, s6
	v_add_co_ci_u32_e64 v11, null, s7, v9, vcc_lo
	s_clause 0x3
	global_load_dwordx2 v[2:3], v[2:3], off
	global_load_dwordx2 v[4:5], v[4:5], off
	;; [unrolled: 1-line block ×4, first 2 shown]
	v_add_co_u32 v12, vcc_lo, v10, s6
	v_add_co_ci_u32_e64 v13, null, s7, v11, vcc_lo
	s_lshl_b64 s[12:13], s[26:27], 10
	v_add_co_u32 v14, vcc_lo, v12, s6
	v_add_co_ci_u32_e64 v15, null, s7, v13, vcc_lo
	s_clause 0x1
	global_load_dwordx2 v[10:11], v[10:11], off
	global_load_dwordx2 v[12:13], v[12:13], off
	v_add_co_u32 v16, vcc_lo, v14, s6
	v_add_co_ci_u32_e64 v17, null, s7, v15, vcc_lo
	global_load_dwordx2 v[14:15], v[14:15], off
	v_add_co_u32 v18, vcc_lo, v16, s6
	v_add_co_ci_u32_e64 v19, null, s7, v17, vcc_lo
	;; [unrolled: 3-line block ×6, first 2 shown]
	s_add_i32 s23, s9, -1
	v_add_co_u32 v28, vcc_lo, v26, s6
	v_add_co_ci_u32_e64 v29, null, s7, v27, vcc_lo
	s_ashr_i32 s1, s0, 31
	v_add_co_u32 v30, vcc_lo, v28, s6
	v_add_co_ci_u32_e64 v31, null, s7, v29, vcc_lo
	s_add_u32 s16, s16, s34
	v_add_co_u32 v32, vcc_lo, v30, s6
	v_add_co_ci_u32_e64 v33, null, s7, v31, vcc_lo
	global_load_dwordx2 v[24:25], v[24:25], off
	global_load_dwordx2 v[26:27], v[26:27], off
	;; [unrolled: 1-line block ×5, first 2 shown]
	v_add_co_u32 v36, vcc_lo, 0x400, v34
	v_add_co_ci_u32_e64 v37, null, 0, v35, vcc_lo
	v_add_co_u32 v38, vcc_lo, 0x410, v34
	v_add_co_ci_u32_e64 v39, null, 0, v35, vcc_lo
	;; [unrolled: 2-line block ×12, first 2 shown]
	v_add_co_u32 v60, vcc_lo, 0x468, v34
	s_addc_u32 s17, s17, s35
	v_add_co_ci_u32_e64 v61, null, 0, v35, vcc_lo
	v_add_co_u32 v62, vcc_lo, 0x470, v34
	s_add_u32 s16, s16, s18
	s_addc_u32 s17, s17, s19
	v_add_co_ci_u32_e64 v63, null, 0, v35, vcc_lo
	v_add_co_u32 v64, vcc_lo, 0x478, v34
	s_add_u32 s16, s16, s30
	v_add_co_ci_u32_e64 v65, null, 0, v35, vcc_lo
	v_add_co_u32 v98, vcc_lo, 0x408, v34
	s_addc_u32 s17, s17, s31
	s_add_i32 s39, s39, s33
	s_lshl_b64 s[18:19], s[28:29], 3
	v_add_co_ci_u32_e64 v99, null, 0, v35, vcc_lo
	s_lshl_b64 s[28:29], s[38:39], 3
	v_mul_lo_u32 v107, v35, s24
	v_mul_lo_u32 v35, v35, s26
	;; [unrolled: 1-line block ×3, first 2 shown]
	v_mad_u64_u32 v[104:105], null, v34, s26, s[16:17]
	s_add_u32 s14, s14, s18
	s_addc_u32 s15, s15, s19
	s_add_u32 s14, s14, s28
	s_addc_u32 s15, s15, s29
	v_mad_u64_u32 v[68:69], null, v36, s26, s[16:17]
	v_mul_lo_u32 v36, v36, s27
	v_mul_lo_u32 v37, v37, s26
	v_mad_u64_u32 v[70:71], null, v38, s26, s[16:17]
	v_mul_lo_u32 v38, v38, s27
	v_mul_lo_u32 v39, v39, s26
	;; [unrolled: 3-line block ×11, first 2 shown]
	v_mul_lo_u32 v109, v58, s27
	v_mul_lo_u32 v59, v59, s26
	v_mad_u64_u32 v[90:91], null, v58, s26, s[16:17]
	v_mul_lo_u32 v58, v61, s26
	v_mul_lo_u32 v61, v60, s27
	v_mad_u64_u32 v[92:93], null, v60, s26, s[16:17]
	;; [unrolled: 3-line block ×5, first 2 shown]
	v_mul_lo_u32 v106, v34, s25
	v_mad_u64_u32 v[100:101], null, v34, s24, s[14:15]
	v_add3_u32 v105, v35, v105, v108
	v_add_co_u32 v170, vcc_lo, 0x200, v104
	v_add3_u32 v69, v37, v69, v36
	v_add3_u32 v71, v39, v71, v38
	;; [unrolled: 1-line block ×17, first 2 shown]
	v_add_co_ci_u32_e64 v171, null, 0, v105, vcc_lo
	s_lshl_b64 s[14:15], s[0:1], 3
	s_lshl_b64 s[16:17], s[24:25], 3
	s_mov_b32 s1, 0
	s_waitcnt vmcnt(0)
	v_mov_b32_e32 v65, v33
	v_mov_b32_e32 v64, v32
	;; [unrolled: 1-line block ×32, first 2 shown]
.LBB58_4:                               ; =>This Inner Loop Header: Depth=1
	v_add_co_u32 v104, vcc_lo, v170, v169
	v_add_co_ci_u32_e64 v105, null, 0, v171, vcc_lo
	s_cmp_eq_u32 s23, s1
	v_add_co_u32 v108, vcc_lo, v104, s6
	v_add_co_ci_u32_e64 v109, null, s7, v105, vcc_lo
	global_load_dwordx2 v[106:107], v[104:105], off
	v_add_co_u32 v110, vcc_lo, v108, s6
	v_add_co_ci_u32_e64 v111, null, s7, v109, vcc_lo
	global_load_dwordx2 v[108:109], v[108:109], off
	;; [unrolled: 3-line block ×3, first 2 shown]
	v_add_co_u32 v116, s0, v112, s6
	v_add_co_ci_u32_e64 v117, null, s7, v113, s0
	global_load_dwordx2 v[114:115], v[112:113], off
	v_add_co_u32 v104, s0, v116, s6
	v_add_co_ci_u32_e64 v105, null, s7, v117, s0
	global_load_dwordx2 v[118:119], v[116:117], off
	;; [unrolled: 3-line block ×3, first 2 shown]
	v_add_co_u32 v124, s0, v120, s6
	v_add_co_ci_u32_e64 v125, null, s7, v121, s0
	v_add_co_u32 v136, vcc_lo, v100, s16
	v_add_co_u32 v112, s0, v124, s6
	v_add_co_ci_u32_e64 v113, null, s7, v125, s0
	v_add_co_ci_u32_e64 v137, null, s17, v101, vcc_lo
	v_add_co_u32 v116, s0, v112, s6
	v_add_co_ci_u32_e64 v117, null, s7, v113, s0
	v_add_co_u32 v104, s0, v116, s6
	v_add_co_ci_u32_e64 v105, null, s7, v117, s0
	s_clause 0x3
	global_load_dwordx2 v[126:127], v[120:121], off
	global_load_dwordx2 v[124:125], v[124:125], off
	;; [unrolled: 1-line block ×5, first 2 shown]
	v_add_co_u32 v104, vcc_lo, v104, s6
	v_add_co_ci_u32_e64 v105, null, s7, v105, vcc_lo
	v_add_co_u32 v138, vcc_lo, v136, s16
	v_add_co_ci_u32_e64 v139, null, s17, v137, vcc_lo
	global_load_dwordx2 v[130:131], v[104:105], off
	v_add_co_u32 v140, vcc_lo, v138, s16
	v_add_co_ci_u32_e64 v141, null, s17, v139, vcc_lo
	v_add_co_u32 v104, vcc_lo, v104, s6
	v_add_co_ci_u32_e64 v105, null, s7, v105, vcc_lo
	v_add_co_u32 v144, vcc_lo, v140, s16
	v_add_co_ci_u32_e64 v145, null, s17, v141, vcc_lo
	global_load_dwordx2 v[134:135], v[104:105], off
	v_add_co_u32 v148, vcc_lo, v144, s16
	v_add_co_ci_u32_e64 v149, null, s17, v145, vcc_lo
	;; [unrolled: 7-line block ×5, first 2 shown]
	global_load_dwordx2 v[142:143], v[100:101], off
	v_add_co_u32 v174, vcc_lo, v172, s16
	v_add_co_ci_u32_e64 v175, null, s17, v173, vcc_lo
	s_clause 0x3
	global_load_dwordx2 v[154:155], v[136:137], off
	global_load_dwordx2 v[150:151], v[138:139], off
	;; [unrolled: 1-line block ×4, first 2 shown]
	v_add_co_u32 v136, vcc_lo, v174, s16
	v_add_co_ci_u32_e64 v137, null, s17, v175, vcc_lo
	s_clause 0x3
	global_load_dwordx2 v[158:159], v[148:149], off
	global_load_dwordx2 v[156:157], v[152:153], off
	;; [unrolled: 1-line block ×4, first 2 shown]
	v_add_co_u32 v138, vcc_lo, v136, s16
	v_add_co_ci_u32_e64 v139, null, s17, v137, vcc_lo
	s_clause 0x1
	global_load_dwordx2 v[162:163], v[164:165], off
	global_load_dwordx2 v[160:161], v[166:167], off
	v_add_co_u32 v176, vcc_lo, v138, s16
	v_add_co_ci_u32_e64 v177, null, s17, v139, vcc_lo
	global_load_dwordx2 v[166:167], v[172:173], off
	global_load_dwordx2 v[164:165], v[174:175], off
	;; [unrolled: 1-line block ×5, first 2 shown]
	s_cbranch_scc1 .LBB58_6
; %bb.5:                                ;   in Loop: Header=BB58_4 Depth=1
	v_add_co_u32 v34, vcc_lo, v68, v169
	v_add_co_ci_u32_e64 v35, null, 0, v69, vcc_lo
	v_add_co_u32 v36, vcc_lo, v98, v169
	v_add_co_ci_u32_e64 v37, null, 0, v99, vcc_lo
	;; [unrolled: 2-line block ×16, first 2 shown]
	global_load_dwordx2 v[34:35], v[34:35], off
	global_load_dwordx2 v[36:37], v[36:37], off
	;; [unrolled: 1-line block ×16, first 2 shown]
.LBB58_6:                               ;   in Loop: Header=BB58_4 Depth=1
	s_waitcnt vmcnt(15)
	v_fma_f64 v[2:3], v[2:3], v[142:143], v[102:103]
	v_fma_f64 v[66:67], v[106:107], v[142:143], v[66:67]
	v_add_co_u32 v170, vcc_lo, v170, s12
	v_add_co_ci_u32_e64 v171, null, s13, v171, vcc_lo
	v_add_co_u32 v68, vcc_lo, v68, s12
	v_add_co_ci_u32_e64 v69, null, s13, v69, vcc_lo
	v_add_co_u32 v70, vcc_lo, v70, s12
	v_add_co_ci_u32_e64 v71, null, s13, v71, vcc_lo
	v_add_co_u32 v72, vcc_lo, v72, s12
	v_add_co_ci_u32_e64 v73, null, s13, v73, vcc_lo
	v_add_co_u32 v74, vcc_lo, v74, s12
	v_add_co_ci_u32_e64 v75, null, s13, v75, vcc_lo
	s_waitcnt vmcnt(14)
	v_fma_f64 v[2:3], v[4:5], v[154:155], v[2:3]
	v_fma_f64 v[4:5], v[108:109], v[154:155], v[66:67]
	v_add_co_u32 v76, vcc_lo, v76, s12
	v_add_co_ci_u32_e64 v77, null, s13, v77, vcc_lo
	v_add_co_u32 v78, vcc_lo, v78, s12
	v_add_co_ci_u32_e64 v79, null, s13, v79, vcc_lo
	v_add_co_u32 v80, vcc_lo, v80, s12
	v_add_co_ci_u32_e64 v81, null, s13, v81, vcc_lo
	v_add_co_u32 v82, vcc_lo, v82, s12
	v_add_co_ci_u32_e64 v83, null, s13, v83, vcc_lo
	v_add_co_u32 v84, vcc_lo, v84, s12
	v_add_co_ci_u32_e64 v85, null, s13, v85, vcc_lo
	;; [unrolled: 13-line block ×3, first 2 shown]
	s_waitcnt vmcnt(12)
	v_fma_f64 v[2:3], v[8:9], v[146:147], v[2:3]
	v_fma_f64 v[4:5], v[114:115], v[146:147], v[4:5]
	v_add_co_u32 v96, vcc_lo, v96, s12
	v_add_co_ci_u32_e64 v97, null, s13, v97, vcc_lo
	v_add_co_u32 v98, vcc_lo, v98, s12
	v_add_co_ci_u32_e64 v99, null, s13, v99, vcc_lo
	;; [unrolled: 2-line block ×3, first 2 shown]
	s_add_i32 s1, s1, 1
	s_cmp_lt_i32 s1, s9
	s_waitcnt vmcnt(11)
	v_fma_f64 v[2:3], v[10:11], v[144:145], v[2:3]
	v_fma_f64 v[4:5], v[118:119], v[144:145], v[4:5]
	s_waitcnt vmcnt(10)
	v_fma_f64 v[2:3], v[12:13], v[158:159], v[2:3]
	v_fma_f64 v[4:5], v[122:123], v[158:159], v[4:5]
	;; [unrolled: 3-line block ×12, first 2 shown]
	s_cbranch_scc0 .LBB58_9
; %bb.7:                                ;   in Loop: Header=BB58_4 Depth=1
	v_mov_b32_e32 v2, v34
	v_mov_b32_e32 v3, v35
	;; [unrolled: 1-line block ×32, first 2 shown]
	s_branch .LBB58_4
.LBB58_8:
	v_mov_b32_e32 v66, 0
	v_mov_b32_e32 v102, 0
	;; [unrolled: 1-line block ×4, first 2 shown]
.LBB58_9:
	v_lshl_or_b32 v2, v168, 10, v169
	s_waitcnt lgkmcnt(0)
	s_mov_b32 s0, 0
	s_mov_b32 s1, exec_lo
	ds_write2st64_b64 v2, v[102:103], v[66:67] offset1:1
	s_waitcnt lgkmcnt(0)
	s_barrier
	buffer_gl0_inv
	v_cmpx_eq_u32_e32 0, v1
	s_cbranch_execz .LBB58_12
; %bb.10:
	s_clause 0x1
	s_load_dwordx2 s[6:7], s[4:5], 0x70
	s_load_dword s1, s[4:5], 0x68
	v_lshlrev_b32_e32 v10, 3, v0
	ds_read2st64_b64 v[6:9], v10 offset1:2
	s_waitcnt lgkmcnt(0)
	s_mul_i32 s5, s7, s8
	s_mul_hi_u32 s7, s6, s8
	v_mad_i64_i32 v[1:2], null, s1, v0, 0
	s_mul_i32 s4, s6, s8
	s_add_i32 s5, s7, s5
	s_mul_hi_i32 s7, s1, s22
	s_lshl_b64 s[4:5], s[4:5], 3
	s_mul_i32 s6, s1, s22
	s_add_u32 s1, s2, s4
	s_addc_u32 s4, s3, s5
	s_lshl_b64 s[2:3], s[20:21], 3
	v_lshlrev_b64 v[1:2], 3, v[1:2]
	s_add_u32 s1, s1, s2
	s_addc_u32 s4, s4, s3
	s_lshl_b64 s[2:3], s[6:7], 3
	s_add_u32 s1, s1, s2
	s_addc_u32 s2, s4, s3
	v_add_co_u32 v4, vcc_lo, s1, v1
	v_add_co_ci_u32_e64 v5, null, s2, v2, vcc_lo
	v_add_f64 v[0:1], v[6:7], 0
	global_load_dwordx2 v[2:3], v[4:5], off
	v_add_f64 v[0:1], v[0:1], v[8:9]
	ds_read2st64_b64 v[6:9], v10 offset0:4 offset1:6
	s_waitcnt lgkmcnt(0)
	v_add_f64 v[0:1], v[0:1], v[6:7]
	v_add_f64 v[0:1], v[0:1], v[8:9]
	ds_read2st64_b64 v[6:9], v10 offset0:8 offset1:10
	s_waitcnt lgkmcnt(0)
	v_add_f64 v[0:1], v[0:1], v[6:7]
	v_add_f64 v[0:1], v[0:1], v[8:9]
	ds_read2st64_b64 v[6:9], v10 offset0:12 offset1:14
	s_waitcnt lgkmcnt(0)
	v_add_f64 v[0:1], v[0:1], v[6:7]
	v_add_f64 v[0:1], v[0:1], v[8:9]
	v_mul_f64 v[6:7], s[10:11], v[0:1]
.LBB58_11:                              ; =>This Inner Loop Header: Depth=1
	s_waitcnt vmcnt(0)
	v_add_f64 v[0:1], v[2:3], v[6:7]
	global_atomic_cmpswap_x2 v[0:1], v[4:5], v[0:3], off glc
	s_waitcnt vmcnt(0)
	v_cmp_eq_u64_e32 vcc_lo, v[0:1], v[2:3]
	v_mov_b32_e32 v3, v1
	v_mov_b32_e32 v2, v0
	s_or_b32 s0, vcc_lo, s0
	s_andn2_b32 exec_lo, exec_lo, s0
	s_cbranch_execnz .LBB58_11
.LBB58_12:
	s_endpgm
	.section	.rodata,"a",@progbits
	.p2align	6, 0x0
	.amdhsa_kernel _ZL36rocblas_gemvn_double_buffered_kernelILi128ELi4ELi16EdPKddEviiT3_lPKT2_lilS5_lilPT4_lili
		.amdhsa_group_segment_fixed_size 8192
		.amdhsa_private_segment_fixed_size 0
		.amdhsa_kernarg_size 384
		.amdhsa_user_sgpr_count 6
		.amdhsa_user_sgpr_private_segment_buffer 1
		.amdhsa_user_sgpr_dispatch_ptr 0
		.amdhsa_user_sgpr_queue_ptr 0
		.amdhsa_user_sgpr_kernarg_segment_ptr 1
		.amdhsa_user_sgpr_dispatch_id 0
		.amdhsa_user_sgpr_flat_scratch_init 0
		.amdhsa_user_sgpr_private_segment_size 0
		.amdhsa_wavefront_size32 1
		.amdhsa_uses_dynamic_stack 0
		.amdhsa_system_sgpr_private_segment_wavefront_offset 0
		.amdhsa_system_sgpr_workgroup_id_x 1
		.amdhsa_system_sgpr_workgroup_id_y 1
		.amdhsa_system_sgpr_workgroup_id_z 1
		.amdhsa_system_sgpr_workgroup_info 0
		.amdhsa_system_vgpr_workitem_id 1
		.amdhsa_next_free_vgpr 178
		.amdhsa_next_free_sgpr 40
		.amdhsa_reserve_vcc 1
		.amdhsa_reserve_flat_scratch 0
		.amdhsa_float_round_mode_32 0
		.amdhsa_float_round_mode_16_64 0
		.amdhsa_float_denorm_mode_32 3
		.amdhsa_float_denorm_mode_16_64 3
		.amdhsa_dx10_clamp 1
		.amdhsa_ieee_mode 1
		.amdhsa_fp16_overflow 0
		.amdhsa_workgroup_processor_mode 1
		.amdhsa_memory_ordered 1
		.amdhsa_forward_progress 1
		.amdhsa_shared_vgpr_count 0
		.amdhsa_exception_fp_ieee_invalid_op 0
		.amdhsa_exception_fp_denorm_src 0
		.amdhsa_exception_fp_ieee_div_zero 0
		.amdhsa_exception_fp_ieee_overflow 0
		.amdhsa_exception_fp_ieee_underflow 0
		.amdhsa_exception_fp_ieee_inexact 0
		.amdhsa_exception_int_div_zero 0
	.end_amdhsa_kernel
	.section	.text._ZL36rocblas_gemvn_double_buffered_kernelILi128ELi4ELi16EdPKddEviiT3_lPKT2_lilS5_lilPT4_lili,"axG",@progbits,_ZL36rocblas_gemvn_double_buffered_kernelILi128ELi4ELi16EdPKddEviiT3_lPKT2_lilS5_lilPT4_lili,comdat
.Lfunc_end58:
	.size	_ZL36rocblas_gemvn_double_buffered_kernelILi128ELi4ELi16EdPKddEviiT3_lPKT2_lilS5_lilPT4_lili, .Lfunc_end58-_ZL36rocblas_gemvn_double_buffered_kernelILi128ELi4ELi16EdPKddEviiT3_lPKT2_lilS5_lilPT4_lili
                                        ; -- End function
	.set _ZL36rocblas_gemvn_double_buffered_kernelILi128ELi4ELi16EdPKddEviiT3_lPKT2_lilS5_lilPT4_lili.num_vgpr, 178
	.set _ZL36rocblas_gemvn_double_buffered_kernelILi128ELi4ELi16EdPKddEviiT3_lPKT2_lilS5_lilPT4_lili.num_agpr, 0
	.set _ZL36rocblas_gemvn_double_buffered_kernelILi128ELi4ELi16EdPKddEviiT3_lPKT2_lilS5_lilPT4_lili.numbered_sgpr, 40
	.set _ZL36rocblas_gemvn_double_buffered_kernelILi128ELi4ELi16EdPKddEviiT3_lPKT2_lilS5_lilPT4_lili.num_named_barrier, 0
	.set _ZL36rocblas_gemvn_double_buffered_kernelILi128ELi4ELi16EdPKddEviiT3_lPKT2_lilS5_lilPT4_lili.private_seg_size, 0
	.set _ZL36rocblas_gemvn_double_buffered_kernelILi128ELi4ELi16EdPKddEviiT3_lPKT2_lilS5_lilPT4_lili.uses_vcc, 1
	.set _ZL36rocblas_gemvn_double_buffered_kernelILi128ELi4ELi16EdPKddEviiT3_lPKT2_lilS5_lilPT4_lili.uses_flat_scratch, 0
	.set _ZL36rocblas_gemvn_double_buffered_kernelILi128ELi4ELi16EdPKddEviiT3_lPKT2_lilS5_lilPT4_lili.has_dyn_sized_stack, 0
	.set _ZL36rocblas_gemvn_double_buffered_kernelILi128ELi4ELi16EdPKddEviiT3_lPKT2_lilS5_lilPT4_lili.has_recursion, 0
	.set _ZL36rocblas_gemvn_double_buffered_kernelILi128ELi4ELi16EdPKddEviiT3_lPKT2_lilS5_lilPT4_lili.has_indirect_call, 0
	.section	.AMDGPU.csdata,"",@progbits
; Kernel info:
; codeLenInByte = 4332
; TotalNumSgprs: 42
; NumVgprs: 178
; ScratchSize: 0
; MemoryBound: 1
; FloatMode: 240
; IeeeMode: 1
; LDSByteSize: 8192 bytes/workgroup (compile time only)
; SGPRBlocks: 0
; VGPRBlocks: 22
; NumSGPRsForWavesPerEU: 42
; NumVGPRsForWavesPerEU: 178
; Occupancy: 5
; WaveLimiterHint : 0
; COMPUTE_PGM_RSRC2:SCRATCH_EN: 0
; COMPUTE_PGM_RSRC2:USER_SGPR: 6
; COMPUTE_PGM_RSRC2:TRAP_HANDLER: 0
; COMPUTE_PGM_RSRC2:TGID_X_EN: 1
; COMPUTE_PGM_RSRC2:TGID_Y_EN: 1
; COMPUTE_PGM_RSRC2:TGID_Z_EN: 1
; COMPUTE_PGM_RSRC2:TIDIG_COMP_CNT: 1
	.section	.text._ZL36rocblas_gemvn_double_buffered_kernelILi128ELi4ELi16EdddEviiT3_lPKT2_lilS3_lilPT4_lili,"axG",@progbits,_ZL36rocblas_gemvn_double_buffered_kernelILi128ELi4ELi16EdddEviiT3_lPKT2_lilS3_lilPT4_lili,comdat
	.globl	_ZL36rocblas_gemvn_double_buffered_kernelILi128ELi4ELi16EdddEviiT3_lPKT2_lilS3_lilPT4_lili ; -- Begin function _ZL36rocblas_gemvn_double_buffered_kernelILi128ELi4ELi16EdddEviiT3_lPKT2_lilS3_lilPT4_lili
	.p2align	8
	.type	_ZL36rocblas_gemvn_double_buffered_kernelILi128ELi4ELi16EdddEviiT3_lPKT2_lilS3_lilPT4_lili,@function
_ZL36rocblas_gemvn_double_buffered_kernelILi128ELi4ELi16EdddEviiT3_lPKT2_lilS3_lilPT4_lili: ; @_ZL36rocblas_gemvn_double_buffered_kernelILi128ELi4ELi16EdddEviiT3_lPKT2_lilS3_lilPT4_lili
; %bb.0:
	s_load_dwordx2 s[10:11], s[4:5], 0x8
	s_waitcnt lgkmcnt(0)
	v_cmp_eq_f64_e64 s0, s[10:11], 0
	s_and_b32 vcc_lo, exec_lo, s0
	s_cbranch_vccnz .LBB59_12
; %bb.1:
	s_clause 0x1
	s_load_dword s0, s[4:5], 0x84
	s_load_dword s1, s[4:5], 0x4
	s_waitcnt lgkmcnt(0)
	v_cvt_f32_u32_e32 v2, s0
	s_ashr_i32 s3, s1, 31
	s_sub_i32 s9, 0, s0
	s_lshr_b32 s3, s3, 25
	s_add_i32 s1, s1, s3
	v_rcp_iflag_f32_e32 v2, v2
	s_ashr_i32 s1, s1, 7
	v_mul_f32_e32 v2, 0x4f7ffffe, v2
	v_cvt_u32_f32_e32 v2, v2
	v_readfirstlane_b32 s2, v2
	s_mul_i32 s9, s9, s2
	s_mul_hi_u32 s3, s2, s9
	s_add_i32 s2, s2, s3
	s_mul_hi_u32 s2, s1, s2
	s_mul_i32 s3, s2, s0
	s_add_i32 s9, s2, 1
	s_sub_i32 s3, s1, s3
	s_sub_i32 s12, s3, s0
	s_cmp_ge_u32 s3, s0
	s_cselect_b32 s2, s9, s2
	s_cselect_b32 s3, s12, s3
	s_add_i32 s9, s2, 1
	s_cmp_ge_u32 s3, s0
	s_cselect_b32 s12, s9, s2
	s_mul_i32 s0, s12, s0
	s_sub_i32 s13, s1, s0
	s_cmp_lt_u32 s7, s13
	s_cselect_b32 s0, -1, 0
	s_cmp_lg_u32 s0, 0
	s_addc_u32 s9, s12, 0
	s_cmp_eq_u32 s9, 0
	s_cbranch_scc1 .LBB59_12
; %bb.2:
	s_clause 0x1
	s_load_dwordx4 s[0:3], s[4:5], 0x50
	s_load_dwordx2 s[20:21], s[4:5], 0x60
	v_lshl_add_u32 v34, v1, 7, v0
	v_and_b32_e32 v2, 63, v0
	s_lshl_b32 s22, s6, 7
	s_ashr_i32 s23, s22, 31
	v_lshrrev_b32_e32 v168, 6, v34
	v_lshlrev_b32_e32 v169, 3, v2
	s_cmp_lt_i32 s9, 1
	s_cbranch_scc1 .LBB59_8
; %bb.3:
	v_cvt_f64_i32_e32 v[3:4], s7
	v_cvt_f64_u32_e32 v[5:6], s13
	s_mul_i32 s12, s12, s7
	v_lshlrev_b32_e32 v34, 1, v34
	v_cvt_f64_u32_e32 v[7:8], s12
	s_clause 0x4
	s_load_dwordx4 s[12:15], s[4:5], 0x30
	s_load_dword s26, s[4:5], 0x28
	s_load_dword s24, s[4:5], 0x48
	s_load_dwordx4 s[16:19], s[4:5], 0x18
	s_load_dwordx2 s[28:29], s[4:5], 0x40
	s_waitcnt lgkmcnt(0)
	s_mul_hi_u32 s39, s0, s8
	v_and_b32_e32 v34, 0x3ff80, v34
	s_mul_i32 s38, s0, s8
	s_mul_i32 s33, s1, s8
	v_mov_b32_e32 v66, 0
	v_mov_b32_e32 v102, 0
	;; [unrolled: 1-line block ×4, first 2 shown]
	s_mul_i32 s7, s13, s8
	v_min_f64 v[3:4], v[3:4], v[5:6]
	s_mul_hi_u32 s13, s12, s8
	v_lshlrev_b32_e32 v5, 4, v168
	s_mul_i32 s6, s12, s8
	s_add_i32 s7, s13, s7
	s_ashr_i32 s27, s26, 31
	s_lshl_b64 s[30:31], s[6:7], 3
	s_ashr_i32 s25, s24, 31
	s_add_u32 s6, s16, s30
	s_addc_u32 s7, s17, s31
	s_lshl_b64 s[18:19], s[18:19], 3
	s_add_u32 s6, s6, s18
	s_addc_u32 s7, s7, s19
	s_lshl_b64 s[34:35], s[22:23], 3
	s_add_u32 s13, s6, s34
	s_addc_u32 s23, s7, s35
	v_add_f64 v[3:4], v[3:4], v[7:8]
	v_cvt_i32_f64_e32 v4, v[3:4]
	v_mov_b32_e32 v3, 0
	v_mad_i64_i32 v[2:3], null, s26, v5, v[2:3]
	v_lshlrev_b64 v[2:3], 3, v[2:3]
	v_readfirstlane_b32 s12, v4
	s_lshl_b32 s36, s12, 7
	s_mul_hi_i32 s7, s36, s26
	s_mul_i32 s6, s36, s26
	s_ashr_i32 s37, s36, 31
	s_lshl_b64 s[6:7], s[6:7], 3
	s_add_u32 s6, s13, s6
	s_addc_u32 s7, s23, s7
	v_add_co_u32 v2, vcc_lo, s6, v2
	v_add_co_ci_u32_e64 v3, null, s7, v3, vcc_lo
	s_lshl_b64 s[6:7], s[26:27], 3
	s_lshl_b64 s[36:37], s[36:37], 3
	v_add_co_u32 v4, vcc_lo, v2, s6
	v_add_co_ci_u32_e64 v5, null, s7, v3, vcc_lo
	v_add_co_u32 v34, s36, v34, s36
	v_add_co_u32 v6, vcc_lo, v4, s6
	v_add_co_ci_u32_e64 v7, null, s7, v5, vcc_lo
	v_add_co_ci_u32_e64 v35, null, 0, s37, s36
	v_add_co_u32 v8, vcc_lo, v6, s6
	v_add_co_ci_u32_e64 v9, null, s7, v7, vcc_lo
	s_lshl_b32 s0, s24, 7
	v_add_co_u32 v10, vcc_lo, v8, s6
	v_add_co_ci_u32_e64 v11, null, s7, v9, vcc_lo
	s_clause 0x3
	global_load_dwordx2 v[2:3], v[2:3], off
	global_load_dwordx2 v[4:5], v[4:5], off
	;; [unrolled: 1-line block ×4, first 2 shown]
	v_add_co_u32 v12, vcc_lo, v10, s6
	v_add_co_ci_u32_e64 v13, null, s7, v11, vcc_lo
	s_lshl_b64 s[12:13], s[26:27], 10
	v_add_co_u32 v14, vcc_lo, v12, s6
	v_add_co_ci_u32_e64 v15, null, s7, v13, vcc_lo
	s_clause 0x1
	global_load_dwordx2 v[10:11], v[10:11], off
	global_load_dwordx2 v[12:13], v[12:13], off
	v_add_co_u32 v16, vcc_lo, v14, s6
	v_add_co_ci_u32_e64 v17, null, s7, v15, vcc_lo
	global_load_dwordx2 v[14:15], v[14:15], off
	v_add_co_u32 v18, vcc_lo, v16, s6
	v_add_co_ci_u32_e64 v19, null, s7, v17, vcc_lo
	;; [unrolled: 3-line block ×6, first 2 shown]
	s_add_i32 s23, s9, -1
	v_add_co_u32 v28, vcc_lo, v26, s6
	v_add_co_ci_u32_e64 v29, null, s7, v27, vcc_lo
	s_ashr_i32 s1, s0, 31
	v_add_co_u32 v30, vcc_lo, v28, s6
	v_add_co_ci_u32_e64 v31, null, s7, v29, vcc_lo
	s_add_u32 s16, s16, s34
	v_add_co_u32 v32, vcc_lo, v30, s6
	v_add_co_ci_u32_e64 v33, null, s7, v31, vcc_lo
	global_load_dwordx2 v[24:25], v[24:25], off
	global_load_dwordx2 v[26:27], v[26:27], off
	;; [unrolled: 1-line block ×5, first 2 shown]
	v_add_co_u32 v36, vcc_lo, 0x400, v34
	v_add_co_ci_u32_e64 v37, null, 0, v35, vcc_lo
	v_add_co_u32 v38, vcc_lo, 0x410, v34
	v_add_co_ci_u32_e64 v39, null, 0, v35, vcc_lo
	;; [unrolled: 2-line block ×12, first 2 shown]
	v_add_co_u32 v60, vcc_lo, 0x468, v34
	s_addc_u32 s17, s17, s35
	v_add_co_ci_u32_e64 v61, null, 0, v35, vcc_lo
	v_add_co_u32 v62, vcc_lo, 0x470, v34
	s_add_u32 s16, s16, s18
	s_addc_u32 s17, s17, s19
	v_add_co_ci_u32_e64 v63, null, 0, v35, vcc_lo
	v_add_co_u32 v64, vcc_lo, 0x478, v34
	s_add_u32 s16, s16, s30
	v_add_co_ci_u32_e64 v65, null, 0, v35, vcc_lo
	v_add_co_u32 v98, vcc_lo, 0x408, v34
	s_addc_u32 s17, s17, s31
	s_add_i32 s39, s39, s33
	s_lshl_b64 s[18:19], s[28:29], 3
	v_add_co_ci_u32_e64 v99, null, 0, v35, vcc_lo
	s_lshl_b64 s[28:29], s[38:39], 3
	v_mul_lo_u32 v107, v35, s24
	v_mul_lo_u32 v35, v35, s26
	;; [unrolled: 1-line block ×3, first 2 shown]
	v_mad_u64_u32 v[104:105], null, v34, s26, s[16:17]
	s_add_u32 s14, s14, s18
	s_addc_u32 s15, s15, s19
	s_add_u32 s14, s14, s28
	s_addc_u32 s15, s15, s29
	v_mad_u64_u32 v[68:69], null, v36, s26, s[16:17]
	v_mul_lo_u32 v36, v36, s27
	v_mul_lo_u32 v37, v37, s26
	v_mad_u64_u32 v[70:71], null, v38, s26, s[16:17]
	v_mul_lo_u32 v38, v38, s27
	v_mul_lo_u32 v39, v39, s26
	;; [unrolled: 3-line block ×11, first 2 shown]
	v_mul_lo_u32 v109, v58, s27
	v_mul_lo_u32 v59, v59, s26
	v_mad_u64_u32 v[90:91], null, v58, s26, s[16:17]
	v_mul_lo_u32 v58, v61, s26
	v_mul_lo_u32 v61, v60, s27
	v_mad_u64_u32 v[92:93], null, v60, s26, s[16:17]
	;; [unrolled: 3-line block ×5, first 2 shown]
	v_mul_lo_u32 v106, v34, s25
	v_mad_u64_u32 v[100:101], null, v34, s24, s[14:15]
	v_add3_u32 v105, v35, v105, v108
	v_add_co_u32 v170, vcc_lo, 0x200, v104
	v_add3_u32 v69, v37, v69, v36
	v_add3_u32 v71, v39, v71, v38
	;; [unrolled: 1-line block ×17, first 2 shown]
	v_add_co_ci_u32_e64 v171, null, 0, v105, vcc_lo
	s_lshl_b64 s[14:15], s[0:1], 3
	s_lshl_b64 s[16:17], s[24:25], 3
	s_mov_b32 s1, 0
	s_waitcnt vmcnt(0)
	v_mov_b32_e32 v65, v33
	v_mov_b32_e32 v64, v32
	;; [unrolled: 1-line block ×32, first 2 shown]
.LBB59_4:                               ; =>This Inner Loop Header: Depth=1
	v_add_co_u32 v104, vcc_lo, v170, v169
	v_add_co_ci_u32_e64 v105, null, 0, v171, vcc_lo
	s_cmp_eq_u32 s23, s1
	v_add_co_u32 v108, vcc_lo, v104, s6
	v_add_co_ci_u32_e64 v109, null, s7, v105, vcc_lo
	global_load_dwordx2 v[106:107], v[104:105], off
	v_add_co_u32 v110, vcc_lo, v108, s6
	v_add_co_ci_u32_e64 v111, null, s7, v109, vcc_lo
	global_load_dwordx2 v[108:109], v[108:109], off
	;; [unrolled: 3-line block ×3, first 2 shown]
	v_add_co_u32 v116, s0, v112, s6
	v_add_co_ci_u32_e64 v117, null, s7, v113, s0
	global_load_dwordx2 v[114:115], v[112:113], off
	v_add_co_u32 v104, s0, v116, s6
	v_add_co_ci_u32_e64 v105, null, s7, v117, s0
	global_load_dwordx2 v[118:119], v[116:117], off
	;; [unrolled: 3-line block ×3, first 2 shown]
	v_add_co_u32 v124, s0, v120, s6
	v_add_co_ci_u32_e64 v125, null, s7, v121, s0
	v_add_co_u32 v136, vcc_lo, v100, s16
	v_add_co_u32 v112, s0, v124, s6
	v_add_co_ci_u32_e64 v113, null, s7, v125, s0
	v_add_co_ci_u32_e64 v137, null, s17, v101, vcc_lo
	v_add_co_u32 v116, s0, v112, s6
	v_add_co_ci_u32_e64 v117, null, s7, v113, s0
	v_add_co_u32 v104, s0, v116, s6
	v_add_co_ci_u32_e64 v105, null, s7, v117, s0
	s_clause 0x3
	global_load_dwordx2 v[126:127], v[120:121], off
	global_load_dwordx2 v[124:125], v[124:125], off
	;; [unrolled: 1-line block ×5, first 2 shown]
	v_add_co_u32 v104, vcc_lo, v104, s6
	v_add_co_ci_u32_e64 v105, null, s7, v105, vcc_lo
	v_add_co_u32 v138, vcc_lo, v136, s16
	v_add_co_ci_u32_e64 v139, null, s17, v137, vcc_lo
	global_load_dwordx2 v[130:131], v[104:105], off
	v_add_co_u32 v140, vcc_lo, v138, s16
	v_add_co_ci_u32_e64 v141, null, s17, v139, vcc_lo
	v_add_co_u32 v104, vcc_lo, v104, s6
	v_add_co_ci_u32_e64 v105, null, s7, v105, vcc_lo
	v_add_co_u32 v144, vcc_lo, v140, s16
	v_add_co_ci_u32_e64 v145, null, s17, v141, vcc_lo
	global_load_dwordx2 v[134:135], v[104:105], off
	v_add_co_u32 v148, vcc_lo, v144, s16
	v_add_co_ci_u32_e64 v149, null, s17, v145, vcc_lo
	v_add_co_u32 v104, vcc_lo, v104, s6
	v_add_co_ci_u32_e64 v105, null, s7, v105, vcc_lo
	v_add_co_u32 v152, vcc_lo, v148, s16
	v_add_co_ci_u32_e64 v153, null, s17, v149, vcc_lo
	global_load_dwordx2 v[132:133], v[104:105], off
	v_add_co_u32 v160, vcc_lo, v152, s16
	v_add_co_ci_u32_e64 v161, null, s17, v153, vcc_lo
	v_add_co_u32 v104, vcc_lo, v104, s6
	v_add_co_ci_u32_e64 v105, null, s7, v105, vcc_lo
	v_add_co_u32 v162, vcc_lo, v160, s16
	v_add_co_ci_u32_e64 v163, null, s17, v161, vcc_lo
	global_load_dwordx2 v[128:129], v[104:105], off
	v_add_co_u32 v164, vcc_lo, v162, s16
	v_add_co_ci_u32_e64 v165, null, s17, v163, vcc_lo
	v_add_co_u32 v104, vcc_lo, v104, s6
	v_add_co_ci_u32_e64 v105, null, s7, v105, vcc_lo
	v_add_co_u32 v166, vcc_lo, v164, s16
	v_add_co_ci_u32_e64 v167, null, s17, v165, vcc_lo
	global_load_dwordx2 v[104:105], v[104:105], off
	v_add_co_u32 v172, vcc_lo, v166, s16
	v_add_co_ci_u32_e64 v173, null, s17, v167, vcc_lo
	global_load_dwordx2 v[142:143], v[100:101], off
	v_add_co_u32 v174, vcc_lo, v172, s16
	v_add_co_ci_u32_e64 v175, null, s17, v173, vcc_lo
	s_clause 0x3
	global_load_dwordx2 v[154:155], v[136:137], off
	global_load_dwordx2 v[150:151], v[138:139], off
	;; [unrolled: 1-line block ×4, first 2 shown]
	v_add_co_u32 v136, vcc_lo, v174, s16
	v_add_co_ci_u32_e64 v137, null, s17, v175, vcc_lo
	s_clause 0x3
	global_load_dwordx2 v[158:159], v[148:149], off
	global_load_dwordx2 v[156:157], v[152:153], off
	;; [unrolled: 1-line block ×4, first 2 shown]
	v_add_co_u32 v138, vcc_lo, v136, s16
	v_add_co_ci_u32_e64 v139, null, s17, v137, vcc_lo
	s_clause 0x1
	global_load_dwordx2 v[162:163], v[164:165], off
	global_load_dwordx2 v[160:161], v[166:167], off
	v_add_co_u32 v176, vcc_lo, v138, s16
	v_add_co_ci_u32_e64 v177, null, s17, v139, vcc_lo
	global_load_dwordx2 v[166:167], v[172:173], off
	global_load_dwordx2 v[164:165], v[174:175], off
	;; [unrolled: 1-line block ×5, first 2 shown]
	s_cbranch_scc1 .LBB59_6
; %bb.5:                                ;   in Loop: Header=BB59_4 Depth=1
	v_add_co_u32 v34, vcc_lo, v68, v169
	v_add_co_ci_u32_e64 v35, null, 0, v69, vcc_lo
	v_add_co_u32 v36, vcc_lo, v98, v169
	v_add_co_ci_u32_e64 v37, null, 0, v99, vcc_lo
	;; [unrolled: 2-line block ×16, first 2 shown]
	global_load_dwordx2 v[34:35], v[34:35], off
	global_load_dwordx2 v[36:37], v[36:37], off
	;; [unrolled: 1-line block ×16, first 2 shown]
.LBB59_6:                               ;   in Loop: Header=BB59_4 Depth=1
	s_waitcnt vmcnt(15)
	v_fma_f64 v[2:3], v[2:3], v[142:143], v[102:103]
	v_fma_f64 v[66:67], v[106:107], v[142:143], v[66:67]
	v_add_co_u32 v170, vcc_lo, v170, s12
	v_add_co_ci_u32_e64 v171, null, s13, v171, vcc_lo
	v_add_co_u32 v68, vcc_lo, v68, s12
	v_add_co_ci_u32_e64 v69, null, s13, v69, vcc_lo
	v_add_co_u32 v70, vcc_lo, v70, s12
	v_add_co_ci_u32_e64 v71, null, s13, v71, vcc_lo
	v_add_co_u32 v72, vcc_lo, v72, s12
	v_add_co_ci_u32_e64 v73, null, s13, v73, vcc_lo
	v_add_co_u32 v74, vcc_lo, v74, s12
	v_add_co_ci_u32_e64 v75, null, s13, v75, vcc_lo
	s_waitcnt vmcnt(14)
	v_fma_f64 v[2:3], v[4:5], v[154:155], v[2:3]
	v_fma_f64 v[4:5], v[108:109], v[154:155], v[66:67]
	v_add_co_u32 v76, vcc_lo, v76, s12
	v_add_co_ci_u32_e64 v77, null, s13, v77, vcc_lo
	v_add_co_u32 v78, vcc_lo, v78, s12
	v_add_co_ci_u32_e64 v79, null, s13, v79, vcc_lo
	v_add_co_u32 v80, vcc_lo, v80, s12
	v_add_co_ci_u32_e64 v81, null, s13, v81, vcc_lo
	v_add_co_u32 v82, vcc_lo, v82, s12
	v_add_co_ci_u32_e64 v83, null, s13, v83, vcc_lo
	v_add_co_u32 v84, vcc_lo, v84, s12
	v_add_co_ci_u32_e64 v85, null, s13, v85, vcc_lo
	;; [unrolled: 13-line block ×3, first 2 shown]
	s_waitcnt vmcnt(12)
	v_fma_f64 v[2:3], v[8:9], v[146:147], v[2:3]
	v_fma_f64 v[4:5], v[114:115], v[146:147], v[4:5]
	v_add_co_u32 v96, vcc_lo, v96, s12
	v_add_co_ci_u32_e64 v97, null, s13, v97, vcc_lo
	v_add_co_u32 v98, vcc_lo, v98, s12
	v_add_co_ci_u32_e64 v99, null, s13, v99, vcc_lo
	;; [unrolled: 2-line block ×3, first 2 shown]
	s_add_i32 s1, s1, 1
	s_cmp_lt_i32 s1, s9
	s_waitcnt vmcnt(11)
	v_fma_f64 v[2:3], v[10:11], v[144:145], v[2:3]
	v_fma_f64 v[4:5], v[118:119], v[144:145], v[4:5]
	s_waitcnt vmcnt(10)
	v_fma_f64 v[2:3], v[12:13], v[158:159], v[2:3]
	v_fma_f64 v[4:5], v[122:123], v[158:159], v[4:5]
	;; [unrolled: 3-line block ×12, first 2 shown]
	s_cbranch_scc0 .LBB59_9
; %bb.7:                                ;   in Loop: Header=BB59_4 Depth=1
	v_mov_b32_e32 v2, v34
	v_mov_b32_e32 v3, v35
	;; [unrolled: 1-line block ×32, first 2 shown]
	s_branch .LBB59_4
.LBB59_8:
	v_mov_b32_e32 v66, 0
	v_mov_b32_e32 v102, 0
	;; [unrolled: 1-line block ×4, first 2 shown]
.LBB59_9:
	v_lshl_or_b32 v2, v168, 10, v169
	s_waitcnt lgkmcnt(0)
	s_mov_b32 s0, 0
	s_mov_b32 s1, exec_lo
	ds_write2st64_b64 v2, v[102:103], v[66:67] offset1:1
	s_waitcnt lgkmcnt(0)
	s_barrier
	buffer_gl0_inv
	v_cmpx_eq_u32_e32 0, v1
	s_cbranch_execz .LBB59_12
; %bb.10:
	s_clause 0x1
	s_load_dwordx2 s[6:7], s[4:5], 0x70
	s_load_dword s1, s[4:5], 0x68
	v_lshlrev_b32_e32 v10, 3, v0
	ds_read2st64_b64 v[6:9], v10 offset1:2
	s_waitcnt lgkmcnt(0)
	s_mul_i32 s5, s7, s8
	s_mul_hi_u32 s7, s6, s8
	v_mad_i64_i32 v[1:2], null, s1, v0, 0
	s_mul_i32 s4, s6, s8
	s_add_i32 s5, s7, s5
	s_mul_hi_i32 s7, s1, s22
	s_lshl_b64 s[4:5], s[4:5], 3
	s_mul_i32 s6, s1, s22
	s_add_u32 s1, s2, s4
	s_addc_u32 s4, s3, s5
	s_lshl_b64 s[2:3], s[20:21], 3
	v_lshlrev_b64 v[1:2], 3, v[1:2]
	s_add_u32 s1, s1, s2
	s_addc_u32 s4, s4, s3
	s_lshl_b64 s[2:3], s[6:7], 3
	s_add_u32 s1, s1, s2
	s_addc_u32 s2, s4, s3
	v_add_co_u32 v4, vcc_lo, s1, v1
	v_add_co_ci_u32_e64 v5, null, s2, v2, vcc_lo
	v_add_f64 v[0:1], v[6:7], 0
	global_load_dwordx2 v[2:3], v[4:5], off
	v_add_f64 v[0:1], v[0:1], v[8:9]
	ds_read2st64_b64 v[6:9], v10 offset0:4 offset1:6
	s_waitcnt lgkmcnt(0)
	v_add_f64 v[0:1], v[0:1], v[6:7]
	v_add_f64 v[0:1], v[0:1], v[8:9]
	ds_read2st64_b64 v[6:9], v10 offset0:8 offset1:10
	s_waitcnt lgkmcnt(0)
	v_add_f64 v[0:1], v[0:1], v[6:7]
	;; [unrolled: 4-line block ×3, first 2 shown]
	v_add_f64 v[0:1], v[0:1], v[8:9]
	v_mul_f64 v[6:7], s[10:11], v[0:1]
.LBB59_11:                              ; =>This Inner Loop Header: Depth=1
	s_waitcnt vmcnt(0)
	v_add_f64 v[0:1], v[2:3], v[6:7]
	global_atomic_cmpswap_x2 v[0:1], v[4:5], v[0:3], off glc
	s_waitcnt vmcnt(0)
	v_cmp_eq_u64_e32 vcc_lo, v[0:1], v[2:3]
	v_mov_b32_e32 v3, v1
	v_mov_b32_e32 v2, v0
	s_or_b32 s0, vcc_lo, s0
	s_andn2_b32 exec_lo, exec_lo, s0
	s_cbranch_execnz .LBB59_11
.LBB59_12:
	s_endpgm
	.section	.rodata,"a",@progbits
	.p2align	6, 0x0
	.amdhsa_kernel _ZL36rocblas_gemvn_double_buffered_kernelILi128ELi4ELi16EdddEviiT3_lPKT2_lilS3_lilPT4_lili
		.amdhsa_group_segment_fixed_size 8192
		.amdhsa_private_segment_fixed_size 0
		.amdhsa_kernarg_size 384
		.amdhsa_user_sgpr_count 6
		.amdhsa_user_sgpr_private_segment_buffer 1
		.amdhsa_user_sgpr_dispatch_ptr 0
		.amdhsa_user_sgpr_queue_ptr 0
		.amdhsa_user_sgpr_kernarg_segment_ptr 1
		.amdhsa_user_sgpr_dispatch_id 0
		.amdhsa_user_sgpr_flat_scratch_init 0
		.amdhsa_user_sgpr_private_segment_size 0
		.amdhsa_wavefront_size32 1
		.amdhsa_uses_dynamic_stack 0
		.amdhsa_system_sgpr_private_segment_wavefront_offset 0
		.amdhsa_system_sgpr_workgroup_id_x 1
		.amdhsa_system_sgpr_workgroup_id_y 1
		.amdhsa_system_sgpr_workgroup_id_z 1
		.amdhsa_system_sgpr_workgroup_info 0
		.amdhsa_system_vgpr_workitem_id 1
		.amdhsa_next_free_vgpr 178
		.amdhsa_next_free_sgpr 40
		.amdhsa_reserve_vcc 1
		.amdhsa_reserve_flat_scratch 0
		.amdhsa_float_round_mode_32 0
		.amdhsa_float_round_mode_16_64 0
		.amdhsa_float_denorm_mode_32 3
		.amdhsa_float_denorm_mode_16_64 3
		.amdhsa_dx10_clamp 1
		.amdhsa_ieee_mode 1
		.amdhsa_fp16_overflow 0
		.amdhsa_workgroup_processor_mode 1
		.amdhsa_memory_ordered 1
		.amdhsa_forward_progress 1
		.amdhsa_shared_vgpr_count 0
		.amdhsa_exception_fp_ieee_invalid_op 0
		.amdhsa_exception_fp_denorm_src 0
		.amdhsa_exception_fp_ieee_div_zero 0
		.amdhsa_exception_fp_ieee_overflow 0
		.amdhsa_exception_fp_ieee_underflow 0
		.amdhsa_exception_fp_ieee_inexact 0
		.amdhsa_exception_int_div_zero 0
	.end_amdhsa_kernel
	.section	.text._ZL36rocblas_gemvn_double_buffered_kernelILi128ELi4ELi16EdddEviiT3_lPKT2_lilS3_lilPT4_lili,"axG",@progbits,_ZL36rocblas_gemvn_double_buffered_kernelILi128ELi4ELi16EdddEviiT3_lPKT2_lilS3_lilPT4_lili,comdat
.Lfunc_end59:
	.size	_ZL36rocblas_gemvn_double_buffered_kernelILi128ELi4ELi16EdddEviiT3_lPKT2_lilS3_lilPT4_lili, .Lfunc_end59-_ZL36rocblas_gemvn_double_buffered_kernelILi128ELi4ELi16EdddEviiT3_lPKT2_lilS3_lilPT4_lili
                                        ; -- End function
	.set _ZL36rocblas_gemvn_double_buffered_kernelILi128ELi4ELi16EdddEviiT3_lPKT2_lilS3_lilPT4_lili.num_vgpr, 178
	.set _ZL36rocblas_gemvn_double_buffered_kernelILi128ELi4ELi16EdddEviiT3_lPKT2_lilS3_lilPT4_lili.num_agpr, 0
	.set _ZL36rocblas_gemvn_double_buffered_kernelILi128ELi4ELi16EdddEviiT3_lPKT2_lilS3_lilPT4_lili.numbered_sgpr, 40
	.set _ZL36rocblas_gemvn_double_buffered_kernelILi128ELi4ELi16EdddEviiT3_lPKT2_lilS3_lilPT4_lili.num_named_barrier, 0
	.set _ZL36rocblas_gemvn_double_buffered_kernelILi128ELi4ELi16EdddEviiT3_lPKT2_lilS3_lilPT4_lili.private_seg_size, 0
	.set _ZL36rocblas_gemvn_double_buffered_kernelILi128ELi4ELi16EdddEviiT3_lPKT2_lilS3_lilPT4_lili.uses_vcc, 1
	.set _ZL36rocblas_gemvn_double_buffered_kernelILi128ELi4ELi16EdddEviiT3_lPKT2_lilS3_lilPT4_lili.uses_flat_scratch, 0
	.set _ZL36rocblas_gemvn_double_buffered_kernelILi128ELi4ELi16EdddEviiT3_lPKT2_lilS3_lilPT4_lili.has_dyn_sized_stack, 0
	.set _ZL36rocblas_gemvn_double_buffered_kernelILi128ELi4ELi16EdddEviiT3_lPKT2_lilS3_lilPT4_lili.has_recursion, 0
	.set _ZL36rocblas_gemvn_double_buffered_kernelILi128ELi4ELi16EdddEviiT3_lPKT2_lilS3_lilPT4_lili.has_indirect_call, 0
	.section	.AMDGPU.csdata,"",@progbits
; Kernel info:
; codeLenInByte = 4300
; TotalNumSgprs: 42
; NumVgprs: 178
; ScratchSize: 0
; MemoryBound: 1
; FloatMode: 240
; IeeeMode: 1
; LDSByteSize: 8192 bytes/workgroup (compile time only)
; SGPRBlocks: 0
; VGPRBlocks: 22
; NumSGPRsForWavesPerEU: 42
; NumVGPRsForWavesPerEU: 178
; Occupancy: 5
; WaveLimiterHint : 0
; COMPUTE_PGM_RSRC2:SCRATCH_EN: 0
; COMPUTE_PGM_RSRC2:USER_SGPR: 6
; COMPUTE_PGM_RSRC2:TRAP_HANDLER: 0
; COMPUTE_PGM_RSRC2:TGID_X_EN: 1
; COMPUTE_PGM_RSRC2:TGID_Y_EN: 1
; COMPUTE_PGM_RSRC2:TGID_Z_EN: 1
; COMPUTE_PGM_RSRC2:TIDIG_COMP_CNT: 1
	.section	.text._ZL20rocblas_gemvn_kernelILi32ELi16EidPKddEviiT3_lPKT2_lT1_lS5_lS6_lS2_lPT4_lS6_li,"axG",@progbits,_ZL20rocblas_gemvn_kernelILi32ELi16EidPKddEviiT3_lPKT2_lT1_lS5_lS6_lS2_lPT4_lS6_li,comdat
	.globl	_ZL20rocblas_gemvn_kernelILi32ELi16EidPKddEviiT3_lPKT2_lT1_lS5_lS6_lS2_lPT4_lS6_li ; -- Begin function _ZL20rocblas_gemvn_kernelILi32ELi16EidPKddEviiT3_lPKT2_lT1_lS5_lS6_lS2_lPT4_lS6_li
	.p2align	8
	.type	_ZL20rocblas_gemvn_kernelILi32ELi16EidPKddEviiT3_lPKT2_lT1_lS5_lS6_lS2_lPT4_lS6_li,@function
_ZL20rocblas_gemvn_kernelILi32ELi16EidPKddEviiT3_lPKT2_lT1_lS5_lS6_lS2_lPT4_lS6_li: ; @_ZL20rocblas_gemvn_kernelILi32ELi16EidPKddEviiT3_lPKT2_lT1_lS5_lS6_lS2_lPT4_lS6_li
; %bb.0:
	s_load_dwordx2 s[0:1], s[4:5], 0x9c
	s_waitcnt lgkmcnt(0)
	s_lshr_b32 s2, s0, 16
	s_and_b32 s0, s0, 0xffff
	s_and_b32 s1, s1, 0xffff
	s_mul_i32 s0, s2, s0
	s_mul_i32 s0, s0, s1
	s_cmpk_lg_i32 s0, 0x200
	s_cbranch_scc1 .LBB60_50
; %bb.1:
	s_clause 0x1
	s_load_dwordx8 s[16:23], s[4:5], 0x8
	s_load_dwordx8 s[8:15], s[4:5], 0x50
	s_waitcnt lgkmcnt(0)
	s_mul_i32 s1, s19, s7
	s_mul_hi_u32 s2, s18, s7
	s_mul_i32 s0, s18, s7
	s_add_i32 s1, s2, s1
	s_mul_i32 s2, s13, s7
	s_lshl_b64 s[0:1], s[0:1], 3
	s_mul_hi_u32 s3, s12, s7
	s_add_u32 s0, s16, s0
	s_addc_u32 s1, s17, s1
	s_add_i32 s3, s3, s2
	s_mul_i32 s2, s12, s7
	s_lshl_b64 s[2:3], s[2:3], 3
	s_add_u32 s2, s10, s2
	s_addc_u32 s3, s11, s3
	s_load_dwordx2 s[12:13], s[0:1], 0x0
	s_load_dwordx2 s[10:11], s[2:3], 0x0
	s_waitcnt lgkmcnt(0)
	v_cmp_eq_f64_e64 s0, s[12:13], 0
	v_cmp_eq_f64_e64 s1, s[10:11], 1.0
	s_and_b32 s0, s0, s1
	s_and_b32 vcc_lo, exec_lo, s0
	s_cbranch_vccnz .LBB60_50
; %bb.2:
	s_clause 0x1
	s_load_dwordx2 s[0:1], s[4:5], 0x80
	s_load_dwordx2 s[2:3], s[4:5], 0x70
	v_cmp_neq_f64_e64 s19, s[12:13], 0
	s_clause 0x1
	s_load_dword s18, s[4:5], 0x78
	s_load_dwordx2 s[16:17], s[4:5], 0x0
	v_lshlrev_b32_e32 v54, 5, v1
	v_add_nc_u32_e32 v53, v54, v0
	s_waitcnt lgkmcnt(0)
	s_mul_i32 s1, s1, s7
	s_mul_hi_u32 s24, s0, s7
	s_mul_i32 s0, s0, s7
	s_add_i32 s1, s24, s1
	s_lshl_b64 s[0:1], s[0:1], 3
	s_add_u32 s14, s14, s0
	s_addc_u32 s15, s15, s1
	s_lshl_b64 s[0:1], s[2:3], 3
	s_add_u32 s14, s14, s0
	v_cmp_gt_u32_e64 s0, 0x80, v53
	s_addc_u32 s15, s15, s1
	s_and_b32 vcc_lo, exec_lo, s19
	s_mov_b32 s19, 0
	s_cbranch_vccnz .LBB60_9
; %bb.3:
	s_mov_b32 s1, 0
                                        ; implicit-def: $vgpr4_vgpr5
                                        ; implicit-def: $vgpr2_vgpr3
	s_and_saveexec_b32 s2, s0
	s_cbranch_execz .LBB60_10
; %bb.4:
	v_lshl_or_b32 v6, s6, 7, v53
	v_mov_b32_e32 v7, 0
	s_ashr_i32 s25, s16, 31
	s_mov_b32 s24, s16
	s_mov_b32 s3, 0
	s_mov_b32 s0, exec_lo
                                        ; implicit-def: $vgpr4_vgpr5
                                        ; implicit-def: $vgpr2_vgpr3
	v_cmpx_gt_i64_e64 s[24:25], v[6:7]
	s_cbranch_execz .LBB60_8
; %bb.5:
	v_cmp_eq_f64_e64 s3, s[10:11], 0
	v_mad_u64_u32 v[2:3], null, s18, v6, 0
	s_ashr_i32 s19, s18, 31
	v_mad_u64_u32 v[3:4], null, s19, v6, v[3:4]
	v_mov_b32_e32 v4, 0
	v_mov_b32_e32 v5, 0
	s_and_b32 vcc_lo, exec_lo, s3
	s_cbranch_vccnz .LBB60_7
; %bb.6:
	v_lshlrev_b64 v[4:5], 3, v[2:3]
	v_add_co_u32 v4, vcc_lo, s14, v4
	v_add_co_ci_u32_e64 v5, null, s15, v5, vcc_lo
	global_load_dwordx2 v[4:5], v[4:5], off
	s_waitcnt vmcnt(0)
	v_mul_f64 v[4:5], s[10:11], v[4:5]
.LBB60_7:
	s_mov_b32 s3, exec_lo
.LBB60_8:
	s_or_b32 exec_lo, exec_lo, s0
	s_and_b32 s19, s3, exec_lo
	s_or_b32 exec_lo, exec_lo, s2
	s_and_b32 vcc_lo, exec_lo, s1
	s_cbranch_vccnz .LBB60_11
	s_branch .LBB60_48
.LBB60_9:
                                        ; implicit-def: $vgpr4_vgpr5
                                        ; implicit-def: $vgpr2_vgpr3
	s_cbranch_execnz .LBB60_11
	s_branch .LBB60_48
.LBB60_10:
	s_or_b32 exec_lo, exec_lo, s2
	s_and_b32 vcc_lo, exec_lo, s1
	s_cbranch_vccz .LBB60_48
.LBB60_11:
	s_clause 0x3
	s_load_dwordx4 s[0:3], s[4:5], 0x30
	s_load_dword s24, s[4:5], 0x28
	s_load_dwordx2 s[26:27], s[4:5], 0x40
	s_load_dword s4, s[4:5], 0x48
	s_mul_i32 s9, s9, s7
	v_mov_b32_e32 v8, 0
	v_mov_b32_e32 v6, 0
	;; [unrolled: 1-line block ×4, first 2 shown]
	v_lshlrev_b32_e32 v56, 2, v1
	v_mov_b32_e32 v9, 0
	v_mov_b32_e32 v7, 0
	v_mov_b32_e32 v5, 0
	v_mov_b32_e32 v3, 0
	s_waitcnt lgkmcnt(0)
	s_mul_i32 s1, s1, s7
	s_mul_hi_u32 s25, s0, s7
	s_mul_i32 s0, s0, s7
	s_add_i32 s1, s25, s1
	s_mul_hi_u32 s25, s8, s7
	s_lshl_b64 s[0:1], s[0:1], 3
	s_add_u32 s28, s20, s0
	s_addc_u32 s21, s21, s1
	s_lshl_b64 s[0:1], s[22:23], 3
	s_mul_i32 s20, s8, s7
	s_add_u32 s7, s28, s0
	s_addc_u32 s8, s21, s1
	s_add_i32 s21, s25, s9
	s_lshl_b64 s[0:1], s[20:21], 3
	s_mov_b32 s21, exec_lo
	s_add_u32 s2, s2, s0
	s_addc_u32 s3, s3, s1
	s_lshl_b64 s[0:1], s[26:27], 3
	s_add_u32 s9, s2, s0
	s_addc_u32 s20, s3, s1
	s_ashr_i32 s0, s17, 31
	s_lshl_b32 s5, s6, 7
	s_lshr_b32 s0, s0, 26
	v_add_nc_u32_e32 v55, s5, v0
	s_add_i32 s6, s17, s0
	s_andn2_b32 s6, s6, 63
	v_cmpx_gt_i32_e64 s6, v56
	s_cbranch_execz .LBB60_23
; %bb.12:
	v_add_nc_u32_e32 v2, 32, v55
	v_add_nc_u32_e32 v3, 64, v55
	;; [unrolled: 1-line block ×3, first 2 shown]
	v_mul_lo_u32 v5, s24, v56
	v_mul_lo_u32 v14, v1, s4
	v_cmp_gt_i32_e64 s0, s16, v2
	v_add_nc_u32_e32 v2, 2, v56
	v_cmp_gt_i32_e64 s1, s16, v3
	v_cmp_gt_i32_e64 s2, s16, v4
	v_mul_lo_u32 v3, v1, s24
	v_add_nc_u32_e32 v4, 3, v56
	v_mad_u64_u32 v[10:11], null, s24, v2, v[0:1]
	v_mul_lo_u32 v59, s4, v2
	v_add3_u32 v57, v5, s24, v0
	v_mad_u64_u32 v[11:12], null, s24, v4, v[0:1]
	v_mad_u64_u32 v[12:13], null, s4, v56, s[4:5]
	v_mul_lo_u32 v60, s4, v4
	v_lshl_add_u32 v58, v3, 2, v0
	v_mov_b32_e32 v8, 0
	v_mov_b32_e32 v6, 0
	;; [unrolled: 1-line block ×8, first 2 shown]
	v_lshlrev_b32_e32 v61, 2, v14
	s_lshl_b32 s22, s24, 6
	s_lshl_b32 s25, s4, 6
	s_mov_b32 s23, 0
	s_mov_b32 s26, 0
	v_cmp_gt_i32_e32 vcc_lo, s16, v55
	s_branch .LBB60_17
.LBB60_13:                              ;   in Loop: Header=BB60_17 Depth=1
	s_or_b32 exec_lo, exec_lo, s29
	s_waitcnt vmcnt(3)
	v_fma_f64 v[4:5], v[13:14], v[45:46], v[4:5]
	s_waitcnt vmcnt(2)
	v_fma_f64 v[4:5], v[15:16], v[47:48], v[4:5]
	;; [unrolled: 2-line block ×4, first 2 shown]
.LBB60_14:                              ;   in Loop: Header=BB60_17 Depth=1
	s_or_b32 exec_lo, exec_lo, s28
	s_waitcnt vmcnt(3)
	v_fma_f64 v[6:7], v[13:14], v[37:38], v[6:7]
	s_waitcnt vmcnt(2)
	v_fma_f64 v[6:7], v[15:16], v[39:40], v[6:7]
	;; [unrolled: 2-line block ×4, first 2 shown]
.LBB60_15:                              ;   in Loop: Header=BB60_17 Depth=1
	s_or_b32 exec_lo, exec_lo, s3
	s_waitcnt vmcnt(3)
	v_fma_f64 v[8:9], v[13:14], v[21:22], v[8:9]
	s_waitcnt vmcnt(2)
	v_fma_f64 v[8:9], v[15:16], v[23:24], v[8:9]
	;; [unrolled: 2-line block ×4, first 2 shown]
.LBB60_16:                              ;   in Loop: Header=BB60_17 Depth=1
	s_or_b32 exec_lo, exec_lo, s27
	v_add_nc_u32_e32 v56, 64, v56
	v_add_nc_u32_e32 v57, s22, v57
	;; [unrolled: 1-line block ×5, first 2 shown]
	v_cmp_le_i32_e64 s3, s6, v56
	s_add_i32 s26, s26, s25
	s_or_b32 s23, s3, s23
	s_andn2_b32 exec_lo, exec_lo, s23
	s_cbranch_execz .LBB60_22
.LBB60_17:                              ; =>This Inner Loop Header: Depth=1
	s_and_saveexec_b32 s27, vcc_lo
	s_cbranch_execz .LBB60_16
; %bb.18:                               ;   in Loop: Header=BB60_17 Depth=1
	v_add_nc_u32_e32 v13, s26, v61
	v_add_nc_u32_e32 v15, s26, v12
	;; [unrolled: 1-line block ×5, first 2 shown]
	v_ashrrev_i32_e32 v14, 31, v13
	v_ashrrev_i32_e32 v16, 31, v15
	;; [unrolled: 1-line block ×3, first 2 shown]
	v_add_nc_u32_e32 v23, s5, v57
	v_ashrrev_i32_e32 v20, 31, v19
	v_lshlrev_b64 v[13:14], 3, v[13:14]
	v_lshlrev_b64 v[15:16], 3, v[15:16]
	v_ashrrev_i32_e32 v22, 31, v21
	v_lshlrev_b64 v[17:18], 3, v[17:18]
	v_ashrrev_i32_e32 v24, 31, v23
	v_lshlrev_b64 v[19:20], 3, v[19:20]
	v_add_co_u32 v13, s3, s9, v13
	v_add_nc_u32_e32 v25, s5, v10
	v_add_co_ci_u32_e64 v14, null, s20, v14, s3
	v_add_co_u32 v15, s3, s9, v15
	v_lshlrev_b64 v[21:22], 3, v[21:22]
	v_add_nc_u32_e32 v27, s5, v11
	v_add_co_ci_u32_e64 v16, null, s20, v16, s3
	v_add_co_u32 v17, s3, s9, v17
	v_lshlrev_b64 v[23:24], 3, v[23:24]
	v_ashrrev_i32_e32 v26, 31, v25
	v_add_co_ci_u32_e64 v18, null, s20, v18, s3
	v_add_co_u32 v19, s3, s9, v19
	v_ashrrev_i32_e32 v28, 31, v27
	v_add_co_ci_u32_e64 v20, null, s20, v20, s3
	v_add_co_u32 v29, s3, s7, v21
	v_add_co_ci_u32_e64 v30, null, s8, v22, s3
	v_lshlrev_b64 v[21:22], 3, v[25:26]
	v_add_co_u32 v31, s3, s7, v23
	v_add_co_ci_u32_e64 v32, null, s8, v24, s3
	v_lshlrev_b64 v[23:24], 3, v[27:28]
	v_add_co_u32 v33, s3, s7, v21
	v_add_co_ci_u32_e64 v34, null, s8, v22, s3
	v_add_co_u32 v35, s3, s7, v23
	v_add_co_ci_u32_e64 v36, null, s8, v24, s3
	s_clause 0x3
	global_load_dwordx2 v[13:14], v[13:14], off
	global_load_dwordx2 v[15:16], v[15:16], off
	global_load_dwordx2 v[17:18], v[17:18], off
	global_load_dwordx2 v[19:20], v[19:20], off
	s_clause 0x3
	global_load_dwordx2 v[21:22], v[29:30], off
	global_load_dwordx2 v[23:24], v[31:32], off
	global_load_dwordx2 v[25:26], v[33:34], off
	global_load_dwordx2 v[27:28], v[35:36], off
	s_and_saveexec_b32 s3, s0
	s_cbranch_execz .LBB60_15
; %bb.19:                               ;   in Loop: Header=BB60_17 Depth=1
	s_clause 0x3
	global_load_dwordx2 v[37:38], v[29:30], off offset:256
	global_load_dwordx2 v[39:40], v[31:32], off offset:256
	global_load_dwordx2 v[41:42], v[33:34], off offset:256
	global_load_dwordx2 v[43:44], v[35:36], off offset:256
	s_and_saveexec_b32 s28, s1
	s_cbranch_execz .LBB60_14
; %bb.20:                               ;   in Loop: Header=BB60_17 Depth=1
	s_clause 0x3
	global_load_dwordx2 v[45:46], v[29:30], off offset:512
	global_load_dwordx2 v[47:48], v[31:32], off offset:512
	global_load_dwordx2 v[49:50], v[33:34], off offset:512
	global_load_dwordx2 v[51:52], v[35:36], off offset:512
	;; [unrolled: 8-line block ×3, first 2 shown]
	s_waitcnt vmcnt(3)
	v_fma_f64 v[2:3], v[13:14], v[29:30], v[2:3]
	s_waitcnt vmcnt(2)
	v_fma_f64 v[2:3], v[15:16], v[31:32], v[2:3]
	;; [unrolled: 2-line block ×4, first 2 shown]
	s_branch .LBB60_13
.LBB60_22:
	s_or_b32 exec_lo, exec_lo, s23
.LBB60_23:
	s_or_b32 exec_lo, exec_lo, s21
	s_sub_i32 s0, s17, s6
	s_cmp_lt_i32 s0, 1
	s_cbranch_scc1 .LBB60_41
; %bb.24:
	v_mov_b32_e32 v14, 0
	v_mov_b32_e32 v16, 0
	;; [unrolled: 1-line block ×4, first 2 shown]
	v_cmp_gt_i32_e32 vcc_lo, s17, v56
	v_mov_b32_e32 v15, 0
	v_mov_b32_e32 v17, 0
	;; [unrolled: 1-line block ×4, first 2 shown]
	v_or_b32_e32 v18, 1, v56
	s_and_saveexec_b32 s1, vcc_lo
	s_cbranch_execz .LBB60_32
; %bb.25:
	v_mul_lo_u32 v10, v56, s4
	v_mov_b32_e32 v12, 0
	v_mov_b32_e32 v16, 0
	;; [unrolled: 1-line block ×6, first 2 shown]
	s_mov_b32 s2, exec_lo
	v_ashrrev_i32_e32 v11, 31, v10
	v_lshlrev_b64 v[10:11], 3, v[10:11]
	v_add_co_u32 v10, s0, s9, v10
	v_add_co_ci_u32_e64 v11, null, s20, v11, s0
	global_load_dwordx2 v[10:11], v[10:11], off
	v_cmpx_gt_i32_e64 s17, v18
	s_cbranch_execz .LBB60_31
; %bb.26:
	v_mul_lo_u32 v12, v18, s4
	v_mov_b32_e32 v16, 0
	v_mov_b32_e32 v14, 0
	v_or_b32_e32 v19, 2, v56
	v_mov_b32_e32 v17, 0
	v_mov_b32_e32 v15, 0
	s_mov_b32 s3, exec_lo
	v_ashrrev_i32_e32 v13, 31, v12
	v_lshlrev_b64 v[12:13], 3, v[12:13]
	v_add_co_u32 v12, s0, s9, v12
	v_add_co_ci_u32_e64 v13, null, s20, v13, s0
	global_load_dwordx2 v[12:13], v[12:13], off
	v_cmpx_gt_i32_e64 s17, v19
	s_cbranch_execz .LBB60_30
; %bb.27:
	v_mul_lo_u32 v14, v19, s4
	v_or_b32_e32 v19, 3, v56
	s_mov_b32 s6, exec_lo
	v_ashrrev_i32_e32 v15, 31, v14
	v_lshlrev_b64 v[14:15], 3, v[14:15]
	v_add_co_u32 v14, s0, s9, v14
	v_add_co_ci_u32_e64 v15, null, s20, v15, s0
	global_load_dwordx2 v[16:17], v[14:15], off
	v_mov_b32_e32 v14, 0
	v_mov_b32_e32 v15, 0
	v_cmpx_gt_i32_e64 s17, v19
	s_cbranch_execz .LBB60_29
; %bb.28:
	v_mul_lo_u32 v14, v19, s4
	v_ashrrev_i32_e32 v15, 31, v14
	v_lshlrev_b64 v[14:15], 3, v[14:15]
	v_add_co_u32 v14, s0, s9, v14
	v_add_co_ci_u32_e64 v15, null, s20, v15, s0
	global_load_dwordx2 v[14:15], v[14:15], off
.LBB60_29:
	s_or_b32 exec_lo, exec_lo, s6
.LBB60_30:
	s_or_b32 exec_lo, exec_lo, s3
.LBB60_31:
	s_or_b32 exec_lo, exec_lo, s2
.LBB60_32:
	s_or_b32 exec_lo, exec_lo, s1
	s_mov_b32 s1, exec_lo
	v_cmpx_gt_i32_e64 s16, v55
	s_cbranch_execz .LBB60_40
; %bb.33:
	v_mul_lo_u32 v19, v56, s24
	v_mul_lo_u32 v21, v18, s24
	v_or_b32_e32 v22, 2, v56
	v_or_b32_e32 v24, 3, v56
	s_mov_b32 s0, exec_lo
	v_mul_lo_u32 v23, v22, s24
	v_cndmask_b32_e32 v19, 0, v19, vcc_lo
	v_cmp_gt_i32_e32 vcc_lo, s17, v18
	v_mul_lo_u32 v25, v24, s24
	v_add_nc_u32_e32 v19, v19, v55
	v_cndmask_b32_e32 v21, 0, v21, vcc_lo
	v_ashrrev_i32_e32 v20, 31, v19
	v_lshlrev_b64 v[19:20], 3, v[19:20]
	v_add_co_u32 v18, vcc_lo, s7, v19
	v_add_co_ci_u32_e64 v19, null, s8, v20, vcc_lo
	v_add_nc_u32_e32 v20, v21, v55
	global_load_dwordx2 v[28:29], v[18:19], off
	v_ashrrev_i32_e32 v21, 31, v20
	v_lshlrev_b64 v[20:21], 3, v[20:21]
	v_add_co_u32 v20, vcc_lo, s7, v20
	v_add_co_ci_u32_e64 v21, null, s8, v21, vcc_lo
	v_cmp_gt_i32_e32 vcc_lo, s17, v22
	global_load_dwordx2 v[30:31], v[20:21], off
	v_cndmask_b32_e32 v22, 0, v23, vcc_lo
	v_cmp_gt_i32_e32 vcc_lo, s17, v24
	v_add_nc_u32_e32 v22, v22, v55
	v_cndmask_b32_e32 v26, 0, v25, vcc_lo
	v_ashrrev_i32_e32 v23, 31, v22
	v_lshlrev_b64 v[22:23], 3, v[22:23]
	v_add_co_u32 v24, vcc_lo, s7, v22
	v_add_co_ci_u32_e64 v25, null, s8, v23, vcc_lo
	v_add_nc_u32_e32 v22, v26, v55
	global_load_dwordx2 v[32:33], v[24:25], off
	v_ashrrev_i32_e32 v23, 31, v22
	v_lshlrev_b64 v[22:23], 3, v[22:23]
	v_add_co_u32 v26, vcc_lo, s7, v22
	v_add_co_ci_u32_e64 v27, null, s8, v23, vcc_lo
	global_load_dwordx2 v[22:23], v[26:27], off
	s_waitcnt vmcnt(3)
	v_fma_f64 v[8:9], v[10:11], v[28:29], v[8:9]
	v_add_nc_u32_e32 v28, 32, v55
	s_waitcnt vmcnt(2)
	v_fma_f64 v[8:9], v[12:13], v[30:31], v[8:9]
	s_waitcnt vmcnt(1)
	v_fma_f64 v[8:9], v[16:17], v[32:33], v[8:9]
	v_cmpx_gt_i32_e64 s16, v28
	s_cbranch_execz .LBB60_39
; %bb.34:
	s_clause 0x3
	global_load_dwordx2 v[30:31], v[18:19], off offset:256
	global_load_dwordx2 v[32:33], v[20:21], off offset:256
	global_load_dwordx2 v[34:35], v[24:25], off offset:256
	global_load_dwordx2 v[28:29], v[26:27], off offset:256
	s_mov_b32 s2, exec_lo
	s_waitcnt vmcnt(3)
	v_fma_f64 v[6:7], v[10:11], v[30:31], v[6:7]
	v_add_nc_u32_e32 v30, 64, v55
	s_waitcnt vmcnt(2)
	v_fma_f64 v[6:7], v[12:13], v[32:33], v[6:7]
	s_waitcnt vmcnt(1)
	v_fma_f64 v[6:7], v[16:17], v[34:35], v[6:7]
	v_cmpx_gt_i32_e64 s16, v30
	s_cbranch_execz .LBB60_38
; %bb.35:
	s_clause 0x3
	global_load_dwordx2 v[32:33], v[18:19], off offset:512
	global_load_dwordx2 v[34:35], v[20:21], off offset:512
	;; [unrolled: 1-line block ×4, first 2 shown]
	s_mov_b32 s3, exec_lo
	s_waitcnt vmcnt(3)
	v_fma_f64 v[4:5], v[10:11], v[32:33], v[4:5]
	v_add_nc_u32_e32 v32, 0x60, v55
	s_waitcnt vmcnt(2)
	v_fma_f64 v[4:5], v[12:13], v[34:35], v[4:5]
	s_waitcnt vmcnt(1)
	v_fma_f64 v[4:5], v[16:17], v[36:37], v[4:5]
	v_cmpx_gt_i32_e64 s16, v32
	s_cbranch_execz .LBB60_37
; %bb.36:
	s_clause 0x3
	global_load_dwordx2 v[18:19], v[18:19], off offset:768
	global_load_dwordx2 v[20:21], v[20:21], off offset:768
	;; [unrolled: 1-line block ×4, first 2 shown]
	s_waitcnt vmcnt(3)
	v_fma_f64 v[2:3], v[10:11], v[18:19], v[2:3]
	s_waitcnt vmcnt(2)
	v_fma_f64 v[2:3], v[12:13], v[20:21], v[2:3]
	;; [unrolled: 2-line block ×4, first 2 shown]
.LBB60_37:
	s_or_b32 exec_lo, exec_lo, s3
	s_waitcnt vmcnt(0)
	v_fma_f64 v[4:5], v[14:15], v[30:31], v[4:5]
.LBB60_38:
	s_or_b32 exec_lo, exec_lo, s2
	s_waitcnt vmcnt(0)
	v_fma_f64 v[6:7], v[14:15], v[28:29], v[6:7]
.LBB60_39:
	s_or_b32 exec_lo, exec_lo, s0
	s_waitcnt vmcnt(0)
	v_fma_f64 v[8:9], v[14:15], v[22:23], v[8:9]
.LBB60_40:
	s_or_b32 exec_lo, exec_lo, s1
.LBB60_41:
	v_lshlrev_b32_e32 v0, 3, v0
	s_mov_b32 s0, exec_lo
	v_lshl_add_u32 v1, v1, 10, v0
	ds_write2_b64 v1, v[8:9], v[6:7] offset1:32
	ds_write2_b64 v1, v[4:5], v[2:3] offset0:64 offset1:96
	s_waitcnt vmcnt(0) lgkmcnt(0)
	s_barrier
	buffer_gl0_inv
                                        ; implicit-def: $vgpr4_vgpr5
                                        ; implicit-def: $vgpr2_vgpr3
	v_cmpx_gt_u32_e32 0x80, v53
	s_cbranch_execz .LBB60_47
; %bb.42:
	v_lshl_add_u32 v7, v54, 3, v0
	v_or_b32_e32 v6, s5, v53
	s_mov_b32 s2, s19
	s_mov_b32 s1, exec_lo
	ds_read2st64_b64 v[0:3], v7 offset1:2
	s_waitcnt lgkmcnt(0)
	v_add_f64 v[4:5], v[0:1], v[2:3]
	ds_read2st64_b64 v[0:3], v7 offset0:4 offset1:6
	s_waitcnt lgkmcnt(0)
	v_add_f64 v[0:1], v[0:1], v[4:5]
	v_add_f64 v[4:5], v[2:3], v[0:1]
	ds_read2st64_b64 v[0:3], v7 offset0:8 offset1:10
	s_waitcnt lgkmcnt(0)
	v_add_f64 v[0:1], v[0:1], v[4:5]
	;; [unrolled: 4-line block ×7, first 2 shown]
                                        ; implicit-def: $vgpr4_vgpr5
	v_add_f64 v[0:1], v[2:3], v[0:1]
                                        ; implicit-def: $vgpr2_vgpr3
	ds_write_b64 v7, v[0:1]
	v_cmpx_gt_i32_e64 s16, v6
	s_cbranch_execz .LBB60_46
; %bb.43:
	v_cmp_eq_f64_e64 s2, s[10:11], 0
	v_mul_f64 v[4:5], s[12:13], v[0:1]
	v_mul_lo_u32 v2, s18, v6
	v_ashrrev_i32_e32 v3, 31, v2
	s_and_b32 vcc_lo, exec_lo, s2
	s_cbranch_vccnz .LBB60_45
; %bb.44:
	v_lshlrev_b64 v[0:1], 3, v[2:3]
	v_add_co_u32 v0, vcc_lo, s14, v0
	v_add_co_ci_u32_e64 v1, null, s15, v1, vcc_lo
	global_load_dwordx2 v[0:1], v[0:1], off
	s_waitcnt vmcnt(0)
	v_fma_f64 v[4:5], s[10:11], v[0:1], v[4:5]
.LBB60_45:
	s_or_b32 s2, s19, exec_lo
.LBB60_46:
	s_or_b32 exec_lo, exec_lo, s1
	s_andn2_b32 s1, s19, exec_lo
	s_and_b32 s2, s2, exec_lo
	s_or_b32 s19, s1, s2
.LBB60_47:
	s_or_b32 exec_lo, exec_lo, s0
.LBB60_48:
	s_and_saveexec_b32 s0, s19
	s_cbranch_execz .LBB60_50
; %bb.49:
	v_lshlrev_b64 v[0:1], 3, v[2:3]
	v_add_co_u32 v0, vcc_lo, s14, v0
	v_add_co_ci_u32_e64 v1, null, s15, v1, vcc_lo
	global_store_dwordx2 v[0:1], v[4:5], off
.LBB60_50:
	s_endpgm
	.section	.rodata,"a",@progbits
	.p2align	6, 0x0
	.amdhsa_kernel _ZL20rocblas_gemvn_kernelILi32ELi16EidPKddEviiT3_lPKT2_lT1_lS5_lS6_lS2_lPT4_lS6_li
		.amdhsa_group_segment_fixed_size 16384
		.amdhsa_private_segment_fixed_size 0
		.amdhsa_kernarg_size 400
		.amdhsa_user_sgpr_count 6
		.amdhsa_user_sgpr_private_segment_buffer 1
		.amdhsa_user_sgpr_dispatch_ptr 0
		.amdhsa_user_sgpr_queue_ptr 0
		.amdhsa_user_sgpr_kernarg_segment_ptr 1
		.amdhsa_user_sgpr_dispatch_id 0
		.amdhsa_user_sgpr_flat_scratch_init 0
		.amdhsa_user_sgpr_private_segment_size 0
		.amdhsa_wavefront_size32 1
		.amdhsa_uses_dynamic_stack 0
		.amdhsa_system_sgpr_private_segment_wavefront_offset 0
		.amdhsa_system_sgpr_workgroup_id_x 1
		.amdhsa_system_sgpr_workgroup_id_y 0
		.amdhsa_system_sgpr_workgroup_id_z 1
		.amdhsa_system_sgpr_workgroup_info 0
		.amdhsa_system_vgpr_workitem_id 1
		.amdhsa_next_free_vgpr 62
		.amdhsa_next_free_sgpr 30
		.amdhsa_reserve_vcc 1
		.amdhsa_reserve_flat_scratch 0
		.amdhsa_float_round_mode_32 0
		.amdhsa_float_round_mode_16_64 0
		.amdhsa_float_denorm_mode_32 3
		.amdhsa_float_denorm_mode_16_64 3
		.amdhsa_dx10_clamp 1
		.amdhsa_ieee_mode 1
		.amdhsa_fp16_overflow 0
		.amdhsa_workgroup_processor_mode 1
		.amdhsa_memory_ordered 1
		.amdhsa_forward_progress 1
		.amdhsa_shared_vgpr_count 0
		.amdhsa_exception_fp_ieee_invalid_op 0
		.amdhsa_exception_fp_denorm_src 0
		.amdhsa_exception_fp_ieee_div_zero 0
		.amdhsa_exception_fp_ieee_overflow 0
		.amdhsa_exception_fp_ieee_underflow 0
		.amdhsa_exception_fp_ieee_inexact 0
		.amdhsa_exception_int_div_zero 0
	.end_amdhsa_kernel
	.section	.text._ZL20rocblas_gemvn_kernelILi32ELi16EidPKddEviiT3_lPKT2_lT1_lS5_lS6_lS2_lPT4_lS6_li,"axG",@progbits,_ZL20rocblas_gemvn_kernelILi32ELi16EidPKddEviiT3_lPKT2_lT1_lS5_lS6_lS2_lPT4_lS6_li,comdat
.Lfunc_end60:
	.size	_ZL20rocblas_gemvn_kernelILi32ELi16EidPKddEviiT3_lPKT2_lT1_lS5_lS6_lS2_lPT4_lS6_li, .Lfunc_end60-_ZL20rocblas_gemvn_kernelILi32ELi16EidPKddEviiT3_lPKT2_lT1_lS5_lS6_lS2_lPT4_lS6_li
                                        ; -- End function
	.set _ZL20rocblas_gemvn_kernelILi32ELi16EidPKddEviiT3_lPKT2_lT1_lS5_lS6_lS2_lPT4_lS6_li.num_vgpr, 62
	.set _ZL20rocblas_gemvn_kernelILi32ELi16EidPKddEviiT3_lPKT2_lT1_lS5_lS6_lS2_lPT4_lS6_li.num_agpr, 0
	.set _ZL20rocblas_gemvn_kernelILi32ELi16EidPKddEviiT3_lPKT2_lT1_lS5_lS6_lS2_lPT4_lS6_li.numbered_sgpr, 30
	.set _ZL20rocblas_gemvn_kernelILi32ELi16EidPKddEviiT3_lPKT2_lT1_lS5_lS6_lS2_lPT4_lS6_li.num_named_barrier, 0
	.set _ZL20rocblas_gemvn_kernelILi32ELi16EidPKddEviiT3_lPKT2_lT1_lS5_lS6_lS2_lPT4_lS6_li.private_seg_size, 0
	.set _ZL20rocblas_gemvn_kernelILi32ELi16EidPKddEviiT3_lPKT2_lT1_lS5_lS6_lS2_lPT4_lS6_li.uses_vcc, 1
	.set _ZL20rocblas_gemvn_kernelILi32ELi16EidPKddEviiT3_lPKT2_lT1_lS5_lS6_lS2_lPT4_lS6_li.uses_flat_scratch, 0
	.set _ZL20rocblas_gemvn_kernelILi32ELi16EidPKddEviiT3_lPKT2_lT1_lS5_lS6_lS2_lPT4_lS6_li.has_dyn_sized_stack, 0
	.set _ZL20rocblas_gemvn_kernelILi32ELi16EidPKddEviiT3_lPKT2_lT1_lS5_lS6_lS2_lPT4_lS6_li.has_recursion, 0
	.set _ZL20rocblas_gemvn_kernelILi32ELi16EidPKddEviiT3_lPKT2_lT1_lS5_lS6_lS2_lPT4_lS6_li.has_indirect_call, 0
	.section	.AMDGPU.csdata,"",@progbits
; Kernel info:
; codeLenInByte = 3048
; TotalNumSgprs: 32
; NumVgprs: 62
; ScratchSize: 0
; MemoryBound: 0
; FloatMode: 240
; IeeeMode: 1
; LDSByteSize: 16384 bytes/workgroup (compile time only)
; SGPRBlocks: 0
; VGPRBlocks: 7
; NumSGPRsForWavesPerEU: 32
; NumVGPRsForWavesPerEU: 62
; Occupancy: 16
; WaveLimiterHint : 1
; COMPUTE_PGM_RSRC2:SCRATCH_EN: 0
; COMPUTE_PGM_RSRC2:USER_SGPR: 6
; COMPUTE_PGM_RSRC2:TRAP_HANDLER: 0
; COMPUTE_PGM_RSRC2:TGID_X_EN: 1
; COMPUTE_PGM_RSRC2:TGID_Y_EN: 0
; COMPUTE_PGM_RSRC2:TGID_Z_EN: 1
; COMPUTE_PGM_RSRC2:TIDIG_COMP_CNT: 1
	.section	.text._ZL20rocblas_gemvn_kernelILi32ELi16EldPKddEviiT3_lPKT2_lT1_lS5_lS6_lS2_lPT4_lS6_li,"axG",@progbits,_ZL20rocblas_gemvn_kernelILi32ELi16EldPKddEviiT3_lPKT2_lT1_lS5_lS6_lS2_lPT4_lS6_li,comdat
	.globl	_ZL20rocblas_gemvn_kernelILi32ELi16EldPKddEviiT3_lPKT2_lT1_lS5_lS6_lS2_lPT4_lS6_li ; -- Begin function _ZL20rocblas_gemvn_kernelILi32ELi16EldPKddEviiT3_lPKT2_lT1_lS5_lS6_lS2_lPT4_lS6_li
	.p2align	8
	.type	_ZL20rocblas_gemvn_kernelILi32ELi16EldPKddEviiT3_lPKT2_lT1_lS5_lS6_lS2_lPT4_lS6_li,@function
_ZL20rocblas_gemvn_kernelILi32ELi16EldPKddEviiT3_lPKT2_lT1_lS5_lS6_lS2_lPT4_lS6_li: ; @_ZL20rocblas_gemvn_kernelILi32ELi16EldPKddEviiT3_lPKT2_lT1_lS5_lS6_lS2_lPT4_lS6_li
; %bb.0:
	s_load_dwordx2 s[0:1], s[4:5], 0x9c
	s_waitcnt lgkmcnt(0)
	s_lshr_b32 s2, s0, 16
	s_and_b32 s0, s0, 0xffff
	s_and_b32 s1, s1, 0xffff
	s_mul_i32 s0, s2, s0
	s_mul_i32 s0, s0, s1
	s_cmpk_lg_i32 s0, 0x200
	s_cbranch_scc1 .LBB61_50
; %bb.1:
	s_clause 0x1
	s_load_dwordx16 s[36:51], s[4:5], 0x8
	s_load_dwordx16 s[8:23], s[4:5], 0x48
	s_waitcnt lgkmcnt(0)
	s_mul_i32 s1, s39, s7
	s_mul_hi_u32 s2, s38, s7
	s_mul_i32 s0, s38, s7
	s_add_i32 s1, s2, s1
	s_mul_i32 s2, s15, s7
	s_lshl_b64 s[0:1], s[0:1], 3
	s_mul_hi_u32 s3, s14, s7
	s_add_u32 s0, s36, s0
	s_addc_u32 s1, s37, s1
	s_add_i32 s3, s3, s2
	s_mul_i32 s2, s14, s7
	s_lshl_b64 s[2:3], s[2:3], 3
	s_add_u32 s2, s12, s2
	s_addc_u32 s3, s13, s3
	s_load_dwordx2 s[14:15], s[0:1], 0x0
	s_load_dwordx2 s[12:13], s[2:3], 0x0
	s_waitcnt lgkmcnt(0)
	v_cmp_eq_f64_e64 s0, s[14:15], 0
	v_cmp_eq_f64_e64 s1, s[12:13], 1.0
	s_and_b32 s0, s0, s1
	s_and_b32 vcc_lo, exec_lo, s0
	s_cbranch_vccnz .LBB61_50
; %bb.2:
	v_cmp_neq_f64_e64 s2, s[14:15], 0
	s_load_dwordx2 s[24:25], s[4:5], 0x0
	v_lshlrev_b32_e32 v55, 5, v1
	s_mul_i32 s1, s23, s7
	s_mul_hi_u32 s3, s22, s7
	s_mul_i32 s0, s22, s7
	s_add_i32 s1, s3, s1
	v_add_nc_u32_e32 v54, v55, v0
	s_lshl_b64 s[0:1], s[0:1], 3
	s_mov_b32 s27, 0
	s_add_u32 s3, s16, s0
	s_addc_u32 s4, s17, s1
	s_lshl_b64 s[0:1], s[18:19], 3
	s_add_u32 s5, s3, s0
	v_cmp_gt_u32_e64 s0, 0x80, v54
	s_addc_u32 s26, s4, s1
	s_and_b32 vcc_lo, exec_lo, s2
	s_cbranch_vccnz .LBB61_9
; %bb.3:
	s_mov_b32 s1, 0
                                        ; implicit-def: $vgpr2_vgpr3
                                        ; implicit-def: $vgpr4_vgpr5
	s_and_saveexec_b32 s2, s0
	s_cbranch_execz .LBB61_10
; %bb.4:
	v_lshl_or_b32 v6, s6, 7, v54
	v_mov_b32_e32 v7, 0
	s_waitcnt lgkmcnt(0)
	s_ashr_i32 s17, s24, 31
	s_mov_b32 s16, s24
	s_mov_b32 s3, 0
	s_mov_b32 s0, exec_lo
                                        ; implicit-def: $vgpr2_vgpr3
                                        ; implicit-def: $vgpr4_vgpr5
	v_cmpx_gt_i64_e64 s[16:17], v[6:7]
	s_cbranch_execz .LBB61_8
; %bb.5:
	v_cmp_eq_f64_e64 s3, s[12:13], 0
	v_mad_u64_u32 v[4:5], null, s20, v6, 0
	v_mov_b32_e32 v2, v5
	v_mad_u64_u32 v[5:6], null, s21, v6, v[2:3]
	v_mov_b32_e32 v2, 0
	v_mov_b32_e32 v3, 0
	s_and_b32 vcc_lo, exec_lo, s3
	s_cbranch_vccnz .LBB61_7
; %bb.6:
	v_lshlrev_b64 v[2:3], 3, v[4:5]
	v_add_co_u32 v2, vcc_lo, s5, v2
	v_add_co_ci_u32_e64 v3, null, s26, v3, vcc_lo
	global_load_dwordx2 v[2:3], v[2:3], off
	s_waitcnt vmcnt(0)
	v_mul_f64 v[2:3], s[12:13], v[2:3]
.LBB61_7:
	s_mov_b32 s3, exec_lo
.LBB61_8:
	s_or_b32 exec_lo, exec_lo, s0
	s_and_b32 s27, s3, exec_lo
	s_or_b32 exec_lo, exec_lo, s2
	s_and_b32 vcc_lo, exec_lo, s1
	s_cbranch_vccnz .LBB61_11
	s_branch .LBB61_48
.LBB61_9:
                                        ; implicit-def: $vgpr2_vgpr3
                                        ; implicit-def: $vgpr4_vgpr5
	s_cbranch_execnz .LBB61_11
	s_branch .LBB61_48
.LBB61_10:
	s_or_b32 exec_lo, exec_lo, s2
	s_and_b32 vcc_lo, exec_lo, s1
	s_cbranch_vccz .LBB61_48
.LBB61_11:
	s_mul_i32 s0, s47, s7
	s_mul_hi_u32 s1, s46, s7
	s_lshl_b32 s28, s6, 7
	s_add_i32 s17, s1, s0
	s_waitcnt lgkmcnt(0)
	s_ashr_i32 s1, s25, 31
	v_mov_b32_e32 v10, 0
	s_lshr_b32 s1, s1, 26
	v_mov_b32_e32 v8, 0
	v_mov_b32_e32 v6, 0
	;; [unrolled: 1-line block ×3, first 2 shown]
	v_add_nc_u32_e32 v2, s28, v0
	v_lshlrev_b32_e32 v56, 2, v1
	v_mov_b32_e32 v11, 0
	v_mov_b32_e32 v9, 0
	;; [unrolled: 1-line block ×4, first 2 shown]
	s_mul_i32 s0, s11, s7
	s_mul_hi_u32 s2, s10, s7
	s_add_i32 s29, s25, s1
	s_mul_i32 s16, s46, s7
	s_andn2_b32 s29, s29, 63
	s_add_i32 s11, s2, s0
	s_mul_i32 s10, s10, s7
	s_mov_b32 s30, exec_lo
	v_cmpx_gt_i32_e64 s29, v56
	s_cbranch_execz .LBB61_23
; %bb.12:
	v_lshlrev_b32_e32 v20, 2, v1
	v_mad_u64_u32 v[4:5], null, s8, v1, 0
	v_ashrrev_i32_e32 v3, 31, v2
	v_add_nc_u32_e32 v12, 32, v2
	v_or_b32_e32 v11, 3, v20
	v_add_nc_u32_e32 v13, 64, v2
	s_lshl_b64 s[0:1], s[10:11], 3
	s_lshl_b64 s[6:7], s[50:51], 3
	v_add_nc_u32_e32 v14, 0x60, v2
	v_mad_u64_u32 v[6:7], null, s44, v11, 0
	s_add_u32 s4, s48, s0
	v_or_b32_e32 v21, 2, v20
	s_addc_u32 s31, s49, s1
	v_cmp_gt_i32_e64 s0, s24, v12
	v_cmp_gt_i32_e64 s1, s24, v13
	v_lshlrev_b64 v[12:13], 3, v[2:3]
	v_mad_u64_u32 v[8:9], null, s9, v1, v[5:6]
	v_mad_u64_u32 v[9:10], null, s8, v11, 0
	v_cmp_gt_i32_e64 s2, s24, v14
	s_lshl_b64 s[22:23], s[42:43], 3
	v_mad_u64_u32 v[14:15], null, s44, v21, 0
	v_mov_b32_e32 v5, v8
	v_mad_u64_u32 v[7:8], null, s45, v11, v[7:8]
	v_mov_b32_e32 v8, v10
	v_mad_u64_u32 v[16:17], null, s8, v21, 0
	v_lshlrev_b64 v[4:5], 5, v[4:5]
	s_lshl_b64 s[18:19], s[8:9], 9
	v_mad_u64_u32 v[10:11], null, s9, v11, v[8:9]
	s_lshl_b64 s[34:35], s[16:17], 3
	v_mad_u64_u32 v[18:19], null, s8, v20, s[8:9]
	v_add_co_u32 v3, s3, s4, v4
	v_add_co_ci_u32_e64 v57, null, s31, v5, s3
	v_lshlrev_b64 v[4:5], 3, v[6:7]
	v_mad_u64_u32 v[6:7], null, s44, v1, 0
	s_add_u32 s3, s40, s22
	s_addc_u32 s22, s41, s23
	s_add_u32 s23, s3, s34
	s_addc_u32 s22, s22, s35
	v_add_co_u32 v58, s3, s23, v4
	v_mad_u64_u32 v[7:8], null, s45, v1, v[7:8]
	v_add_co_ci_u32_e64 v59, null, s22, v5, s3
	v_mov_b32_e32 v4, v15
	v_lshlrev_b64 v[8:9], 3, v[9:10]
	v_mov_b32_e32 v5, v17
	v_cmp_gt_i32_e32 vcc_lo, s24, v2
	v_mad_u64_u32 v[10:11], null, s45, v21, v[4:5]
	v_add_co_u32 v60, s3, s4, v8
	v_add_co_ci_u32_e64 v61, null, s31, v9, s3
	v_mad_u64_u32 v[8:9], null, s44, v20, s[44:45]
	v_mad_u64_u32 v[4:5], null, s9, v21, v[5:6]
	v_lshlrev_b64 v[5:6], 5, v[6:7]
	v_mov_b32_e32 v7, v19
	v_mov_b32_e32 v15, v10
	v_mad_u64_u32 v[10:11], null, s9, v20, v[7:8]
	v_add_co_u32 v62, s3, s23, v5
	v_add_co_ci_u32_e64 v63, null, s22, v6, s3
	v_lshlrev_b64 v[5:6], 3, v[14:15]
	v_mov_b32_e32 v17, v4
	v_mov_b32_e32 v4, v9
	;; [unrolled: 1-line block ×3, first 2 shown]
	v_lshlrev_b64 v[14:15], 3, v[16:17]
	v_mad_u64_u32 v[9:10], null, s45, v20, v[4:5]
	v_add_co_u32 v64, s3, s23, v5
	v_add_co_ci_u32_e64 v65, null, s22, v6, s3
	v_lshlrev_b64 v[4:5], 3, v[18:19]
	v_add_co_u32 v66, s3, s4, v14
	v_add_co_ci_u32_e64 v67, null, s31, v15, s3
	v_lshlrev_b64 v[14:15], 3, v[8:9]
	v_add_co_u32 v68, s3, s4, v4
	v_add_co_ci_u32_e64 v69, null, s31, v5, s3
	v_mov_b32_e32 v10, 0
	v_add_co_u32 v70, s3, s23, v14
	v_mov_b32_e32 v8, 0
	v_mov_b32_e32 v6, 0
	;; [unrolled: 1-line block ×7, first 2 shown]
	v_add_co_ci_u32_e64 v71, null, s22, v15, s3
	s_lshl_b64 s[22:23], s[44:45], 9
	s_mov_b32 s31, 0
	s_branch .LBB61_17
.LBB61_13:                              ;   in Loop: Header=BB61_17 Depth=1
	s_or_b32 exec_lo, exec_lo, s34
	s_waitcnt vmcnt(3)
	v_fma_f64 v[6:7], v[14:15], v[46:47], v[6:7]
	s_waitcnt vmcnt(2)
	v_fma_f64 v[6:7], v[16:17], v[48:49], v[6:7]
	;; [unrolled: 2-line block ×4, first 2 shown]
.LBB61_14:                              ;   in Loop: Header=BB61_17 Depth=1
	s_or_b32 exec_lo, exec_lo, s33
	s_waitcnt vmcnt(3)
	v_fma_f64 v[8:9], v[14:15], v[36:37], v[8:9]
	s_waitcnt vmcnt(2)
	v_fma_f64 v[8:9], v[16:17], v[38:39], v[8:9]
	;; [unrolled: 2-line block ×4, first 2 shown]
.LBB61_15:                              ;   in Loop: Header=BB61_17 Depth=1
	s_or_b32 exec_lo, exec_lo, s3
	s_waitcnt vmcnt(3)
	v_fma_f64 v[10:11], v[14:15], v[22:23], v[10:11]
	s_waitcnt vmcnt(2)
	v_fma_f64 v[10:11], v[16:17], v[24:25], v[10:11]
	;; [unrolled: 2-line block ×4, first 2 shown]
.LBB61_16:                              ;   in Loop: Header=BB61_17 Depth=1
	s_or_b32 exec_lo, exec_lo, s4
	v_add_co_u32 v3, s3, v3, s18
	v_add_co_ci_u32_e64 v57, null, s19, v57, s3
	v_add_co_u32 v58, s3, v58, s22
	v_add_co_ci_u32_e64 v59, null, s23, v59, s3
	;; [unrolled: 2-line block ×4, first 2 shown]
	v_add_co_u32 v64, s3, v64, s22
	v_add_nc_u32_e32 v56, 64, v56
	v_add_co_ci_u32_e64 v65, null, s23, v65, s3
	v_add_co_u32 v66, s3, v66, s18
	v_add_co_ci_u32_e64 v67, null, s19, v67, s3
	v_add_co_u32 v68, s3, v68, s18
	v_add_co_ci_u32_e64 v69, null, s19, v69, s3
	v_cmp_le_i32_e64 s3, s29, v56
	v_add_co_u32 v70, s4, v70, s22
	v_add_co_ci_u32_e64 v71, null, s23, v71, s4
	s_or_b32 s31, s3, s31
	s_andn2_b32 exec_lo, exec_lo, s31
	s_cbranch_execz .LBB61_22
.LBB61_17:                              ; =>This Inner Loop Header: Depth=1
	s_and_saveexec_b32 s4, vcc_lo
	s_cbranch_execz .LBB61_16
; %bb.18:                               ;   in Loop: Header=BB61_17 Depth=1
	v_add_co_u32 v14, s3, v3, s6
	v_add_co_ci_u32_e64 v15, null, s7, v57, s3
	v_add_co_u32 v16, s3, v68, s6
	v_add_co_ci_u32_e64 v17, null, s7, v69, s3
	;; [unrolled: 2-line block ×8, first 2 shown]
	global_load_dwordx2 v[14:15], v[14:15], off
	global_load_dwordx2 v[16:17], v[16:17], off
	;; [unrolled: 1-line block ×8, first 2 shown]
	s_and_saveexec_b32 s3, s0
	s_cbranch_execz .LBB61_15
; %bb.19:                               ;   in Loop: Header=BB61_17 Depth=1
	global_load_dwordx2 v[36:37], v[30:31], off offset:256
	global_load_dwordx2 v[38:39], v[32:33], off offset:256
	global_load_dwordx2 v[40:41], v[34:35], off offset:256
	global_load_dwordx2 v[42:43], v[44:45], off offset:256
	s_and_saveexec_b32 s33, s1
	s_cbranch_execz .LBB61_14
; %bb.20:                               ;   in Loop: Header=BB61_17 Depth=1
	global_load_dwordx2 v[46:47], v[30:31], off offset:512
	global_load_dwordx2 v[48:49], v[32:33], off offset:512
	global_load_dwordx2 v[50:51], v[34:35], off offset:512
	global_load_dwordx2 v[52:53], v[44:45], off offset:512
	;; [unrolled: 7-line block ×3, first 2 shown]
	s_waitcnt vmcnt(3)
	v_fma_f64 v[4:5], v[14:15], v[30:31], v[4:5]
	s_waitcnt vmcnt(2)
	v_fma_f64 v[4:5], v[16:17], v[32:33], v[4:5]
	s_waitcnt vmcnt(1)
	v_fma_f64 v[4:5], v[18:19], v[34:35], v[4:5]
	s_waitcnt vmcnt(0)
	v_fma_f64 v[4:5], v[20:21], v[44:45], v[4:5]
	s_branch .LBB61_13
.LBB61_22:
	s_or_b32 exec_lo, exec_lo, s31
.LBB61_23:
	s_or_b32 exec_lo, exec_lo, s30
	s_sub_i32 s0, s25, s29
	s_cmp_lt_i32 s0, 1
	s_cbranch_scc1 .LBB61_41
; %bb.24:
	v_mov_b32_e32 v16, 0
	v_mov_b32_e32 v18, 0
	;; [unrolled: 1-line block ×4, first 2 shown]
	v_cmp_gt_i32_e32 vcc_lo, s25, v56
	v_mov_b32_e32 v17, 0
	v_mov_b32_e32 v19, 0
	;; [unrolled: 1-line block ×4, first 2 shown]
	v_or_b32_e32 v20, 1, v56
	s_and_saveexec_b32 s1, vcc_lo
	s_cbranch_execz .LBB61_32
; %bb.25:
	v_mad_u64_u32 v[12:13], null, s8, v56, 0
	s_lshl_b64 s[2:3], s[10:11], 3
	v_mov_b32_e32 v18, 0
	s_add_u32 s0, s48, s2
	s_addc_u32 s2, s49, s3
	s_lshl_b64 s[6:7], s[50:51], 3
	v_mov_b32_e32 v16, 0
	v_mov_b32_e32 v3, v13
	s_add_u32 s3, s0, s6
	s_addc_u32 s4, s2, s7
	v_mov_b32_e32 v19, 0
	v_mov_b32_e32 v17, 0
	v_mad_u64_u32 v[13:14], null, s9, v56, v[3:4]
	v_mov_b32_e32 v14, 0
	v_mov_b32_e32 v15, 0
	s_mov_b32 s2, exec_lo
	v_lshlrev_b64 v[12:13], 3, v[12:13]
	v_add_co_u32 v12, s0, s3, v12
	v_add_co_ci_u32_e64 v13, null, s4, v13, s0
	global_load_dwordx2 v[12:13], v[12:13], off
	v_cmpx_gt_i32_e64 s25, v20
	s_cbranch_execz .LBB61_31
; %bb.26:
	v_mad_u64_u32 v[14:15], null, s8, v20, 0
	v_mov_b32_e32 v18, 0
	v_mov_b32_e32 v19, 0
	s_mov_b32 s6, exec_lo
	v_mov_b32_e32 v3, v15
	v_mad_u64_u32 v[15:16], null, s9, v20, v[3:4]
	v_mov_b32_e32 v16, 0
	v_or_b32_e32 v3, 2, v56
	v_mov_b32_e32 v17, 0
	v_lshlrev_b64 v[14:15], 3, v[14:15]
	v_add_co_u32 v14, s0, s3, v14
	v_add_co_ci_u32_e64 v15, null, s4, v15, s0
	global_load_dwordx2 v[14:15], v[14:15], off
	v_cmpx_gt_i32_e64 s25, v3
	s_cbranch_execz .LBB61_30
; %bb.27:
	v_mad_u64_u32 v[16:17], null, s8, v3, 0
	s_mov_b32 s7, exec_lo
	v_mad_u64_u32 v[17:18], null, s9, v3, v[17:18]
	v_or_b32_e32 v3, 3, v56
	v_lshlrev_b64 v[16:17], 3, v[16:17]
	v_add_co_u32 v16, s0, s3, v16
	v_add_co_ci_u32_e64 v17, null, s4, v17, s0
	global_load_dwordx2 v[18:19], v[16:17], off
	v_mov_b32_e32 v16, 0
	v_mov_b32_e32 v17, 0
	v_cmpx_gt_i32_e64 s25, v3
	s_cbranch_execz .LBB61_29
; %bb.28:
	v_mad_u64_u32 v[16:17], null, s8, v3, 0
	s_waitcnt vmcnt(0)
	v_mad_u64_u32 v[21:22], null, s9, v3, v[17:18]
	v_mov_b32_e32 v17, v21
	v_lshlrev_b64 v[16:17], 3, v[16:17]
	v_add_co_u32 v16, s0, s3, v16
	v_add_co_ci_u32_e64 v17, null, s4, v17, s0
	global_load_dwordx2 v[16:17], v[16:17], off
.LBB61_29:
	s_or_b32 exec_lo, exec_lo, s7
.LBB61_30:
	s_or_b32 exec_lo, exec_lo, s6
.LBB61_31:
	s_or_b32 exec_lo, exec_lo, s2
.LBB61_32:
	s_or_b32 exec_lo, exec_lo, s1
	s_mov_b32 s1, exec_lo
	v_cmpx_gt_i32_e64 s24, v2
	s_cbranch_execz .LBB61_40
; %bb.33:
	v_mad_u64_u32 v[21:22], null, s44, v56, 0
	s_lshl_b64 s[2:3], s[16:17], 3
	v_or_b32_e32 v32, 2, v56
	s_add_u32 s0, s40, s2
	s_addc_u32 s4, s41, s3
	s_lshl_b64 s[2:3], s[42:43], 3
	v_or_b32_e32 v36, 3, v56
	v_mov_b32_e32 v3, v22
	v_cndmask_b32_e32 v21, 0, v21, vcc_lo
	s_add_u32 s2, s0, s2
	s_addc_u32 s3, s4, s3
	v_mad_u64_u32 v[26:27], null, s44, v32, 0
	v_mad_u64_u32 v[22:23], null, s45, v56, v[3:4]
	;; [unrolled: 1-line block ×3, first 2 shown]
	v_ashrrev_i32_e32 v3, 31, v2
	v_cndmask_b32_e32 v22, 0, v22, vcc_lo
	v_lshlrev_b64 v[28:29], 3, v[2:3]
	v_mad_u64_u32 v[24:25], null, s45, v20, v[24:25]
	v_cmp_gt_i32_e32 vcc_lo, s25, v20
	v_lshlrev_b64 v[21:22], 3, v[21:22]
	v_cndmask_b32_e32 v23, 0, v23, vcc_lo
	v_cndmask_b32_e32 v24, 0, v24, vcc_lo
	v_add_co_u32 v3, s0, s2, v21
	v_add_co_ci_u32_e64 v21, null, s3, v22, s0
	v_lshlrev_b64 v[22:23], 3, v[23:24]
	v_add_co_u32 v20, vcc_lo, v3, v28
	v_add_co_ci_u32_e64 v21, null, v21, v29, vcc_lo
	v_mov_b32_e32 v3, v27
	v_add_co_u32 v24, vcc_lo, s2, v22
	global_load_dwordx2 v[30:31], v[20:21], off
	v_add_co_ci_u32_e64 v25, null, s3, v23, vcc_lo
	v_mad_u64_u32 v[22:23], null, s45, v32, v[3:4]
	v_add_co_u32 v24, s0, v24, v28
	v_cmp_gt_i32_e32 vcc_lo, s25, v32
	v_add_co_ci_u32_e64 v25, null, v25, v29, s0
	v_cndmask_b32_e32 v26, 0, v26, vcc_lo
	v_cndmask_b32_e32 v27, 0, v22, vcc_lo
	v_mad_u64_u32 v[22:23], null, s44, v36, 0
	global_load_dwordx2 v[32:33], v[24:25], off
	v_lshlrev_b64 v[26:27], 3, v[26:27]
	v_mov_b32_e32 v3, v23
	v_add_co_u32 v23, vcc_lo, s2, v26
	v_add_co_ci_u32_e64 v27, null, s3, v27, vcc_lo
	v_mad_u64_u32 v[34:35], null, s45, v36, v[3:4]
	v_add_co_u32 v26, s0, v23, v28
	v_cmp_gt_i32_e32 vcc_lo, s25, v36
	v_add_co_ci_u32_e64 v27, null, v27, v29, s0
	s_mov_b32 s0, exec_lo
	v_cndmask_b32_e32 v22, 0, v22, vcc_lo
	v_cndmask_b32_e32 v23, 0, v34, vcc_lo
	global_load_dwordx2 v[34:35], v[26:27], off
	v_lshlrev_b64 v[22:23], 3, v[22:23]
	v_add_co_u32 v3, vcc_lo, s2, v22
	v_add_co_ci_u32_e64 v22, null, s3, v23, vcc_lo
	v_add_co_u32 v28, vcc_lo, v3, v28
	v_add_co_ci_u32_e64 v29, null, v22, v29, vcc_lo
	v_add_nc_u32_e32 v3, 32, v2
	global_load_dwordx2 v[22:23], v[28:29], off
	s_waitcnt vmcnt(3)
	v_fma_f64 v[10:11], v[12:13], v[30:31], v[10:11]
	s_waitcnt vmcnt(2)
	v_fma_f64 v[10:11], v[14:15], v[32:33], v[10:11]
	;; [unrolled: 2-line block ×3, first 2 shown]
	v_cmpx_gt_i32_e64 s24, v3
	s_cbranch_execz .LBB61_39
; %bb.34:
	s_clause 0x3
	global_load_dwordx2 v[32:33], v[20:21], off offset:256
	global_load_dwordx2 v[34:35], v[24:25], off offset:256
	;; [unrolled: 1-line block ×4, first 2 shown]
	v_add_nc_u32_e32 v3, 64, v2
	s_mov_b32 s2, exec_lo
	s_waitcnt vmcnt(3)
	v_fma_f64 v[8:9], v[12:13], v[32:33], v[8:9]
	s_waitcnt vmcnt(2)
	v_fma_f64 v[8:9], v[14:15], v[34:35], v[8:9]
	;; [unrolled: 2-line block ×3, first 2 shown]
	v_cmpx_gt_i32_e64 s24, v3
	s_cbranch_execz .LBB61_38
; %bb.35:
	s_clause 0x3
	global_load_dwordx2 v[34:35], v[20:21], off offset:512
	global_load_dwordx2 v[36:37], v[24:25], off offset:512
	;; [unrolled: 1-line block ×4, first 2 shown]
	v_add_nc_u32_e32 v2, 0x60, v2
	s_mov_b32 s3, exec_lo
	s_waitcnt vmcnt(3)
	v_fma_f64 v[6:7], v[12:13], v[34:35], v[6:7]
	s_waitcnt vmcnt(2)
	v_fma_f64 v[6:7], v[14:15], v[36:37], v[6:7]
	;; [unrolled: 2-line block ×3, first 2 shown]
	v_cmpx_gt_i32_e64 s24, v2
	s_cbranch_execz .LBB61_37
; %bb.36:
	s_clause 0x3
	global_load_dwordx2 v[2:3], v[20:21], off offset:768
	global_load_dwordx2 v[20:21], v[24:25], off offset:768
	;; [unrolled: 1-line block ×4, first 2 shown]
	s_waitcnt vmcnt(3)
	v_fma_f64 v[2:3], v[12:13], v[2:3], v[4:5]
	s_waitcnt vmcnt(2)
	v_fma_f64 v[2:3], v[14:15], v[20:21], v[2:3]
	;; [unrolled: 2-line block ×4, first 2 shown]
.LBB61_37:
	s_or_b32 exec_lo, exec_lo, s3
	s_waitcnt vmcnt(0)
	v_fma_f64 v[6:7], v[16:17], v[32:33], v[6:7]
.LBB61_38:
	s_or_b32 exec_lo, exec_lo, s2
	s_waitcnt vmcnt(0)
	v_fma_f64 v[8:9], v[16:17], v[30:31], v[8:9]
.LBB61_39:
	s_or_b32 exec_lo, exec_lo, s0
	s_waitcnt vmcnt(0)
	v_fma_f64 v[10:11], v[16:17], v[22:23], v[10:11]
.LBB61_40:
	s_or_b32 exec_lo, exec_lo, s1
.LBB61_41:
	v_lshlrev_b32_e32 v0, 3, v0
	s_mov_b32 s0, exec_lo
                                        ; implicit-def: $vgpr2_vgpr3
	v_lshl_add_u32 v1, v1, 10, v0
	ds_write2_b64 v1, v[10:11], v[8:9] offset1:32
	ds_write2_b64 v1, v[6:7], v[4:5] offset0:64 offset1:96
	s_waitcnt vmcnt(0) lgkmcnt(0)
	s_barrier
	buffer_gl0_inv
                                        ; implicit-def: $vgpr4_vgpr5
	v_cmpx_gt_u32_e32 0x80, v54
	s_cbranch_execz .LBB61_47
; %bb.42:
	v_lshl_add_u32 v7, v55, 3, v0
	v_or_b32_e32 v6, s28, v54
	s_mov_b32 s2, s27
	s_mov_b32 s1, exec_lo
	ds_read2st64_b64 v[0:3], v7 offset1:2
	s_waitcnt lgkmcnt(0)
	v_add_f64 v[4:5], v[0:1], v[2:3]
	ds_read2st64_b64 v[0:3], v7 offset0:4 offset1:6
	s_waitcnt lgkmcnt(0)
	v_add_f64 v[0:1], v[0:1], v[4:5]
	v_add_f64 v[4:5], v[2:3], v[0:1]
	ds_read2st64_b64 v[0:3], v7 offset0:8 offset1:10
	s_waitcnt lgkmcnt(0)
	v_add_f64 v[0:1], v[0:1], v[4:5]
	;; [unrolled: 4-line block ×7, first 2 shown]
                                        ; implicit-def: $vgpr4_vgpr5
	v_add_f64 v[0:1], v[2:3], v[0:1]
                                        ; implicit-def: $vgpr2_vgpr3
	ds_write_b64 v7, v[0:1]
	v_cmpx_gt_i32_e64 s24, v6
	s_cbranch_execz .LBB61_46
; %bb.43:
	v_cmp_eq_f64_e64 s2, s[12:13], 0
	v_mul_f64 v[2:3], s[14:15], v[0:1]
	v_ashrrev_i32_e32 v0, 31, v6
	v_mul_lo_u32 v1, s21, v6
	v_mad_u64_u32 v[4:5], null, s20, v6, 0
	v_mul_lo_u32 v0, s20, v0
	v_add3_u32 v5, v5, v0, v1
	s_and_b32 vcc_lo, exec_lo, s2
	s_cbranch_vccnz .LBB61_45
; %bb.44:
	v_lshlrev_b64 v[0:1], 3, v[4:5]
	v_add_co_u32 v0, vcc_lo, s5, v0
	v_add_co_ci_u32_e64 v1, null, s26, v1, vcc_lo
	global_load_dwordx2 v[0:1], v[0:1], off
	s_waitcnt vmcnt(0)
	v_fma_f64 v[2:3], s[12:13], v[0:1], v[2:3]
.LBB61_45:
	s_or_b32 s2, s27, exec_lo
.LBB61_46:
	s_or_b32 exec_lo, exec_lo, s1
	s_andn2_b32 s1, s27, exec_lo
	s_and_b32 s2, s2, exec_lo
	s_or_b32 s27, s1, s2
.LBB61_47:
	s_or_b32 exec_lo, exec_lo, s0
.LBB61_48:
	s_and_saveexec_b32 s0, s27
	s_cbranch_execz .LBB61_50
; %bb.49:
	v_lshlrev_b64 v[0:1], 3, v[4:5]
	v_add_co_u32 v0, vcc_lo, s5, v0
	v_add_co_ci_u32_e64 v1, null, s26, v1, vcc_lo
	global_store_dwordx2 v[0:1], v[2:3], off
.LBB61_50:
	s_endpgm
	.section	.rodata,"a",@progbits
	.p2align	6, 0x0
	.amdhsa_kernel _ZL20rocblas_gemvn_kernelILi32ELi16EldPKddEviiT3_lPKT2_lT1_lS5_lS6_lS2_lPT4_lS6_li
		.amdhsa_group_segment_fixed_size 16384
		.amdhsa_private_segment_fixed_size 0
		.amdhsa_kernarg_size 400
		.amdhsa_user_sgpr_count 6
		.amdhsa_user_sgpr_private_segment_buffer 1
		.amdhsa_user_sgpr_dispatch_ptr 0
		.amdhsa_user_sgpr_queue_ptr 0
		.amdhsa_user_sgpr_kernarg_segment_ptr 1
		.amdhsa_user_sgpr_dispatch_id 0
		.amdhsa_user_sgpr_flat_scratch_init 0
		.amdhsa_user_sgpr_private_segment_size 0
		.amdhsa_wavefront_size32 1
		.amdhsa_uses_dynamic_stack 0
		.amdhsa_system_sgpr_private_segment_wavefront_offset 0
		.amdhsa_system_sgpr_workgroup_id_x 1
		.amdhsa_system_sgpr_workgroup_id_y 0
		.amdhsa_system_sgpr_workgroup_id_z 1
		.amdhsa_system_sgpr_workgroup_info 0
		.amdhsa_system_vgpr_workitem_id 1
		.amdhsa_next_free_vgpr 72
		.amdhsa_next_free_sgpr 52
		.amdhsa_reserve_vcc 1
		.amdhsa_reserve_flat_scratch 0
		.amdhsa_float_round_mode_32 0
		.amdhsa_float_round_mode_16_64 0
		.amdhsa_float_denorm_mode_32 3
		.amdhsa_float_denorm_mode_16_64 3
		.amdhsa_dx10_clamp 1
		.amdhsa_ieee_mode 1
		.amdhsa_fp16_overflow 0
		.amdhsa_workgroup_processor_mode 1
		.amdhsa_memory_ordered 1
		.amdhsa_forward_progress 1
		.amdhsa_shared_vgpr_count 0
		.amdhsa_exception_fp_ieee_invalid_op 0
		.amdhsa_exception_fp_denorm_src 0
		.amdhsa_exception_fp_ieee_div_zero 0
		.amdhsa_exception_fp_ieee_overflow 0
		.amdhsa_exception_fp_ieee_underflow 0
		.amdhsa_exception_fp_ieee_inexact 0
		.amdhsa_exception_int_div_zero 0
	.end_amdhsa_kernel
	.section	.text._ZL20rocblas_gemvn_kernelILi32ELi16EldPKddEviiT3_lPKT2_lT1_lS5_lS6_lS2_lPT4_lS6_li,"axG",@progbits,_ZL20rocblas_gemvn_kernelILi32ELi16EldPKddEviiT3_lPKT2_lT1_lS5_lS6_lS2_lPT4_lS6_li,comdat
.Lfunc_end61:
	.size	_ZL20rocblas_gemvn_kernelILi32ELi16EldPKddEviiT3_lPKT2_lT1_lS5_lS6_lS2_lPT4_lS6_li, .Lfunc_end61-_ZL20rocblas_gemvn_kernelILi32ELi16EldPKddEviiT3_lPKT2_lT1_lS5_lS6_lS2_lPT4_lS6_li
                                        ; -- End function
	.set _ZL20rocblas_gemvn_kernelILi32ELi16EldPKddEviiT3_lPKT2_lT1_lS5_lS6_lS2_lPT4_lS6_li.num_vgpr, 72
	.set _ZL20rocblas_gemvn_kernelILi32ELi16EldPKddEviiT3_lPKT2_lT1_lS5_lS6_lS2_lPT4_lS6_li.num_agpr, 0
	.set _ZL20rocblas_gemvn_kernelILi32ELi16EldPKddEviiT3_lPKT2_lT1_lS5_lS6_lS2_lPT4_lS6_li.numbered_sgpr, 52
	.set _ZL20rocblas_gemvn_kernelILi32ELi16EldPKddEviiT3_lPKT2_lT1_lS5_lS6_lS2_lPT4_lS6_li.num_named_barrier, 0
	.set _ZL20rocblas_gemvn_kernelILi32ELi16EldPKddEviiT3_lPKT2_lT1_lS5_lS6_lS2_lPT4_lS6_li.private_seg_size, 0
	.set _ZL20rocblas_gemvn_kernelILi32ELi16EldPKddEviiT3_lPKT2_lT1_lS5_lS6_lS2_lPT4_lS6_li.uses_vcc, 1
	.set _ZL20rocblas_gemvn_kernelILi32ELi16EldPKddEviiT3_lPKT2_lT1_lS5_lS6_lS2_lPT4_lS6_li.uses_flat_scratch, 0
	.set _ZL20rocblas_gemvn_kernelILi32ELi16EldPKddEviiT3_lPKT2_lT1_lS5_lS6_lS2_lPT4_lS6_li.has_dyn_sized_stack, 0
	.set _ZL20rocblas_gemvn_kernelILi32ELi16EldPKddEviiT3_lPKT2_lT1_lS5_lS6_lS2_lPT4_lS6_li.has_recursion, 0
	.set _ZL20rocblas_gemvn_kernelILi32ELi16EldPKddEviiT3_lPKT2_lT1_lS5_lS6_lS2_lPT4_lS6_li.has_indirect_call, 0
	.section	.AMDGPU.csdata,"",@progbits
; Kernel info:
; codeLenInByte = 3424
; TotalNumSgprs: 54
; NumVgprs: 72
; ScratchSize: 0
; MemoryBound: 1
; FloatMode: 240
; IeeeMode: 1
; LDSByteSize: 16384 bytes/workgroup (compile time only)
; SGPRBlocks: 0
; VGPRBlocks: 8
; NumSGPRsForWavesPerEU: 54
; NumVGPRsForWavesPerEU: 72
; Occupancy: 12
; WaveLimiterHint : 0
; COMPUTE_PGM_RSRC2:SCRATCH_EN: 0
; COMPUTE_PGM_RSRC2:USER_SGPR: 6
; COMPUTE_PGM_RSRC2:TRAP_HANDLER: 0
; COMPUTE_PGM_RSRC2:TGID_X_EN: 1
; COMPUTE_PGM_RSRC2:TGID_Y_EN: 0
; COMPUTE_PGM_RSRC2:TGID_Z_EN: 1
; COMPUTE_PGM_RSRC2:TIDIG_COMP_CNT: 1
	.section	.text._ZL20rocblas_gemvn_kernelILi32ELi16EidddEviiT3_lPKT2_lT1_lS3_lS4_lS0_lPT4_lS4_li,"axG",@progbits,_ZL20rocblas_gemvn_kernelILi32ELi16EidddEviiT3_lPKT2_lT1_lS3_lS4_lS0_lPT4_lS4_li,comdat
	.globl	_ZL20rocblas_gemvn_kernelILi32ELi16EidddEviiT3_lPKT2_lT1_lS3_lS4_lS0_lPT4_lS4_li ; -- Begin function _ZL20rocblas_gemvn_kernelILi32ELi16EidddEviiT3_lPKT2_lT1_lS3_lS4_lS0_lPT4_lS4_li
	.p2align	8
	.type	_ZL20rocblas_gemvn_kernelILi32ELi16EidddEviiT3_lPKT2_lT1_lS3_lS4_lS0_lPT4_lS4_li,@function
_ZL20rocblas_gemvn_kernelILi32ELi16EidddEviiT3_lPKT2_lT1_lS3_lS4_lS0_lPT4_lS4_li: ; @_ZL20rocblas_gemvn_kernelILi32ELi16EidddEviiT3_lPKT2_lT1_lS3_lS4_lS0_lPT4_lS4_li
; %bb.0:
	s_load_dwordx2 s[0:1], s[4:5], 0x9c
	s_waitcnt lgkmcnt(0)
	s_lshr_b32 s2, s0, 16
	s_and_b32 s0, s0, 0xffff
	s_and_b32 s1, s1, 0xffff
	s_mul_i32 s0, s2, s0
	s_mul_i32 s0, s0, s1
	s_cmpk_lg_i32 s0, 0x200
	s_cbranch_scc1 .LBB62_50
; %bb.1:
	s_clause 0x1
	s_load_dwordx2 s[12:13], s[4:5], 0x8
	s_load_dwordx4 s[8:11], s[4:5], 0x50
	s_waitcnt lgkmcnt(0)
	v_cmp_eq_f64_e64 s0, s[12:13], 0
	v_cmp_eq_f64_e64 s1, s[10:11], 1.0
	s_and_b32 s0, s0, s1
	s_and_b32 vcc_lo, exec_lo, s0
	s_cbranch_vccnz .LBB62_50
; %bb.2:
	s_clause 0x1
	s_load_dwordx2 s[16:17], s[4:5], 0x80
	s_load_dwordx4 s[0:3], s[4:5], 0x68
	v_cmp_neq_f64_e64 s19, s[12:13], 0
	s_clause 0x1
	s_load_dword s18, s[4:5], 0x78
	s_load_dwordx2 s[14:15], s[4:5], 0x0
	v_lshlrev_b32_e32 v54, 5, v1
	v_add_nc_u32_e32 v53, v54, v0
	s_waitcnt lgkmcnt(0)
	s_mul_i32 s17, s17, s7
	s_mul_hi_u32 s20, s16, s7
	s_mul_i32 s16, s16, s7
	s_add_i32 s17, s20, s17
	s_lshl_b64 s[16:17], s[16:17], 3
	s_add_u32 s16, s0, s16
	s_addc_u32 s17, s1, s17
	s_lshl_b64 s[0:1], s[2:3], 3
	s_add_u32 s16, s16, s0
	v_cmp_gt_u32_e64 s0, 0x80, v53
	s_addc_u32 s17, s17, s1
	s_and_b32 vcc_lo, exec_lo, s19
	s_mov_b32 s19, 0
	s_cbranch_vccnz .LBB62_9
; %bb.3:
	s_mov_b32 s1, 0
                                        ; implicit-def: $vgpr4_vgpr5
                                        ; implicit-def: $vgpr2_vgpr3
	s_and_saveexec_b32 s2, s0
	s_cbranch_execz .LBB62_10
; %bb.4:
	v_lshl_or_b32 v6, s6, 7, v53
	v_mov_b32_e32 v7, 0
	s_ashr_i32 s21, s14, 31
	s_mov_b32 s20, s14
	s_mov_b32 s3, 0
	s_mov_b32 s0, exec_lo
                                        ; implicit-def: $vgpr4_vgpr5
                                        ; implicit-def: $vgpr2_vgpr3
	v_cmpx_gt_i64_e64 s[20:21], v[6:7]
	s_cbranch_execz .LBB62_8
; %bb.5:
	v_cmp_eq_f64_e64 s3, s[10:11], 0
	v_mad_u64_u32 v[2:3], null, s18, v6, 0
	s_ashr_i32 s19, s18, 31
	v_mad_u64_u32 v[3:4], null, s19, v6, v[3:4]
	v_mov_b32_e32 v4, 0
	v_mov_b32_e32 v5, 0
	s_and_b32 vcc_lo, exec_lo, s3
	s_cbranch_vccnz .LBB62_7
; %bb.6:
	v_lshlrev_b64 v[4:5], 3, v[2:3]
	v_add_co_u32 v4, vcc_lo, s16, v4
	v_add_co_ci_u32_e64 v5, null, s17, v5, vcc_lo
	global_load_dwordx2 v[4:5], v[4:5], off
	s_waitcnt vmcnt(0)
	v_mul_f64 v[4:5], s[10:11], v[4:5]
.LBB62_7:
	s_mov_b32 s3, exec_lo
.LBB62_8:
	s_or_b32 exec_lo, exec_lo, s0
	s_and_b32 s19, s3, exec_lo
	s_or_b32 exec_lo, exec_lo, s2
	s_and_b32 vcc_lo, exec_lo, s1
	s_cbranch_vccnz .LBB62_11
	s_branch .LBB62_48
.LBB62_9:
                                        ; implicit-def: $vgpr4_vgpr5
                                        ; implicit-def: $vgpr2_vgpr3
	s_cbranch_execnz .LBB62_11
	s_branch .LBB62_48
.LBB62_10:
	s_or_b32 exec_lo, exec_lo, s2
	s_and_b32 vcc_lo, exec_lo, s1
	s_cbranch_vccz .LBB62_48
.LBB62_11:
	s_clause 0x4
	s_load_dwordx4 s[0:3], s[4:5], 0x30
	s_load_dwordx4 s[24:27], s[4:5], 0x18
	s_load_dword s20, s[4:5], 0x28
	s_load_dwordx2 s[22:23], s[4:5], 0x40
	s_load_dword s4, s[4:5], 0x48
	s_mul_i32 s9, s9, s7
	v_mov_b32_e32 v8, 0
	v_mov_b32_e32 v6, 0
	;; [unrolled: 1-line block ×4, first 2 shown]
	v_lshlrev_b32_e32 v56, 2, v1
	v_mov_b32_e32 v9, 0
	v_mov_b32_e32 v7, 0
	;; [unrolled: 1-line block ×4, first 2 shown]
	s_waitcnt lgkmcnt(0)
	s_mul_i32 s1, s1, s7
	s_mul_hi_u32 s21, s0, s7
	s_mul_i32 s0, s0, s7
	s_add_i32 s1, s21, s1
	s_mul_hi_u32 s21, s8, s7
	s_lshl_b64 s[0:1], s[0:1], 3
	s_add_u32 s28, s24, s0
	s_addc_u32 s25, s25, s1
	s_lshl_b64 s[0:1], s[26:27], 3
	s_mul_i32 s24, s8, s7
	s_add_u32 s7, s28, s0
	s_addc_u32 s8, s25, s1
	s_add_i32 s25, s21, s9
	s_lshl_b64 s[0:1], s[24:25], 3
	s_add_u32 s2, s2, s0
	s_addc_u32 s3, s3, s1
	s_lshl_b64 s[0:1], s[22:23], 3
	s_mov_b32 s22, exec_lo
	s_add_u32 s9, s2, s0
	s_addc_u32 s21, s3, s1
	s_ashr_i32 s0, s15, 31
	s_lshl_b32 s5, s6, 7
	s_lshr_b32 s0, s0, 26
	v_add_nc_u32_e32 v55, s5, v0
	s_add_i32 s6, s15, s0
	s_andn2_b32 s6, s6, 63
	v_cmpx_gt_i32_e64 s6, v56
	s_cbranch_execz .LBB62_23
; %bb.12:
	v_add_nc_u32_e32 v2, 32, v55
	v_add_nc_u32_e32 v3, 64, v55
	;; [unrolled: 1-line block ×3, first 2 shown]
	v_mul_lo_u32 v5, s20, v56
	v_mul_lo_u32 v14, v1, s4
	v_cmp_gt_i32_e64 s0, s14, v2
	v_add_nc_u32_e32 v2, 2, v56
	v_cmp_gt_i32_e64 s1, s14, v3
	v_cmp_gt_i32_e64 s2, s14, v4
	v_mul_lo_u32 v3, v1, s20
	v_add_nc_u32_e32 v4, 3, v56
	v_mad_u64_u32 v[10:11], null, s20, v2, v[0:1]
	v_mul_lo_u32 v59, s4, v2
	v_add3_u32 v57, v5, s20, v0
	v_mad_u64_u32 v[11:12], null, s20, v4, v[0:1]
	v_mad_u64_u32 v[12:13], null, s4, v56, s[4:5]
	v_mul_lo_u32 v60, s4, v4
	v_lshl_add_u32 v58, v3, 2, v0
	v_mov_b32_e32 v8, 0
	v_mov_b32_e32 v6, 0
	;; [unrolled: 1-line block ×8, first 2 shown]
	v_lshlrev_b32_e32 v61, 2, v14
	s_lshl_b32 s23, s20, 6
	s_lshl_b32 s25, s4, 6
	s_mov_b32 s24, 0
	s_mov_b32 s26, 0
	v_cmp_gt_i32_e32 vcc_lo, s14, v55
	s_branch .LBB62_17
.LBB62_13:                              ;   in Loop: Header=BB62_17 Depth=1
	s_or_b32 exec_lo, exec_lo, s29
	s_waitcnt vmcnt(3)
	v_fma_f64 v[4:5], v[13:14], v[45:46], v[4:5]
	s_waitcnt vmcnt(2)
	v_fma_f64 v[4:5], v[15:16], v[47:48], v[4:5]
	;; [unrolled: 2-line block ×4, first 2 shown]
.LBB62_14:                              ;   in Loop: Header=BB62_17 Depth=1
	s_or_b32 exec_lo, exec_lo, s28
	s_waitcnt vmcnt(3)
	v_fma_f64 v[6:7], v[13:14], v[37:38], v[6:7]
	s_waitcnt vmcnt(2)
	v_fma_f64 v[6:7], v[15:16], v[39:40], v[6:7]
	;; [unrolled: 2-line block ×4, first 2 shown]
.LBB62_15:                              ;   in Loop: Header=BB62_17 Depth=1
	s_or_b32 exec_lo, exec_lo, s3
	s_waitcnt vmcnt(3)
	v_fma_f64 v[8:9], v[13:14], v[21:22], v[8:9]
	s_waitcnt vmcnt(2)
	v_fma_f64 v[8:9], v[15:16], v[23:24], v[8:9]
	;; [unrolled: 2-line block ×4, first 2 shown]
.LBB62_16:                              ;   in Loop: Header=BB62_17 Depth=1
	s_or_b32 exec_lo, exec_lo, s27
	v_add_nc_u32_e32 v56, 64, v56
	v_add_nc_u32_e32 v57, s23, v57
	;; [unrolled: 1-line block ×5, first 2 shown]
	v_cmp_le_i32_e64 s3, s6, v56
	s_add_i32 s26, s26, s25
	s_or_b32 s24, s3, s24
	s_andn2_b32 exec_lo, exec_lo, s24
	s_cbranch_execz .LBB62_22
.LBB62_17:                              ; =>This Inner Loop Header: Depth=1
	s_and_saveexec_b32 s27, vcc_lo
	s_cbranch_execz .LBB62_16
; %bb.18:                               ;   in Loop: Header=BB62_17 Depth=1
	v_add_nc_u32_e32 v13, s26, v61
	v_add_nc_u32_e32 v15, s26, v12
	;; [unrolled: 1-line block ×5, first 2 shown]
	v_ashrrev_i32_e32 v14, 31, v13
	v_ashrrev_i32_e32 v16, 31, v15
	;; [unrolled: 1-line block ×3, first 2 shown]
	v_add_nc_u32_e32 v23, s5, v57
	v_ashrrev_i32_e32 v20, 31, v19
	v_lshlrev_b64 v[13:14], 3, v[13:14]
	v_lshlrev_b64 v[15:16], 3, v[15:16]
	v_ashrrev_i32_e32 v22, 31, v21
	v_lshlrev_b64 v[17:18], 3, v[17:18]
	v_ashrrev_i32_e32 v24, 31, v23
	v_lshlrev_b64 v[19:20], 3, v[19:20]
	v_add_co_u32 v13, s3, s9, v13
	v_add_nc_u32_e32 v25, s5, v10
	v_add_co_ci_u32_e64 v14, null, s21, v14, s3
	v_add_co_u32 v15, s3, s9, v15
	v_lshlrev_b64 v[21:22], 3, v[21:22]
	v_add_nc_u32_e32 v27, s5, v11
	v_add_co_ci_u32_e64 v16, null, s21, v16, s3
	v_add_co_u32 v17, s3, s9, v17
	v_lshlrev_b64 v[23:24], 3, v[23:24]
	v_ashrrev_i32_e32 v26, 31, v25
	v_add_co_ci_u32_e64 v18, null, s21, v18, s3
	v_add_co_u32 v19, s3, s9, v19
	v_ashrrev_i32_e32 v28, 31, v27
	v_add_co_ci_u32_e64 v20, null, s21, v20, s3
	v_add_co_u32 v29, s3, s7, v21
	v_add_co_ci_u32_e64 v30, null, s8, v22, s3
	v_lshlrev_b64 v[21:22], 3, v[25:26]
	v_add_co_u32 v31, s3, s7, v23
	v_add_co_ci_u32_e64 v32, null, s8, v24, s3
	v_lshlrev_b64 v[23:24], 3, v[27:28]
	v_add_co_u32 v33, s3, s7, v21
	v_add_co_ci_u32_e64 v34, null, s8, v22, s3
	v_add_co_u32 v35, s3, s7, v23
	v_add_co_ci_u32_e64 v36, null, s8, v24, s3
	s_clause 0x3
	global_load_dwordx2 v[13:14], v[13:14], off
	global_load_dwordx2 v[15:16], v[15:16], off
	;; [unrolled: 1-line block ×4, first 2 shown]
	s_clause 0x3
	global_load_dwordx2 v[21:22], v[29:30], off
	global_load_dwordx2 v[23:24], v[31:32], off
	;; [unrolled: 1-line block ×4, first 2 shown]
	s_and_saveexec_b32 s3, s0
	s_cbranch_execz .LBB62_15
; %bb.19:                               ;   in Loop: Header=BB62_17 Depth=1
	s_clause 0x3
	global_load_dwordx2 v[37:38], v[29:30], off offset:256
	global_load_dwordx2 v[39:40], v[31:32], off offset:256
	global_load_dwordx2 v[41:42], v[33:34], off offset:256
	global_load_dwordx2 v[43:44], v[35:36], off offset:256
	s_and_saveexec_b32 s28, s1
	s_cbranch_execz .LBB62_14
; %bb.20:                               ;   in Loop: Header=BB62_17 Depth=1
	s_clause 0x3
	global_load_dwordx2 v[45:46], v[29:30], off offset:512
	global_load_dwordx2 v[47:48], v[31:32], off offset:512
	global_load_dwordx2 v[49:50], v[33:34], off offset:512
	global_load_dwordx2 v[51:52], v[35:36], off offset:512
	;; [unrolled: 8-line block ×3, first 2 shown]
	s_waitcnt vmcnt(3)
	v_fma_f64 v[2:3], v[13:14], v[29:30], v[2:3]
	s_waitcnt vmcnt(2)
	v_fma_f64 v[2:3], v[15:16], v[31:32], v[2:3]
	;; [unrolled: 2-line block ×4, first 2 shown]
	s_branch .LBB62_13
.LBB62_22:
	s_or_b32 exec_lo, exec_lo, s24
.LBB62_23:
	s_or_b32 exec_lo, exec_lo, s22
	s_sub_i32 s0, s15, s6
	s_cmp_lt_i32 s0, 1
	s_cbranch_scc1 .LBB62_41
; %bb.24:
	v_mov_b32_e32 v14, 0
	v_mov_b32_e32 v16, 0
	;; [unrolled: 1-line block ×4, first 2 shown]
	v_cmp_gt_i32_e32 vcc_lo, s15, v56
	v_mov_b32_e32 v15, 0
	v_mov_b32_e32 v17, 0
	;; [unrolled: 1-line block ×4, first 2 shown]
	v_or_b32_e32 v18, 1, v56
	s_and_saveexec_b32 s1, vcc_lo
	s_cbranch_execz .LBB62_32
; %bb.25:
	v_mul_lo_u32 v10, v56, s4
	v_mov_b32_e32 v12, 0
	v_mov_b32_e32 v16, 0
	v_mov_b32_e32 v14, 0
	v_mov_b32_e32 v13, 0
	v_mov_b32_e32 v17, 0
	v_mov_b32_e32 v15, 0
	s_mov_b32 s2, exec_lo
	v_ashrrev_i32_e32 v11, 31, v10
	v_lshlrev_b64 v[10:11], 3, v[10:11]
	v_add_co_u32 v10, s0, s9, v10
	v_add_co_ci_u32_e64 v11, null, s21, v11, s0
	global_load_dwordx2 v[10:11], v[10:11], off
	v_cmpx_gt_i32_e64 s15, v18
	s_cbranch_execz .LBB62_31
; %bb.26:
	v_mul_lo_u32 v12, v18, s4
	v_mov_b32_e32 v16, 0
	v_mov_b32_e32 v14, 0
	v_or_b32_e32 v19, 2, v56
	v_mov_b32_e32 v17, 0
	v_mov_b32_e32 v15, 0
	s_mov_b32 s3, exec_lo
	v_ashrrev_i32_e32 v13, 31, v12
	v_lshlrev_b64 v[12:13], 3, v[12:13]
	v_add_co_u32 v12, s0, s9, v12
	v_add_co_ci_u32_e64 v13, null, s21, v13, s0
	global_load_dwordx2 v[12:13], v[12:13], off
	v_cmpx_gt_i32_e64 s15, v19
	s_cbranch_execz .LBB62_30
; %bb.27:
	v_mul_lo_u32 v14, v19, s4
	v_or_b32_e32 v19, 3, v56
	s_mov_b32 s6, exec_lo
	v_ashrrev_i32_e32 v15, 31, v14
	v_lshlrev_b64 v[14:15], 3, v[14:15]
	v_add_co_u32 v14, s0, s9, v14
	v_add_co_ci_u32_e64 v15, null, s21, v15, s0
	global_load_dwordx2 v[16:17], v[14:15], off
	v_mov_b32_e32 v14, 0
	v_mov_b32_e32 v15, 0
	v_cmpx_gt_i32_e64 s15, v19
	s_cbranch_execz .LBB62_29
; %bb.28:
	v_mul_lo_u32 v14, v19, s4
	v_ashrrev_i32_e32 v15, 31, v14
	v_lshlrev_b64 v[14:15], 3, v[14:15]
	v_add_co_u32 v14, s0, s9, v14
	v_add_co_ci_u32_e64 v15, null, s21, v15, s0
	global_load_dwordx2 v[14:15], v[14:15], off
.LBB62_29:
	s_or_b32 exec_lo, exec_lo, s6
.LBB62_30:
	s_or_b32 exec_lo, exec_lo, s3
.LBB62_31:
	s_or_b32 exec_lo, exec_lo, s2
.LBB62_32:
	s_or_b32 exec_lo, exec_lo, s1
	s_mov_b32 s1, exec_lo
	v_cmpx_gt_i32_e64 s14, v55
	s_cbranch_execz .LBB62_40
; %bb.33:
	v_mul_lo_u32 v19, v56, s20
	v_mul_lo_u32 v21, v18, s20
	v_or_b32_e32 v22, 2, v56
	v_or_b32_e32 v24, 3, v56
	s_mov_b32 s0, exec_lo
	v_mul_lo_u32 v23, v22, s20
	v_cndmask_b32_e32 v19, 0, v19, vcc_lo
	v_cmp_gt_i32_e32 vcc_lo, s15, v18
	v_mul_lo_u32 v25, v24, s20
	v_add_nc_u32_e32 v19, v19, v55
	v_cndmask_b32_e32 v21, 0, v21, vcc_lo
	v_ashrrev_i32_e32 v20, 31, v19
	v_lshlrev_b64 v[19:20], 3, v[19:20]
	v_add_co_u32 v18, vcc_lo, s7, v19
	v_add_co_ci_u32_e64 v19, null, s8, v20, vcc_lo
	v_add_nc_u32_e32 v20, v21, v55
	global_load_dwordx2 v[28:29], v[18:19], off
	v_ashrrev_i32_e32 v21, 31, v20
	v_lshlrev_b64 v[20:21], 3, v[20:21]
	v_add_co_u32 v20, vcc_lo, s7, v20
	v_add_co_ci_u32_e64 v21, null, s8, v21, vcc_lo
	v_cmp_gt_i32_e32 vcc_lo, s15, v22
	global_load_dwordx2 v[30:31], v[20:21], off
	v_cndmask_b32_e32 v22, 0, v23, vcc_lo
	v_cmp_gt_i32_e32 vcc_lo, s15, v24
	v_add_nc_u32_e32 v22, v22, v55
	v_cndmask_b32_e32 v26, 0, v25, vcc_lo
	v_ashrrev_i32_e32 v23, 31, v22
	v_lshlrev_b64 v[22:23], 3, v[22:23]
	v_add_co_u32 v24, vcc_lo, s7, v22
	v_add_co_ci_u32_e64 v25, null, s8, v23, vcc_lo
	v_add_nc_u32_e32 v22, v26, v55
	global_load_dwordx2 v[32:33], v[24:25], off
	v_ashrrev_i32_e32 v23, 31, v22
	v_lshlrev_b64 v[22:23], 3, v[22:23]
	v_add_co_u32 v26, vcc_lo, s7, v22
	v_add_co_ci_u32_e64 v27, null, s8, v23, vcc_lo
	global_load_dwordx2 v[22:23], v[26:27], off
	s_waitcnt vmcnt(3)
	v_fma_f64 v[8:9], v[10:11], v[28:29], v[8:9]
	v_add_nc_u32_e32 v28, 32, v55
	s_waitcnt vmcnt(2)
	v_fma_f64 v[8:9], v[12:13], v[30:31], v[8:9]
	s_waitcnt vmcnt(1)
	v_fma_f64 v[8:9], v[16:17], v[32:33], v[8:9]
	v_cmpx_gt_i32_e64 s14, v28
	s_cbranch_execz .LBB62_39
; %bb.34:
	s_clause 0x3
	global_load_dwordx2 v[30:31], v[18:19], off offset:256
	global_load_dwordx2 v[32:33], v[20:21], off offset:256
	global_load_dwordx2 v[34:35], v[24:25], off offset:256
	global_load_dwordx2 v[28:29], v[26:27], off offset:256
	s_mov_b32 s2, exec_lo
	s_waitcnt vmcnt(3)
	v_fma_f64 v[6:7], v[10:11], v[30:31], v[6:7]
	v_add_nc_u32_e32 v30, 64, v55
	s_waitcnt vmcnt(2)
	v_fma_f64 v[6:7], v[12:13], v[32:33], v[6:7]
	s_waitcnt vmcnt(1)
	v_fma_f64 v[6:7], v[16:17], v[34:35], v[6:7]
	v_cmpx_gt_i32_e64 s14, v30
	s_cbranch_execz .LBB62_38
; %bb.35:
	s_clause 0x3
	global_load_dwordx2 v[32:33], v[18:19], off offset:512
	global_load_dwordx2 v[34:35], v[20:21], off offset:512
	;; [unrolled: 1-line block ×4, first 2 shown]
	s_mov_b32 s3, exec_lo
	s_waitcnt vmcnt(3)
	v_fma_f64 v[4:5], v[10:11], v[32:33], v[4:5]
	v_add_nc_u32_e32 v32, 0x60, v55
	s_waitcnt vmcnt(2)
	v_fma_f64 v[4:5], v[12:13], v[34:35], v[4:5]
	s_waitcnt vmcnt(1)
	v_fma_f64 v[4:5], v[16:17], v[36:37], v[4:5]
	v_cmpx_gt_i32_e64 s14, v32
	s_cbranch_execz .LBB62_37
; %bb.36:
	s_clause 0x3
	global_load_dwordx2 v[18:19], v[18:19], off offset:768
	global_load_dwordx2 v[20:21], v[20:21], off offset:768
	global_load_dwordx2 v[24:25], v[24:25], off offset:768
	global_load_dwordx2 v[26:27], v[26:27], off offset:768
	s_waitcnt vmcnt(3)
	v_fma_f64 v[2:3], v[10:11], v[18:19], v[2:3]
	s_waitcnt vmcnt(2)
	v_fma_f64 v[2:3], v[12:13], v[20:21], v[2:3]
	;; [unrolled: 2-line block ×4, first 2 shown]
.LBB62_37:
	s_or_b32 exec_lo, exec_lo, s3
	s_waitcnt vmcnt(0)
	v_fma_f64 v[4:5], v[14:15], v[30:31], v[4:5]
.LBB62_38:
	s_or_b32 exec_lo, exec_lo, s2
	s_waitcnt vmcnt(0)
	v_fma_f64 v[6:7], v[14:15], v[28:29], v[6:7]
.LBB62_39:
	s_or_b32 exec_lo, exec_lo, s0
	s_waitcnt vmcnt(0)
	v_fma_f64 v[8:9], v[14:15], v[22:23], v[8:9]
.LBB62_40:
	s_or_b32 exec_lo, exec_lo, s1
.LBB62_41:
	v_lshlrev_b32_e32 v0, 3, v0
	s_mov_b32 s0, exec_lo
	v_lshl_add_u32 v1, v1, 10, v0
	ds_write2_b64 v1, v[8:9], v[6:7] offset1:32
	ds_write2_b64 v1, v[4:5], v[2:3] offset0:64 offset1:96
	s_waitcnt vmcnt(0) lgkmcnt(0)
	s_barrier
	buffer_gl0_inv
                                        ; implicit-def: $vgpr4_vgpr5
                                        ; implicit-def: $vgpr2_vgpr3
	v_cmpx_gt_u32_e32 0x80, v53
	s_cbranch_execz .LBB62_47
; %bb.42:
	v_lshl_add_u32 v7, v54, 3, v0
	v_or_b32_e32 v6, s5, v53
	s_mov_b32 s2, s19
	s_mov_b32 s1, exec_lo
	ds_read2st64_b64 v[0:3], v7 offset1:2
	s_waitcnt lgkmcnt(0)
	v_add_f64 v[4:5], v[0:1], v[2:3]
	ds_read2st64_b64 v[0:3], v7 offset0:4 offset1:6
	s_waitcnt lgkmcnt(0)
	v_add_f64 v[0:1], v[0:1], v[4:5]
	v_add_f64 v[4:5], v[2:3], v[0:1]
	ds_read2st64_b64 v[0:3], v7 offset0:8 offset1:10
	s_waitcnt lgkmcnt(0)
	v_add_f64 v[0:1], v[0:1], v[4:5]
	;; [unrolled: 4-line block ×7, first 2 shown]
                                        ; implicit-def: $vgpr4_vgpr5
	v_add_f64 v[0:1], v[2:3], v[0:1]
                                        ; implicit-def: $vgpr2_vgpr3
	ds_write_b64 v7, v[0:1]
	v_cmpx_gt_i32_e64 s14, v6
	s_cbranch_execz .LBB62_46
; %bb.43:
	v_cmp_eq_f64_e64 s2, s[10:11], 0
	v_mul_f64 v[4:5], s[12:13], v[0:1]
	v_mul_lo_u32 v2, s18, v6
	v_ashrrev_i32_e32 v3, 31, v2
	s_and_b32 vcc_lo, exec_lo, s2
	s_cbranch_vccnz .LBB62_45
; %bb.44:
	v_lshlrev_b64 v[0:1], 3, v[2:3]
	v_add_co_u32 v0, vcc_lo, s16, v0
	v_add_co_ci_u32_e64 v1, null, s17, v1, vcc_lo
	global_load_dwordx2 v[0:1], v[0:1], off
	s_waitcnt vmcnt(0)
	v_fma_f64 v[4:5], s[10:11], v[0:1], v[4:5]
.LBB62_45:
	s_or_b32 s2, s19, exec_lo
.LBB62_46:
	s_or_b32 exec_lo, exec_lo, s1
	s_andn2_b32 s1, s19, exec_lo
	s_and_b32 s2, s2, exec_lo
	s_or_b32 s19, s1, s2
.LBB62_47:
	s_or_b32 exec_lo, exec_lo, s0
.LBB62_48:
	s_and_saveexec_b32 s0, s19
	s_cbranch_execz .LBB62_50
; %bb.49:
	v_lshlrev_b64 v[0:1], 3, v[2:3]
	v_add_co_u32 v0, vcc_lo, s16, v0
	v_add_co_ci_u32_e64 v1, null, s17, v1, vcc_lo
	global_store_dwordx2 v[0:1], v[4:5], off
.LBB62_50:
	s_endpgm
	.section	.rodata,"a",@progbits
	.p2align	6, 0x0
	.amdhsa_kernel _ZL20rocblas_gemvn_kernelILi32ELi16EidddEviiT3_lPKT2_lT1_lS3_lS4_lS0_lPT4_lS4_li
		.amdhsa_group_segment_fixed_size 16384
		.amdhsa_private_segment_fixed_size 0
		.amdhsa_kernarg_size 400
		.amdhsa_user_sgpr_count 6
		.amdhsa_user_sgpr_private_segment_buffer 1
		.amdhsa_user_sgpr_dispatch_ptr 0
		.amdhsa_user_sgpr_queue_ptr 0
		.amdhsa_user_sgpr_kernarg_segment_ptr 1
		.amdhsa_user_sgpr_dispatch_id 0
		.amdhsa_user_sgpr_flat_scratch_init 0
		.amdhsa_user_sgpr_private_segment_size 0
		.amdhsa_wavefront_size32 1
		.amdhsa_uses_dynamic_stack 0
		.amdhsa_system_sgpr_private_segment_wavefront_offset 0
		.amdhsa_system_sgpr_workgroup_id_x 1
		.amdhsa_system_sgpr_workgroup_id_y 0
		.amdhsa_system_sgpr_workgroup_id_z 1
		.amdhsa_system_sgpr_workgroup_info 0
		.amdhsa_system_vgpr_workitem_id 1
		.amdhsa_next_free_vgpr 62
		.amdhsa_next_free_sgpr 30
		.amdhsa_reserve_vcc 1
		.amdhsa_reserve_flat_scratch 0
		.amdhsa_float_round_mode_32 0
		.amdhsa_float_round_mode_16_64 0
		.amdhsa_float_denorm_mode_32 3
		.amdhsa_float_denorm_mode_16_64 3
		.amdhsa_dx10_clamp 1
		.amdhsa_ieee_mode 1
		.amdhsa_fp16_overflow 0
		.amdhsa_workgroup_processor_mode 1
		.amdhsa_memory_ordered 1
		.amdhsa_forward_progress 1
		.amdhsa_shared_vgpr_count 0
		.amdhsa_exception_fp_ieee_invalid_op 0
		.amdhsa_exception_fp_denorm_src 0
		.amdhsa_exception_fp_ieee_div_zero 0
		.amdhsa_exception_fp_ieee_overflow 0
		.amdhsa_exception_fp_ieee_underflow 0
		.amdhsa_exception_fp_ieee_inexact 0
		.amdhsa_exception_int_div_zero 0
	.end_amdhsa_kernel
	.section	.text._ZL20rocblas_gemvn_kernelILi32ELi16EidddEviiT3_lPKT2_lT1_lS3_lS4_lS0_lPT4_lS4_li,"axG",@progbits,_ZL20rocblas_gemvn_kernelILi32ELi16EidddEviiT3_lPKT2_lT1_lS3_lS4_lS0_lPT4_lS4_li,comdat
.Lfunc_end62:
	.size	_ZL20rocblas_gemvn_kernelILi32ELi16EidddEviiT3_lPKT2_lT1_lS3_lS4_lS0_lPT4_lS4_li, .Lfunc_end62-_ZL20rocblas_gemvn_kernelILi32ELi16EidddEviiT3_lPKT2_lT1_lS3_lS4_lS0_lPT4_lS4_li
                                        ; -- End function
	.set _ZL20rocblas_gemvn_kernelILi32ELi16EidddEviiT3_lPKT2_lT1_lS3_lS4_lS0_lPT4_lS4_li.num_vgpr, 62
	.set _ZL20rocblas_gemvn_kernelILi32ELi16EidddEviiT3_lPKT2_lT1_lS3_lS4_lS0_lPT4_lS4_li.num_agpr, 0
	.set _ZL20rocblas_gemvn_kernelILi32ELi16EidddEviiT3_lPKT2_lT1_lS3_lS4_lS0_lPT4_lS4_li.numbered_sgpr, 30
	.set _ZL20rocblas_gemvn_kernelILi32ELi16EidddEviiT3_lPKT2_lT1_lS3_lS4_lS0_lPT4_lS4_li.num_named_barrier, 0
	.set _ZL20rocblas_gemvn_kernelILi32ELi16EidddEviiT3_lPKT2_lT1_lS3_lS4_lS0_lPT4_lS4_li.private_seg_size, 0
	.set _ZL20rocblas_gemvn_kernelILi32ELi16EidddEviiT3_lPKT2_lT1_lS3_lS4_lS0_lPT4_lS4_li.uses_vcc, 1
	.set _ZL20rocblas_gemvn_kernelILi32ELi16EidddEviiT3_lPKT2_lT1_lS3_lS4_lS0_lPT4_lS4_li.uses_flat_scratch, 0
	.set _ZL20rocblas_gemvn_kernelILi32ELi16EidddEviiT3_lPKT2_lT1_lS3_lS4_lS0_lPT4_lS4_li.has_dyn_sized_stack, 0
	.set _ZL20rocblas_gemvn_kernelILi32ELi16EidddEviiT3_lPKT2_lT1_lS3_lS4_lS0_lPT4_lS4_li.has_recursion, 0
	.set _ZL20rocblas_gemvn_kernelILi32ELi16EidddEviiT3_lPKT2_lT1_lS3_lS4_lS0_lPT4_lS4_li.has_indirect_call, 0
	.section	.AMDGPU.csdata,"",@progbits
; Kernel info:
; codeLenInByte = 2980
; TotalNumSgprs: 32
; NumVgprs: 62
; ScratchSize: 0
; MemoryBound: 0
; FloatMode: 240
; IeeeMode: 1
; LDSByteSize: 16384 bytes/workgroup (compile time only)
; SGPRBlocks: 0
; VGPRBlocks: 7
; NumSGPRsForWavesPerEU: 32
; NumVGPRsForWavesPerEU: 62
; Occupancy: 16
; WaveLimiterHint : 1
; COMPUTE_PGM_RSRC2:SCRATCH_EN: 0
; COMPUTE_PGM_RSRC2:USER_SGPR: 6
; COMPUTE_PGM_RSRC2:TRAP_HANDLER: 0
; COMPUTE_PGM_RSRC2:TGID_X_EN: 1
; COMPUTE_PGM_RSRC2:TGID_Y_EN: 0
; COMPUTE_PGM_RSRC2:TGID_Z_EN: 1
; COMPUTE_PGM_RSRC2:TIDIG_COMP_CNT: 1
	.section	.text._ZL20rocblas_gemvn_kernelILi32ELi16EldddEviiT3_lPKT2_lT1_lS3_lS4_lS0_lPT4_lS4_li,"axG",@progbits,_ZL20rocblas_gemvn_kernelILi32ELi16EldddEviiT3_lPKT2_lT1_lS3_lS4_lS0_lPT4_lS4_li,comdat
	.globl	_ZL20rocblas_gemvn_kernelILi32ELi16EldddEviiT3_lPKT2_lT1_lS3_lS4_lS0_lPT4_lS4_li ; -- Begin function _ZL20rocblas_gemvn_kernelILi32ELi16EldddEviiT3_lPKT2_lT1_lS3_lS4_lS0_lPT4_lS4_li
	.p2align	8
	.type	_ZL20rocblas_gemvn_kernelILi32ELi16EldddEviiT3_lPKT2_lT1_lS3_lS4_lS0_lPT4_lS4_li,@function
_ZL20rocblas_gemvn_kernelILi32ELi16EldddEviiT3_lPKT2_lT1_lS3_lS4_lS0_lPT4_lS4_li: ; @_ZL20rocblas_gemvn_kernelILi32ELi16EldddEviiT3_lPKT2_lT1_lS3_lS4_lS0_lPT4_lS4_li
; %bb.0:
	s_load_dwordx2 s[0:1], s[4:5], 0x9c
	s_waitcnt lgkmcnt(0)
	s_lshr_b32 s2, s0, 16
	s_and_b32 s0, s0, 0xffff
	s_and_b32 s1, s1, 0xffff
	s_mul_i32 s0, s2, s0
	s_mul_i32 s0, s0, s1
	s_cmpk_lg_i32 s0, 0x200
	s_cbranch_scc1 .LBB63_50
; %bb.1:
	s_clause 0x1
	s_load_dwordx2 s[30:31], s[4:5], 0x8
	s_load_dwordx2 s[28:29], s[4:5], 0x58
	s_waitcnt lgkmcnt(0)
	v_cmp_eq_f64_e64 s0, s[30:31], 0
	v_cmp_eq_f64_e64 s1, s[28:29], 1.0
	s_and_b32 s0, s0, s1
	s_and_b32 vcc_lo, exec_lo, s0
	s_cbranch_vccnz .LBB63_50
; %bb.2:
	s_load_dwordx8 s[20:27], s[4:5], 0x68
	v_cmp_neq_f64_e64 s2, s[30:31], 0
	s_load_dwordx2 s[34:35], s[4:5], 0x0
	v_lshlrev_b32_e32 v55, 5, v1
	s_mov_b32 s39, 0
	v_add_nc_u32_e32 v54, v55, v0
	s_waitcnt lgkmcnt(0)
	s_mul_i32 s1, s27, s7
	s_mul_hi_u32 s3, s26, s7
	s_mul_i32 s0, s26, s7
	s_add_i32 s1, s3, s1
	s_lshl_b64 s[0:1], s[0:1], 3
	s_add_u32 s3, s20, s0
	s_addc_u32 s8, s21, s1
	s_lshl_b64 s[0:1], s[22:23], 3
	s_add_u32 s33, s3, s0
	v_cmp_gt_u32_e64 s0, 0x80, v54
	s_addc_u32 s38, s8, s1
	s_and_b32 vcc_lo, exec_lo, s2
	s_cbranch_vccnz .LBB63_9
; %bb.3:
	s_mov_b32 s1, 0
                                        ; implicit-def: $vgpr2_vgpr3
                                        ; implicit-def: $vgpr4_vgpr5
	s_and_saveexec_b32 s2, s0
	s_cbranch_execz .LBB63_10
; %bb.4:
	v_lshl_or_b32 v6, s6, 7, v54
	v_mov_b32_e32 v7, 0
	s_ashr_i32 s9, s34, 31
	s_mov_b32 s8, s34
	s_mov_b32 s3, 0
	s_mov_b32 s0, exec_lo
                                        ; implicit-def: $vgpr2_vgpr3
                                        ; implicit-def: $vgpr4_vgpr5
	v_cmpx_gt_i64_e64 s[8:9], v[6:7]
	s_cbranch_execz .LBB63_8
; %bb.5:
	v_cmp_eq_f64_e64 s3, s[28:29], 0
	v_mad_u64_u32 v[4:5], null, s24, v6, 0
	v_mov_b32_e32 v2, v5
	v_mad_u64_u32 v[5:6], null, s25, v6, v[2:3]
	v_mov_b32_e32 v2, 0
	v_mov_b32_e32 v3, 0
	s_and_b32 vcc_lo, exec_lo, s3
	s_cbranch_vccnz .LBB63_7
; %bb.6:
	v_lshlrev_b64 v[2:3], 3, v[4:5]
	v_add_co_u32 v2, vcc_lo, s33, v2
	v_add_co_ci_u32_e64 v3, null, s38, v3, vcc_lo
	global_load_dwordx2 v[2:3], v[2:3], off
	s_waitcnt vmcnt(0)
	v_mul_f64 v[2:3], s[28:29], v[2:3]
.LBB63_7:
	s_mov_b32 s3, exec_lo
.LBB63_8:
	s_or_b32 exec_lo, exec_lo, s0
	s_and_b32 s39, s3, exec_lo
	s_or_b32 exec_lo, exec_lo, s2
	s_and_b32 vcc_lo, exec_lo, s1
	s_cbranch_vccnz .LBB63_11
	s_branch .LBB63_48
.LBB63_9:
                                        ; implicit-def: $vgpr2_vgpr3
                                        ; implicit-def: $vgpr4_vgpr5
	s_cbranch_execnz .LBB63_11
	s_branch .LBB63_48
.LBB63_10:
	s_or_b32 exec_lo, exec_lo, s2
	s_and_b32 vcc_lo, exec_lo, s1
	s_cbranch_vccz .LBB63_48
.LBB63_11:
	s_load_dwordx16 s[8:23], s[4:5], 0x18
	s_ashr_i32 s0, s35, 31
	s_lshl_b32 s5, s6, 7
	v_mov_b32_e32 v10, 0
	v_mov_b32_e32 v8, 0
	s_lshr_b32 s0, s0, 26
	v_mov_b32_e32 v6, 0
	v_mov_b32_e32 v4, 0
	v_lshlrev_b32_e32 v56, 2, v1
	v_mov_b32_e32 v11, 0
	v_mov_b32_e32 v9, 0
	;; [unrolled: 1-line block ×4, first 2 shown]
	v_add_nc_u32_e32 v2, s5, v0
	s_add_i32 s40, s35, s0
	s_mov_b32 s41, exec_lo
	s_andn2_b32 s40, s40, 63
	s_waitcnt lgkmcnt(0)
	s_mul_i32 s0, s15, s7
	s_mul_hi_u32 s1, s14, s7
	s_mul_i32 s2, s23, s7
	s_mul_hi_u32 s3, s22, s7
	s_mul_i32 s14, s14, s7
	s_add_i32 s15, s1, s0
	s_add_i32 s23, s3, s2
	s_mul_i32 s22, s22, s7
	v_cmpx_gt_i32_e64 s40, v56
	s_cbranch_execz .LBB63_23
; %bb.12:
	v_lshlrev_b32_e32 v20, 2, v1
	v_mad_u64_u32 v[4:5], null, s20, v1, 0
	v_ashrrev_i32_e32 v3, 31, v2
	v_add_nc_u32_e32 v12, 32, v2
	v_or_b32_e32 v11, 3, v20
	v_add_nc_u32_e32 v13, 64, v2
	s_lshl_b64 s[0:1], s[22:23], 3
	s_lshl_b64 s[6:7], s[18:19], 3
	v_add_nc_u32_e32 v14, 0x60, v2
	v_mad_u64_u32 v[6:7], null, s12, v11, 0
	s_add_u32 s4, s16, s0
	v_or_b32_e32 v21, 2, v20
	s_addc_u32 s44, s17, s1
	v_cmp_gt_i32_e64 s0, s34, v12
	v_cmp_gt_i32_e64 s1, s34, v13
	v_lshlrev_b64 v[12:13], 3, v[2:3]
	v_mad_u64_u32 v[8:9], null, s21, v1, v[5:6]
	v_mad_u64_u32 v[9:10], null, s20, v11, 0
	v_cmp_gt_i32_e64 s2, s34, v14
	s_lshl_b64 s[36:37], s[10:11], 3
	v_mad_u64_u32 v[14:15], null, s12, v21, 0
	v_mov_b32_e32 v5, v8
	v_mad_u64_u32 v[7:8], null, s13, v11, v[7:8]
	v_mov_b32_e32 v8, v10
	v_mad_u64_u32 v[16:17], null, s20, v21, 0
	v_lshlrev_b64 v[4:5], 5, v[4:5]
	s_lshl_b64 s[26:27], s[20:21], 9
	v_mad_u64_u32 v[10:11], null, s21, v11, v[8:9]
	s_lshl_b64 s[42:43], s[14:15], 3
	v_mad_u64_u32 v[18:19], null, s20, v20, s[20:21]
	v_add_co_u32 v3, s3, s4, v4
	v_add_co_ci_u32_e64 v57, null, s44, v5, s3
	v_lshlrev_b64 v[4:5], 3, v[6:7]
	v_mad_u64_u32 v[6:7], null, s12, v1, 0
	s_add_u32 s3, s8, s36
	s_addc_u32 s36, s9, s37
	s_add_u32 s37, s3, s42
	s_addc_u32 s36, s36, s43
	v_add_co_u32 v58, s3, s37, v4
	v_mad_u64_u32 v[7:8], null, s13, v1, v[7:8]
	v_add_co_ci_u32_e64 v59, null, s36, v5, s3
	v_mov_b32_e32 v4, v15
	v_lshlrev_b64 v[8:9], 3, v[9:10]
	v_mov_b32_e32 v5, v17
	s_mov_b32 s42, 0
	v_cmp_gt_i32_e32 vcc_lo, s34, v2
	v_mad_u64_u32 v[10:11], null, s13, v21, v[4:5]
	v_add_co_u32 v60, s3, s4, v8
	v_add_co_ci_u32_e64 v61, null, s44, v9, s3
	v_mad_u64_u32 v[8:9], null, s12, v20, s[12:13]
	v_mad_u64_u32 v[4:5], null, s21, v21, v[5:6]
	v_lshlrev_b64 v[5:6], 5, v[6:7]
	v_mov_b32_e32 v7, v19
	v_mov_b32_e32 v15, v10
	v_mad_u64_u32 v[10:11], null, s21, v20, v[7:8]
	v_add_co_u32 v62, s3, s37, v5
	v_add_co_ci_u32_e64 v63, null, s36, v6, s3
	v_lshlrev_b64 v[5:6], 3, v[14:15]
	v_mov_b32_e32 v17, v4
	v_mov_b32_e32 v4, v9
	;; [unrolled: 1-line block ×3, first 2 shown]
	v_lshlrev_b64 v[14:15], 3, v[16:17]
	v_mad_u64_u32 v[9:10], null, s13, v20, v[4:5]
	v_add_co_u32 v64, s3, s37, v5
	v_add_co_ci_u32_e64 v65, null, s36, v6, s3
	v_lshlrev_b64 v[4:5], 3, v[18:19]
	v_add_co_u32 v66, s3, s4, v14
	v_add_co_ci_u32_e64 v67, null, s44, v15, s3
	v_lshlrev_b64 v[14:15], 3, v[8:9]
	v_add_co_u32 v68, s3, s4, v4
	v_add_co_ci_u32_e64 v69, null, s44, v5, s3
	v_mov_b32_e32 v10, 0
	v_add_co_u32 v70, s3, s37, v14
	v_mov_b32_e32 v8, 0
	v_mov_b32_e32 v6, 0
	;; [unrolled: 1-line block ×7, first 2 shown]
	v_add_co_ci_u32_e64 v71, null, s36, v15, s3
	s_lshl_b64 s[36:37], s[12:13], 9
	s_branch .LBB63_17
.LBB63_13:                              ;   in Loop: Header=BB63_17 Depth=1
	s_or_b32 exec_lo, exec_lo, s44
	s_waitcnt vmcnt(3)
	v_fma_f64 v[6:7], v[14:15], v[46:47], v[6:7]
	s_waitcnt vmcnt(2)
	v_fma_f64 v[6:7], v[16:17], v[48:49], v[6:7]
	;; [unrolled: 2-line block ×4, first 2 shown]
.LBB63_14:                              ;   in Loop: Header=BB63_17 Depth=1
	s_or_b32 exec_lo, exec_lo, s43
	s_waitcnt vmcnt(3)
	v_fma_f64 v[8:9], v[14:15], v[36:37], v[8:9]
	s_waitcnt vmcnt(2)
	v_fma_f64 v[8:9], v[16:17], v[38:39], v[8:9]
	;; [unrolled: 2-line block ×4, first 2 shown]
.LBB63_15:                              ;   in Loop: Header=BB63_17 Depth=1
	s_or_b32 exec_lo, exec_lo, s3
	s_waitcnt vmcnt(3)
	v_fma_f64 v[10:11], v[14:15], v[22:23], v[10:11]
	s_waitcnt vmcnt(2)
	v_fma_f64 v[10:11], v[16:17], v[24:25], v[10:11]
	;; [unrolled: 2-line block ×4, first 2 shown]
.LBB63_16:                              ;   in Loop: Header=BB63_17 Depth=1
	s_or_b32 exec_lo, exec_lo, s4
	v_add_co_u32 v3, s3, v3, s26
	v_add_co_ci_u32_e64 v57, null, s27, v57, s3
	v_add_co_u32 v58, s3, v58, s36
	v_add_co_ci_u32_e64 v59, null, s37, v59, s3
	;; [unrolled: 2-line block ×4, first 2 shown]
	v_add_co_u32 v64, s3, v64, s36
	v_add_nc_u32_e32 v56, 64, v56
	v_add_co_ci_u32_e64 v65, null, s37, v65, s3
	v_add_co_u32 v66, s3, v66, s26
	v_add_co_ci_u32_e64 v67, null, s27, v67, s3
	v_add_co_u32 v68, s3, v68, s26
	v_add_co_ci_u32_e64 v69, null, s27, v69, s3
	v_cmp_le_i32_e64 s3, s40, v56
	v_add_co_u32 v70, s4, v70, s36
	v_add_co_ci_u32_e64 v71, null, s37, v71, s4
	s_or_b32 s42, s3, s42
	s_andn2_b32 exec_lo, exec_lo, s42
	s_cbranch_execz .LBB63_22
.LBB63_17:                              ; =>This Inner Loop Header: Depth=1
	s_and_saveexec_b32 s4, vcc_lo
	s_cbranch_execz .LBB63_16
; %bb.18:                               ;   in Loop: Header=BB63_17 Depth=1
	v_add_co_u32 v14, s3, v3, s6
	v_add_co_ci_u32_e64 v15, null, s7, v57, s3
	v_add_co_u32 v16, s3, v68, s6
	v_add_co_ci_u32_e64 v17, null, s7, v69, s3
	v_add_co_u32 v18, s3, v66, s6
	v_add_co_ci_u32_e64 v19, null, s7, v67, s3
	v_add_co_u32 v20, s3, v60, s6
	v_add_co_ci_u32_e64 v21, null, s7, v61, s3
	v_add_co_u32 v30, s3, v62, v12
	v_add_co_ci_u32_e64 v31, null, v63, v13, s3
	v_add_co_u32 v32, s3, v70, v12
	v_add_co_ci_u32_e64 v33, null, v71, v13, s3
	v_add_co_u32 v34, s3, v64, v12
	v_add_co_ci_u32_e64 v35, null, v65, v13, s3
	v_add_co_u32 v44, s3, v58, v12
	v_add_co_ci_u32_e64 v45, null, v59, v13, s3
	global_load_dwordx2 v[14:15], v[14:15], off
	global_load_dwordx2 v[16:17], v[16:17], off
	;; [unrolled: 1-line block ×8, first 2 shown]
	s_and_saveexec_b32 s3, s0
	s_cbranch_execz .LBB63_15
; %bb.19:                               ;   in Loop: Header=BB63_17 Depth=1
	global_load_dwordx2 v[36:37], v[30:31], off offset:256
	global_load_dwordx2 v[38:39], v[32:33], off offset:256
	global_load_dwordx2 v[40:41], v[34:35], off offset:256
	global_load_dwordx2 v[42:43], v[44:45], off offset:256
	s_and_saveexec_b32 s43, s1
	s_cbranch_execz .LBB63_14
; %bb.20:                               ;   in Loop: Header=BB63_17 Depth=1
	global_load_dwordx2 v[46:47], v[30:31], off offset:512
	global_load_dwordx2 v[48:49], v[32:33], off offset:512
	global_load_dwordx2 v[50:51], v[34:35], off offset:512
	global_load_dwordx2 v[52:53], v[44:45], off offset:512
	;; [unrolled: 7-line block ×3, first 2 shown]
	s_waitcnt vmcnt(3)
	v_fma_f64 v[4:5], v[14:15], v[30:31], v[4:5]
	s_waitcnt vmcnt(2)
	v_fma_f64 v[4:5], v[16:17], v[32:33], v[4:5]
	s_waitcnt vmcnt(1)
	v_fma_f64 v[4:5], v[18:19], v[34:35], v[4:5]
	s_waitcnt vmcnt(0)
	v_fma_f64 v[4:5], v[20:21], v[44:45], v[4:5]
	s_branch .LBB63_13
.LBB63_22:
	s_or_b32 exec_lo, exec_lo, s42
.LBB63_23:
	s_or_b32 exec_lo, exec_lo, s41
	s_sub_i32 s0, s35, s40
	s_cmp_lt_i32 s0, 1
	s_cbranch_scc1 .LBB63_41
; %bb.24:
	v_mov_b32_e32 v16, 0
	v_mov_b32_e32 v18, 0
	;; [unrolled: 1-line block ×4, first 2 shown]
	v_cmp_gt_i32_e32 vcc_lo, s35, v56
	v_mov_b32_e32 v17, 0
	v_mov_b32_e32 v19, 0
	;; [unrolled: 1-line block ×4, first 2 shown]
	v_or_b32_e32 v20, 1, v56
	s_and_saveexec_b32 s1, vcc_lo
	s_cbranch_execz .LBB63_32
; %bb.25:
	v_mad_u64_u32 v[12:13], null, s20, v56, 0
	s_lshl_b64 s[2:3], s[22:23], 3
	v_mov_b32_e32 v18, 0
	s_add_u32 s0, s16, s2
	s_addc_u32 s2, s17, s3
	s_lshl_b64 s[6:7], s[18:19], 3
	v_mov_b32_e32 v16, 0
	v_mov_b32_e32 v3, v13
	s_add_u32 s3, s0, s6
	s_addc_u32 s4, s2, s7
	v_mov_b32_e32 v19, 0
	v_mov_b32_e32 v17, 0
	v_mad_u64_u32 v[13:14], null, s21, v56, v[3:4]
	v_mov_b32_e32 v14, 0
	v_mov_b32_e32 v15, 0
	s_mov_b32 s2, exec_lo
	v_lshlrev_b64 v[12:13], 3, v[12:13]
	v_add_co_u32 v12, s0, s3, v12
	v_add_co_ci_u32_e64 v13, null, s4, v13, s0
	global_load_dwordx2 v[12:13], v[12:13], off
	v_cmpx_gt_i32_e64 s35, v20
	s_cbranch_execz .LBB63_31
; %bb.26:
	v_mad_u64_u32 v[14:15], null, s20, v20, 0
	v_mov_b32_e32 v18, 0
	v_mov_b32_e32 v19, 0
	s_mov_b32 s6, exec_lo
	v_mov_b32_e32 v3, v15
	v_mad_u64_u32 v[15:16], null, s21, v20, v[3:4]
	v_mov_b32_e32 v16, 0
	v_or_b32_e32 v3, 2, v56
	v_mov_b32_e32 v17, 0
	v_lshlrev_b64 v[14:15], 3, v[14:15]
	v_add_co_u32 v14, s0, s3, v14
	v_add_co_ci_u32_e64 v15, null, s4, v15, s0
	global_load_dwordx2 v[14:15], v[14:15], off
	v_cmpx_gt_i32_e64 s35, v3
	s_cbranch_execz .LBB63_30
; %bb.27:
	v_mad_u64_u32 v[16:17], null, s20, v3, 0
	s_mov_b32 s7, exec_lo
	v_mad_u64_u32 v[17:18], null, s21, v3, v[17:18]
	v_or_b32_e32 v3, 3, v56
	v_lshlrev_b64 v[16:17], 3, v[16:17]
	v_add_co_u32 v16, s0, s3, v16
	v_add_co_ci_u32_e64 v17, null, s4, v17, s0
	global_load_dwordx2 v[18:19], v[16:17], off
	v_mov_b32_e32 v16, 0
	v_mov_b32_e32 v17, 0
	v_cmpx_gt_i32_e64 s35, v3
	s_cbranch_execz .LBB63_29
; %bb.28:
	v_mad_u64_u32 v[16:17], null, s20, v3, 0
	s_waitcnt vmcnt(0)
	v_mad_u64_u32 v[21:22], null, s21, v3, v[17:18]
	v_mov_b32_e32 v17, v21
	v_lshlrev_b64 v[16:17], 3, v[16:17]
	v_add_co_u32 v16, s0, s3, v16
	v_add_co_ci_u32_e64 v17, null, s4, v17, s0
	global_load_dwordx2 v[16:17], v[16:17], off
.LBB63_29:
	s_or_b32 exec_lo, exec_lo, s7
.LBB63_30:
	s_or_b32 exec_lo, exec_lo, s6
.LBB63_31:
	s_or_b32 exec_lo, exec_lo, s2
.LBB63_32:
	s_or_b32 exec_lo, exec_lo, s1
	s_mov_b32 s1, exec_lo
	v_cmpx_gt_i32_e64 s34, v2
	s_cbranch_execz .LBB63_40
; %bb.33:
	v_mad_u64_u32 v[21:22], null, s12, v56, 0
	s_lshl_b64 s[2:3], s[14:15], 3
	v_or_b32_e32 v32, 2, v56
	s_add_u32 s0, s8, s2
	s_addc_u32 s4, s9, s3
	s_lshl_b64 s[2:3], s[10:11], 3
	v_or_b32_e32 v36, 3, v56
	v_mov_b32_e32 v3, v22
	v_cndmask_b32_e32 v21, 0, v21, vcc_lo
	s_add_u32 s2, s0, s2
	s_addc_u32 s3, s4, s3
	v_mad_u64_u32 v[26:27], null, s12, v32, 0
	v_mad_u64_u32 v[22:23], null, s13, v56, v[3:4]
	;; [unrolled: 1-line block ×3, first 2 shown]
	v_ashrrev_i32_e32 v3, 31, v2
	v_cndmask_b32_e32 v22, 0, v22, vcc_lo
	v_lshlrev_b64 v[28:29], 3, v[2:3]
	v_mad_u64_u32 v[24:25], null, s13, v20, v[24:25]
	v_cmp_gt_i32_e32 vcc_lo, s35, v20
	v_lshlrev_b64 v[21:22], 3, v[21:22]
	v_cndmask_b32_e32 v23, 0, v23, vcc_lo
	v_cndmask_b32_e32 v24, 0, v24, vcc_lo
	v_add_co_u32 v3, s0, s2, v21
	v_add_co_ci_u32_e64 v21, null, s3, v22, s0
	v_lshlrev_b64 v[22:23], 3, v[23:24]
	v_add_co_u32 v20, vcc_lo, v3, v28
	v_add_co_ci_u32_e64 v21, null, v21, v29, vcc_lo
	v_mov_b32_e32 v3, v27
	v_add_co_u32 v24, vcc_lo, s2, v22
	global_load_dwordx2 v[30:31], v[20:21], off
	v_add_co_ci_u32_e64 v25, null, s3, v23, vcc_lo
	v_mad_u64_u32 v[22:23], null, s13, v32, v[3:4]
	v_add_co_u32 v24, s0, v24, v28
	v_cmp_gt_i32_e32 vcc_lo, s35, v32
	v_add_co_ci_u32_e64 v25, null, v25, v29, s0
	v_cndmask_b32_e32 v26, 0, v26, vcc_lo
	v_cndmask_b32_e32 v27, 0, v22, vcc_lo
	v_mad_u64_u32 v[22:23], null, s12, v36, 0
	global_load_dwordx2 v[32:33], v[24:25], off
	v_lshlrev_b64 v[26:27], 3, v[26:27]
	v_mov_b32_e32 v3, v23
	v_add_co_u32 v23, vcc_lo, s2, v26
	v_add_co_ci_u32_e64 v27, null, s3, v27, vcc_lo
	v_mad_u64_u32 v[34:35], null, s13, v36, v[3:4]
	v_add_co_u32 v26, s0, v23, v28
	v_cmp_gt_i32_e32 vcc_lo, s35, v36
	v_add_co_ci_u32_e64 v27, null, v27, v29, s0
	s_mov_b32 s0, exec_lo
	v_cndmask_b32_e32 v22, 0, v22, vcc_lo
	v_cndmask_b32_e32 v23, 0, v34, vcc_lo
	global_load_dwordx2 v[34:35], v[26:27], off
	v_lshlrev_b64 v[22:23], 3, v[22:23]
	v_add_co_u32 v3, vcc_lo, s2, v22
	v_add_co_ci_u32_e64 v22, null, s3, v23, vcc_lo
	v_add_co_u32 v28, vcc_lo, v3, v28
	v_add_co_ci_u32_e64 v29, null, v22, v29, vcc_lo
	v_add_nc_u32_e32 v3, 32, v2
	global_load_dwordx2 v[22:23], v[28:29], off
	s_waitcnt vmcnt(3)
	v_fma_f64 v[10:11], v[12:13], v[30:31], v[10:11]
	s_waitcnt vmcnt(2)
	v_fma_f64 v[10:11], v[14:15], v[32:33], v[10:11]
	;; [unrolled: 2-line block ×3, first 2 shown]
	v_cmpx_gt_i32_e64 s34, v3
	s_cbranch_execz .LBB63_39
; %bb.34:
	s_clause 0x3
	global_load_dwordx2 v[32:33], v[20:21], off offset:256
	global_load_dwordx2 v[34:35], v[24:25], off offset:256
	global_load_dwordx2 v[36:37], v[26:27], off offset:256
	global_load_dwordx2 v[30:31], v[28:29], off offset:256
	v_add_nc_u32_e32 v3, 64, v2
	s_mov_b32 s2, exec_lo
	s_waitcnt vmcnt(3)
	v_fma_f64 v[8:9], v[12:13], v[32:33], v[8:9]
	s_waitcnt vmcnt(2)
	v_fma_f64 v[8:9], v[14:15], v[34:35], v[8:9]
	;; [unrolled: 2-line block ×3, first 2 shown]
	v_cmpx_gt_i32_e64 s34, v3
	s_cbranch_execz .LBB63_38
; %bb.35:
	s_clause 0x3
	global_load_dwordx2 v[34:35], v[20:21], off offset:512
	global_load_dwordx2 v[36:37], v[24:25], off offset:512
	;; [unrolled: 1-line block ×4, first 2 shown]
	v_add_nc_u32_e32 v2, 0x60, v2
	s_mov_b32 s3, exec_lo
	s_waitcnt vmcnt(3)
	v_fma_f64 v[6:7], v[12:13], v[34:35], v[6:7]
	s_waitcnt vmcnt(2)
	v_fma_f64 v[6:7], v[14:15], v[36:37], v[6:7]
	;; [unrolled: 2-line block ×3, first 2 shown]
	v_cmpx_gt_i32_e64 s34, v2
	s_cbranch_execz .LBB63_37
; %bb.36:
	s_clause 0x3
	global_load_dwordx2 v[2:3], v[20:21], off offset:768
	global_load_dwordx2 v[20:21], v[24:25], off offset:768
	;; [unrolled: 1-line block ×4, first 2 shown]
	s_waitcnt vmcnt(3)
	v_fma_f64 v[2:3], v[12:13], v[2:3], v[4:5]
	s_waitcnt vmcnt(2)
	v_fma_f64 v[2:3], v[14:15], v[20:21], v[2:3]
	;; [unrolled: 2-line block ×4, first 2 shown]
.LBB63_37:
	s_or_b32 exec_lo, exec_lo, s3
	s_waitcnt vmcnt(0)
	v_fma_f64 v[6:7], v[16:17], v[32:33], v[6:7]
.LBB63_38:
	s_or_b32 exec_lo, exec_lo, s2
	s_waitcnt vmcnt(0)
	v_fma_f64 v[8:9], v[16:17], v[30:31], v[8:9]
.LBB63_39:
	s_or_b32 exec_lo, exec_lo, s0
	s_waitcnt vmcnt(0)
	v_fma_f64 v[10:11], v[16:17], v[22:23], v[10:11]
.LBB63_40:
	s_or_b32 exec_lo, exec_lo, s1
.LBB63_41:
	v_lshlrev_b32_e32 v0, 3, v0
	s_mov_b32 s0, exec_lo
                                        ; implicit-def: $vgpr2_vgpr3
	v_lshl_add_u32 v1, v1, 10, v0
	ds_write2_b64 v1, v[10:11], v[8:9] offset1:32
	ds_write2_b64 v1, v[6:7], v[4:5] offset0:64 offset1:96
	s_waitcnt vmcnt(0) lgkmcnt(0)
	s_barrier
	buffer_gl0_inv
                                        ; implicit-def: $vgpr4_vgpr5
	v_cmpx_gt_u32_e32 0x80, v54
	s_cbranch_execz .LBB63_47
; %bb.42:
	v_lshl_add_u32 v7, v55, 3, v0
	v_or_b32_e32 v6, s5, v54
	s_mov_b32 s2, s39
	s_mov_b32 s1, exec_lo
	ds_read2st64_b64 v[0:3], v7 offset1:2
	s_waitcnt lgkmcnt(0)
	v_add_f64 v[4:5], v[0:1], v[2:3]
	ds_read2st64_b64 v[0:3], v7 offset0:4 offset1:6
	s_waitcnt lgkmcnt(0)
	v_add_f64 v[0:1], v[0:1], v[4:5]
	v_add_f64 v[4:5], v[2:3], v[0:1]
	ds_read2st64_b64 v[0:3], v7 offset0:8 offset1:10
	s_waitcnt lgkmcnt(0)
	v_add_f64 v[0:1], v[0:1], v[4:5]
	;; [unrolled: 4-line block ×7, first 2 shown]
                                        ; implicit-def: $vgpr4_vgpr5
	v_add_f64 v[0:1], v[2:3], v[0:1]
                                        ; implicit-def: $vgpr2_vgpr3
	ds_write_b64 v7, v[0:1]
	v_cmpx_gt_i32_e64 s34, v6
	s_cbranch_execz .LBB63_46
; %bb.43:
	v_cmp_eq_f64_e64 s2, s[28:29], 0
	v_mul_f64 v[2:3], s[30:31], v[0:1]
	v_ashrrev_i32_e32 v0, 31, v6
	v_mul_lo_u32 v1, s25, v6
	v_mad_u64_u32 v[4:5], null, s24, v6, 0
	v_mul_lo_u32 v0, s24, v0
	v_add3_u32 v5, v5, v0, v1
	s_and_b32 vcc_lo, exec_lo, s2
	s_cbranch_vccnz .LBB63_45
; %bb.44:
	v_lshlrev_b64 v[0:1], 3, v[4:5]
	v_add_co_u32 v0, vcc_lo, s33, v0
	v_add_co_ci_u32_e64 v1, null, s38, v1, vcc_lo
	global_load_dwordx2 v[0:1], v[0:1], off
	s_waitcnt vmcnt(0)
	v_fma_f64 v[2:3], s[28:29], v[0:1], v[2:3]
.LBB63_45:
	s_or_b32 s2, s39, exec_lo
.LBB63_46:
	s_or_b32 exec_lo, exec_lo, s1
	s_andn2_b32 s1, s39, exec_lo
	s_and_b32 s2, s2, exec_lo
	s_or_b32 s39, s1, s2
.LBB63_47:
	s_or_b32 exec_lo, exec_lo, s0
.LBB63_48:
	s_and_saveexec_b32 s0, s39
	s_cbranch_execz .LBB63_50
; %bb.49:
	v_lshlrev_b64 v[0:1], 3, v[4:5]
	v_add_co_u32 v0, vcc_lo, s33, v0
	v_add_co_ci_u32_e64 v1, null, s38, v1, vcc_lo
	global_store_dwordx2 v[0:1], v[2:3], off
.LBB63_50:
	s_endpgm
	.section	.rodata,"a",@progbits
	.p2align	6, 0x0
	.amdhsa_kernel _ZL20rocblas_gemvn_kernelILi32ELi16EldddEviiT3_lPKT2_lT1_lS3_lS4_lS0_lPT4_lS4_li
		.amdhsa_group_segment_fixed_size 16384
		.amdhsa_private_segment_fixed_size 0
		.amdhsa_kernarg_size 400
		.amdhsa_user_sgpr_count 6
		.amdhsa_user_sgpr_private_segment_buffer 1
		.amdhsa_user_sgpr_dispatch_ptr 0
		.amdhsa_user_sgpr_queue_ptr 0
		.amdhsa_user_sgpr_kernarg_segment_ptr 1
		.amdhsa_user_sgpr_dispatch_id 0
		.amdhsa_user_sgpr_flat_scratch_init 0
		.amdhsa_user_sgpr_private_segment_size 0
		.amdhsa_wavefront_size32 1
		.amdhsa_uses_dynamic_stack 0
		.amdhsa_system_sgpr_private_segment_wavefront_offset 0
		.amdhsa_system_sgpr_workgroup_id_x 1
		.amdhsa_system_sgpr_workgroup_id_y 0
		.amdhsa_system_sgpr_workgroup_id_z 1
		.amdhsa_system_sgpr_workgroup_info 0
		.amdhsa_system_vgpr_workitem_id 1
		.amdhsa_next_free_vgpr 72
		.amdhsa_next_free_sgpr 45
		.amdhsa_reserve_vcc 1
		.amdhsa_reserve_flat_scratch 0
		.amdhsa_float_round_mode_32 0
		.amdhsa_float_round_mode_16_64 0
		.amdhsa_float_denorm_mode_32 3
		.amdhsa_float_denorm_mode_16_64 3
		.amdhsa_dx10_clamp 1
		.amdhsa_ieee_mode 1
		.amdhsa_fp16_overflow 0
		.amdhsa_workgroup_processor_mode 1
		.amdhsa_memory_ordered 1
		.amdhsa_forward_progress 1
		.amdhsa_shared_vgpr_count 0
		.amdhsa_exception_fp_ieee_invalid_op 0
		.amdhsa_exception_fp_denorm_src 0
		.amdhsa_exception_fp_ieee_div_zero 0
		.amdhsa_exception_fp_ieee_overflow 0
		.amdhsa_exception_fp_ieee_underflow 0
		.amdhsa_exception_fp_ieee_inexact 0
		.amdhsa_exception_int_div_zero 0
	.end_amdhsa_kernel
	.section	.text._ZL20rocblas_gemvn_kernelILi32ELi16EldddEviiT3_lPKT2_lT1_lS3_lS4_lS0_lPT4_lS4_li,"axG",@progbits,_ZL20rocblas_gemvn_kernelILi32ELi16EldddEviiT3_lPKT2_lT1_lS3_lS4_lS0_lPT4_lS4_li,comdat
.Lfunc_end63:
	.size	_ZL20rocblas_gemvn_kernelILi32ELi16EldddEviiT3_lPKT2_lT1_lS3_lS4_lS0_lPT4_lS4_li, .Lfunc_end63-_ZL20rocblas_gemvn_kernelILi32ELi16EldddEviiT3_lPKT2_lT1_lS3_lS4_lS0_lPT4_lS4_li
                                        ; -- End function
	.set _ZL20rocblas_gemvn_kernelILi32ELi16EldddEviiT3_lPKT2_lT1_lS3_lS4_lS0_lPT4_lS4_li.num_vgpr, 72
	.set _ZL20rocblas_gemvn_kernelILi32ELi16EldddEviiT3_lPKT2_lT1_lS3_lS4_lS0_lPT4_lS4_li.num_agpr, 0
	.set _ZL20rocblas_gemvn_kernelILi32ELi16EldddEviiT3_lPKT2_lT1_lS3_lS4_lS0_lPT4_lS4_li.numbered_sgpr, 45
	.set _ZL20rocblas_gemvn_kernelILi32ELi16EldddEviiT3_lPKT2_lT1_lS3_lS4_lS0_lPT4_lS4_li.num_named_barrier, 0
	.set _ZL20rocblas_gemvn_kernelILi32ELi16EldddEviiT3_lPKT2_lT1_lS3_lS4_lS0_lPT4_lS4_li.private_seg_size, 0
	.set _ZL20rocblas_gemvn_kernelILi32ELi16EldddEviiT3_lPKT2_lT1_lS3_lS4_lS0_lPT4_lS4_li.uses_vcc, 1
	.set _ZL20rocblas_gemvn_kernelILi32ELi16EldddEviiT3_lPKT2_lT1_lS3_lS4_lS0_lPT4_lS4_li.uses_flat_scratch, 0
	.set _ZL20rocblas_gemvn_kernelILi32ELi16EldddEviiT3_lPKT2_lT1_lS3_lS4_lS0_lPT4_lS4_li.has_dyn_sized_stack, 0
	.set _ZL20rocblas_gemvn_kernelILi32ELi16EldddEviiT3_lPKT2_lT1_lS3_lS4_lS0_lPT4_lS4_li.has_recursion, 0
	.set _ZL20rocblas_gemvn_kernelILi32ELi16EldddEviiT3_lPKT2_lT1_lS3_lS4_lS0_lPT4_lS4_li.has_indirect_call, 0
	.section	.AMDGPU.csdata,"",@progbits
; Kernel info:
; codeLenInByte = 3364
; TotalNumSgprs: 47
; NumVgprs: 72
; ScratchSize: 0
; MemoryBound: 1
; FloatMode: 240
; IeeeMode: 1
; LDSByteSize: 16384 bytes/workgroup (compile time only)
; SGPRBlocks: 0
; VGPRBlocks: 8
; NumSGPRsForWavesPerEU: 47
; NumVGPRsForWavesPerEU: 72
; Occupancy: 12
; WaveLimiterHint : 1
; COMPUTE_PGM_RSRC2:SCRATCH_EN: 0
; COMPUTE_PGM_RSRC2:USER_SGPR: 6
; COMPUTE_PGM_RSRC2:TRAP_HANDLER: 0
; COMPUTE_PGM_RSRC2:TGID_X_EN: 1
; COMPUTE_PGM_RSRC2:TGID_Y_EN: 0
; COMPUTE_PGM_RSRC2:TGID_Z_EN: 1
; COMPUTE_PGM_RSRC2:TIDIG_COMP_CNT: 1
	.section	.text._ZL20rocblas_gemvn_kernelILi64ELi16EidPKddEviiT3_lPKT2_lT1_lS5_lS6_lS2_lPT4_lS6_li,"axG",@progbits,_ZL20rocblas_gemvn_kernelILi64ELi16EidPKddEviiT3_lPKT2_lT1_lS5_lS6_lS2_lPT4_lS6_li,comdat
	.globl	_ZL20rocblas_gemvn_kernelILi64ELi16EidPKddEviiT3_lPKT2_lT1_lS5_lS6_lS2_lPT4_lS6_li ; -- Begin function _ZL20rocblas_gemvn_kernelILi64ELi16EidPKddEviiT3_lPKT2_lT1_lS5_lS6_lS2_lPT4_lS6_li
	.p2align	8
	.type	_ZL20rocblas_gemvn_kernelILi64ELi16EidPKddEviiT3_lPKT2_lT1_lS5_lS6_lS2_lPT4_lS6_li,@function
_ZL20rocblas_gemvn_kernelILi64ELi16EidPKddEviiT3_lPKT2_lT1_lS5_lS6_lS2_lPT4_lS6_li: ; @_ZL20rocblas_gemvn_kernelILi64ELi16EidPKddEviiT3_lPKT2_lT1_lS5_lS6_lS2_lPT4_lS6_li
; %bb.0:
	s_load_dwordx2 s[0:1], s[4:5], 0x9c
	s_waitcnt lgkmcnt(0)
	s_lshr_b32 s2, s0, 16
	s_and_b32 s0, s0, 0xffff
	s_and_b32 s1, s1, 0xffff
	s_mul_i32 s0, s2, s0
	s_mul_i32 s0, s0, s1
	s_cmpk_lg_i32 s0, 0x400
	s_cbranch_scc1 .LBB64_50
; %bb.1:
	s_clause 0x1
	s_load_dwordx8 s[16:23], s[4:5], 0x8
	s_load_dwordx8 s[8:15], s[4:5], 0x50
	s_waitcnt lgkmcnt(0)
	s_mul_i32 s1, s19, s7
	s_mul_hi_u32 s2, s18, s7
	s_mul_i32 s0, s18, s7
	s_add_i32 s1, s2, s1
	s_mul_i32 s2, s13, s7
	s_lshl_b64 s[0:1], s[0:1], 3
	s_mul_hi_u32 s3, s12, s7
	s_add_u32 s0, s16, s0
	s_addc_u32 s1, s17, s1
	s_add_i32 s3, s3, s2
	s_mul_i32 s2, s12, s7
	s_lshl_b64 s[2:3], s[2:3], 3
	s_add_u32 s2, s10, s2
	s_addc_u32 s3, s11, s3
	s_load_dwordx2 s[12:13], s[0:1], 0x0
	s_load_dwordx2 s[10:11], s[2:3], 0x0
	s_waitcnt lgkmcnt(0)
	v_cmp_eq_f64_e64 s0, s[12:13], 0
	v_cmp_eq_f64_e64 s1, s[10:11], 1.0
	s_and_b32 s0, s0, s1
	s_and_b32 vcc_lo, exec_lo, s0
	s_cbranch_vccnz .LBB64_50
; %bb.2:
	s_clause 0x1
	s_load_dwordx2 s[0:1], s[4:5], 0x80
	s_load_dwordx2 s[2:3], s[4:5], 0x70
	v_cmp_neq_f64_e64 s19, s[12:13], 0
	s_clause 0x1
	s_load_dword s18, s[4:5], 0x78
	s_load_dwordx2 s[16:17], s[4:5], 0x0
	v_lshlrev_b32_e32 v54, 6, v1
	v_add_nc_u32_e32 v53, v54, v0
	s_waitcnt lgkmcnt(0)
	s_mul_i32 s1, s1, s7
	s_mul_hi_u32 s24, s0, s7
	s_mul_i32 s0, s0, s7
	s_add_i32 s1, s24, s1
	s_lshl_b64 s[0:1], s[0:1], 3
	s_add_u32 s14, s14, s0
	s_addc_u32 s15, s15, s1
	s_lshl_b64 s[0:1], s[2:3], 3
	s_add_u32 s14, s14, s0
	v_cmp_gt_u32_e64 s0, 0x100, v53
	s_addc_u32 s15, s15, s1
	s_and_b32 vcc_lo, exec_lo, s19
	s_mov_b32 s19, 0
	s_cbranch_vccnz .LBB64_9
; %bb.3:
	s_mov_b32 s1, 0
                                        ; implicit-def: $vgpr4_vgpr5
                                        ; implicit-def: $vgpr2_vgpr3
	s_and_saveexec_b32 s2, s0
	s_cbranch_execz .LBB64_10
; %bb.4:
	v_lshl_or_b32 v6, s6, 8, v53
	v_mov_b32_e32 v7, 0
	s_ashr_i32 s25, s16, 31
	s_mov_b32 s24, s16
	s_mov_b32 s3, 0
	s_mov_b32 s0, exec_lo
                                        ; implicit-def: $vgpr4_vgpr5
                                        ; implicit-def: $vgpr2_vgpr3
	v_cmpx_gt_i64_e64 s[24:25], v[6:7]
	s_cbranch_execz .LBB64_8
; %bb.5:
	v_cmp_eq_f64_e64 s3, s[10:11], 0
	v_mad_u64_u32 v[2:3], null, s18, v6, 0
	s_ashr_i32 s19, s18, 31
	v_mad_u64_u32 v[3:4], null, s19, v6, v[3:4]
	v_mov_b32_e32 v4, 0
	v_mov_b32_e32 v5, 0
	s_and_b32 vcc_lo, exec_lo, s3
	s_cbranch_vccnz .LBB64_7
; %bb.6:
	v_lshlrev_b64 v[4:5], 3, v[2:3]
	v_add_co_u32 v4, vcc_lo, s14, v4
	v_add_co_ci_u32_e64 v5, null, s15, v5, vcc_lo
	global_load_dwordx2 v[4:5], v[4:5], off
	s_waitcnt vmcnt(0)
	v_mul_f64 v[4:5], s[10:11], v[4:5]
.LBB64_7:
	s_mov_b32 s3, exec_lo
.LBB64_8:
	s_or_b32 exec_lo, exec_lo, s0
	s_and_b32 s19, s3, exec_lo
	s_or_b32 exec_lo, exec_lo, s2
	s_and_b32 vcc_lo, exec_lo, s1
	s_cbranch_vccnz .LBB64_11
	s_branch .LBB64_48
.LBB64_9:
                                        ; implicit-def: $vgpr4_vgpr5
                                        ; implicit-def: $vgpr2_vgpr3
	s_cbranch_execnz .LBB64_11
	s_branch .LBB64_48
.LBB64_10:
	s_or_b32 exec_lo, exec_lo, s2
	s_and_b32 vcc_lo, exec_lo, s1
	s_cbranch_vccz .LBB64_48
.LBB64_11:
	s_clause 0x3
	s_load_dwordx4 s[0:3], s[4:5], 0x30
	s_load_dword s24, s[4:5], 0x28
	s_load_dwordx2 s[26:27], s[4:5], 0x40
	s_load_dword s4, s[4:5], 0x48
	s_mul_i32 s9, s9, s7
	v_mov_b32_e32 v8, 0
	v_mov_b32_e32 v6, 0
	;; [unrolled: 1-line block ×4, first 2 shown]
	v_lshlrev_b32_e32 v56, 2, v1
	v_mov_b32_e32 v9, 0
	v_mov_b32_e32 v7, 0
	;; [unrolled: 1-line block ×4, first 2 shown]
	s_waitcnt lgkmcnt(0)
	s_mul_i32 s1, s1, s7
	s_mul_hi_u32 s25, s0, s7
	s_mul_i32 s0, s0, s7
	s_add_i32 s1, s25, s1
	s_mul_hi_u32 s25, s8, s7
	s_lshl_b64 s[0:1], s[0:1], 3
	s_add_u32 s28, s20, s0
	s_addc_u32 s21, s21, s1
	s_lshl_b64 s[0:1], s[22:23], 3
	s_mul_i32 s20, s8, s7
	s_add_u32 s7, s28, s0
	s_addc_u32 s8, s21, s1
	s_add_i32 s21, s25, s9
	s_lshl_b64 s[0:1], s[20:21], 3
	s_mov_b32 s21, exec_lo
	s_add_u32 s2, s2, s0
	s_addc_u32 s3, s3, s1
	s_lshl_b64 s[0:1], s[26:27], 3
	s_add_u32 s9, s2, s0
	s_addc_u32 s20, s3, s1
	s_ashr_i32 s0, s17, 31
	s_lshl_b32 s5, s6, 8
	s_lshr_b32 s0, s0, 26
	v_add_nc_u32_e32 v55, s5, v0
	s_add_i32 s6, s17, s0
	s_andn2_b32 s6, s6, 63
	v_cmpx_gt_i32_e64 s6, v56
	s_cbranch_execz .LBB64_23
; %bb.12:
	v_add_nc_u32_e32 v2, 64, v55
	v_add_nc_u32_e32 v3, 0x80, v55
	;; [unrolled: 1-line block ×3, first 2 shown]
	v_mul_lo_u32 v5, s24, v56
	v_mul_lo_u32 v14, v1, s4
	v_cmp_gt_i32_e64 s0, s16, v2
	v_add_nc_u32_e32 v2, 2, v56
	v_cmp_gt_i32_e64 s1, s16, v3
	v_cmp_gt_i32_e64 s2, s16, v4
	v_mul_lo_u32 v3, v1, s24
	v_add_nc_u32_e32 v4, 3, v56
	v_mad_u64_u32 v[10:11], null, s24, v2, v[0:1]
	v_mul_lo_u32 v59, s4, v2
	v_add3_u32 v57, v5, s24, v0
	v_mad_u64_u32 v[11:12], null, s24, v4, v[0:1]
	v_mad_u64_u32 v[12:13], null, s4, v56, s[4:5]
	v_mul_lo_u32 v60, s4, v4
	v_lshl_add_u32 v58, v3, 2, v0
	v_mov_b32_e32 v8, 0
	v_mov_b32_e32 v6, 0
	;; [unrolled: 1-line block ×8, first 2 shown]
	v_lshlrev_b32_e32 v61, 2, v14
	s_lshl_b32 s22, s24, 6
	s_lshl_b32 s25, s4, 6
	s_mov_b32 s23, 0
	s_mov_b32 s26, 0
	v_cmp_gt_i32_e32 vcc_lo, s16, v55
	s_branch .LBB64_17
.LBB64_13:                              ;   in Loop: Header=BB64_17 Depth=1
	s_or_b32 exec_lo, exec_lo, s29
	s_waitcnt vmcnt(3)
	v_fma_f64 v[4:5], v[13:14], v[45:46], v[4:5]
	s_waitcnt vmcnt(2)
	v_fma_f64 v[4:5], v[15:16], v[47:48], v[4:5]
	;; [unrolled: 2-line block ×4, first 2 shown]
.LBB64_14:                              ;   in Loop: Header=BB64_17 Depth=1
	s_or_b32 exec_lo, exec_lo, s28
	s_waitcnt vmcnt(3)
	v_fma_f64 v[6:7], v[13:14], v[37:38], v[6:7]
	s_waitcnt vmcnt(2)
	v_fma_f64 v[6:7], v[15:16], v[39:40], v[6:7]
	s_waitcnt vmcnt(1)
	v_fma_f64 v[6:7], v[17:18], v[41:42], v[6:7]
	s_waitcnt vmcnt(0)
	v_fma_f64 v[6:7], v[19:20], v[43:44], v[6:7]
.LBB64_15:                              ;   in Loop: Header=BB64_17 Depth=1
	s_or_b32 exec_lo, exec_lo, s3
	s_waitcnt vmcnt(3)
	v_fma_f64 v[8:9], v[13:14], v[21:22], v[8:9]
	s_waitcnt vmcnt(2)
	v_fma_f64 v[8:9], v[15:16], v[23:24], v[8:9]
	s_waitcnt vmcnt(1)
	v_fma_f64 v[8:9], v[17:18], v[25:26], v[8:9]
	s_waitcnt vmcnt(0)
	v_fma_f64 v[8:9], v[19:20], v[27:28], v[8:9]
.LBB64_16:                              ;   in Loop: Header=BB64_17 Depth=1
	s_or_b32 exec_lo, exec_lo, s27
	v_add_nc_u32_e32 v56, 64, v56
	v_add_nc_u32_e32 v57, s22, v57
	;; [unrolled: 1-line block ×5, first 2 shown]
	v_cmp_le_i32_e64 s3, s6, v56
	s_add_i32 s26, s26, s25
	s_or_b32 s23, s3, s23
	s_andn2_b32 exec_lo, exec_lo, s23
	s_cbranch_execz .LBB64_22
.LBB64_17:                              ; =>This Inner Loop Header: Depth=1
	s_and_saveexec_b32 s27, vcc_lo
	s_cbranch_execz .LBB64_16
; %bb.18:                               ;   in Loop: Header=BB64_17 Depth=1
	v_add_nc_u32_e32 v13, s26, v61
	v_add_nc_u32_e32 v15, s26, v12
	;; [unrolled: 1-line block ×5, first 2 shown]
	v_ashrrev_i32_e32 v14, 31, v13
	v_ashrrev_i32_e32 v16, 31, v15
	;; [unrolled: 1-line block ×3, first 2 shown]
	v_add_nc_u32_e32 v23, s5, v57
	v_ashrrev_i32_e32 v20, 31, v19
	v_lshlrev_b64 v[13:14], 3, v[13:14]
	v_lshlrev_b64 v[15:16], 3, v[15:16]
	v_ashrrev_i32_e32 v22, 31, v21
	v_lshlrev_b64 v[17:18], 3, v[17:18]
	v_ashrrev_i32_e32 v24, 31, v23
	v_lshlrev_b64 v[19:20], 3, v[19:20]
	v_add_co_u32 v13, s3, s9, v13
	v_add_nc_u32_e32 v25, s5, v10
	v_add_co_ci_u32_e64 v14, null, s20, v14, s3
	v_add_co_u32 v15, s3, s9, v15
	v_lshlrev_b64 v[21:22], 3, v[21:22]
	v_add_nc_u32_e32 v27, s5, v11
	v_add_co_ci_u32_e64 v16, null, s20, v16, s3
	v_add_co_u32 v17, s3, s9, v17
	v_lshlrev_b64 v[23:24], 3, v[23:24]
	v_ashrrev_i32_e32 v26, 31, v25
	v_add_co_ci_u32_e64 v18, null, s20, v18, s3
	v_add_co_u32 v19, s3, s9, v19
	v_ashrrev_i32_e32 v28, 31, v27
	v_add_co_ci_u32_e64 v20, null, s20, v20, s3
	v_add_co_u32 v29, s3, s7, v21
	v_add_co_ci_u32_e64 v30, null, s8, v22, s3
	v_lshlrev_b64 v[21:22], 3, v[25:26]
	v_add_co_u32 v31, s3, s7, v23
	v_add_co_ci_u32_e64 v32, null, s8, v24, s3
	v_lshlrev_b64 v[23:24], 3, v[27:28]
	v_add_co_u32 v33, s3, s7, v21
	v_add_co_ci_u32_e64 v34, null, s8, v22, s3
	v_add_co_u32 v35, s3, s7, v23
	v_add_co_ci_u32_e64 v36, null, s8, v24, s3
	s_clause 0x3
	global_load_dwordx2 v[13:14], v[13:14], off
	global_load_dwordx2 v[15:16], v[15:16], off
	global_load_dwordx2 v[17:18], v[17:18], off
	global_load_dwordx2 v[19:20], v[19:20], off
	s_clause 0x3
	global_load_dwordx2 v[21:22], v[29:30], off
	global_load_dwordx2 v[23:24], v[31:32], off
	;; [unrolled: 1-line block ×4, first 2 shown]
	s_and_saveexec_b32 s3, s0
	s_cbranch_execz .LBB64_15
; %bb.19:                               ;   in Loop: Header=BB64_17 Depth=1
	s_clause 0x3
	global_load_dwordx2 v[37:38], v[29:30], off offset:512
	global_load_dwordx2 v[39:40], v[31:32], off offset:512
	global_load_dwordx2 v[41:42], v[33:34], off offset:512
	global_load_dwordx2 v[43:44], v[35:36], off offset:512
	s_and_saveexec_b32 s28, s1
	s_cbranch_execz .LBB64_14
; %bb.20:                               ;   in Loop: Header=BB64_17 Depth=1
	s_clause 0x3
	global_load_dwordx2 v[45:46], v[29:30], off offset:1024
	global_load_dwordx2 v[47:48], v[31:32], off offset:1024
	global_load_dwordx2 v[49:50], v[33:34], off offset:1024
	global_load_dwordx2 v[51:52], v[35:36], off offset:1024
	;; [unrolled: 8-line block ×3, first 2 shown]
	s_waitcnt vmcnt(3)
	v_fma_f64 v[2:3], v[13:14], v[29:30], v[2:3]
	s_waitcnt vmcnt(2)
	v_fma_f64 v[2:3], v[15:16], v[31:32], v[2:3]
	;; [unrolled: 2-line block ×4, first 2 shown]
	s_branch .LBB64_13
.LBB64_22:
	s_or_b32 exec_lo, exec_lo, s23
.LBB64_23:
	s_or_b32 exec_lo, exec_lo, s21
	s_sub_i32 s0, s17, s6
	s_cmp_lt_i32 s0, 1
	s_cbranch_scc1 .LBB64_41
; %bb.24:
	v_mov_b32_e32 v14, 0
	v_mov_b32_e32 v16, 0
	;; [unrolled: 1-line block ×4, first 2 shown]
	v_cmp_gt_i32_e32 vcc_lo, s17, v56
	v_mov_b32_e32 v15, 0
	v_mov_b32_e32 v17, 0
	;; [unrolled: 1-line block ×4, first 2 shown]
	v_or_b32_e32 v18, 1, v56
	s_and_saveexec_b32 s1, vcc_lo
	s_cbranch_execz .LBB64_32
; %bb.25:
	v_mul_lo_u32 v10, v56, s4
	v_mov_b32_e32 v12, 0
	v_mov_b32_e32 v16, 0
	;; [unrolled: 1-line block ×6, first 2 shown]
	s_mov_b32 s2, exec_lo
	v_ashrrev_i32_e32 v11, 31, v10
	v_lshlrev_b64 v[10:11], 3, v[10:11]
	v_add_co_u32 v10, s0, s9, v10
	v_add_co_ci_u32_e64 v11, null, s20, v11, s0
	global_load_dwordx2 v[10:11], v[10:11], off
	v_cmpx_gt_i32_e64 s17, v18
	s_cbranch_execz .LBB64_31
; %bb.26:
	v_mul_lo_u32 v12, v18, s4
	v_mov_b32_e32 v16, 0
	v_mov_b32_e32 v14, 0
	v_or_b32_e32 v19, 2, v56
	v_mov_b32_e32 v17, 0
	v_mov_b32_e32 v15, 0
	s_mov_b32 s3, exec_lo
	v_ashrrev_i32_e32 v13, 31, v12
	v_lshlrev_b64 v[12:13], 3, v[12:13]
	v_add_co_u32 v12, s0, s9, v12
	v_add_co_ci_u32_e64 v13, null, s20, v13, s0
	global_load_dwordx2 v[12:13], v[12:13], off
	v_cmpx_gt_i32_e64 s17, v19
	s_cbranch_execz .LBB64_30
; %bb.27:
	v_mul_lo_u32 v14, v19, s4
	v_or_b32_e32 v19, 3, v56
	s_mov_b32 s6, exec_lo
	v_ashrrev_i32_e32 v15, 31, v14
	v_lshlrev_b64 v[14:15], 3, v[14:15]
	v_add_co_u32 v14, s0, s9, v14
	v_add_co_ci_u32_e64 v15, null, s20, v15, s0
	global_load_dwordx2 v[16:17], v[14:15], off
	v_mov_b32_e32 v14, 0
	v_mov_b32_e32 v15, 0
	v_cmpx_gt_i32_e64 s17, v19
	s_cbranch_execz .LBB64_29
; %bb.28:
	v_mul_lo_u32 v14, v19, s4
	v_ashrrev_i32_e32 v15, 31, v14
	v_lshlrev_b64 v[14:15], 3, v[14:15]
	v_add_co_u32 v14, s0, s9, v14
	v_add_co_ci_u32_e64 v15, null, s20, v15, s0
	global_load_dwordx2 v[14:15], v[14:15], off
.LBB64_29:
	s_or_b32 exec_lo, exec_lo, s6
.LBB64_30:
	s_or_b32 exec_lo, exec_lo, s3
.LBB64_31:
	s_or_b32 exec_lo, exec_lo, s2
.LBB64_32:
	s_or_b32 exec_lo, exec_lo, s1
	s_mov_b32 s1, exec_lo
	v_cmpx_gt_i32_e64 s16, v55
	s_cbranch_execz .LBB64_40
; %bb.33:
	v_mul_lo_u32 v19, v56, s24
	v_mul_lo_u32 v21, v18, s24
	v_or_b32_e32 v22, 2, v56
	v_or_b32_e32 v24, 3, v56
	s_mov_b32 s0, exec_lo
	v_mul_lo_u32 v23, v22, s24
	v_cndmask_b32_e32 v19, 0, v19, vcc_lo
	v_cmp_gt_i32_e32 vcc_lo, s17, v18
	v_mul_lo_u32 v25, v24, s24
	v_add_nc_u32_e32 v19, v19, v55
	v_cndmask_b32_e32 v21, 0, v21, vcc_lo
	v_ashrrev_i32_e32 v20, 31, v19
	v_lshlrev_b64 v[19:20], 3, v[19:20]
	v_add_co_u32 v18, vcc_lo, s7, v19
	v_add_co_ci_u32_e64 v19, null, s8, v20, vcc_lo
	v_add_nc_u32_e32 v20, v21, v55
	global_load_dwordx2 v[28:29], v[18:19], off
	v_ashrrev_i32_e32 v21, 31, v20
	v_lshlrev_b64 v[20:21], 3, v[20:21]
	v_add_co_u32 v20, vcc_lo, s7, v20
	v_add_co_ci_u32_e64 v21, null, s8, v21, vcc_lo
	v_cmp_gt_i32_e32 vcc_lo, s17, v22
	global_load_dwordx2 v[30:31], v[20:21], off
	v_cndmask_b32_e32 v22, 0, v23, vcc_lo
	v_cmp_gt_i32_e32 vcc_lo, s17, v24
	v_add_nc_u32_e32 v22, v22, v55
	v_cndmask_b32_e32 v26, 0, v25, vcc_lo
	v_ashrrev_i32_e32 v23, 31, v22
	v_lshlrev_b64 v[22:23], 3, v[22:23]
	v_add_co_u32 v24, vcc_lo, s7, v22
	v_add_co_ci_u32_e64 v25, null, s8, v23, vcc_lo
	v_add_nc_u32_e32 v22, v26, v55
	global_load_dwordx2 v[32:33], v[24:25], off
	v_ashrrev_i32_e32 v23, 31, v22
	v_lshlrev_b64 v[22:23], 3, v[22:23]
	v_add_co_u32 v26, vcc_lo, s7, v22
	v_add_co_ci_u32_e64 v27, null, s8, v23, vcc_lo
	global_load_dwordx2 v[22:23], v[26:27], off
	s_waitcnt vmcnt(3)
	v_fma_f64 v[8:9], v[10:11], v[28:29], v[8:9]
	v_add_nc_u32_e32 v28, 64, v55
	s_waitcnt vmcnt(2)
	v_fma_f64 v[8:9], v[12:13], v[30:31], v[8:9]
	s_waitcnt vmcnt(1)
	v_fma_f64 v[8:9], v[16:17], v[32:33], v[8:9]
	v_cmpx_gt_i32_e64 s16, v28
	s_cbranch_execz .LBB64_39
; %bb.34:
	s_clause 0x3
	global_load_dwordx2 v[30:31], v[18:19], off offset:512
	global_load_dwordx2 v[32:33], v[20:21], off offset:512
	;; [unrolled: 1-line block ×4, first 2 shown]
	s_mov_b32 s2, exec_lo
	s_waitcnt vmcnt(3)
	v_fma_f64 v[6:7], v[10:11], v[30:31], v[6:7]
	v_add_nc_u32_e32 v30, 0x80, v55
	s_waitcnt vmcnt(2)
	v_fma_f64 v[6:7], v[12:13], v[32:33], v[6:7]
	s_waitcnt vmcnt(1)
	v_fma_f64 v[6:7], v[16:17], v[34:35], v[6:7]
	v_cmpx_gt_i32_e64 s16, v30
	s_cbranch_execz .LBB64_38
; %bb.35:
	s_clause 0x3
	global_load_dwordx2 v[32:33], v[18:19], off offset:1024
	global_load_dwordx2 v[34:35], v[20:21], off offset:1024
	;; [unrolled: 1-line block ×4, first 2 shown]
	s_mov_b32 s3, exec_lo
	s_waitcnt vmcnt(3)
	v_fma_f64 v[4:5], v[10:11], v[32:33], v[4:5]
	v_add_nc_u32_e32 v32, 0xc0, v55
	s_waitcnt vmcnt(2)
	v_fma_f64 v[4:5], v[12:13], v[34:35], v[4:5]
	s_waitcnt vmcnt(1)
	v_fma_f64 v[4:5], v[16:17], v[36:37], v[4:5]
	v_cmpx_gt_i32_e64 s16, v32
	s_cbranch_execz .LBB64_37
; %bb.36:
	s_clause 0x3
	global_load_dwordx2 v[18:19], v[18:19], off offset:1536
	global_load_dwordx2 v[20:21], v[20:21], off offset:1536
	;; [unrolled: 1-line block ×4, first 2 shown]
	s_waitcnt vmcnt(3)
	v_fma_f64 v[2:3], v[10:11], v[18:19], v[2:3]
	s_waitcnt vmcnt(2)
	v_fma_f64 v[2:3], v[12:13], v[20:21], v[2:3]
	;; [unrolled: 2-line block ×4, first 2 shown]
.LBB64_37:
	s_or_b32 exec_lo, exec_lo, s3
	s_waitcnt vmcnt(0)
	v_fma_f64 v[4:5], v[14:15], v[30:31], v[4:5]
.LBB64_38:
	s_or_b32 exec_lo, exec_lo, s2
	s_waitcnt vmcnt(0)
	v_fma_f64 v[6:7], v[14:15], v[28:29], v[6:7]
.LBB64_39:
	s_or_b32 exec_lo, exec_lo, s0
	s_waitcnt vmcnt(0)
	v_fma_f64 v[8:9], v[14:15], v[22:23], v[8:9]
.LBB64_40:
	s_or_b32 exec_lo, exec_lo, s1
.LBB64_41:
	v_lshlrev_b32_e32 v0, 3, v0
	s_mov_b32 s0, exec_lo
	v_lshl_add_u32 v1, v1, 11, v0
	ds_write2st64_b64 v1, v[8:9], v[6:7] offset1:1
	ds_write2st64_b64 v1, v[4:5], v[2:3] offset0:2 offset1:3
	s_waitcnt vmcnt(0) lgkmcnt(0)
	s_barrier
	buffer_gl0_inv
                                        ; implicit-def: $vgpr4_vgpr5
                                        ; implicit-def: $vgpr2_vgpr3
	v_cmpx_gt_u32_e32 0x100, v53
	s_cbranch_execz .LBB64_47
; %bb.42:
	v_lshl_add_u32 v7, v54, 3, v0
	v_or_b32_e32 v6, s5, v53
	s_mov_b32 s2, s19
	s_mov_b32 s1, exec_lo
	ds_read2st64_b64 v[0:3], v7 offset1:4
	s_waitcnt lgkmcnt(0)
	v_add_f64 v[4:5], v[0:1], v[2:3]
	ds_read2st64_b64 v[0:3], v7 offset0:8 offset1:12
	s_waitcnt lgkmcnt(0)
	v_add_f64 v[0:1], v[0:1], v[4:5]
	v_add_f64 v[4:5], v[2:3], v[0:1]
	ds_read2st64_b64 v[0:3], v7 offset0:16 offset1:20
	s_waitcnt lgkmcnt(0)
	v_add_f64 v[0:1], v[0:1], v[4:5]
	;; [unrolled: 4-line block ×7, first 2 shown]
                                        ; implicit-def: $vgpr4_vgpr5
	v_add_f64 v[0:1], v[2:3], v[0:1]
                                        ; implicit-def: $vgpr2_vgpr3
	ds_write_b64 v7, v[0:1]
	v_cmpx_gt_i32_e64 s16, v6
	s_cbranch_execz .LBB64_46
; %bb.43:
	v_cmp_eq_f64_e64 s2, s[10:11], 0
	v_mul_f64 v[4:5], s[12:13], v[0:1]
	v_mul_lo_u32 v2, s18, v6
	v_ashrrev_i32_e32 v3, 31, v2
	s_and_b32 vcc_lo, exec_lo, s2
	s_cbranch_vccnz .LBB64_45
; %bb.44:
	v_lshlrev_b64 v[0:1], 3, v[2:3]
	v_add_co_u32 v0, vcc_lo, s14, v0
	v_add_co_ci_u32_e64 v1, null, s15, v1, vcc_lo
	global_load_dwordx2 v[0:1], v[0:1], off
	s_waitcnt vmcnt(0)
	v_fma_f64 v[4:5], s[10:11], v[0:1], v[4:5]
.LBB64_45:
	s_or_b32 s2, s19, exec_lo
.LBB64_46:
	s_or_b32 exec_lo, exec_lo, s1
	s_andn2_b32 s1, s19, exec_lo
	s_and_b32 s2, s2, exec_lo
	s_or_b32 s19, s1, s2
.LBB64_47:
	s_or_b32 exec_lo, exec_lo, s0
.LBB64_48:
	s_and_saveexec_b32 s0, s19
	s_cbranch_execz .LBB64_50
; %bb.49:
	v_lshlrev_b64 v[0:1], 3, v[2:3]
	v_add_co_u32 v0, vcc_lo, s14, v0
	v_add_co_ci_u32_e64 v1, null, s15, v1, vcc_lo
	global_store_dwordx2 v[0:1], v[4:5], off
.LBB64_50:
	s_endpgm
	.section	.rodata,"a",@progbits
	.p2align	6, 0x0
	.amdhsa_kernel _ZL20rocblas_gemvn_kernelILi64ELi16EidPKddEviiT3_lPKT2_lT1_lS5_lS6_lS2_lPT4_lS6_li
		.amdhsa_group_segment_fixed_size 32768
		.amdhsa_private_segment_fixed_size 0
		.amdhsa_kernarg_size 400
		.amdhsa_user_sgpr_count 6
		.amdhsa_user_sgpr_private_segment_buffer 1
		.amdhsa_user_sgpr_dispatch_ptr 0
		.amdhsa_user_sgpr_queue_ptr 0
		.amdhsa_user_sgpr_kernarg_segment_ptr 1
		.amdhsa_user_sgpr_dispatch_id 0
		.amdhsa_user_sgpr_flat_scratch_init 0
		.amdhsa_user_sgpr_private_segment_size 0
		.amdhsa_wavefront_size32 1
		.amdhsa_uses_dynamic_stack 0
		.amdhsa_system_sgpr_private_segment_wavefront_offset 0
		.amdhsa_system_sgpr_workgroup_id_x 1
		.amdhsa_system_sgpr_workgroup_id_y 0
		.amdhsa_system_sgpr_workgroup_id_z 1
		.amdhsa_system_sgpr_workgroup_info 0
		.amdhsa_system_vgpr_workitem_id 1
		.amdhsa_next_free_vgpr 62
		.amdhsa_next_free_sgpr 30
		.amdhsa_reserve_vcc 1
		.amdhsa_reserve_flat_scratch 0
		.amdhsa_float_round_mode_32 0
		.amdhsa_float_round_mode_16_64 0
		.amdhsa_float_denorm_mode_32 3
		.amdhsa_float_denorm_mode_16_64 3
		.amdhsa_dx10_clamp 1
		.amdhsa_ieee_mode 1
		.amdhsa_fp16_overflow 0
		.amdhsa_workgroup_processor_mode 1
		.amdhsa_memory_ordered 1
		.amdhsa_forward_progress 1
		.amdhsa_shared_vgpr_count 0
		.amdhsa_exception_fp_ieee_invalid_op 0
		.amdhsa_exception_fp_denorm_src 0
		.amdhsa_exception_fp_ieee_div_zero 0
		.amdhsa_exception_fp_ieee_overflow 0
		.amdhsa_exception_fp_ieee_underflow 0
		.amdhsa_exception_fp_ieee_inexact 0
		.amdhsa_exception_int_div_zero 0
	.end_amdhsa_kernel
	.section	.text._ZL20rocblas_gemvn_kernelILi64ELi16EidPKddEviiT3_lPKT2_lT1_lS5_lS6_lS2_lPT4_lS6_li,"axG",@progbits,_ZL20rocblas_gemvn_kernelILi64ELi16EidPKddEviiT3_lPKT2_lT1_lS5_lS6_lS2_lPT4_lS6_li,comdat
.Lfunc_end64:
	.size	_ZL20rocblas_gemvn_kernelILi64ELi16EidPKddEviiT3_lPKT2_lT1_lS5_lS6_lS2_lPT4_lS6_li, .Lfunc_end64-_ZL20rocblas_gemvn_kernelILi64ELi16EidPKddEviiT3_lPKT2_lT1_lS5_lS6_lS2_lPT4_lS6_li
                                        ; -- End function
	.set _ZL20rocblas_gemvn_kernelILi64ELi16EidPKddEviiT3_lPKT2_lT1_lS5_lS6_lS2_lPT4_lS6_li.num_vgpr, 62
	.set _ZL20rocblas_gemvn_kernelILi64ELi16EidPKddEviiT3_lPKT2_lT1_lS5_lS6_lS2_lPT4_lS6_li.num_agpr, 0
	.set _ZL20rocblas_gemvn_kernelILi64ELi16EidPKddEviiT3_lPKT2_lT1_lS5_lS6_lS2_lPT4_lS6_li.numbered_sgpr, 30
	.set _ZL20rocblas_gemvn_kernelILi64ELi16EidPKddEviiT3_lPKT2_lT1_lS5_lS6_lS2_lPT4_lS6_li.num_named_barrier, 0
	.set _ZL20rocblas_gemvn_kernelILi64ELi16EidPKddEviiT3_lPKT2_lT1_lS5_lS6_lS2_lPT4_lS6_li.private_seg_size, 0
	.set _ZL20rocblas_gemvn_kernelILi64ELi16EidPKddEviiT3_lPKT2_lT1_lS5_lS6_lS2_lPT4_lS6_li.uses_vcc, 1
	.set _ZL20rocblas_gemvn_kernelILi64ELi16EidPKddEviiT3_lPKT2_lT1_lS5_lS6_lS2_lPT4_lS6_li.uses_flat_scratch, 0
	.set _ZL20rocblas_gemvn_kernelILi64ELi16EidPKddEviiT3_lPKT2_lT1_lS5_lS6_lS2_lPT4_lS6_li.has_dyn_sized_stack, 0
	.set _ZL20rocblas_gemvn_kernelILi64ELi16EidPKddEviiT3_lPKT2_lT1_lS5_lS6_lS2_lPT4_lS6_li.has_recursion, 0
	.set _ZL20rocblas_gemvn_kernelILi64ELi16EidPKddEviiT3_lPKT2_lT1_lS5_lS6_lS2_lPT4_lS6_li.has_indirect_call, 0
	.section	.AMDGPU.csdata,"",@progbits
; Kernel info:
; codeLenInByte = 3056
; TotalNumSgprs: 32
; NumVgprs: 62
; ScratchSize: 0
; MemoryBound: 0
; FloatMode: 240
; IeeeMode: 1
; LDSByteSize: 32768 bytes/workgroup (compile time only)
; SGPRBlocks: 0
; VGPRBlocks: 7
; NumSGPRsForWavesPerEU: 32
; NumVGPRsForWavesPerEU: 62
; Occupancy: 16
; WaveLimiterHint : 1
; COMPUTE_PGM_RSRC2:SCRATCH_EN: 0
; COMPUTE_PGM_RSRC2:USER_SGPR: 6
; COMPUTE_PGM_RSRC2:TRAP_HANDLER: 0
; COMPUTE_PGM_RSRC2:TGID_X_EN: 1
; COMPUTE_PGM_RSRC2:TGID_Y_EN: 0
; COMPUTE_PGM_RSRC2:TGID_Z_EN: 1
; COMPUTE_PGM_RSRC2:TIDIG_COMP_CNT: 1
	.section	.text._ZL20rocblas_gemvn_kernelILi64ELi16EldPKddEviiT3_lPKT2_lT1_lS5_lS6_lS2_lPT4_lS6_li,"axG",@progbits,_ZL20rocblas_gemvn_kernelILi64ELi16EldPKddEviiT3_lPKT2_lT1_lS5_lS6_lS2_lPT4_lS6_li,comdat
	.globl	_ZL20rocblas_gemvn_kernelILi64ELi16EldPKddEviiT3_lPKT2_lT1_lS5_lS6_lS2_lPT4_lS6_li ; -- Begin function _ZL20rocblas_gemvn_kernelILi64ELi16EldPKddEviiT3_lPKT2_lT1_lS5_lS6_lS2_lPT4_lS6_li
	.p2align	8
	.type	_ZL20rocblas_gemvn_kernelILi64ELi16EldPKddEviiT3_lPKT2_lT1_lS5_lS6_lS2_lPT4_lS6_li,@function
_ZL20rocblas_gemvn_kernelILi64ELi16EldPKddEviiT3_lPKT2_lT1_lS5_lS6_lS2_lPT4_lS6_li: ; @_ZL20rocblas_gemvn_kernelILi64ELi16EldPKddEviiT3_lPKT2_lT1_lS5_lS6_lS2_lPT4_lS6_li
; %bb.0:
	s_load_dwordx2 s[0:1], s[4:5], 0x9c
	s_waitcnt lgkmcnt(0)
	s_lshr_b32 s2, s0, 16
	s_and_b32 s0, s0, 0xffff
	s_and_b32 s1, s1, 0xffff
	s_mul_i32 s0, s2, s0
	s_mul_i32 s0, s0, s1
	s_cmpk_lg_i32 s0, 0x400
	s_cbranch_scc1 .LBB65_50
; %bb.1:
	s_clause 0x1
	s_load_dwordx16 s[36:51], s[4:5], 0x8
	s_load_dwordx16 s[8:23], s[4:5], 0x48
	s_waitcnt lgkmcnt(0)
	s_mul_i32 s1, s39, s7
	s_mul_hi_u32 s2, s38, s7
	s_mul_i32 s0, s38, s7
	s_add_i32 s1, s2, s1
	s_mul_i32 s2, s15, s7
	s_lshl_b64 s[0:1], s[0:1], 3
	s_mul_hi_u32 s3, s14, s7
	s_add_u32 s0, s36, s0
	s_addc_u32 s1, s37, s1
	s_add_i32 s3, s3, s2
	s_mul_i32 s2, s14, s7
	s_lshl_b64 s[2:3], s[2:3], 3
	s_add_u32 s2, s12, s2
	s_addc_u32 s3, s13, s3
	s_load_dwordx2 s[14:15], s[0:1], 0x0
	s_load_dwordx2 s[12:13], s[2:3], 0x0
	s_waitcnt lgkmcnt(0)
	v_cmp_eq_f64_e64 s0, s[14:15], 0
	v_cmp_eq_f64_e64 s1, s[12:13], 1.0
	s_and_b32 s0, s0, s1
	s_and_b32 vcc_lo, exec_lo, s0
	s_cbranch_vccnz .LBB65_50
; %bb.2:
	v_cmp_neq_f64_e64 s2, s[14:15], 0
	s_load_dwordx2 s[24:25], s[4:5], 0x0
	v_lshlrev_b32_e32 v55, 6, v1
	s_mul_i32 s1, s23, s7
	s_mul_hi_u32 s3, s22, s7
	s_mul_i32 s0, s22, s7
	s_add_i32 s1, s3, s1
	v_add_nc_u32_e32 v54, v55, v0
	s_lshl_b64 s[0:1], s[0:1], 3
	s_mov_b32 s27, 0
	s_add_u32 s3, s16, s0
	s_addc_u32 s4, s17, s1
	s_lshl_b64 s[0:1], s[18:19], 3
	s_add_u32 s5, s3, s0
	v_cmp_gt_u32_e64 s0, 0x100, v54
	s_addc_u32 s26, s4, s1
	s_and_b32 vcc_lo, exec_lo, s2
	s_cbranch_vccnz .LBB65_9
; %bb.3:
	s_mov_b32 s1, 0
                                        ; implicit-def: $vgpr2_vgpr3
                                        ; implicit-def: $vgpr4_vgpr5
	s_and_saveexec_b32 s2, s0
	s_cbranch_execz .LBB65_10
; %bb.4:
	v_lshl_or_b32 v6, s6, 8, v54
	v_mov_b32_e32 v7, 0
	s_waitcnt lgkmcnt(0)
	s_ashr_i32 s17, s24, 31
	s_mov_b32 s16, s24
	s_mov_b32 s3, 0
	s_mov_b32 s0, exec_lo
                                        ; implicit-def: $vgpr2_vgpr3
                                        ; implicit-def: $vgpr4_vgpr5
	v_cmpx_gt_i64_e64 s[16:17], v[6:7]
	s_cbranch_execz .LBB65_8
; %bb.5:
	v_cmp_eq_f64_e64 s3, s[12:13], 0
	v_mad_u64_u32 v[4:5], null, s20, v6, 0
	v_mov_b32_e32 v2, v5
	v_mad_u64_u32 v[5:6], null, s21, v6, v[2:3]
	v_mov_b32_e32 v2, 0
	v_mov_b32_e32 v3, 0
	s_and_b32 vcc_lo, exec_lo, s3
	s_cbranch_vccnz .LBB65_7
; %bb.6:
	v_lshlrev_b64 v[2:3], 3, v[4:5]
	v_add_co_u32 v2, vcc_lo, s5, v2
	v_add_co_ci_u32_e64 v3, null, s26, v3, vcc_lo
	global_load_dwordx2 v[2:3], v[2:3], off
	s_waitcnt vmcnt(0)
	v_mul_f64 v[2:3], s[12:13], v[2:3]
.LBB65_7:
	s_mov_b32 s3, exec_lo
.LBB65_8:
	s_or_b32 exec_lo, exec_lo, s0
	s_and_b32 s27, s3, exec_lo
	s_or_b32 exec_lo, exec_lo, s2
	s_and_b32 vcc_lo, exec_lo, s1
	s_cbranch_vccnz .LBB65_11
	s_branch .LBB65_48
.LBB65_9:
                                        ; implicit-def: $vgpr2_vgpr3
                                        ; implicit-def: $vgpr4_vgpr5
	s_cbranch_execnz .LBB65_11
	s_branch .LBB65_48
.LBB65_10:
	s_or_b32 exec_lo, exec_lo, s2
	s_and_b32 vcc_lo, exec_lo, s1
	s_cbranch_vccz .LBB65_48
.LBB65_11:
	s_mul_i32 s0, s47, s7
	s_mul_hi_u32 s1, s46, s7
	s_lshl_b32 s28, s6, 8
	s_add_i32 s17, s1, s0
	s_waitcnt lgkmcnt(0)
	s_ashr_i32 s1, s25, 31
	v_mov_b32_e32 v10, 0
	s_lshr_b32 s1, s1, 26
	v_mov_b32_e32 v8, 0
	v_mov_b32_e32 v6, 0
	;; [unrolled: 1-line block ×3, first 2 shown]
	v_add_nc_u32_e32 v2, s28, v0
	v_lshlrev_b32_e32 v56, 2, v1
	v_mov_b32_e32 v11, 0
	v_mov_b32_e32 v9, 0
	;; [unrolled: 1-line block ×4, first 2 shown]
	s_mul_i32 s0, s11, s7
	s_mul_hi_u32 s2, s10, s7
	s_add_i32 s29, s25, s1
	s_mul_i32 s16, s46, s7
	s_andn2_b32 s29, s29, 63
	s_add_i32 s11, s2, s0
	s_mul_i32 s10, s10, s7
	s_mov_b32 s30, exec_lo
	v_cmpx_gt_i32_e64 s29, v56
	s_cbranch_execz .LBB65_23
; %bb.12:
	v_lshlrev_b32_e32 v20, 2, v1
	v_mad_u64_u32 v[4:5], null, s8, v1, 0
	v_ashrrev_i32_e32 v3, 31, v2
	v_add_nc_u32_e32 v12, 64, v2
	v_or_b32_e32 v11, 3, v20
	v_add_nc_u32_e32 v13, 0x80, v2
	s_lshl_b64 s[0:1], s[10:11], 3
	s_lshl_b64 s[6:7], s[50:51], 3
	v_add_nc_u32_e32 v14, 0xc0, v2
	v_mad_u64_u32 v[6:7], null, s44, v11, 0
	s_add_u32 s4, s48, s0
	v_or_b32_e32 v21, 2, v20
	s_addc_u32 s31, s49, s1
	v_cmp_gt_i32_e64 s0, s24, v12
	v_cmp_gt_i32_e64 s1, s24, v13
	v_lshlrev_b64 v[12:13], 3, v[2:3]
	v_mad_u64_u32 v[8:9], null, s9, v1, v[5:6]
	v_mad_u64_u32 v[9:10], null, s8, v11, 0
	v_cmp_gt_i32_e64 s2, s24, v14
	s_lshl_b64 s[22:23], s[42:43], 3
	v_mad_u64_u32 v[14:15], null, s44, v21, 0
	v_mov_b32_e32 v5, v8
	v_mad_u64_u32 v[7:8], null, s45, v11, v[7:8]
	v_mov_b32_e32 v8, v10
	v_mad_u64_u32 v[16:17], null, s8, v21, 0
	v_lshlrev_b64 v[4:5], 5, v[4:5]
	s_lshl_b64 s[18:19], s[8:9], 9
	v_mad_u64_u32 v[10:11], null, s9, v11, v[8:9]
	s_lshl_b64 s[34:35], s[16:17], 3
	v_mad_u64_u32 v[18:19], null, s8, v20, s[8:9]
	v_add_co_u32 v3, s3, s4, v4
	v_add_co_ci_u32_e64 v57, null, s31, v5, s3
	v_lshlrev_b64 v[4:5], 3, v[6:7]
	v_mad_u64_u32 v[6:7], null, s44, v1, 0
	s_add_u32 s3, s40, s22
	s_addc_u32 s22, s41, s23
	s_add_u32 s23, s3, s34
	s_addc_u32 s22, s22, s35
	v_add_co_u32 v58, s3, s23, v4
	v_mad_u64_u32 v[7:8], null, s45, v1, v[7:8]
	v_add_co_ci_u32_e64 v59, null, s22, v5, s3
	v_mov_b32_e32 v4, v15
	v_lshlrev_b64 v[8:9], 3, v[9:10]
	v_mov_b32_e32 v5, v17
	v_cmp_gt_i32_e32 vcc_lo, s24, v2
	v_mad_u64_u32 v[10:11], null, s45, v21, v[4:5]
	v_add_co_u32 v60, s3, s4, v8
	v_add_co_ci_u32_e64 v61, null, s31, v9, s3
	v_mad_u64_u32 v[8:9], null, s44, v20, s[44:45]
	v_mad_u64_u32 v[4:5], null, s9, v21, v[5:6]
	v_lshlrev_b64 v[5:6], 5, v[6:7]
	v_mov_b32_e32 v7, v19
	v_mov_b32_e32 v15, v10
	v_mad_u64_u32 v[10:11], null, s9, v20, v[7:8]
	v_add_co_u32 v62, s3, s23, v5
	v_add_co_ci_u32_e64 v63, null, s22, v6, s3
	v_lshlrev_b64 v[5:6], 3, v[14:15]
	v_mov_b32_e32 v17, v4
	v_mov_b32_e32 v4, v9
	;; [unrolled: 1-line block ×3, first 2 shown]
	v_lshlrev_b64 v[14:15], 3, v[16:17]
	v_mad_u64_u32 v[9:10], null, s45, v20, v[4:5]
	v_add_co_u32 v64, s3, s23, v5
	v_add_co_ci_u32_e64 v65, null, s22, v6, s3
	v_lshlrev_b64 v[4:5], 3, v[18:19]
	v_add_co_u32 v66, s3, s4, v14
	v_add_co_ci_u32_e64 v67, null, s31, v15, s3
	v_lshlrev_b64 v[14:15], 3, v[8:9]
	v_add_co_u32 v68, s3, s4, v4
	v_add_co_ci_u32_e64 v69, null, s31, v5, s3
	v_mov_b32_e32 v10, 0
	v_add_co_u32 v70, s3, s23, v14
	v_mov_b32_e32 v8, 0
	v_mov_b32_e32 v6, 0
	;; [unrolled: 1-line block ×7, first 2 shown]
	v_add_co_ci_u32_e64 v71, null, s22, v15, s3
	s_lshl_b64 s[22:23], s[44:45], 9
	s_mov_b32 s31, 0
	s_branch .LBB65_17
.LBB65_13:                              ;   in Loop: Header=BB65_17 Depth=1
	s_or_b32 exec_lo, exec_lo, s34
	s_waitcnt vmcnt(3)
	v_fma_f64 v[6:7], v[14:15], v[46:47], v[6:7]
	s_waitcnt vmcnt(2)
	v_fma_f64 v[6:7], v[16:17], v[48:49], v[6:7]
	;; [unrolled: 2-line block ×4, first 2 shown]
.LBB65_14:                              ;   in Loop: Header=BB65_17 Depth=1
	s_or_b32 exec_lo, exec_lo, s33
	s_waitcnt vmcnt(3)
	v_fma_f64 v[8:9], v[14:15], v[36:37], v[8:9]
	s_waitcnt vmcnt(2)
	v_fma_f64 v[8:9], v[16:17], v[38:39], v[8:9]
	s_waitcnt vmcnt(1)
	v_fma_f64 v[8:9], v[18:19], v[40:41], v[8:9]
	s_waitcnt vmcnt(0)
	v_fma_f64 v[8:9], v[20:21], v[42:43], v[8:9]
.LBB65_15:                              ;   in Loop: Header=BB65_17 Depth=1
	s_or_b32 exec_lo, exec_lo, s3
	s_waitcnt vmcnt(3)
	v_fma_f64 v[10:11], v[14:15], v[22:23], v[10:11]
	s_waitcnt vmcnt(2)
	v_fma_f64 v[10:11], v[16:17], v[24:25], v[10:11]
	;; [unrolled: 2-line block ×4, first 2 shown]
.LBB65_16:                              ;   in Loop: Header=BB65_17 Depth=1
	s_or_b32 exec_lo, exec_lo, s4
	v_add_co_u32 v3, s3, v3, s18
	v_add_co_ci_u32_e64 v57, null, s19, v57, s3
	v_add_co_u32 v58, s3, v58, s22
	v_add_co_ci_u32_e64 v59, null, s23, v59, s3
	;; [unrolled: 2-line block ×4, first 2 shown]
	v_add_co_u32 v64, s3, v64, s22
	v_add_nc_u32_e32 v56, 64, v56
	v_add_co_ci_u32_e64 v65, null, s23, v65, s3
	v_add_co_u32 v66, s3, v66, s18
	v_add_co_ci_u32_e64 v67, null, s19, v67, s3
	v_add_co_u32 v68, s3, v68, s18
	v_add_co_ci_u32_e64 v69, null, s19, v69, s3
	v_cmp_le_i32_e64 s3, s29, v56
	v_add_co_u32 v70, s4, v70, s22
	v_add_co_ci_u32_e64 v71, null, s23, v71, s4
	s_or_b32 s31, s3, s31
	s_andn2_b32 exec_lo, exec_lo, s31
	s_cbranch_execz .LBB65_22
.LBB65_17:                              ; =>This Inner Loop Header: Depth=1
	s_and_saveexec_b32 s4, vcc_lo
	s_cbranch_execz .LBB65_16
; %bb.18:                               ;   in Loop: Header=BB65_17 Depth=1
	v_add_co_u32 v14, s3, v3, s6
	v_add_co_ci_u32_e64 v15, null, s7, v57, s3
	v_add_co_u32 v16, s3, v68, s6
	v_add_co_ci_u32_e64 v17, null, s7, v69, s3
	;; [unrolled: 2-line block ×8, first 2 shown]
	global_load_dwordx2 v[14:15], v[14:15], off
	global_load_dwordx2 v[16:17], v[16:17], off
	;; [unrolled: 1-line block ×8, first 2 shown]
	s_and_saveexec_b32 s3, s0
	s_cbranch_execz .LBB65_15
; %bb.19:                               ;   in Loop: Header=BB65_17 Depth=1
	global_load_dwordx2 v[36:37], v[30:31], off offset:512
	global_load_dwordx2 v[38:39], v[32:33], off offset:512
	global_load_dwordx2 v[40:41], v[34:35], off offset:512
	global_load_dwordx2 v[42:43], v[44:45], off offset:512
	s_and_saveexec_b32 s33, s1
	s_cbranch_execz .LBB65_14
; %bb.20:                               ;   in Loop: Header=BB65_17 Depth=1
	global_load_dwordx2 v[46:47], v[30:31], off offset:1024
	global_load_dwordx2 v[48:49], v[32:33], off offset:1024
	global_load_dwordx2 v[50:51], v[34:35], off offset:1024
	global_load_dwordx2 v[52:53], v[44:45], off offset:1024
	;; [unrolled: 7-line block ×3, first 2 shown]
	s_waitcnt vmcnt(3)
	v_fma_f64 v[4:5], v[14:15], v[30:31], v[4:5]
	s_waitcnt vmcnt(2)
	v_fma_f64 v[4:5], v[16:17], v[32:33], v[4:5]
	;; [unrolled: 2-line block ×4, first 2 shown]
	s_branch .LBB65_13
.LBB65_22:
	s_or_b32 exec_lo, exec_lo, s31
.LBB65_23:
	s_or_b32 exec_lo, exec_lo, s30
	s_sub_i32 s0, s25, s29
	s_cmp_lt_i32 s0, 1
	s_cbranch_scc1 .LBB65_41
; %bb.24:
	v_mov_b32_e32 v16, 0
	v_mov_b32_e32 v18, 0
	;; [unrolled: 1-line block ×4, first 2 shown]
	v_cmp_gt_i32_e32 vcc_lo, s25, v56
	v_mov_b32_e32 v17, 0
	v_mov_b32_e32 v19, 0
	v_mov_b32_e32 v15, 0
	v_mov_b32_e32 v13, 0
	v_or_b32_e32 v20, 1, v56
	s_and_saveexec_b32 s1, vcc_lo
	s_cbranch_execz .LBB65_32
; %bb.25:
	v_mad_u64_u32 v[12:13], null, s8, v56, 0
	s_lshl_b64 s[2:3], s[10:11], 3
	v_mov_b32_e32 v18, 0
	s_add_u32 s0, s48, s2
	s_addc_u32 s2, s49, s3
	s_lshl_b64 s[6:7], s[50:51], 3
	v_mov_b32_e32 v16, 0
	v_mov_b32_e32 v3, v13
	s_add_u32 s3, s0, s6
	s_addc_u32 s4, s2, s7
	v_mov_b32_e32 v19, 0
	v_mov_b32_e32 v17, 0
	v_mad_u64_u32 v[13:14], null, s9, v56, v[3:4]
	v_mov_b32_e32 v14, 0
	v_mov_b32_e32 v15, 0
	s_mov_b32 s2, exec_lo
	v_lshlrev_b64 v[12:13], 3, v[12:13]
	v_add_co_u32 v12, s0, s3, v12
	v_add_co_ci_u32_e64 v13, null, s4, v13, s0
	global_load_dwordx2 v[12:13], v[12:13], off
	v_cmpx_gt_i32_e64 s25, v20
	s_cbranch_execz .LBB65_31
; %bb.26:
	v_mad_u64_u32 v[14:15], null, s8, v20, 0
	v_mov_b32_e32 v18, 0
	v_mov_b32_e32 v19, 0
	s_mov_b32 s6, exec_lo
	v_mov_b32_e32 v3, v15
	v_mad_u64_u32 v[15:16], null, s9, v20, v[3:4]
	v_mov_b32_e32 v16, 0
	v_or_b32_e32 v3, 2, v56
	v_mov_b32_e32 v17, 0
	v_lshlrev_b64 v[14:15], 3, v[14:15]
	v_add_co_u32 v14, s0, s3, v14
	v_add_co_ci_u32_e64 v15, null, s4, v15, s0
	global_load_dwordx2 v[14:15], v[14:15], off
	v_cmpx_gt_i32_e64 s25, v3
	s_cbranch_execz .LBB65_30
; %bb.27:
	v_mad_u64_u32 v[16:17], null, s8, v3, 0
	s_mov_b32 s7, exec_lo
	v_mad_u64_u32 v[17:18], null, s9, v3, v[17:18]
	v_or_b32_e32 v3, 3, v56
	v_lshlrev_b64 v[16:17], 3, v[16:17]
	v_add_co_u32 v16, s0, s3, v16
	v_add_co_ci_u32_e64 v17, null, s4, v17, s0
	global_load_dwordx2 v[18:19], v[16:17], off
	v_mov_b32_e32 v16, 0
	v_mov_b32_e32 v17, 0
	v_cmpx_gt_i32_e64 s25, v3
	s_cbranch_execz .LBB65_29
; %bb.28:
	v_mad_u64_u32 v[16:17], null, s8, v3, 0
	s_waitcnt vmcnt(0)
	v_mad_u64_u32 v[21:22], null, s9, v3, v[17:18]
	v_mov_b32_e32 v17, v21
	v_lshlrev_b64 v[16:17], 3, v[16:17]
	v_add_co_u32 v16, s0, s3, v16
	v_add_co_ci_u32_e64 v17, null, s4, v17, s0
	global_load_dwordx2 v[16:17], v[16:17], off
.LBB65_29:
	s_or_b32 exec_lo, exec_lo, s7
.LBB65_30:
	s_or_b32 exec_lo, exec_lo, s6
.LBB65_31:
	s_or_b32 exec_lo, exec_lo, s2
.LBB65_32:
	s_or_b32 exec_lo, exec_lo, s1
	s_mov_b32 s1, exec_lo
	v_cmpx_gt_i32_e64 s24, v2
	s_cbranch_execz .LBB65_40
; %bb.33:
	v_mad_u64_u32 v[21:22], null, s44, v56, 0
	s_lshl_b64 s[2:3], s[16:17], 3
	v_or_b32_e32 v32, 2, v56
	s_add_u32 s0, s40, s2
	s_addc_u32 s4, s41, s3
	s_lshl_b64 s[2:3], s[42:43], 3
	v_or_b32_e32 v36, 3, v56
	v_mov_b32_e32 v3, v22
	v_cndmask_b32_e32 v21, 0, v21, vcc_lo
	s_add_u32 s2, s0, s2
	s_addc_u32 s3, s4, s3
	v_mad_u64_u32 v[26:27], null, s44, v32, 0
	v_mad_u64_u32 v[22:23], null, s45, v56, v[3:4]
	;; [unrolled: 1-line block ×3, first 2 shown]
	v_ashrrev_i32_e32 v3, 31, v2
	v_cndmask_b32_e32 v22, 0, v22, vcc_lo
	v_lshlrev_b64 v[28:29], 3, v[2:3]
	v_mad_u64_u32 v[24:25], null, s45, v20, v[24:25]
	v_cmp_gt_i32_e32 vcc_lo, s25, v20
	v_lshlrev_b64 v[21:22], 3, v[21:22]
	v_cndmask_b32_e32 v23, 0, v23, vcc_lo
	v_cndmask_b32_e32 v24, 0, v24, vcc_lo
	v_add_co_u32 v3, s0, s2, v21
	v_add_co_ci_u32_e64 v21, null, s3, v22, s0
	v_lshlrev_b64 v[22:23], 3, v[23:24]
	v_add_co_u32 v20, vcc_lo, v3, v28
	v_add_co_ci_u32_e64 v21, null, v21, v29, vcc_lo
	v_mov_b32_e32 v3, v27
	v_add_co_u32 v24, vcc_lo, s2, v22
	global_load_dwordx2 v[30:31], v[20:21], off
	v_add_co_ci_u32_e64 v25, null, s3, v23, vcc_lo
	v_mad_u64_u32 v[22:23], null, s45, v32, v[3:4]
	v_add_co_u32 v24, s0, v24, v28
	v_cmp_gt_i32_e32 vcc_lo, s25, v32
	v_add_co_ci_u32_e64 v25, null, v25, v29, s0
	v_cndmask_b32_e32 v26, 0, v26, vcc_lo
	v_cndmask_b32_e32 v27, 0, v22, vcc_lo
	v_mad_u64_u32 v[22:23], null, s44, v36, 0
	global_load_dwordx2 v[32:33], v[24:25], off
	v_lshlrev_b64 v[26:27], 3, v[26:27]
	v_mov_b32_e32 v3, v23
	v_add_co_u32 v23, vcc_lo, s2, v26
	v_add_co_ci_u32_e64 v27, null, s3, v27, vcc_lo
	v_mad_u64_u32 v[34:35], null, s45, v36, v[3:4]
	v_add_co_u32 v26, s0, v23, v28
	v_cmp_gt_i32_e32 vcc_lo, s25, v36
	v_add_co_ci_u32_e64 v27, null, v27, v29, s0
	s_mov_b32 s0, exec_lo
	v_cndmask_b32_e32 v22, 0, v22, vcc_lo
	v_cndmask_b32_e32 v23, 0, v34, vcc_lo
	global_load_dwordx2 v[34:35], v[26:27], off
	v_lshlrev_b64 v[22:23], 3, v[22:23]
	v_add_co_u32 v3, vcc_lo, s2, v22
	v_add_co_ci_u32_e64 v22, null, s3, v23, vcc_lo
	v_add_co_u32 v28, vcc_lo, v3, v28
	v_add_co_ci_u32_e64 v29, null, v22, v29, vcc_lo
	v_add_nc_u32_e32 v3, 64, v2
	global_load_dwordx2 v[22:23], v[28:29], off
	s_waitcnt vmcnt(3)
	v_fma_f64 v[10:11], v[12:13], v[30:31], v[10:11]
	s_waitcnt vmcnt(2)
	v_fma_f64 v[10:11], v[14:15], v[32:33], v[10:11]
	;; [unrolled: 2-line block ×3, first 2 shown]
	v_cmpx_gt_i32_e64 s24, v3
	s_cbranch_execz .LBB65_39
; %bb.34:
	s_clause 0x3
	global_load_dwordx2 v[32:33], v[20:21], off offset:512
	global_load_dwordx2 v[34:35], v[24:25], off offset:512
	;; [unrolled: 1-line block ×4, first 2 shown]
	v_add_nc_u32_e32 v3, 0x80, v2
	s_mov_b32 s2, exec_lo
	s_waitcnt vmcnt(3)
	v_fma_f64 v[8:9], v[12:13], v[32:33], v[8:9]
	s_waitcnt vmcnt(2)
	v_fma_f64 v[8:9], v[14:15], v[34:35], v[8:9]
	;; [unrolled: 2-line block ×3, first 2 shown]
	v_cmpx_gt_i32_e64 s24, v3
	s_cbranch_execz .LBB65_38
; %bb.35:
	s_clause 0x3
	global_load_dwordx2 v[34:35], v[20:21], off offset:1024
	global_load_dwordx2 v[36:37], v[24:25], off offset:1024
	;; [unrolled: 1-line block ×4, first 2 shown]
	v_add_nc_u32_e32 v2, 0xc0, v2
	s_mov_b32 s3, exec_lo
	s_waitcnt vmcnt(3)
	v_fma_f64 v[6:7], v[12:13], v[34:35], v[6:7]
	s_waitcnt vmcnt(2)
	v_fma_f64 v[6:7], v[14:15], v[36:37], v[6:7]
	;; [unrolled: 2-line block ×3, first 2 shown]
	v_cmpx_gt_i32_e64 s24, v2
	s_cbranch_execz .LBB65_37
; %bb.36:
	s_clause 0x3
	global_load_dwordx2 v[2:3], v[20:21], off offset:1536
	global_load_dwordx2 v[20:21], v[24:25], off offset:1536
	;; [unrolled: 1-line block ×4, first 2 shown]
	s_waitcnt vmcnt(3)
	v_fma_f64 v[2:3], v[12:13], v[2:3], v[4:5]
	s_waitcnt vmcnt(2)
	v_fma_f64 v[2:3], v[14:15], v[20:21], v[2:3]
	;; [unrolled: 2-line block ×4, first 2 shown]
.LBB65_37:
	s_or_b32 exec_lo, exec_lo, s3
	s_waitcnt vmcnt(0)
	v_fma_f64 v[6:7], v[16:17], v[32:33], v[6:7]
.LBB65_38:
	s_or_b32 exec_lo, exec_lo, s2
	s_waitcnt vmcnt(0)
	v_fma_f64 v[8:9], v[16:17], v[30:31], v[8:9]
.LBB65_39:
	s_or_b32 exec_lo, exec_lo, s0
	s_waitcnt vmcnt(0)
	v_fma_f64 v[10:11], v[16:17], v[22:23], v[10:11]
.LBB65_40:
	s_or_b32 exec_lo, exec_lo, s1
.LBB65_41:
	v_lshlrev_b32_e32 v0, 3, v0
	s_mov_b32 s0, exec_lo
                                        ; implicit-def: $vgpr2_vgpr3
	v_lshl_add_u32 v1, v1, 11, v0
	ds_write2st64_b64 v1, v[10:11], v[8:9] offset1:1
	ds_write2st64_b64 v1, v[6:7], v[4:5] offset0:2 offset1:3
	s_waitcnt vmcnt(0) lgkmcnt(0)
	s_barrier
	buffer_gl0_inv
                                        ; implicit-def: $vgpr4_vgpr5
	v_cmpx_gt_u32_e32 0x100, v54
	s_cbranch_execz .LBB65_47
; %bb.42:
	v_lshl_add_u32 v7, v55, 3, v0
	v_or_b32_e32 v6, s28, v54
	s_mov_b32 s2, s27
	s_mov_b32 s1, exec_lo
	ds_read2st64_b64 v[0:3], v7 offset1:4
	s_waitcnt lgkmcnt(0)
	v_add_f64 v[4:5], v[0:1], v[2:3]
	ds_read2st64_b64 v[0:3], v7 offset0:8 offset1:12
	s_waitcnt lgkmcnt(0)
	v_add_f64 v[0:1], v[0:1], v[4:5]
	v_add_f64 v[4:5], v[2:3], v[0:1]
	ds_read2st64_b64 v[0:3], v7 offset0:16 offset1:20
	s_waitcnt lgkmcnt(0)
	v_add_f64 v[0:1], v[0:1], v[4:5]
	;; [unrolled: 4-line block ×7, first 2 shown]
                                        ; implicit-def: $vgpr4_vgpr5
	v_add_f64 v[0:1], v[2:3], v[0:1]
                                        ; implicit-def: $vgpr2_vgpr3
	ds_write_b64 v7, v[0:1]
	v_cmpx_gt_i32_e64 s24, v6
	s_cbranch_execz .LBB65_46
; %bb.43:
	v_cmp_eq_f64_e64 s2, s[12:13], 0
	v_mul_f64 v[2:3], s[14:15], v[0:1]
	v_ashrrev_i32_e32 v0, 31, v6
	v_mul_lo_u32 v1, s21, v6
	v_mad_u64_u32 v[4:5], null, s20, v6, 0
	v_mul_lo_u32 v0, s20, v0
	v_add3_u32 v5, v5, v0, v1
	s_and_b32 vcc_lo, exec_lo, s2
	s_cbranch_vccnz .LBB65_45
; %bb.44:
	v_lshlrev_b64 v[0:1], 3, v[4:5]
	v_add_co_u32 v0, vcc_lo, s5, v0
	v_add_co_ci_u32_e64 v1, null, s26, v1, vcc_lo
	global_load_dwordx2 v[0:1], v[0:1], off
	s_waitcnt vmcnt(0)
	v_fma_f64 v[2:3], s[12:13], v[0:1], v[2:3]
.LBB65_45:
	s_or_b32 s2, s27, exec_lo
.LBB65_46:
	s_or_b32 exec_lo, exec_lo, s1
	s_andn2_b32 s1, s27, exec_lo
	s_and_b32 s2, s2, exec_lo
	s_or_b32 s27, s1, s2
.LBB65_47:
	s_or_b32 exec_lo, exec_lo, s0
.LBB65_48:
	s_and_saveexec_b32 s0, s27
	s_cbranch_execz .LBB65_50
; %bb.49:
	v_lshlrev_b64 v[0:1], 3, v[4:5]
	v_add_co_u32 v0, vcc_lo, s5, v0
	v_add_co_ci_u32_e64 v1, null, s26, v1, vcc_lo
	global_store_dwordx2 v[0:1], v[2:3], off
.LBB65_50:
	s_endpgm
	.section	.rodata,"a",@progbits
	.p2align	6, 0x0
	.amdhsa_kernel _ZL20rocblas_gemvn_kernelILi64ELi16EldPKddEviiT3_lPKT2_lT1_lS5_lS6_lS2_lPT4_lS6_li
		.amdhsa_group_segment_fixed_size 32768
		.amdhsa_private_segment_fixed_size 0
		.amdhsa_kernarg_size 400
		.amdhsa_user_sgpr_count 6
		.amdhsa_user_sgpr_private_segment_buffer 1
		.amdhsa_user_sgpr_dispatch_ptr 0
		.amdhsa_user_sgpr_queue_ptr 0
		.amdhsa_user_sgpr_kernarg_segment_ptr 1
		.amdhsa_user_sgpr_dispatch_id 0
		.amdhsa_user_sgpr_flat_scratch_init 0
		.amdhsa_user_sgpr_private_segment_size 0
		.amdhsa_wavefront_size32 1
		.amdhsa_uses_dynamic_stack 0
		.amdhsa_system_sgpr_private_segment_wavefront_offset 0
		.amdhsa_system_sgpr_workgroup_id_x 1
		.amdhsa_system_sgpr_workgroup_id_y 0
		.amdhsa_system_sgpr_workgroup_id_z 1
		.amdhsa_system_sgpr_workgroup_info 0
		.amdhsa_system_vgpr_workitem_id 1
		.amdhsa_next_free_vgpr 72
		.amdhsa_next_free_sgpr 52
		.amdhsa_reserve_vcc 1
		.amdhsa_reserve_flat_scratch 0
		.amdhsa_float_round_mode_32 0
		.amdhsa_float_round_mode_16_64 0
		.amdhsa_float_denorm_mode_32 3
		.amdhsa_float_denorm_mode_16_64 3
		.amdhsa_dx10_clamp 1
		.amdhsa_ieee_mode 1
		.amdhsa_fp16_overflow 0
		.amdhsa_workgroup_processor_mode 1
		.amdhsa_memory_ordered 1
		.amdhsa_forward_progress 1
		.amdhsa_shared_vgpr_count 0
		.amdhsa_exception_fp_ieee_invalid_op 0
		.amdhsa_exception_fp_denorm_src 0
		.amdhsa_exception_fp_ieee_div_zero 0
		.amdhsa_exception_fp_ieee_overflow 0
		.amdhsa_exception_fp_ieee_underflow 0
		.amdhsa_exception_fp_ieee_inexact 0
		.amdhsa_exception_int_div_zero 0
	.end_amdhsa_kernel
	.section	.text._ZL20rocblas_gemvn_kernelILi64ELi16EldPKddEviiT3_lPKT2_lT1_lS5_lS6_lS2_lPT4_lS6_li,"axG",@progbits,_ZL20rocblas_gemvn_kernelILi64ELi16EldPKddEviiT3_lPKT2_lT1_lS5_lS6_lS2_lPT4_lS6_li,comdat
.Lfunc_end65:
	.size	_ZL20rocblas_gemvn_kernelILi64ELi16EldPKddEviiT3_lPKT2_lT1_lS5_lS6_lS2_lPT4_lS6_li, .Lfunc_end65-_ZL20rocblas_gemvn_kernelILi64ELi16EldPKddEviiT3_lPKT2_lT1_lS5_lS6_lS2_lPT4_lS6_li
                                        ; -- End function
	.set _ZL20rocblas_gemvn_kernelILi64ELi16EldPKddEviiT3_lPKT2_lT1_lS5_lS6_lS2_lPT4_lS6_li.num_vgpr, 72
	.set _ZL20rocblas_gemvn_kernelILi64ELi16EldPKddEviiT3_lPKT2_lT1_lS5_lS6_lS2_lPT4_lS6_li.num_agpr, 0
	.set _ZL20rocblas_gemvn_kernelILi64ELi16EldPKddEviiT3_lPKT2_lT1_lS5_lS6_lS2_lPT4_lS6_li.numbered_sgpr, 52
	.set _ZL20rocblas_gemvn_kernelILi64ELi16EldPKddEviiT3_lPKT2_lT1_lS5_lS6_lS2_lPT4_lS6_li.num_named_barrier, 0
	.set _ZL20rocblas_gemvn_kernelILi64ELi16EldPKddEviiT3_lPKT2_lT1_lS5_lS6_lS2_lPT4_lS6_li.private_seg_size, 0
	.set _ZL20rocblas_gemvn_kernelILi64ELi16EldPKddEviiT3_lPKT2_lT1_lS5_lS6_lS2_lPT4_lS6_li.uses_vcc, 1
	.set _ZL20rocblas_gemvn_kernelILi64ELi16EldPKddEviiT3_lPKT2_lT1_lS5_lS6_lS2_lPT4_lS6_li.uses_flat_scratch, 0
	.set _ZL20rocblas_gemvn_kernelILi64ELi16EldPKddEviiT3_lPKT2_lT1_lS5_lS6_lS2_lPT4_lS6_li.has_dyn_sized_stack, 0
	.set _ZL20rocblas_gemvn_kernelILi64ELi16EldPKddEviiT3_lPKT2_lT1_lS5_lS6_lS2_lPT4_lS6_li.has_recursion, 0
	.set _ZL20rocblas_gemvn_kernelILi64ELi16EldPKddEviiT3_lPKT2_lT1_lS5_lS6_lS2_lPT4_lS6_li.has_indirect_call, 0
	.section	.AMDGPU.csdata,"",@progbits
; Kernel info:
; codeLenInByte = 3432
; TotalNumSgprs: 54
; NumVgprs: 72
; ScratchSize: 0
; MemoryBound: 1
; FloatMode: 240
; IeeeMode: 1
; LDSByteSize: 32768 bytes/workgroup (compile time only)
; SGPRBlocks: 0
; VGPRBlocks: 8
; NumSGPRsForWavesPerEU: 54
; NumVGPRsForWavesPerEU: 72
; Occupancy: 12
; WaveLimiterHint : 0
; COMPUTE_PGM_RSRC2:SCRATCH_EN: 0
; COMPUTE_PGM_RSRC2:USER_SGPR: 6
; COMPUTE_PGM_RSRC2:TRAP_HANDLER: 0
; COMPUTE_PGM_RSRC2:TGID_X_EN: 1
; COMPUTE_PGM_RSRC2:TGID_Y_EN: 0
; COMPUTE_PGM_RSRC2:TGID_Z_EN: 1
; COMPUTE_PGM_RSRC2:TIDIG_COMP_CNT: 1
	.section	.text._ZL20rocblas_gemvn_kernelILi64ELi16EidddEviiT3_lPKT2_lT1_lS3_lS4_lS0_lPT4_lS4_li,"axG",@progbits,_ZL20rocblas_gemvn_kernelILi64ELi16EidddEviiT3_lPKT2_lT1_lS3_lS4_lS0_lPT4_lS4_li,comdat
	.globl	_ZL20rocblas_gemvn_kernelILi64ELi16EidddEviiT3_lPKT2_lT1_lS3_lS4_lS0_lPT4_lS4_li ; -- Begin function _ZL20rocblas_gemvn_kernelILi64ELi16EidddEviiT3_lPKT2_lT1_lS3_lS4_lS0_lPT4_lS4_li
	.p2align	8
	.type	_ZL20rocblas_gemvn_kernelILi64ELi16EidddEviiT3_lPKT2_lT1_lS3_lS4_lS0_lPT4_lS4_li,@function
_ZL20rocblas_gemvn_kernelILi64ELi16EidddEviiT3_lPKT2_lT1_lS3_lS4_lS0_lPT4_lS4_li: ; @_ZL20rocblas_gemvn_kernelILi64ELi16EidddEviiT3_lPKT2_lT1_lS3_lS4_lS0_lPT4_lS4_li
; %bb.0:
	s_load_dwordx2 s[0:1], s[4:5], 0x9c
	s_waitcnt lgkmcnt(0)
	s_lshr_b32 s2, s0, 16
	s_and_b32 s0, s0, 0xffff
	s_and_b32 s1, s1, 0xffff
	s_mul_i32 s0, s2, s0
	s_mul_i32 s0, s0, s1
	s_cmpk_lg_i32 s0, 0x400
	s_cbranch_scc1 .LBB66_50
; %bb.1:
	s_clause 0x1
	s_load_dwordx2 s[12:13], s[4:5], 0x8
	s_load_dwordx4 s[8:11], s[4:5], 0x50
	s_waitcnt lgkmcnt(0)
	v_cmp_eq_f64_e64 s0, s[12:13], 0
	v_cmp_eq_f64_e64 s1, s[10:11], 1.0
	s_and_b32 s0, s0, s1
	s_and_b32 vcc_lo, exec_lo, s0
	s_cbranch_vccnz .LBB66_50
; %bb.2:
	s_clause 0x1
	s_load_dwordx2 s[16:17], s[4:5], 0x80
	s_load_dwordx4 s[0:3], s[4:5], 0x68
	v_cmp_neq_f64_e64 s19, s[12:13], 0
	s_clause 0x1
	s_load_dword s18, s[4:5], 0x78
	s_load_dwordx2 s[14:15], s[4:5], 0x0
	v_lshlrev_b32_e32 v54, 6, v1
	v_add_nc_u32_e32 v53, v54, v0
	s_waitcnt lgkmcnt(0)
	s_mul_i32 s17, s17, s7
	s_mul_hi_u32 s20, s16, s7
	s_mul_i32 s16, s16, s7
	s_add_i32 s17, s20, s17
	s_lshl_b64 s[16:17], s[16:17], 3
	s_add_u32 s16, s0, s16
	s_addc_u32 s17, s1, s17
	s_lshl_b64 s[0:1], s[2:3], 3
	s_add_u32 s16, s16, s0
	v_cmp_gt_u32_e64 s0, 0x100, v53
	s_addc_u32 s17, s17, s1
	s_and_b32 vcc_lo, exec_lo, s19
	s_mov_b32 s19, 0
	s_cbranch_vccnz .LBB66_9
; %bb.3:
	s_mov_b32 s1, 0
                                        ; implicit-def: $vgpr4_vgpr5
                                        ; implicit-def: $vgpr2_vgpr3
	s_and_saveexec_b32 s2, s0
	s_cbranch_execz .LBB66_10
; %bb.4:
	v_lshl_or_b32 v6, s6, 8, v53
	v_mov_b32_e32 v7, 0
	s_ashr_i32 s21, s14, 31
	s_mov_b32 s20, s14
	s_mov_b32 s3, 0
	s_mov_b32 s0, exec_lo
                                        ; implicit-def: $vgpr4_vgpr5
                                        ; implicit-def: $vgpr2_vgpr3
	v_cmpx_gt_i64_e64 s[20:21], v[6:7]
	s_cbranch_execz .LBB66_8
; %bb.5:
	v_cmp_eq_f64_e64 s3, s[10:11], 0
	v_mad_u64_u32 v[2:3], null, s18, v6, 0
	s_ashr_i32 s19, s18, 31
	v_mad_u64_u32 v[3:4], null, s19, v6, v[3:4]
	v_mov_b32_e32 v4, 0
	v_mov_b32_e32 v5, 0
	s_and_b32 vcc_lo, exec_lo, s3
	s_cbranch_vccnz .LBB66_7
; %bb.6:
	v_lshlrev_b64 v[4:5], 3, v[2:3]
	v_add_co_u32 v4, vcc_lo, s16, v4
	v_add_co_ci_u32_e64 v5, null, s17, v5, vcc_lo
	global_load_dwordx2 v[4:5], v[4:5], off
	s_waitcnt vmcnt(0)
	v_mul_f64 v[4:5], s[10:11], v[4:5]
.LBB66_7:
	s_mov_b32 s3, exec_lo
.LBB66_8:
	s_or_b32 exec_lo, exec_lo, s0
	s_and_b32 s19, s3, exec_lo
	s_or_b32 exec_lo, exec_lo, s2
	s_and_b32 vcc_lo, exec_lo, s1
	s_cbranch_vccnz .LBB66_11
	s_branch .LBB66_48
.LBB66_9:
                                        ; implicit-def: $vgpr4_vgpr5
                                        ; implicit-def: $vgpr2_vgpr3
	s_cbranch_execnz .LBB66_11
	s_branch .LBB66_48
.LBB66_10:
	s_or_b32 exec_lo, exec_lo, s2
	s_and_b32 vcc_lo, exec_lo, s1
	s_cbranch_vccz .LBB66_48
.LBB66_11:
	s_clause 0x4
	s_load_dwordx4 s[0:3], s[4:5], 0x30
	s_load_dwordx4 s[24:27], s[4:5], 0x18
	s_load_dword s20, s[4:5], 0x28
	s_load_dwordx2 s[22:23], s[4:5], 0x40
	s_load_dword s4, s[4:5], 0x48
	s_mul_i32 s9, s9, s7
	v_mov_b32_e32 v8, 0
	v_mov_b32_e32 v6, 0
	;; [unrolled: 1-line block ×4, first 2 shown]
	v_lshlrev_b32_e32 v56, 2, v1
	v_mov_b32_e32 v9, 0
	v_mov_b32_e32 v7, 0
	;; [unrolled: 1-line block ×4, first 2 shown]
	s_waitcnt lgkmcnt(0)
	s_mul_i32 s1, s1, s7
	s_mul_hi_u32 s21, s0, s7
	s_mul_i32 s0, s0, s7
	s_add_i32 s1, s21, s1
	s_mul_hi_u32 s21, s8, s7
	s_lshl_b64 s[0:1], s[0:1], 3
	s_add_u32 s28, s24, s0
	s_addc_u32 s25, s25, s1
	s_lshl_b64 s[0:1], s[26:27], 3
	s_mul_i32 s24, s8, s7
	s_add_u32 s7, s28, s0
	s_addc_u32 s8, s25, s1
	s_add_i32 s25, s21, s9
	s_lshl_b64 s[0:1], s[24:25], 3
	s_add_u32 s2, s2, s0
	s_addc_u32 s3, s3, s1
	s_lshl_b64 s[0:1], s[22:23], 3
	s_mov_b32 s22, exec_lo
	s_add_u32 s9, s2, s0
	s_addc_u32 s21, s3, s1
	s_ashr_i32 s0, s15, 31
	s_lshl_b32 s5, s6, 8
	s_lshr_b32 s0, s0, 26
	v_add_nc_u32_e32 v55, s5, v0
	s_add_i32 s6, s15, s0
	s_andn2_b32 s6, s6, 63
	v_cmpx_gt_i32_e64 s6, v56
	s_cbranch_execz .LBB66_23
; %bb.12:
	v_add_nc_u32_e32 v2, 64, v55
	v_add_nc_u32_e32 v3, 0x80, v55
	;; [unrolled: 1-line block ×3, first 2 shown]
	v_mul_lo_u32 v5, s20, v56
	v_mul_lo_u32 v14, v1, s4
	v_cmp_gt_i32_e64 s0, s14, v2
	v_add_nc_u32_e32 v2, 2, v56
	v_cmp_gt_i32_e64 s1, s14, v3
	v_cmp_gt_i32_e64 s2, s14, v4
	v_mul_lo_u32 v3, v1, s20
	v_add_nc_u32_e32 v4, 3, v56
	v_mad_u64_u32 v[10:11], null, s20, v2, v[0:1]
	v_mul_lo_u32 v59, s4, v2
	v_add3_u32 v57, v5, s20, v0
	v_mad_u64_u32 v[11:12], null, s20, v4, v[0:1]
	v_mad_u64_u32 v[12:13], null, s4, v56, s[4:5]
	v_mul_lo_u32 v60, s4, v4
	v_lshl_add_u32 v58, v3, 2, v0
	v_mov_b32_e32 v8, 0
	v_mov_b32_e32 v6, 0
	;; [unrolled: 1-line block ×8, first 2 shown]
	v_lshlrev_b32_e32 v61, 2, v14
	s_lshl_b32 s23, s20, 6
	s_lshl_b32 s25, s4, 6
	s_mov_b32 s24, 0
	s_mov_b32 s26, 0
	v_cmp_gt_i32_e32 vcc_lo, s14, v55
	s_branch .LBB66_17
.LBB66_13:                              ;   in Loop: Header=BB66_17 Depth=1
	s_or_b32 exec_lo, exec_lo, s29
	s_waitcnt vmcnt(3)
	v_fma_f64 v[4:5], v[13:14], v[45:46], v[4:5]
	s_waitcnt vmcnt(2)
	v_fma_f64 v[4:5], v[15:16], v[47:48], v[4:5]
	;; [unrolled: 2-line block ×4, first 2 shown]
.LBB66_14:                              ;   in Loop: Header=BB66_17 Depth=1
	s_or_b32 exec_lo, exec_lo, s28
	s_waitcnt vmcnt(3)
	v_fma_f64 v[6:7], v[13:14], v[37:38], v[6:7]
	s_waitcnt vmcnt(2)
	v_fma_f64 v[6:7], v[15:16], v[39:40], v[6:7]
	;; [unrolled: 2-line block ×4, first 2 shown]
.LBB66_15:                              ;   in Loop: Header=BB66_17 Depth=1
	s_or_b32 exec_lo, exec_lo, s3
	s_waitcnt vmcnt(3)
	v_fma_f64 v[8:9], v[13:14], v[21:22], v[8:9]
	s_waitcnt vmcnt(2)
	v_fma_f64 v[8:9], v[15:16], v[23:24], v[8:9]
	;; [unrolled: 2-line block ×4, first 2 shown]
.LBB66_16:                              ;   in Loop: Header=BB66_17 Depth=1
	s_or_b32 exec_lo, exec_lo, s27
	v_add_nc_u32_e32 v56, 64, v56
	v_add_nc_u32_e32 v57, s23, v57
	;; [unrolled: 1-line block ×5, first 2 shown]
	v_cmp_le_i32_e64 s3, s6, v56
	s_add_i32 s26, s26, s25
	s_or_b32 s24, s3, s24
	s_andn2_b32 exec_lo, exec_lo, s24
	s_cbranch_execz .LBB66_22
.LBB66_17:                              ; =>This Inner Loop Header: Depth=1
	s_and_saveexec_b32 s27, vcc_lo
	s_cbranch_execz .LBB66_16
; %bb.18:                               ;   in Loop: Header=BB66_17 Depth=1
	v_add_nc_u32_e32 v13, s26, v61
	v_add_nc_u32_e32 v15, s26, v12
	;; [unrolled: 1-line block ×5, first 2 shown]
	v_ashrrev_i32_e32 v14, 31, v13
	v_ashrrev_i32_e32 v16, 31, v15
	;; [unrolled: 1-line block ×3, first 2 shown]
	v_add_nc_u32_e32 v23, s5, v57
	v_ashrrev_i32_e32 v20, 31, v19
	v_lshlrev_b64 v[13:14], 3, v[13:14]
	v_lshlrev_b64 v[15:16], 3, v[15:16]
	v_ashrrev_i32_e32 v22, 31, v21
	v_lshlrev_b64 v[17:18], 3, v[17:18]
	v_ashrrev_i32_e32 v24, 31, v23
	v_lshlrev_b64 v[19:20], 3, v[19:20]
	v_add_co_u32 v13, s3, s9, v13
	v_add_nc_u32_e32 v25, s5, v10
	v_add_co_ci_u32_e64 v14, null, s21, v14, s3
	v_add_co_u32 v15, s3, s9, v15
	v_lshlrev_b64 v[21:22], 3, v[21:22]
	v_add_nc_u32_e32 v27, s5, v11
	v_add_co_ci_u32_e64 v16, null, s21, v16, s3
	v_add_co_u32 v17, s3, s9, v17
	v_lshlrev_b64 v[23:24], 3, v[23:24]
	v_ashrrev_i32_e32 v26, 31, v25
	v_add_co_ci_u32_e64 v18, null, s21, v18, s3
	v_add_co_u32 v19, s3, s9, v19
	v_ashrrev_i32_e32 v28, 31, v27
	v_add_co_ci_u32_e64 v20, null, s21, v20, s3
	v_add_co_u32 v29, s3, s7, v21
	v_add_co_ci_u32_e64 v30, null, s8, v22, s3
	v_lshlrev_b64 v[21:22], 3, v[25:26]
	v_add_co_u32 v31, s3, s7, v23
	v_add_co_ci_u32_e64 v32, null, s8, v24, s3
	v_lshlrev_b64 v[23:24], 3, v[27:28]
	v_add_co_u32 v33, s3, s7, v21
	v_add_co_ci_u32_e64 v34, null, s8, v22, s3
	v_add_co_u32 v35, s3, s7, v23
	v_add_co_ci_u32_e64 v36, null, s8, v24, s3
	s_clause 0x3
	global_load_dwordx2 v[13:14], v[13:14], off
	global_load_dwordx2 v[15:16], v[15:16], off
	;; [unrolled: 1-line block ×4, first 2 shown]
	s_clause 0x3
	global_load_dwordx2 v[21:22], v[29:30], off
	global_load_dwordx2 v[23:24], v[31:32], off
	;; [unrolled: 1-line block ×4, first 2 shown]
	s_and_saveexec_b32 s3, s0
	s_cbranch_execz .LBB66_15
; %bb.19:                               ;   in Loop: Header=BB66_17 Depth=1
	s_clause 0x3
	global_load_dwordx2 v[37:38], v[29:30], off offset:512
	global_load_dwordx2 v[39:40], v[31:32], off offset:512
	global_load_dwordx2 v[41:42], v[33:34], off offset:512
	global_load_dwordx2 v[43:44], v[35:36], off offset:512
	s_and_saveexec_b32 s28, s1
	s_cbranch_execz .LBB66_14
; %bb.20:                               ;   in Loop: Header=BB66_17 Depth=1
	s_clause 0x3
	global_load_dwordx2 v[45:46], v[29:30], off offset:1024
	global_load_dwordx2 v[47:48], v[31:32], off offset:1024
	global_load_dwordx2 v[49:50], v[33:34], off offset:1024
	global_load_dwordx2 v[51:52], v[35:36], off offset:1024
	;; [unrolled: 8-line block ×3, first 2 shown]
	s_waitcnt vmcnt(3)
	v_fma_f64 v[2:3], v[13:14], v[29:30], v[2:3]
	s_waitcnt vmcnt(2)
	v_fma_f64 v[2:3], v[15:16], v[31:32], v[2:3]
	;; [unrolled: 2-line block ×4, first 2 shown]
	s_branch .LBB66_13
.LBB66_22:
	s_or_b32 exec_lo, exec_lo, s24
.LBB66_23:
	s_or_b32 exec_lo, exec_lo, s22
	s_sub_i32 s0, s15, s6
	s_cmp_lt_i32 s0, 1
	s_cbranch_scc1 .LBB66_41
; %bb.24:
	v_mov_b32_e32 v14, 0
	v_mov_b32_e32 v16, 0
	;; [unrolled: 1-line block ×4, first 2 shown]
	v_cmp_gt_i32_e32 vcc_lo, s15, v56
	v_mov_b32_e32 v15, 0
	v_mov_b32_e32 v17, 0
	;; [unrolled: 1-line block ×4, first 2 shown]
	v_or_b32_e32 v18, 1, v56
	s_and_saveexec_b32 s1, vcc_lo
	s_cbranch_execz .LBB66_32
; %bb.25:
	v_mul_lo_u32 v10, v56, s4
	v_mov_b32_e32 v12, 0
	v_mov_b32_e32 v16, 0
	;; [unrolled: 1-line block ×6, first 2 shown]
	s_mov_b32 s2, exec_lo
	v_ashrrev_i32_e32 v11, 31, v10
	v_lshlrev_b64 v[10:11], 3, v[10:11]
	v_add_co_u32 v10, s0, s9, v10
	v_add_co_ci_u32_e64 v11, null, s21, v11, s0
	global_load_dwordx2 v[10:11], v[10:11], off
	v_cmpx_gt_i32_e64 s15, v18
	s_cbranch_execz .LBB66_31
; %bb.26:
	v_mul_lo_u32 v12, v18, s4
	v_mov_b32_e32 v16, 0
	v_mov_b32_e32 v14, 0
	v_or_b32_e32 v19, 2, v56
	v_mov_b32_e32 v17, 0
	v_mov_b32_e32 v15, 0
	s_mov_b32 s3, exec_lo
	v_ashrrev_i32_e32 v13, 31, v12
	v_lshlrev_b64 v[12:13], 3, v[12:13]
	v_add_co_u32 v12, s0, s9, v12
	v_add_co_ci_u32_e64 v13, null, s21, v13, s0
	global_load_dwordx2 v[12:13], v[12:13], off
	v_cmpx_gt_i32_e64 s15, v19
	s_cbranch_execz .LBB66_30
; %bb.27:
	v_mul_lo_u32 v14, v19, s4
	v_or_b32_e32 v19, 3, v56
	s_mov_b32 s6, exec_lo
	v_ashrrev_i32_e32 v15, 31, v14
	v_lshlrev_b64 v[14:15], 3, v[14:15]
	v_add_co_u32 v14, s0, s9, v14
	v_add_co_ci_u32_e64 v15, null, s21, v15, s0
	global_load_dwordx2 v[16:17], v[14:15], off
	v_mov_b32_e32 v14, 0
	v_mov_b32_e32 v15, 0
	v_cmpx_gt_i32_e64 s15, v19
	s_cbranch_execz .LBB66_29
; %bb.28:
	v_mul_lo_u32 v14, v19, s4
	v_ashrrev_i32_e32 v15, 31, v14
	v_lshlrev_b64 v[14:15], 3, v[14:15]
	v_add_co_u32 v14, s0, s9, v14
	v_add_co_ci_u32_e64 v15, null, s21, v15, s0
	global_load_dwordx2 v[14:15], v[14:15], off
.LBB66_29:
	s_or_b32 exec_lo, exec_lo, s6
.LBB66_30:
	s_or_b32 exec_lo, exec_lo, s3
.LBB66_31:
	s_or_b32 exec_lo, exec_lo, s2
.LBB66_32:
	s_or_b32 exec_lo, exec_lo, s1
	s_mov_b32 s1, exec_lo
	v_cmpx_gt_i32_e64 s14, v55
	s_cbranch_execz .LBB66_40
; %bb.33:
	v_mul_lo_u32 v19, v56, s20
	v_mul_lo_u32 v21, v18, s20
	v_or_b32_e32 v22, 2, v56
	v_or_b32_e32 v24, 3, v56
	s_mov_b32 s0, exec_lo
	v_mul_lo_u32 v23, v22, s20
	v_cndmask_b32_e32 v19, 0, v19, vcc_lo
	v_cmp_gt_i32_e32 vcc_lo, s15, v18
	v_mul_lo_u32 v25, v24, s20
	v_add_nc_u32_e32 v19, v19, v55
	v_cndmask_b32_e32 v21, 0, v21, vcc_lo
	v_ashrrev_i32_e32 v20, 31, v19
	v_lshlrev_b64 v[19:20], 3, v[19:20]
	v_add_co_u32 v18, vcc_lo, s7, v19
	v_add_co_ci_u32_e64 v19, null, s8, v20, vcc_lo
	v_add_nc_u32_e32 v20, v21, v55
	global_load_dwordx2 v[28:29], v[18:19], off
	v_ashrrev_i32_e32 v21, 31, v20
	v_lshlrev_b64 v[20:21], 3, v[20:21]
	v_add_co_u32 v20, vcc_lo, s7, v20
	v_add_co_ci_u32_e64 v21, null, s8, v21, vcc_lo
	v_cmp_gt_i32_e32 vcc_lo, s15, v22
	global_load_dwordx2 v[30:31], v[20:21], off
	v_cndmask_b32_e32 v22, 0, v23, vcc_lo
	v_cmp_gt_i32_e32 vcc_lo, s15, v24
	v_add_nc_u32_e32 v22, v22, v55
	v_cndmask_b32_e32 v26, 0, v25, vcc_lo
	v_ashrrev_i32_e32 v23, 31, v22
	v_lshlrev_b64 v[22:23], 3, v[22:23]
	v_add_co_u32 v24, vcc_lo, s7, v22
	v_add_co_ci_u32_e64 v25, null, s8, v23, vcc_lo
	v_add_nc_u32_e32 v22, v26, v55
	global_load_dwordx2 v[32:33], v[24:25], off
	v_ashrrev_i32_e32 v23, 31, v22
	v_lshlrev_b64 v[22:23], 3, v[22:23]
	v_add_co_u32 v26, vcc_lo, s7, v22
	v_add_co_ci_u32_e64 v27, null, s8, v23, vcc_lo
	global_load_dwordx2 v[22:23], v[26:27], off
	s_waitcnt vmcnt(3)
	v_fma_f64 v[8:9], v[10:11], v[28:29], v[8:9]
	v_add_nc_u32_e32 v28, 64, v55
	s_waitcnt vmcnt(2)
	v_fma_f64 v[8:9], v[12:13], v[30:31], v[8:9]
	s_waitcnt vmcnt(1)
	v_fma_f64 v[8:9], v[16:17], v[32:33], v[8:9]
	v_cmpx_gt_i32_e64 s14, v28
	s_cbranch_execz .LBB66_39
; %bb.34:
	s_clause 0x3
	global_load_dwordx2 v[30:31], v[18:19], off offset:512
	global_load_dwordx2 v[32:33], v[20:21], off offset:512
	;; [unrolled: 1-line block ×4, first 2 shown]
	s_mov_b32 s2, exec_lo
	s_waitcnt vmcnt(3)
	v_fma_f64 v[6:7], v[10:11], v[30:31], v[6:7]
	v_add_nc_u32_e32 v30, 0x80, v55
	s_waitcnt vmcnt(2)
	v_fma_f64 v[6:7], v[12:13], v[32:33], v[6:7]
	s_waitcnt vmcnt(1)
	v_fma_f64 v[6:7], v[16:17], v[34:35], v[6:7]
	v_cmpx_gt_i32_e64 s14, v30
	s_cbranch_execz .LBB66_38
; %bb.35:
	s_clause 0x3
	global_load_dwordx2 v[32:33], v[18:19], off offset:1024
	global_load_dwordx2 v[34:35], v[20:21], off offset:1024
	;; [unrolled: 1-line block ×4, first 2 shown]
	s_mov_b32 s3, exec_lo
	s_waitcnt vmcnt(3)
	v_fma_f64 v[4:5], v[10:11], v[32:33], v[4:5]
	v_add_nc_u32_e32 v32, 0xc0, v55
	s_waitcnt vmcnt(2)
	v_fma_f64 v[4:5], v[12:13], v[34:35], v[4:5]
	s_waitcnt vmcnt(1)
	v_fma_f64 v[4:5], v[16:17], v[36:37], v[4:5]
	v_cmpx_gt_i32_e64 s14, v32
	s_cbranch_execz .LBB66_37
; %bb.36:
	s_clause 0x3
	global_load_dwordx2 v[18:19], v[18:19], off offset:1536
	global_load_dwordx2 v[20:21], v[20:21], off offset:1536
	;; [unrolled: 1-line block ×4, first 2 shown]
	s_waitcnt vmcnt(3)
	v_fma_f64 v[2:3], v[10:11], v[18:19], v[2:3]
	s_waitcnt vmcnt(2)
	v_fma_f64 v[2:3], v[12:13], v[20:21], v[2:3]
	;; [unrolled: 2-line block ×4, first 2 shown]
.LBB66_37:
	s_or_b32 exec_lo, exec_lo, s3
	s_waitcnt vmcnt(0)
	v_fma_f64 v[4:5], v[14:15], v[30:31], v[4:5]
.LBB66_38:
	s_or_b32 exec_lo, exec_lo, s2
	s_waitcnt vmcnt(0)
	v_fma_f64 v[6:7], v[14:15], v[28:29], v[6:7]
.LBB66_39:
	s_or_b32 exec_lo, exec_lo, s0
	s_waitcnt vmcnt(0)
	v_fma_f64 v[8:9], v[14:15], v[22:23], v[8:9]
.LBB66_40:
	s_or_b32 exec_lo, exec_lo, s1
.LBB66_41:
	v_lshlrev_b32_e32 v0, 3, v0
	s_mov_b32 s0, exec_lo
	v_lshl_add_u32 v1, v1, 11, v0
	ds_write2st64_b64 v1, v[8:9], v[6:7] offset1:1
	ds_write2st64_b64 v1, v[4:5], v[2:3] offset0:2 offset1:3
	s_waitcnt vmcnt(0) lgkmcnt(0)
	s_barrier
	buffer_gl0_inv
                                        ; implicit-def: $vgpr4_vgpr5
                                        ; implicit-def: $vgpr2_vgpr3
	v_cmpx_gt_u32_e32 0x100, v53
	s_cbranch_execz .LBB66_47
; %bb.42:
	v_lshl_add_u32 v7, v54, 3, v0
	v_or_b32_e32 v6, s5, v53
	s_mov_b32 s2, s19
	s_mov_b32 s1, exec_lo
	ds_read2st64_b64 v[0:3], v7 offset1:4
	s_waitcnt lgkmcnt(0)
	v_add_f64 v[4:5], v[0:1], v[2:3]
	ds_read2st64_b64 v[0:3], v7 offset0:8 offset1:12
	s_waitcnt lgkmcnt(0)
	v_add_f64 v[0:1], v[0:1], v[4:5]
	v_add_f64 v[4:5], v[2:3], v[0:1]
	ds_read2st64_b64 v[0:3], v7 offset0:16 offset1:20
	s_waitcnt lgkmcnt(0)
	v_add_f64 v[0:1], v[0:1], v[4:5]
	;; [unrolled: 4-line block ×7, first 2 shown]
                                        ; implicit-def: $vgpr4_vgpr5
	v_add_f64 v[0:1], v[2:3], v[0:1]
                                        ; implicit-def: $vgpr2_vgpr3
	ds_write_b64 v7, v[0:1]
	v_cmpx_gt_i32_e64 s14, v6
	s_cbranch_execz .LBB66_46
; %bb.43:
	v_cmp_eq_f64_e64 s2, s[10:11], 0
	v_mul_f64 v[4:5], s[12:13], v[0:1]
	v_mul_lo_u32 v2, s18, v6
	v_ashrrev_i32_e32 v3, 31, v2
	s_and_b32 vcc_lo, exec_lo, s2
	s_cbranch_vccnz .LBB66_45
; %bb.44:
	v_lshlrev_b64 v[0:1], 3, v[2:3]
	v_add_co_u32 v0, vcc_lo, s16, v0
	v_add_co_ci_u32_e64 v1, null, s17, v1, vcc_lo
	global_load_dwordx2 v[0:1], v[0:1], off
	s_waitcnt vmcnt(0)
	v_fma_f64 v[4:5], s[10:11], v[0:1], v[4:5]
.LBB66_45:
	s_or_b32 s2, s19, exec_lo
.LBB66_46:
	s_or_b32 exec_lo, exec_lo, s1
	s_andn2_b32 s1, s19, exec_lo
	s_and_b32 s2, s2, exec_lo
	s_or_b32 s19, s1, s2
.LBB66_47:
	s_or_b32 exec_lo, exec_lo, s0
.LBB66_48:
	s_and_saveexec_b32 s0, s19
	s_cbranch_execz .LBB66_50
; %bb.49:
	v_lshlrev_b64 v[0:1], 3, v[2:3]
	v_add_co_u32 v0, vcc_lo, s16, v0
	v_add_co_ci_u32_e64 v1, null, s17, v1, vcc_lo
	global_store_dwordx2 v[0:1], v[4:5], off
.LBB66_50:
	s_endpgm
	.section	.rodata,"a",@progbits
	.p2align	6, 0x0
	.amdhsa_kernel _ZL20rocblas_gemvn_kernelILi64ELi16EidddEviiT3_lPKT2_lT1_lS3_lS4_lS0_lPT4_lS4_li
		.amdhsa_group_segment_fixed_size 32768
		.amdhsa_private_segment_fixed_size 0
		.amdhsa_kernarg_size 400
		.amdhsa_user_sgpr_count 6
		.amdhsa_user_sgpr_private_segment_buffer 1
		.amdhsa_user_sgpr_dispatch_ptr 0
		.amdhsa_user_sgpr_queue_ptr 0
		.amdhsa_user_sgpr_kernarg_segment_ptr 1
		.amdhsa_user_sgpr_dispatch_id 0
		.amdhsa_user_sgpr_flat_scratch_init 0
		.amdhsa_user_sgpr_private_segment_size 0
		.amdhsa_wavefront_size32 1
		.amdhsa_uses_dynamic_stack 0
		.amdhsa_system_sgpr_private_segment_wavefront_offset 0
		.amdhsa_system_sgpr_workgroup_id_x 1
		.amdhsa_system_sgpr_workgroup_id_y 0
		.amdhsa_system_sgpr_workgroup_id_z 1
		.amdhsa_system_sgpr_workgroup_info 0
		.amdhsa_system_vgpr_workitem_id 1
		.amdhsa_next_free_vgpr 62
		.amdhsa_next_free_sgpr 30
		.amdhsa_reserve_vcc 1
		.amdhsa_reserve_flat_scratch 0
		.amdhsa_float_round_mode_32 0
		.amdhsa_float_round_mode_16_64 0
		.amdhsa_float_denorm_mode_32 3
		.amdhsa_float_denorm_mode_16_64 3
		.amdhsa_dx10_clamp 1
		.amdhsa_ieee_mode 1
		.amdhsa_fp16_overflow 0
		.amdhsa_workgroup_processor_mode 1
		.amdhsa_memory_ordered 1
		.amdhsa_forward_progress 1
		.amdhsa_shared_vgpr_count 0
		.amdhsa_exception_fp_ieee_invalid_op 0
		.amdhsa_exception_fp_denorm_src 0
		.amdhsa_exception_fp_ieee_div_zero 0
		.amdhsa_exception_fp_ieee_overflow 0
		.amdhsa_exception_fp_ieee_underflow 0
		.amdhsa_exception_fp_ieee_inexact 0
		.amdhsa_exception_int_div_zero 0
	.end_amdhsa_kernel
	.section	.text._ZL20rocblas_gemvn_kernelILi64ELi16EidddEviiT3_lPKT2_lT1_lS3_lS4_lS0_lPT4_lS4_li,"axG",@progbits,_ZL20rocblas_gemvn_kernelILi64ELi16EidddEviiT3_lPKT2_lT1_lS3_lS4_lS0_lPT4_lS4_li,comdat
.Lfunc_end66:
	.size	_ZL20rocblas_gemvn_kernelILi64ELi16EidddEviiT3_lPKT2_lT1_lS3_lS4_lS0_lPT4_lS4_li, .Lfunc_end66-_ZL20rocblas_gemvn_kernelILi64ELi16EidddEviiT3_lPKT2_lT1_lS3_lS4_lS0_lPT4_lS4_li
                                        ; -- End function
	.set _ZL20rocblas_gemvn_kernelILi64ELi16EidddEviiT3_lPKT2_lT1_lS3_lS4_lS0_lPT4_lS4_li.num_vgpr, 62
	.set _ZL20rocblas_gemvn_kernelILi64ELi16EidddEviiT3_lPKT2_lT1_lS3_lS4_lS0_lPT4_lS4_li.num_agpr, 0
	.set _ZL20rocblas_gemvn_kernelILi64ELi16EidddEviiT3_lPKT2_lT1_lS3_lS4_lS0_lPT4_lS4_li.numbered_sgpr, 30
	.set _ZL20rocblas_gemvn_kernelILi64ELi16EidddEviiT3_lPKT2_lT1_lS3_lS4_lS0_lPT4_lS4_li.num_named_barrier, 0
	.set _ZL20rocblas_gemvn_kernelILi64ELi16EidddEviiT3_lPKT2_lT1_lS3_lS4_lS0_lPT4_lS4_li.private_seg_size, 0
	.set _ZL20rocblas_gemvn_kernelILi64ELi16EidddEviiT3_lPKT2_lT1_lS3_lS4_lS0_lPT4_lS4_li.uses_vcc, 1
	.set _ZL20rocblas_gemvn_kernelILi64ELi16EidddEviiT3_lPKT2_lT1_lS3_lS4_lS0_lPT4_lS4_li.uses_flat_scratch, 0
	.set _ZL20rocblas_gemvn_kernelILi64ELi16EidddEviiT3_lPKT2_lT1_lS3_lS4_lS0_lPT4_lS4_li.has_dyn_sized_stack, 0
	.set _ZL20rocblas_gemvn_kernelILi64ELi16EidddEviiT3_lPKT2_lT1_lS3_lS4_lS0_lPT4_lS4_li.has_recursion, 0
	.set _ZL20rocblas_gemvn_kernelILi64ELi16EidddEviiT3_lPKT2_lT1_lS3_lS4_lS0_lPT4_lS4_li.has_indirect_call, 0
	.section	.AMDGPU.csdata,"",@progbits
; Kernel info:
; codeLenInByte = 2988
; TotalNumSgprs: 32
; NumVgprs: 62
; ScratchSize: 0
; MemoryBound: 0
; FloatMode: 240
; IeeeMode: 1
; LDSByteSize: 32768 bytes/workgroup (compile time only)
; SGPRBlocks: 0
; VGPRBlocks: 7
; NumSGPRsForWavesPerEU: 32
; NumVGPRsForWavesPerEU: 62
; Occupancy: 16
; WaveLimiterHint : 1
; COMPUTE_PGM_RSRC2:SCRATCH_EN: 0
; COMPUTE_PGM_RSRC2:USER_SGPR: 6
; COMPUTE_PGM_RSRC2:TRAP_HANDLER: 0
; COMPUTE_PGM_RSRC2:TGID_X_EN: 1
; COMPUTE_PGM_RSRC2:TGID_Y_EN: 0
; COMPUTE_PGM_RSRC2:TGID_Z_EN: 1
; COMPUTE_PGM_RSRC2:TIDIG_COMP_CNT: 1
	.section	.text._ZL20rocblas_gemvn_kernelILi64ELi16EldddEviiT3_lPKT2_lT1_lS3_lS4_lS0_lPT4_lS4_li,"axG",@progbits,_ZL20rocblas_gemvn_kernelILi64ELi16EldddEviiT3_lPKT2_lT1_lS3_lS4_lS0_lPT4_lS4_li,comdat
	.globl	_ZL20rocblas_gemvn_kernelILi64ELi16EldddEviiT3_lPKT2_lT1_lS3_lS4_lS0_lPT4_lS4_li ; -- Begin function _ZL20rocblas_gemvn_kernelILi64ELi16EldddEviiT3_lPKT2_lT1_lS3_lS4_lS0_lPT4_lS4_li
	.p2align	8
	.type	_ZL20rocblas_gemvn_kernelILi64ELi16EldddEviiT3_lPKT2_lT1_lS3_lS4_lS0_lPT4_lS4_li,@function
_ZL20rocblas_gemvn_kernelILi64ELi16EldddEviiT3_lPKT2_lT1_lS3_lS4_lS0_lPT4_lS4_li: ; @_ZL20rocblas_gemvn_kernelILi64ELi16EldddEviiT3_lPKT2_lT1_lS3_lS4_lS0_lPT4_lS4_li
; %bb.0:
	s_load_dwordx2 s[0:1], s[4:5], 0x9c
	s_waitcnt lgkmcnt(0)
	s_lshr_b32 s2, s0, 16
	s_and_b32 s0, s0, 0xffff
	s_and_b32 s1, s1, 0xffff
	s_mul_i32 s0, s2, s0
	s_mul_i32 s0, s0, s1
	s_cmpk_lg_i32 s0, 0x400
	s_cbranch_scc1 .LBB67_50
; %bb.1:
	s_clause 0x1
	s_load_dwordx2 s[30:31], s[4:5], 0x8
	s_load_dwordx2 s[28:29], s[4:5], 0x58
	s_waitcnt lgkmcnt(0)
	v_cmp_eq_f64_e64 s0, s[30:31], 0
	v_cmp_eq_f64_e64 s1, s[28:29], 1.0
	s_and_b32 s0, s0, s1
	s_and_b32 vcc_lo, exec_lo, s0
	s_cbranch_vccnz .LBB67_50
; %bb.2:
	s_load_dwordx8 s[20:27], s[4:5], 0x68
	v_cmp_neq_f64_e64 s2, s[30:31], 0
	s_load_dwordx2 s[34:35], s[4:5], 0x0
	v_lshlrev_b32_e32 v55, 6, v1
	s_mov_b32 s39, 0
	v_add_nc_u32_e32 v54, v55, v0
	s_waitcnt lgkmcnt(0)
	s_mul_i32 s1, s27, s7
	s_mul_hi_u32 s3, s26, s7
	s_mul_i32 s0, s26, s7
	s_add_i32 s1, s3, s1
	s_lshl_b64 s[0:1], s[0:1], 3
	s_add_u32 s3, s20, s0
	s_addc_u32 s8, s21, s1
	s_lshl_b64 s[0:1], s[22:23], 3
	s_add_u32 s33, s3, s0
	v_cmp_gt_u32_e64 s0, 0x100, v54
	s_addc_u32 s38, s8, s1
	s_and_b32 vcc_lo, exec_lo, s2
	s_cbranch_vccnz .LBB67_9
; %bb.3:
	s_mov_b32 s1, 0
                                        ; implicit-def: $vgpr2_vgpr3
                                        ; implicit-def: $vgpr4_vgpr5
	s_and_saveexec_b32 s2, s0
	s_cbranch_execz .LBB67_10
; %bb.4:
	v_lshl_or_b32 v6, s6, 8, v54
	v_mov_b32_e32 v7, 0
	s_ashr_i32 s9, s34, 31
	s_mov_b32 s8, s34
	s_mov_b32 s3, 0
	s_mov_b32 s0, exec_lo
                                        ; implicit-def: $vgpr2_vgpr3
                                        ; implicit-def: $vgpr4_vgpr5
	v_cmpx_gt_i64_e64 s[8:9], v[6:7]
	s_cbranch_execz .LBB67_8
; %bb.5:
	v_cmp_eq_f64_e64 s3, s[28:29], 0
	v_mad_u64_u32 v[4:5], null, s24, v6, 0
	v_mov_b32_e32 v2, v5
	v_mad_u64_u32 v[5:6], null, s25, v6, v[2:3]
	v_mov_b32_e32 v2, 0
	v_mov_b32_e32 v3, 0
	s_and_b32 vcc_lo, exec_lo, s3
	s_cbranch_vccnz .LBB67_7
; %bb.6:
	v_lshlrev_b64 v[2:3], 3, v[4:5]
	v_add_co_u32 v2, vcc_lo, s33, v2
	v_add_co_ci_u32_e64 v3, null, s38, v3, vcc_lo
	global_load_dwordx2 v[2:3], v[2:3], off
	s_waitcnt vmcnt(0)
	v_mul_f64 v[2:3], s[28:29], v[2:3]
.LBB67_7:
	s_mov_b32 s3, exec_lo
.LBB67_8:
	s_or_b32 exec_lo, exec_lo, s0
	s_and_b32 s39, s3, exec_lo
	s_or_b32 exec_lo, exec_lo, s2
	s_and_b32 vcc_lo, exec_lo, s1
	s_cbranch_vccnz .LBB67_11
	s_branch .LBB67_48
.LBB67_9:
                                        ; implicit-def: $vgpr2_vgpr3
                                        ; implicit-def: $vgpr4_vgpr5
	s_cbranch_execnz .LBB67_11
	s_branch .LBB67_48
.LBB67_10:
	s_or_b32 exec_lo, exec_lo, s2
	s_and_b32 vcc_lo, exec_lo, s1
	s_cbranch_vccz .LBB67_48
.LBB67_11:
	s_load_dwordx16 s[8:23], s[4:5], 0x18
	s_ashr_i32 s0, s35, 31
	s_lshl_b32 s5, s6, 8
	v_mov_b32_e32 v10, 0
	v_mov_b32_e32 v8, 0
	s_lshr_b32 s0, s0, 26
	v_mov_b32_e32 v6, 0
	v_mov_b32_e32 v4, 0
	v_lshlrev_b32_e32 v56, 2, v1
	v_mov_b32_e32 v11, 0
	v_mov_b32_e32 v9, 0
	;; [unrolled: 1-line block ×4, first 2 shown]
	v_add_nc_u32_e32 v2, s5, v0
	s_add_i32 s40, s35, s0
	s_mov_b32 s41, exec_lo
	s_andn2_b32 s40, s40, 63
	s_waitcnt lgkmcnt(0)
	s_mul_i32 s0, s15, s7
	s_mul_hi_u32 s1, s14, s7
	s_mul_i32 s2, s23, s7
	s_mul_hi_u32 s3, s22, s7
	s_mul_i32 s14, s14, s7
	s_add_i32 s15, s1, s0
	s_add_i32 s23, s3, s2
	s_mul_i32 s22, s22, s7
	v_cmpx_gt_i32_e64 s40, v56
	s_cbranch_execz .LBB67_23
; %bb.12:
	v_lshlrev_b32_e32 v20, 2, v1
	v_mad_u64_u32 v[4:5], null, s20, v1, 0
	v_ashrrev_i32_e32 v3, 31, v2
	v_add_nc_u32_e32 v12, 64, v2
	v_or_b32_e32 v11, 3, v20
	v_add_nc_u32_e32 v13, 0x80, v2
	s_lshl_b64 s[0:1], s[22:23], 3
	s_lshl_b64 s[6:7], s[18:19], 3
	v_add_nc_u32_e32 v14, 0xc0, v2
	v_mad_u64_u32 v[6:7], null, s12, v11, 0
	s_add_u32 s4, s16, s0
	v_or_b32_e32 v21, 2, v20
	s_addc_u32 s44, s17, s1
	v_cmp_gt_i32_e64 s0, s34, v12
	v_cmp_gt_i32_e64 s1, s34, v13
	v_lshlrev_b64 v[12:13], 3, v[2:3]
	v_mad_u64_u32 v[8:9], null, s21, v1, v[5:6]
	v_mad_u64_u32 v[9:10], null, s20, v11, 0
	v_cmp_gt_i32_e64 s2, s34, v14
	s_lshl_b64 s[36:37], s[10:11], 3
	v_mad_u64_u32 v[14:15], null, s12, v21, 0
	v_mov_b32_e32 v5, v8
	v_mad_u64_u32 v[7:8], null, s13, v11, v[7:8]
	v_mov_b32_e32 v8, v10
	v_mad_u64_u32 v[16:17], null, s20, v21, 0
	v_lshlrev_b64 v[4:5], 5, v[4:5]
	s_lshl_b64 s[26:27], s[20:21], 9
	v_mad_u64_u32 v[10:11], null, s21, v11, v[8:9]
	s_lshl_b64 s[42:43], s[14:15], 3
	v_mad_u64_u32 v[18:19], null, s20, v20, s[20:21]
	v_add_co_u32 v3, s3, s4, v4
	v_add_co_ci_u32_e64 v57, null, s44, v5, s3
	v_lshlrev_b64 v[4:5], 3, v[6:7]
	v_mad_u64_u32 v[6:7], null, s12, v1, 0
	s_add_u32 s3, s8, s36
	s_addc_u32 s36, s9, s37
	s_add_u32 s37, s3, s42
	s_addc_u32 s36, s36, s43
	v_add_co_u32 v58, s3, s37, v4
	v_mad_u64_u32 v[7:8], null, s13, v1, v[7:8]
	v_add_co_ci_u32_e64 v59, null, s36, v5, s3
	v_mov_b32_e32 v4, v15
	v_lshlrev_b64 v[8:9], 3, v[9:10]
	v_mov_b32_e32 v5, v17
	s_mov_b32 s42, 0
	v_cmp_gt_i32_e32 vcc_lo, s34, v2
	v_mad_u64_u32 v[10:11], null, s13, v21, v[4:5]
	v_add_co_u32 v60, s3, s4, v8
	v_add_co_ci_u32_e64 v61, null, s44, v9, s3
	v_mad_u64_u32 v[8:9], null, s12, v20, s[12:13]
	v_mad_u64_u32 v[4:5], null, s21, v21, v[5:6]
	v_lshlrev_b64 v[5:6], 5, v[6:7]
	v_mov_b32_e32 v7, v19
	v_mov_b32_e32 v15, v10
	v_mad_u64_u32 v[10:11], null, s21, v20, v[7:8]
	v_add_co_u32 v62, s3, s37, v5
	v_add_co_ci_u32_e64 v63, null, s36, v6, s3
	v_lshlrev_b64 v[5:6], 3, v[14:15]
	v_mov_b32_e32 v17, v4
	v_mov_b32_e32 v4, v9
	;; [unrolled: 1-line block ×3, first 2 shown]
	v_lshlrev_b64 v[14:15], 3, v[16:17]
	v_mad_u64_u32 v[9:10], null, s13, v20, v[4:5]
	v_add_co_u32 v64, s3, s37, v5
	v_add_co_ci_u32_e64 v65, null, s36, v6, s3
	v_lshlrev_b64 v[4:5], 3, v[18:19]
	v_add_co_u32 v66, s3, s4, v14
	v_add_co_ci_u32_e64 v67, null, s44, v15, s3
	v_lshlrev_b64 v[14:15], 3, v[8:9]
	v_add_co_u32 v68, s3, s4, v4
	v_add_co_ci_u32_e64 v69, null, s44, v5, s3
	v_mov_b32_e32 v10, 0
	v_add_co_u32 v70, s3, s37, v14
	v_mov_b32_e32 v8, 0
	v_mov_b32_e32 v6, 0
	;; [unrolled: 1-line block ×7, first 2 shown]
	v_add_co_ci_u32_e64 v71, null, s36, v15, s3
	s_lshl_b64 s[36:37], s[12:13], 9
	s_branch .LBB67_17
.LBB67_13:                              ;   in Loop: Header=BB67_17 Depth=1
	s_or_b32 exec_lo, exec_lo, s44
	s_waitcnt vmcnt(3)
	v_fma_f64 v[6:7], v[14:15], v[46:47], v[6:7]
	s_waitcnt vmcnt(2)
	v_fma_f64 v[6:7], v[16:17], v[48:49], v[6:7]
	;; [unrolled: 2-line block ×4, first 2 shown]
.LBB67_14:                              ;   in Loop: Header=BB67_17 Depth=1
	s_or_b32 exec_lo, exec_lo, s43
	s_waitcnt vmcnt(3)
	v_fma_f64 v[8:9], v[14:15], v[36:37], v[8:9]
	s_waitcnt vmcnt(2)
	v_fma_f64 v[8:9], v[16:17], v[38:39], v[8:9]
	;; [unrolled: 2-line block ×4, first 2 shown]
.LBB67_15:                              ;   in Loop: Header=BB67_17 Depth=1
	s_or_b32 exec_lo, exec_lo, s3
	s_waitcnt vmcnt(3)
	v_fma_f64 v[10:11], v[14:15], v[22:23], v[10:11]
	s_waitcnt vmcnt(2)
	v_fma_f64 v[10:11], v[16:17], v[24:25], v[10:11]
	;; [unrolled: 2-line block ×4, first 2 shown]
.LBB67_16:                              ;   in Loop: Header=BB67_17 Depth=1
	s_or_b32 exec_lo, exec_lo, s4
	v_add_co_u32 v3, s3, v3, s26
	v_add_co_ci_u32_e64 v57, null, s27, v57, s3
	v_add_co_u32 v58, s3, v58, s36
	v_add_co_ci_u32_e64 v59, null, s37, v59, s3
	;; [unrolled: 2-line block ×4, first 2 shown]
	v_add_co_u32 v64, s3, v64, s36
	v_add_nc_u32_e32 v56, 64, v56
	v_add_co_ci_u32_e64 v65, null, s37, v65, s3
	v_add_co_u32 v66, s3, v66, s26
	v_add_co_ci_u32_e64 v67, null, s27, v67, s3
	v_add_co_u32 v68, s3, v68, s26
	v_add_co_ci_u32_e64 v69, null, s27, v69, s3
	v_cmp_le_i32_e64 s3, s40, v56
	v_add_co_u32 v70, s4, v70, s36
	v_add_co_ci_u32_e64 v71, null, s37, v71, s4
	s_or_b32 s42, s3, s42
	s_andn2_b32 exec_lo, exec_lo, s42
	s_cbranch_execz .LBB67_22
.LBB67_17:                              ; =>This Inner Loop Header: Depth=1
	s_and_saveexec_b32 s4, vcc_lo
	s_cbranch_execz .LBB67_16
; %bb.18:                               ;   in Loop: Header=BB67_17 Depth=1
	v_add_co_u32 v14, s3, v3, s6
	v_add_co_ci_u32_e64 v15, null, s7, v57, s3
	v_add_co_u32 v16, s3, v68, s6
	v_add_co_ci_u32_e64 v17, null, s7, v69, s3
	;; [unrolled: 2-line block ×8, first 2 shown]
	global_load_dwordx2 v[14:15], v[14:15], off
	global_load_dwordx2 v[16:17], v[16:17], off
	;; [unrolled: 1-line block ×8, first 2 shown]
	s_and_saveexec_b32 s3, s0
	s_cbranch_execz .LBB67_15
; %bb.19:                               ;   in Loop: Header=BB67_17 Depth=1
	global_load_dwordx2 v[36:37], v[30:31], off offset:512
	global_load_dwordx2 v[38:39], v[32:33], off offset:512
	global_load_dwordx2 v[40:41], v[34:35], off offset:512
	global_load_dwordx2 v[42:43], v[44:45], off offset:512
	s_and_saveexec_b32 s43, s1
	s_cbranch_execz .LBB67_14
; %bb.20:                               ;   in Loop: Header=BB67_17 Depth=1
	global_load_dwordx2 v[46:47], v[30:31], off offset:1024
	global_load_dwordx2 v[48:49], v[32:33], off offset:1024
	global_load_dwordx2 v[50:51], v[34:35], off offset:1024
	global_load_dwordx2 v[52:53], v[44:45], off offset:1024
	;; [unrolled: 7-line block ×3, first 2 shown]
	s_waitcnt vmcnt(3)
	v_fma_f64 v[4:5], v[14:15], v[30:31], v[4:5]
	s_waitcnt vmcnt(2)
	v_fma_f64 v[4:5], v[16:17], v[32:33], v[4:5]
	;; [unrolled: 2-line block ×4, first 2 shown]
	s_branch .LBB67_13
.LBB67_22:
	s_or_b32 exec_lo, exec_lo, s42
.LBB67_23:
	s_or_b32 exec_lo, exec_lo, s41
	s_sub_i32 s0, s35, s40
	s_cmp_lt_i32 s0, 1
	s_cbranch_scc1 .LBB67_41
; %bb.24:
	v_mov_b32_e32 v16, 0
	v_mov_b32_e32 v18, 0
	;; [unrolled: 1-line block ×4, first 2 shown]
	v_cmp_gt_i32_e32 vcc_lo, s35, v56
	v_mov_b32_e32 v17, 0
	v_mov_b32_e32 v19, 0
	;; [unrolled: 1-line block ×4, first 2 shown]
	v_or_b32_e32 v20, 1, v56
	s_and_saveexec_b32 s1, vcc_lo
	s_cbranch_execz .LBB67_32
; %bb.25:
	v_mad_u64_u32 v[12:13], null, s20, v56, 0
	s_lshl_b64 s[2:3], s[22:23], 3
	v_mov_b32_e32 v18, 0
	s_add_u32 s0, s16, s2
	s_addc_u32 s2, s17, s3
	s_lshl_b64 s[6:7], s[18:19], 3
	v_mov_b32_e32 v16, 0
	v_mov_b32_e32 v3, v13
	s_add_u32 s3, s0, s6
	s_addc_u32 s4, s2, s7
	v_mov_b32_e32 v19, 0
	v_mov_b32_e32 v17, 0
	v_mad_u64_u32 v[13:14], null, s21, v56, v[3:4]
	v_mov_b32_e32 v14, 0
	v_mov_b32_e32 v15, 0
	s_mov_b32 s2, exec_lo
	v_lshlrev_b64 v[12:13], 3, v[12:13]
	v_add_co_u32 v12, s0, s3, v12
	v_add_co_ci_u32_e64 v13, null, s4, v13, s0
	global_load_dwordx2 v[12:13], v[12:13], off
	v_cmpx_gt_i32_e64 s35, v20
	s_cbranch_execz .LBB67_31
; %bb.26:
	v_mad_u64_u32 v[14:15], null, s20, v20, 0
	v_mov_b32_e32 v18, 0
	v_mov_b32_e32 v19, 0
	s_mov_b32 s6, exec_lo
	v_mov_b32_e32 v3, v15
	v_mad_u64_u32 v[15:16], null, s21, v20, v[3:4]
	v_mov_b32_e32 v16, 0
	v_or_b32_e32 v3, 2, v56
	v_mov_b32_e32 v17, 0
	v_lshlrev_b64 v[14:15], 3, v[14:15]
	v_add_co_u32 v14, s0, s3, v14
	v_add_co_ci_u32_e64 v15, null, s4, v15, s0
	global_load_dwordx2 v[14:15], v[14:15], off
	v_cmpx_gt_i32_e64 s35, v3
	s_cbranch_execz .LBB67_30
; %bb.27:
	v_mad_u64_u32 v[16:17], null, s20, v3, 0
	s_mov_b32 s7, exec_lo
	v_mad_u64_u32 v[17:18], null, s21, v3, v[17:18]
	v_or_b32_e32 v3, 3, v56
	v_lshlrev_b64 v[16:17], 3, v[16:17]
	v_add_co_u32 v16, s0, s3, v16
	v_add_co_ci_u32_e64 v17, null, s4, v17, s0
	global_load_dwordx2 v[18:19], v[16:17], off
	v_mov_b32_e32 v16, 0
	v_mov_b32_e32 v17, 0
	v_cmpx_gt_i32_e64 s35, v3
	s_cbranch_execz .LBB67_29
; %bb.28:
	v_mad_u64_u32 v[16:17], null, s20, v3, 0
	s_waitcnt vmcnt(0)
	v_mad_u64_u32 v[21:22], null, s21, v3, v[17:18]
	v_mov_b32_e32 v17, v21
	v_lshlrev_b64 v[16:17], 3, v[16:17]
	v_add_co_u32 v16, s0, s3, v16
	v_add_co_ci_u32_e64 v17, null, s4, v17, s0
	global_load_dwordx2 v[16:17], v[16:17], off
.LBB67_29:
	s_or_b32 exec_lo, exec_lo, s7
.LBB67_30:
	s_or_b32 exec_lo, exec_lo, s6
.LBB67_31:
	s_or_b32 exec_lo, exec_lo, s2
.LBB67_32:
	s_or_b32 exec_lo, exec_lo, s1
	s_mov_b32 s1, exec_lo
	v_cmpx_gt_i32_e64 s34, v2
	s_cbranch_execz .LBB67_40
; %bb.33:
	v_mad_u64_u32 v[21:22], null, s12, v56, 0
	s_lshl_b64 s[2:3], s[14:15], 3
	v_or_b32_e32 v32, 2, v56
	s_add_u32 s0, s8, s2
	s_addc_u32 s4, s9, s3
	s_lshl_b64 s[2:3], s[10:11], 3
	v_or_b32_e32 v36, 3, v56
	v_mov_b32_e32 v3, v22
	v_cndmask_b32_e32 v21, 0, v21, vcc_lo
	s_add_u32 s2, s0, s2
	s_addc_u32 s3, s4, s3
	v_mad_u64_u32 v[26:27], null, s12, v32, 0
	v_mad_u64_u32 v[22:23], null, s13, v56, v[3:4]
	;; [unrolled: 1-line block ×3, first 2 shown]
	v_ashrrev_i32_e32 v3, 31, v2
	v_cndmask_b32_e32 v22, 0, v22, vcc_lo
	v_lshlrev_b64 v[28:29], 3, v[2:3]
	v_mad_u64_u32 v[24:25], null, s13, v20, v[24:25]
	v_cmp_gt_i32_e32 vcc_lo, s35, v20
	v_lshlrev_b64 v[21:22], 3, v[21:22]
	v_cndmask_b32_e32 v23, 0, v23, vcc_lo
	v_cndmask_b32_e32 v24, 0, v24, vcc_lo
	v_add_co_u32 v3, s0, s2, v21
	v_add_co_ci_u32_e64 v21, null, s3, v22, s0
	v_lshlrev_b64 v[22:23], 3, v[23:24]
	v_add_co_u32 v20, vcc_lo, v3, v28
	v_add_co_ci_u32_e64 v21, null, v21, v29, vcc_lo
	v_mov_b32_e32 v3, v27
	v_add_co_u32 v24, vcc_lo, s2, v22
	global_load_dwordx2 v[30:31], v[20:21], off
	v_add_co_ci_u32_e64 v25, null, s3, v23, vcc_lo
	v_mad_u64_u32 v[22:23], null, s13, v32, v[3:4]
	v_add_co_u32 v24, s0, v24, v28
	v_cmp_gt_i32_e32 vcc_lo, s35, v32
	v_add_co_ci_u32_e64 v25, null, v25, v29, s0
	v_cndmask_b32_e32 v26, 0, v26, vcc_lo
	v_cndmask_b32_e32 v27, 0, v22, vcc_lo
	v_mad_u64_u32 v[22:23], null, s12, v36, 0
	global_load_dwordx2 v[32:33], v[24:25], off
	v_lshlrev_b64 v[26:27], 3, v[26:27]
	v_mov_b32_e32 v3, v23
	v_add_co_u32 v23, vcc_lo, s2, v26
	v_add_co_ci_u32_e64 v27, null, s3, v27, vcc_lo
	v_mad_u64_u32 v[34:35], null, s13, v36, v[3:4]
	v_add_co_u32 v26, s0, v23, v28
	v_cmp_gt_i32_e32 vcc_lo, s35, v36
	v_add_co_ci_u32_e64 v27, null, v27, v29, s0
	s_mov_b32 s0, exec_lo
	v_cndmask_b32_e32 v22, 0, v22, vcc_lo
	v_cndmask_b32_e32 v23, 0, v34, vcc_lo
	global_load_dwordx2 v[34:35], v[26:27], off
	v_lshlrev_b64 v[22:23], 3, v[22:23]
	v_add_co_u32 v3, vcc_lo, s2, v22
	v_add_co_ci_u32_e64 v22, null, s3, v23, vcc_lo
	v_add_co_u32 v28, vcc_lo, v3, v28
	v_add_co_ci_u32_e64 v29, null, v22, v29, vcc_lo
	v_add_nc_u32_e32 v3, 64, v2
	global_load_dwordx2 v[22:23], v[28:29], off
	s_waitcnt vmcnt(3)
	v_fma_f64 v[10:11], v[12:13], v[30:31], v[10:11]
	s_waitcnt vmcnt(2)
	v_fma_f64 v[10:11], v[14:15], v[32:33], v[10:11]
	;; [unrolled: 2-line block ×3, first 2 shown]
	v_cmpx_gt_i32_e64 s34, v3
	s_cbranch_execz .LBB67_39
; %bb.34:
	s_clause 0x3
	global_load_dwordx2 v[32:33], v[20:21], off offset:512
	global_load_dwordx2 v[34:35], v[24:25], off offset:512
	;; [unrolled: 1-line block ×4, first 2 shown]
	v_add_nc_u32_e32 v3, 0x80, v2
	s_mov_b32 s2, exec_lo
	s_waitcnt vmcnt(3)
	v_fma_f64 v[8:9], v[12:13], v[32:33], v[8:9]
	s_waitcnt vmcnt(2)
	v_fma_f64 v[8:9], v[14:15], v[34:35], v[8:9]
	;; [unrolled: 2-line block ×3, first 2 shown]
	v_cmpx_gt_i32_e64 s34, v3
	s_cbranch_execz .LBB67_38
; %bb.35:
	s_clause 0x3
	global_load_dwordx2 v[34:35], v[20:21], off offset:1024
	global_load_dwordx2 v[36:37], v[24:25], off offset:1024
	;; [unrolled: 1-line block ×4, first 2 shown]
	v_add_nc_u32_e32 v2, 0xc0, v2
	s_mov_b32 s3, exec_lo
	s_waitcnt vmcnt(3)
	v_fma_f64 v[6:7], v[12:13], v[34:35], v[6:7]
	s_waitcnt vmcnt(2)
	v_fma_f64 v[6:7], v[14:15], v[36:37], v[6:7]
	;; [unrolled: 2-line block ×3, first 2 shown]
	v_cmpx_gt_i32_e64 s34, v2
	s_cbranch_execz .LBB67_37
; %bb.36:
	s_clause 0x3
	global_load_dwordx2 v[2:3], v[20:21], off offset:1536
	global_load_dwordx2 v[20:21], v[24:25], off offset:1536
	;; [unrolled: 1-line block ×4, first 2 shown]
	s_waitcnt vmcnt(3)
	v_fma_f64 v[2:3], v[12:13], v[2:3], v[4:5]
	s_waitcnt vmcnt(2)
	v_fma_f64 v[2:3], v[14:15], v[20:21], v[2:3]
	;; [unrolled: 2-line block ×4, first 2 shown]
.LBB67_37:
	s_or_b32 exec_lo, exec_lo, s3
	s_waitcnt vmcnt(0)
	v_fma_f64 v[6:7], v[16:17], v[32:33], v[6:7]
.LBB67_38:
	s_or_b32 exec_lo, exec_lo, s2
	s_waitcnt vmcnt(0)
	v_fma_f64 v[8:9], v[16:17], v[30:31], v[8:9]
.LBB67_39:
	s_or_b32 exec_lo, exec_lo, s0
	s_waitcnt vmcnt(0)
	v_fma_f64 v[10:11], v[16:17], v[22:23], v[10:11]
.LBB67_40:
	s_or_b32 exec_lo, exec_lo, s1
.LBB67_41:
	v_lshlrev_b32_e32 v0, 3, v0
	s_mov_b32 s0, exec_lo
                                        ; implicit-def: $vgpr2_vgpr3
	v_lshl_add_u32 v1, v1, 11, v0
	ds_write2st64_b64 v1, v[10:11], v[8:9] offset1:1
	ds_write2st64_b64 v1, v[6:7], v[4:5] offset0:2 offset1:3
	s_waitcnt vmcnt(0) lgkmcnt(0)
	s_barrier
	buffer_gl0_inv
                                        ; implicit-def: $vgpr4_vgpr5
	v_cmpx_gt_u32_e32 0x100, v54
	s_cbranch_execz .LBB67_47
; %bb.42:
	v_lshl_add_u32 v7, v55, 3, v0
	v_or_b32_e32 v6, s5, v54
	s_mov_b32 s2, s39
	s_mov_b32 s1, exec_lo
	ds_read2st64_b64 v[0:3], v7 offset1:4
	s_waitcnt lgkmcnt(0)
	v_add_f64 v[4:5], v[0:1], v[2:3]
	ds_read2st64_b64 v[0:3], v7 offset0:8 offset1:12
	s_waitcnt lgkmcnt(0)
	v_add_f64 v[0:1], v[0:1], v[4:5]
	v_add_f64 v[4:5], v[2:3], v[0:1]
	ds_read2st64_b64 v[0:3], v7 offset0:16 offset1:20
	s_waitcnt lgkmcnt(0)
	v_add_f64 v[0:1], v[0:1], v[4:5]
	;; [unrolled: 4-line block ×7, first 2 shown]
                                        ; implicit-def: $vgpr4_vgpr5
	v_add_f64 v[0:1], v[2:3], v[0:1]
                                        ; implicit-def: $vgpr2_vgpr3
	ds_write_b64 v7, v[0:1]
	v_cmpx_gt_i32_e64 s34, v6
	s_cbranch_execz .LBB67_46
; %bb.43:
	v_cmp_eq_f64_e64 s2, s[28:29], 0
	v_mul_f64 v[2:3], s[30:31], v[0:1]
	v_ashrrev_i32_e32 v0, 31, v6
	v_mul_lo_u32 v1, s25, v6
	v_mad_u64_u32 v[4:5], null, s24, v6, 0
	v_mul_lo_u32 v0, s24, v0
	v_add3_u32 v5, v5, v0, v1
	s_and_b32 vcc_lo, exec_lo, s2
	s_cbranch_vccnz .LBB67_45
; %bb.44:
	v_lshlrev_b64 v[0:1], 3, v[4:5]
	v_add_co_u32 v0, vcc_lo, s33, v0
	v_add_co_ci_u32_e64 v1, null, s38, v1, vcc_lo
	global_load_dwordx2 v[0:1], v[0:1], off
	s_waitcnt vmcnt(0)
	v_fma_f64 v[2:3], s[28:29], v[0:1], v[2:3]
.LBB67_45:
	s_or_b32 s2, s39, exec_lo
.LBB67_46:
	s_or_b32 exec_lo, exec_lo, s1
	s_andn2_b32 s1, s39, exec_lo
	s_and_b32 s2, s2, exec_lo
	s_or_b32 s39, s1, s2
.LBB67_47:
	s_or_b32 exec_lo, exec_lo, s0
.LBB67_48:
	s_and_saveexec_b32 s0, s39
	s_cbranch_execz .LBB67_50
; %bb.49:
	v_lshlrev_b64 v[0:1], 3, v[4:5]
	v_add_co_u32 v0, vcc_lo, s33, v0
	v_add_co_ci_u32_e64 v1, null, s38, v1, vcc_lo
	global_store_dwordx2 v[0:1], v[2:3], off
.LBB67_50:
	s_endpgm
	.section	.rodata,"a",@progbits
	.p2align	6, 0x0
	.amdhsa_kernel _ZL20rocblas_gemvn_kernelILi64ELi16EldddEviiT3_lPKT2_lT1_lS3_lS4_lS0_lPT4_lS4_li
		.amdhsa_group_segment_fixed_size 32768
		.amdhsa_private_segment_fixed_size 0
		.amdhsa_kernarg_size 400
		.amdhsa_user_sgpr_count 6
		.amdhsa_user_sgpr_private_segment_buffer 1
		.amdhsa_user_sgpr_dispatch_ptr 0
		.amdhsa_user_sgpr_queue_ptr 0
		.amdhsa_user_sgpr_kernarg_segment_ptr 1
		.amdhsa_user_sgpr_dispatch_id 0
		.amdhsa_user_sgpr_flat_scratch_init 0
		.amdhsa_user_sgpr_private_segment_size 0
		.amdhsa_wavefront_size32 1
		.amdhsa_uses_dynamic_stack 0
		.amdhsa_system_sgpr_private_segment_wavefront_offset 0
		.amdhsa_system_sgpr_workgroup_id_x 1
		.amdhsa_system_sgpr_workgroup_id_y 0
		.amdhsa_system_sgpr_workgroup_id_z 1
		.amdhsa_system_sgpr_workgroup_info 0
		.amdhsa_system_vgpr_workitem_id 1
		.amdhsa_next_free_vgpr 72
		.amdhsa_next_free_sgpr 45
		.amdhsa_reserve_vcc 1
		.amdhsa_reserve_flat_scratch 0
		.amdhsa_float_round_mode_32 0
		.amdhsa_float_round_mode_16_64 0
		.amdhsa_float_denorm_mode_32 3
		.amdhsa_float_denorm_mode_16_64 3
		.amdhsa_dx10_clamp 1
		.amdhsa_ieee_mode 1
		.amdhsa_fp16_overflow 0
		.amdhsa_workgroup_processor_mode 1
		.amdhsa_memory_ordered 1
		.amdhsa_forward_progress 1
		.amdhsa_shared_vgpr_count 0
		.amdhsa_exception_fp_ieee_invalid_op 0
		.amdhsa_exception_fp_denorm_src 0
		.amdhsa_exception_fp_ieee_div_zero 0
		.amdhsa_exception_fp_ieee_overflow 0
		.amdhsa_exception_fp_ieee_underflow 0
		.amdhsa_exception_fp_ieee_inexact 0
		.amdhsa_exception_int_div_zero 0
	.end_amdhsa_kernel
	.section	.text._ZL20rocblas_gemvn_kernelILi64ELi16EldddEviiT3_lPKT2_lT1_lS3_lS4_lS0_lPT4_lS4_li,"axG",@progbits,_ZL20rocblas_gemvn_kernelILi64ELi16EldddEviiT3_lPKT2_lT1_lS3_lS4_lS0_lPT4_lS4_li,comdat
.Lfunc_end67:
	.size	_ZL20rocblas_gemvn_kernelILi64ELi16EldddEviiT3_lPKT2_lT1_lS3_lS4_lS0_lPT4_lS4_li, .Lfunc_end67-_ZL20rocblas_gemvn_kernelILi64ELi16EldddEviiT3_lPKT2_lT1_lS3_lS4_lS0_lPT4_lS4_li
                                        ; -- End function
	.set _ZL20rocblas_gemvn_kernelILi64ELi16EldddEviiT3_lPKT2_lT1_lS3_lS4_lS0_lPT4_lS4_li.num_vgpr, 72
	.set _ZL20rocblas_gemvn_kernelILi64ELi16EldddEviiT3_lPKT2_lT1_lS3_lS4_lS0_lPT4_lS4_li.num_agpr, 0
	.set _ZL20rocblas_gemvn_kernelILi64ELi16EldddEviiT3_lPKT2_lT1_lS3_lS4_lS0_lPT4_lS4_li.numbered_sgpr, 45
	.set _ZL20rocblas_gemvn_kernelILi64ELi16EldddEviiT3_lPKT2_lT1_lS3_lS4_lS0_lPT4_lS4_li.num_named_barrier, 0
	.set _ZL20rocblas_gemvn_kernelILi64ELi16EldddEviiT3_lPKT2_lT1_lS3_lS4_lS0_lPT4_lS4_li.private_seg_size, 0
	.set _ZL20rocblas_gemvn_kernelILi64ELi16EldddEviiT3_lPKT2_lT1_lS3_lS4_lS0_lPT4_lS4_li.uses_vcc, 1
	.set _ZL20rocblas_gemvn_kernelILi64ELi16EldddEviiT3_lPKT2_lT1_lS3_lS4_lS0_lPT4_lS4_li.uses_flat_scratch, 0
	.set _ZL20rocblas_gemvn_kernelILi64ELi16EldddEviiT3_lPKT2_lT1_lS3_lS4_lS0_lPT4_lS4_li.has_dyn_sized_stack, 0
	.set _ZL20rocblas_gemvn_kernelILi64ELi16EldddEviiT3_lPKT2_lT1_lS3_lS4_lS0_lPT4_lS4_li.has_recursion, 0
	.set _ZL20rocblas_gemvn_kernelILi64ELi16EldddEviiT3_lPKT2_lT1_lS3_lS4_lS0_lPT4_lS4_li.has_indirect_call, 0
	.section	.AMDGPU.csdata,"",@progbits
; Kernel info:
; codeLenInByte = 3372
; TotalNumSgprs: 47
; NumVgprs: 72
; ScratchSize: 0
; MemoryBound: 1
; FloatMode: 240
; IeeeMode: 1
; LDSByteSize: 32768 bytes/workgroup (compile time only)
; SGPRBlocks: 0
; VGPRBlocks: 8
; NumSGPRsForWavesPerEU: 47
; NumVGPRsForWavesPerEU: 72
; Occupancy: 12
; WaveLimiterHint : 1
; COMPUTE_PGM_RSRC2:SCRATCH_EN: 0
; COMPUTE_PGM_RSRC2:USER_SGPR: 6
; COMPUTE_PGM_RSRC2:TRAP_HANDLER: 0
; COMPUTE_PGM_RSRC2:TGID_X_EN: 1
; COMPUTE_PGM_RSRC2:TGID_Y_EN: 0
; COMPUTE_PGM_RSRC2:TGID_Z_EN: 1
; COMPUTE_PGM_RSRC2:TIDIG_COMP_CNT: 1
	.section	.text._ZL22rocblas_gemvtsm_kernelILb0ELi256EdPKddEviiT2_lPKT1_lilS5_lilS2_lPT3_lil,"axG",@progbits,_ZL22rocblas_gemvtsm_kernelILb0ELi256EdPKddEviiT2_lPKT1_lilS5_lilS2_lPT3_lil,comdat
	.globl	_ZL22rocblas_gemvtsm_kernelILb0ELi256EdPKddEviiT2_lPKT1_lilS5_lilS2_lPT3_lil ; -- Begin function _ZL22rocblas_gemvtsm_kernelILb0ELi256EdPKddEviiT2_lPKT1_lilS5_lilS2_lPT3_lil
	.p2align	8
	.type	_ZL22rocblas_gemvtsm_kernelILb0ELi256EdPKddEviiT2_lPKT1_lilS5_lilS2_lPT3_lil,@function
_ZL22rocblas_gemvtsm_kernelILb0ELi256EdPKddEviiT2_lPKT1_lilS5_lilS2_lPT3_lil: ; @_ZL22rocblas_gemvtsm_kernelILb0ELi256EdPKddEviiT2_lPKT1_lilS5_lilS2_lPT3_lil
; %bb.0:
	s_clause 0x1
	s_load_dwordx8 s[8:15], s[4:5], 0x8
	s_load_dwordx8 s[16:23], s[4:5], 0x50
	s_waitcnt lgkmcnt(0)
	s_mul_i32 s1, s11, s6
	s_mul_hi_u32 s2, s10, s6
	s_mul_i32 s0, s10, s6
	s_add_i32 s1, s2, s1
	s_mul_i32 s2, s21, s6
	s_lshl_b64 s[0:1], s[0:1], 3
	s_mul_hi_u32 s3, s20, s6
	s_add_u32 s0, s8, s0
	s_addc_u32 s1, s9, s1
	s_add_i32 s3, s3, s2
	s_mul_i32 s2, s20, s6
	s_lshl_b64 s[2:3], s[2:3], 3
	s_add_u32 s2, s18, s2
	s_addc_u32 s3, s19, s3
	s_load_dwordx2 s[24:25], s[0:1], 0x0
	s_load_dwordx2 s[8:9], s[2:3], 0x0
	s_waitcnt lgkmcnt(0)
	v_cmp_eq_f64_e64 s0, s[24:25], 0
	v_cmp_eq_f64_e64 s1, s[8:9], 1.0
	s_and_b32 s0, s0, s1
	s_and_b32 vcc_lo, exec_lo, s0
	s_cbranch_vccnz .LBB68_34
; %bb.1:
	s_load_dwordx2 s[0:1], s[4:5], 0x80
	v_cmp_neq_f64_e64 s2, s[24:25], 0
	s_clause 0x2
	s_load_dwordx2 s[20:21], s[4:5], 0x70
	s_load_dword s10, s[4:5], 0x78
	s_load_dwordx2 s[18:19], s[4:5], 0x0
	s_waitcnt lgkmcnt(0)
	s_mul_i32 s1, s1, s6
	s_mul_hi_u32 s3, s0, s6
	s_mul_i32 s26, s0, s6
	s_add_i32 s27, s3, s1
	s_and_b32 vcc_lo, exec_lo, s2
	s_cbranch_vccnz .LBB68_9
; %bb.2:
	v_cmp_neq_f64_e64 s0, s[8:9], 0
	s_cmp_gt_i32 s19, 0
	s_cselect_b32 s2, -1, 0
	v_cndmask_b32_e64 v1, 0, 1, s2
	s_and_b32 vcc_lo, exec_lo, s0
	v_cmp_ne_u32_e64 s0, 1, v1
	s_cbranch_vccnz .LBB68_10
; %bb.3:
	s_and_b32 vcc_lo, exec_lo, s0
	s_cbranch_vccnz .LBB68_8
; %bb.4:
	v_mad_i64_i32 v[1:2], null, s10, v0, 0
	s_lshl_b64 s[28:29], s[20:21], 3
	s_ashr_i32 s11, s10, 31
	s_lshl_b64 s[0:1], s[26:27], 3
	s_add_u32 s3, s22, s28
	s_addc_u32 s7, s23, s29
	s_add_u32 s0, s3, s0
	v_lshlrev_b64 v[1:2], 3, v[1:2]
	s_addc_u32 s1, s7, s1
	v_mov_b32_e32 v3, 0
	s_mov_b32 s3, 0
	v_add_co_u32 v1, vcc_lo, s0, v1
	v_add_co_ci_u32_e64 v2, null, s1, v2, vcc_lo
	s_lshl_b64 s[0:1], s[10:11], 11
	s_branch .LBB68_6
	.p2align	6
.LBB68_5:                               ;   in Loop: Header=BB68_6 Depth=1
	s_or_b32 exec_lo, exec_lo, s7
	v_add_co_u32 v1, vcc_lo, v1, s0
	v_add_co_ci_u32_e64 v2, null, s1, v2, vcc_lo
	s_addk_i32 s3, 0x100
	s_cmp_ge_i32 s3, s19
	s_cbranch_scc1 .LBB68_8
.LBB68_6:                               ; =>This Inner Loop Header: Depth=1
	v_add_nc_u32_e32 v4, s3, v0
	s_mov_b32 s7, exec_lo
	v_cmpx_gt_i32_e64 s19, v4
	s_cbranch_execz .LBB68_5
; %bb.7:                                ;   in Loop: Header=BB68_6 Depth=1
	v_mov_b32_e32 v4, v3
	global_store_dwordx2 v[1:2], v[3:4], off
	s_branch .LBB68_5
.LBB68_8:
	s_cbranch_execz .LBB68_11
	s_branch .LBB68_16
.LBB68_9:
	s_branch .LBB68_17
.LBB68_10:
.LBB68_11:
	s_andn2_b32 vcc_lo, exec_lo, s2
	s_cbranch_vccnz .LBB68_16
; %bb.12:
	v_mad_i64_i32 v[1:2], null, s10, v0, 0
	s_lshl_b64 s[2:3], s[20:21], 3
	s_ashr_i32 s11, s10, 31
	s_lshl_b64 s[0:1], s[26:27], 3
	s_add_u32 s2, s22, s2
	s_addc_u32 s3, s23, s3
	s_add_u32 s0, s2, s0
	v_lshlrev_b64 v[1:2], 3, v[1:2]
	s_addc_u32 s1, s3, s1
	s_mov_b32 s2, 0
	v_add_co_u32 v1, vcc_lo, s0, v1
	v_add_co_ci_u32_e64 v2, null, s1, v2, vcc_lo
	s_lshl_b64 s[0:1], s[10:11], 11
	s_branch .LBB68_14
	.p2align	6
.LBB68_13:                              ;   in Loop: Header=BB68_14 Depth=1
	s_or_b32 exec_lo, exec_lo, s3
	v_add_co_u32 v1, vcc_lo, v1, s0
	v_add_co_ci_u32_e64 v2, null, s1, v2, vcc_lo
	s_addk_i32 s2, 0x100
	s_cmp_ge_i32 s2, s19
	s_cbranch_scc1 .LBB68_16
.LBB68_14:                              ; =>This Inner Loop Header: Depth=1
	v_add_nc_u32_e32 v3, s2, v0
	s_mov_b32 s3, exec_lo
	v_cmpx_gt_i32_e64 s19, v3
	s_cbranch_execz .LBB68_13
; %bb.15:                               ;   in Loop: Header=BB68_14 Depth=1
	global_load_dwordx2 v[3:4], v[1:2], off
	s_waitcnt vmcnt(0)
	v_mul_f64 v[3:4], s[8:9], v[3:4]
	global_store_dwordx2 v[1:2], v[3:4], off
	s_branch .LBB68_13
.LBB68_16:
	s_cbranch_execnz .LBB68_34
.LBB68_17:
	s_clause 0x1
	s_load_dwordx4 s[0:3], s[4:5], 0x30
	s_load_dwordx2 s[28:29], s[4:5], 0x40
	s_mov_b32 s7, exec_lo
	v_cmpx_gt_i32_e64 s18, v0
	s_cbranch_execz .LBB68_19
; %bb.18:
	s_load_dword s11, s[4:5], 0x48
	s_mul_i32 s17, s17, s6
	s_mul_hi_u32 s30, s16, s6
	s_mul_i32 s16, s16, s6
	s_add_i32 s17, s30, s17
	v_lshlrev_b32_e32 v3, 3, v0
	s_lshl_b64 s[16:17], s[16:17], 3
	s_waitcnt lgkmcnt(0)
	v_mad_i64_i32 v[1:2], null, s11, v0, 0
	s_add_u32 s11, s2, s16
	s_addc_u32 s16, s3, s17
	s_lshl_b64 s[2:3], s[28:29], 3
	s_add_u32 s2, s11, s2
	s_addc_u32 s3, s16, s3
	v_lshlrev_b64 v[1:2], 3, v[1:2]
	v_add_co_u32 v1, vcc_lo, s2, v1
	v_add_co_ci_u32_e64 v2, null, s3, v2, vcc_lo
	global_load_dwordx2 v[1:2], v[1:2], off
	s_waitcnt vmcnt(0)
	v_mul_f64 v[1:2], s[24:25], v[1:2]
	ds_write_b64 v3, v[1:2]
.LBB68_19:
	s_or_b32 exec_lo, exec_lo, s7
	s_cmp_lt_i32 s19, 1
	s_waitcnt lgkmcnt(0)
	s_waitcnt_vscnt null, 0x0
	s_barrier
	buffer_gl0_inv
	s_cbranch_scc1 .LBB68_34
; %bb.20:
	s_load_dword s2, s[4:5], 0x28
	s_lshl_b64 s[4:5], s[26:27], 3
	s_mul_i32 s1, s1, s6
	s_add_u32 s3, s22, s4
	s_addc_u32 s7, s23, s5
	s_lshl_b64 s[4:5], s[20:21], 3
	s_mul_hi_u32 s24, s0, s6
	s_add_u32 s4, s3, s4
	s_mul_i32 s0, s0, s6
	s_addc_u32 s5, s7, s5
	s_ashr_i32 s6, s10, 31
	v_cmp_neq_f64_e64 s16, s[8:9], 0
	s_waitcnt lgkmcnt(0)
	s_ashr_i32 s3, s2, 31
	s_cmp_gt_i32 s18, 0
	v_mad_i64_i32 v[1:2], null, s2, v0, 0
	s_cselect_b32 s7, -1, 0
	s_and_b32 s11, s18, 7
	s_cmp_gt_u32 s18, 7
	s_cselect_b32 s17, -1, 0
	s_and_b32 s18, s18, 0x7ffffff8
	s_cmp_lg_u32 s11, 0
	v_lshlrev_b64 v[1:2], 3, v[1:2]
	s_cselect_b32 s20, -1, 0
	s_add_i32 s1, s24, s1
	s_lshl_b64 s[14:15], s[14:15], 3
	s_lshl_b64 s[0:1], s[0:1], 3
	s_add_u32 s12, s12, s14
	s_addc_u32 s13, s13, s15
	s_add_u32 s0, s12, s0
	s_addc_u32 s1, s13, s1
	v_add_co_u32 v9, vcc_lo, s0, v1
	v_add_co_ci_u32_e64 v10, null, s1, v2, vcc_lo
	s_mov_b32 s1, 0
	v_add_co_u32 v1, vcc_lo, v9, 56
	v_add_co_ci_u32_e64 v2, null, 0, v10, vcc_lo
	s_lshl_b64 s[2:3], s[2:3], 11
	s_mov_b32 s12, 0
	s_branch .LBB68_23
.LBB68_21:                              ;   in Loop: Header=BB68_23 Depth=1
	v_add_co_u32 v3, vcc_lo, s4, v3
	v_add_co_ci_u32_e64 v4, null, s5, v4, vcc_lo
	global_store_dwordx2 v[3:4], v[5:6], off
.LBB68_22:                              ;   in Loop: Header=BB68_23 Depth=1
	s_or_b32 exec_lo, exec_lo, s13
	v_add_co_u32 v1, vcc_lo, v1, s2
	v_add_co_ci_u32_e64 v2, null, s3, v2, vcc_lo
	v_add_co_u32 v9, vcc_lo, v9, s2
	v_add_co_ci_u32_e64 v10, null, s3, v10, vcc_lo
	s_addk_i32 s12, 0x100
	s_cmp_ge_i32 s12, s19
	s_cbranch_scc1 .LBB68_34
.LBB68_23:                              ; =>This Loop Header: Depth=1
                                        ;     Child Loop BB68_29 Depth 2
                                        ;     Child Loop BB68_33 Depth 2
	v_add_nc_u32_e32 v3, s12, v0
	s_mov_b32 s13, exec_lo
	v_cmpx_gt_i32_e64 s19, v3
	s_cbranch_execz .LBB68_22
; %bb.24:                               ;   in Loop: Header=BB68_23 Depth=1
	v_mad_u64_u32 v[4:5], null, v3, s10, 0
	s_andn2_b32 vcc_lo, exec_lo, s16
	v_mad_u64_u32 v[5:6], null, v3, s6, v[5:6]
	v_lshlrev_b64 v[3:4], 3, v[4:5]
	s_cbranch_vccnz .LBB68_26
; %bb.25:                               ;   in Loop: Header=BB68_23 Depth=1
	v_add_co_u32 v5, vcc_lo, s4, v3
	v_add_co_ci_u32_e64 v6, null, s5, v4, vcc_lo
	global_load_dwordx2 v[5:6], v[5:6], off
	s_waitcnt vmcnt(0)
	v_mul_f64 v[5:6], s[8:9], v[5:6]
	s_andn2_b32 vcc_lo, exec_lo, s7
	s_cbranch_vccz .LBB68_27
	s_branch .LBB68_21
.LBB68_26:                              ;   in Loop: Header=BB68_23 Depth=1
	v_mov_b32_e32 v5, 0
	v_mov_b32_e32 v6, 0
	s_andn2_b32 vcc_lo, exec_lo, s7
	s_cbranch_vccnz .LBB68_21
.LBB68_27:                              ;   in Loop: Header=BB68_23 Depth=1
	s_andn2_b32 vcc_lo, exec_lo, s17
	s_mov_b32 s0, 0
	s_cbranch_vccnz .LBB68_31
; %bb.28:                               ;   in Loop: Header=BB68_23 Depth=1
	v_mov_b32_e32 v8, v2
	v_mov_b32_e32 v7, v1
	s_mov_b32 s14, 0
	s_inst_prefetch 0x1
	.p2align	6
.LBB68_29:                              ;   Parent Loop BB68_23 Depth=1
                                        ; =>  This Inner Loop Header: Depth=2
	s_clause 0x3
	global_load_dwordx4 v[11:14], v[7:8], off offset:-56
	global_load_dwordx4 v[15:18], v[7:8], off offset:-40
	;; [unrolled: 1-line block ×4, first 2 shown]
	v_mov_b32_e32 v35, s0
	v_add_co_u32 v7, vcc_lo, v7, 64
	v_add_co_ci_u32_e64 v8, null, 0, v8, vcc_lo
	ds_read_b128 v[27:30], v35
	ds_read_b128 v[31:34], v35 offset:16
	s_add_i32 s14, s14, 8
	s_add_i32 s0, s0, 64
	s_cmp_eq_u32 s18, s14
	s_waitcnt vmcnt(3) lgkmcnt(1)
	v_fma_f64 v[5:6], v[27:28], v[11:12], v[5:6]
	v_fma_f64 v[5:6], v[29:30], v[13:14], v[5:6]
	s_waitcnt vmcnt(2) lgkmcnt(0)
	v_fma_f64 v[5:6], v[31:32], v[15:16], v[5:6]
	v_fma_f64 v[5:6], v[33:34], v[17:18], v[5:6]
	ds_read_b128 v[11:14], v35 offset:32
	ds_read_b128 v[15:18], v35 offset:48
	s_waitcnt vmcnt(1) lgkmcnt(1)
	v_fma_f64 v[5:6], v[11:12], v[19:20], v[5:6]
	v_fma_f64 v[5:6], v[13:14], v[21:22], v[5:6]
	s_waitcnt vmcnt(0) lgkmcnt(0)
	v_fma_f64 v[5:6], v[15:16], v[23:24], v[5:6]
	v_fma_f64 v[5:6], v[17:18], v[25:26], v[5:6]
	s_cbranch_scc0 .LBB68_29
; %bb.30:                               ;   in Loop: Header=BB68_23 Depth=1
	s_inst_prefetch 0x2
	s_mov_b32 s0, s18
.LBB68_31:                              ;   in Loop: Header=BB68_23 Depth=1
	s_andn2_b32 vcc_lo, exec_lo, s20
	s_cbranch_vccnz .LBB68_21
; %bb.32:                               ;   in Loop: Header=BB68_23 Depth=1
	s_lshl_b64 s[14:15], s[0:1], 3
	s_lshl_b32 s0, s0, 3
	v_add_co_u32 v7, vcc_lo, v9, s14
	v_add_co_ci_u32_e64 v8, null, s15, v10, vcc_lo
	s_mov_b32 s14, s11
.LBB68_33:                              ;   Parent Loop BB68_23 Depth=1
                                        ; =>  This Inner Loop Header: Depth=2
	global_load_dwordx2 v[11:12], v[7:8], off
	v_mov_b32_e32 v13, s0
	v_add_co_u32 v7, vcc_lo, v7, 8
	v_add_co_ci_u32_e64 v8, null, 0, v8, vcc_lo
	ds_read_b64 v[13:14], v13
	s_add_i32 s14, s14, -1
	s_add_i32 s0, s0, 8
	s_cmp_lg_u32 s14, 0
	s_waitcnt vmcnt(0) lgkmcnt(0)
	v_fma_f64 v[5:6], v[13:14], v[11:12], v[5:6]
	s_cbranch_scc1 .LBB68_33
	s_branch .LBB68_21
.LBB68_34:
	s_endpgm
	.section	.rodata,"a",@progbits
	.p2align	6, 0x0
	.amdhsa_kernel _ZL22rocblas_gemvtsm_kernelILb0ELi256EdPKddEviiT2_lPKT1_lilS5_lilS2_lPT3_lil
		.amdhsa_group_segment_fixed_size 512
		.amdhsa_private_segment_fixed_size 0
		.amdhsa_kernarg_size 136
		.amdhsa_user_sgpr_count 6
		.amdhsa_user_sgpr_private_segment_buffer 1
		.amdhsa_user_sgpr_dispatch_ptr 0
		.amdhsa_user_sgpr_queue_ptr 0
		.amdhsa_user_sgpr_kernarg_segment_ptr 1
		.amdhsa_user_sgpr_dispatch_id 0
		.amdhsa_user_sgpr_flat_scratch_init 0
		.amdhsa_user_sgpr_private_segment_size 0
		.amdhsa_wavefront_size32 1
		.amdhsa_uses_dynamic_stack 0
		.amdhsa_system_sgpr_private_segment_wavefront_offset 0
		.amdhsa_system_sgpr_workgroup_id_x 1
		.amdhsa_system_sgpr_workgroup_id_y 0
		.amdhsa_system_sgpr_workgroup_id_z 0
		.amdhsa_system_sgpr_workgroup_info 0
		.amdhsa_system_vgpr_workitem_id 0
		.amdhsa_next_free_vgpr 36
		.amdhsa_next_free_sgpr 31
		.amdhsa_reserve_vcc 1
		.amdhsa_reserve_flat_scratch 0
		.amdhsa_float_round_mode_32 0
		.amdhsa_float_round_mode_16_64 0
		.amdhsa_float_denorm_mode_32 3
		.amdhsa_float_denorm_mode_16_64 3
		.amdhsa_dx10_clamp 1
		.amdhsa_ieee_mode 1
		.amdhsa_fp16_overflow 0
		.amdhsa_workgroup_processor_mode 1
		.amdhsa_memory_ordered 1
		.amdhsa_forward_progress 1
		.amdhsa_shared_vgpr_count 0
		.amdhsa_exception_fp_ieee_invalid_op 0
		.amdhsa_exception_fp_denorm_src 0
		.amdhsa_exception_fp_ieee_div_zero 0
		.amdhsa_exception_fp_ieee_overflow 0
		.amdhsa_exception_fp_ieee_underflow 0
		.amdhsa_exception_fp_ieee_inexact 0
		.amdhsa_exception_int_div_zero 0
	.end_amdhsa_kernel
	.section	.text._ZL22rocblas_gemvtsm_kernelILb0ELi256EdPKddEviiT2_lPKT1_lilS5_lilS2_lPT3_lil,"axG",@progbits,_ZL22rocblas_gemvtsm_kernelILb0ELi256EdPKddEviiT2_lPKT1_lilS5_lilS2_lPT3_lil,comdat
.Lfunc_end68:
	.size	_ZL22rocblas_gemvtsm_kernelILb0ELi256EdPKddEviiT2_lPKT1_lilS5_lilS2_lPT3_lil, .Lfunc_end68-_ZL22rocblas_gemvtsm_kernelILb0ELi256EdPKddEviiT2_lPKT1_lilS5_lilS2_lPT3_lil
                                        ; -- End function
	.set _ZL22rocblas_gemvtsm_kernelILb0ELi256EdPKddEviiT2_lPKT1_lilS5_lilS2_lPT3_lil.num_vgpr, 36
	.set _ZL22rocblas_gemvtsm_kernelILb0ELi256EdPKddEviiT2_lPKT1_lilS5_lilS2_lPT3_lil.num_agpr, 0
	.set _ZL22rocblas_gemvtsm_kernelILb0ELi256EdPKddEviiT2_lPKT1_lilS5_lilS2_lPT3_lil.numbered_sgpr, 31
	.set _ZL22rocblas_gemvtsm_kernelILb0ELi256EdPKddEviiT2_lPKT1_lilS5_lilS2_lPT3_lil.num_named_barrier, 0
	.set _ZL22rocblas_gemvtsm_kernelILb0ELi256EdPKddEviiT2_lPKT1_lilS5_lilS2_lPT3_lil.private_seg_size, 0
	.set _ZL22rocblas_gemvtsm_kernelILb0ELi256EdPKddEviiT2_lPKT1_lilS5_lilS2_lPT3_lil.uses_vcc, 1
	.set _ZL22rocblas_gemvtsm_kernelILb0ELi256EdPKddEviiT2_lPKT1_lilS5_lilS2_lPT3_lil.uses_flat_scratch, 0
	.set _ZL22rocblas_gemvtsm_kernelILb0ELi256EdPKddEviiT2_lPKT1_lilS5_lilS2_lPT3_lil.has_dyn_sized_stack, 0
	.set _ZL22rocblas_gemvtsm_kernelILb0ELi256EdPKddEviiT2_lPKT1_lilS5_lilS2_lPT3_lil.has_recursion, 0
	.set _ZL22rocblas_gemvtsm_kernelILb0ELi256EdPKddEviiT2_lPKT1_lilS5_lilS2_lPT3_lil.has_indirect_call, 0
	.section	.AMDGPU.csdata,"",@progbits
; Kernel info:
; codeLenInByte = 1580
; TotalNumSgprs: 33
; NumVgprs: 36
; ScratchSize: 0
; MemoryBound: 0
; FloatMode: 240
; IeeeMode: 1
; LDSByteSize: 512 bytes/workgroup (compile time only)
; SGPRBlocks: 0
; VGPRBlocks: 4
; NumSGPRsForWavesPerEU: 33
; NumVGPRsForWavesPerEU: 36
; Occupancy: 16
; WaveLimiterHint : 1
; COMPUTE_PGM_RSRC2:SCRATCH_EN: 0
; COMPUTE_PGM_RSRC2:USER_SGPR: 6
; COMPUTE_PGM_RSRC2:TRAP_HANDLER: 0
; COMPUTE_PGM_RSRC2:TGID_X_EN: 1
; COMPUTE_PGM_RSRC2:TGID_Y_EN: 0
; COMPUTE_PGM_RSRC2:TGID_Z_EN: 0
; COMPUTE_PGM_RSRC2:TIDIG_COMP_CNT: 0
	.section	.text._ZL22rocblas_gemvtsm_kernelILb0ELi256EdddEviiT2_lPKT1_lilS3_lilS0_lPT3_lil,"axG",@progbits,_ZL22rocblas_gemvtsm_kernelILb0ELi256EdddEviiT2_lPKT1_lilS3_lilS0_lPT3_lil,comdat
	.globl	_ZL22rocblas_gemvtsm_kernelILb0ELi256EdddEviiT2_lPKT1_lilS3_lilS0_lPT3_lil ; -- Begin function _ZL22rocblas_gemvtsm_kernelILb0ELi256EdddEviiT2_lPKT1_lilS3_lilS0_lPT3_lil
	.p2align	8
	.type	_ZL22rocblas_gemvtsm_kernelILb0ELi256EdddEviiT2_lPKT1_lilS3_lilS0_lPT3_lil,@function
_ZL22rocblas_gemvtsm_kernelILb0ELi256EdddEviiT2_lPKT1_lilS3_lilS0_lPT3_lil: ; @_ZL22rocblas_gemvtsm_kernelILb0ELi256EdddEviiT2_lPKT1_lilS3_lilS0_lPT3_lil
; %bb.0:
	s_clause 0x1
	s_load_dwordx2 s[16:17], s[4:5], 0x8
	s_load_dwordx4 s[8:11], s[4:5], 0x50
	s_waitcnt lgkmcnt(0)
	v_cmp_eq_f64_e64 s0, s[16:17], 0
	v_cmp_eq_f64_e64 s1, s[10:11], 1.0
	s_and_b32 s0, s0, s1
	s_and_b32 vcc_lo, exec_lo, s0
	s_cbranch_vccnz .LBB69_34
; %bb.1:
	s_load_dwordx2 s[0:1], s[4:5], 0x80
	v_cmp_neq_f64_e64 s2, s[16:17], 0
	s_clause 0x2
	s_load_dword s20, s[4:5], 0x78
	s_load_dwordx2 s[22:23], s[4:5], 0x0
	s_load_dwordx4 s[12:15], s[4:5], 0x68
	s_waitcnt lgkmcnt(0)
	s_mul_i32 s1, s1, s6
	s_mul_hi_u32 s3, s0, s6
	s_mul_i32 s24, s0, s6
	s_add_i32 s25, s3, s1
	s_and_b32 vcc_lo, exec_lo, s2
	s_cbranch_vccnz .LBB69_9
; %bb.2:
	v_cmp_neq_f64_e64 s0, s[10:11], 0
	s_cmp_gt_i32 s23, 0
	s_cselect_b32 s2, -1, 0
	v_cndmask_b32_e64 v1, 0, 1, s2
	s_and_b32 vcc_lo, exec_lo, s0
	v_cmp_ne_u32_e64 s0, 1, v1
	s_cbranch_vccnz .LBB69_10
; %bb.3:
	s_and_b32 vcc_lo, exec_lo, s0
	s_cbranch_vccnz .LBB69_8
; %bb.4:
	v_mad_i64_i32 v[1:2], null, s20, v0, 0
	s_lshl_b64 s[18:19], s[14:15], 3
	s_ashr_i32 s21, s20, 31
	s_lshl_b64 s[0:1], s[24:25], 3
	s_add_u32 s3, s12, s18
	s_addc_u32 s7, s13, s19
	s_add_u32 s0, s3, s0
	v_lshlrev_b64 v[1:2], 3, v[1:2]
	s_addc_u32 s1, s7, s1
	v_mov_b32_e32 v3, 0
	s_mov_b32 s3, 0
	v_add_co_u32 v1, vcc_lo, s0, v1
	v_add_co_ci_u32_e64 v2, null, s1, v2, vcc_lo
	s_lshl_b64 s[0:1], s[20:21], 11
	s_branch .LBB69_6
	.p2align	6
.LBB69_5:                               ;   in Loop: Header=BB69_6 Depth=1
	s_or_b32 exec_lo, exec_lo, s7
	v_add_co_u32 v1, vcc_lo, v1, s0
	v_add_co_ci_u32_e64 v2, null, s1, v2, vcc_lo
	s_addk_i32 s3, 0x100
	s_cmp_ge_i32 s3, s23
	s_cbranch_scc1 .LBB69_8
.LBB69_6:                               ; =>This Inner Loop Header: Depth=1
	v_add_nc_u32_e32 v4, s3, v0
	s_mov_b32 s7, exec_lo
	v_cmpx_gt_i32_e64 s23, v4
	s_cbranch_execz .LBB69_5
; %bb.7:                                ;   in Loop: Header=BB69_6 Depth=1
	v_mov_b32_e32 v4, v3
	global_store_dwordx2 v[1:2], v[3:4], off
	s_branch .LBB69_5
.LBB69_8:
	s_cbranch_execz .LBB69_11
	s_branch .LBB69_16
.LBB69_9:
	s_branch .LBB69_17
.LBB69_10:
.LBB69_11:
	s_andn2_b32 vcc_lo, exec_lo, s2
	s_cbranch_vccnz .LBB69_16
; %bb.12:
	v_mad_i64_i32 v[1:2], null, s20, v0, 0
	s_lshl_b64 s[2:3], s[14:15], 3
	s_ashr_i32 s21, s20, 31
	s_lshl_b64 s[0:1], s[24:25], 3
	s_add_u32 s2, s12, s2
	s_addc_u32 s3, s13, s3
	s_add_u32 s0, s2, s0
	v_lshlrev_b64 v[1:2], 3, v[1:2]
	s_addc_u32 s1, s3, s1
	s_mov_b32 s2, 0
	v_add_co_u32 v1, vcc_lo, s0, v1
	v_add_co_ci_u32_e64 v2, null, s1, v2, vcc_lo
	s_lshl_b64 s[0:1], s[20:21], 11
	s_branch .LBB69_14
	.p2align	6
.LBB69_13:                              ;   in Loop: Header=BB69_14 Depth=1
	s_or_b32 exec_lo, exec_lo, s3
	v_add_co_u32 v1, vcc_lo, v1, s0
	v_add_co_ci_u32_e64 v2, null, s1, v2, vcc_lo
	s_addk_i32 s2, 0x100
	s_cmp_ge_i32 s2, s23
	s_cbranch_scc1 .LBB69_16
.LBB69_14:                              ; =>This Inner Loop Header: Depth=1
	v_add_nc_u32_e32 v3, s2, v0
	s_mov_b32 s3, exec_lo
	v_cmpx_gt_i32_e64 s23, v3
	s_cbranch_execz .LBB69_13
; %bb.15:                               ;   in Loop: Header=BB69_14 Depth=1
	global_load_dwordx2 v[3:4], v[1:2], off
	s_waitcnt vmcnt(0)
	v_mul_f64 v[3:4], s[10:11], v[3:4]
	global_store_dwordx2 v[1:2], v[3:4], off
	s_branch .LBB69_13
.LBB69_16:
	s_cbranch_execnz .LBB69_34
.LBB69_17:
	s_clause 0x1
	s_load_dwordx4 s[0:3], s[4:5], 0x30
	s_load_dwordx2 s[18:19], s[4:5], 0x40
	s_mov_b32 s7, exec_lo
	v_cmpx_gt_i32_e64 s22, v0
	s_cbranch_execz .LBB69_19
; %bb.18:
	s_load_dword s21, s[4:5], 0x48
	s_mul_i32 s9, s9, s6
	s_mul_hi_u32 s26, s8, s6
	s_mul_i32 s8, s8, s6
	s_add_i32 s9, s26, s9
	v_lshlrev_b32_e32 v3, 3, v0
	s_lshl_b64 s[8:9], s[8:9], 3
	s_waitcnt lgkmcnt(0)
	s_add_u32 s8, s2, s8
	s_addc_u32 s9, s3, s9
	s_lshl_b64 s[2:3], s[18:19], 3
	s_add_u32 s2, s8, s2
	s_addc_u32 s3, s9, s3
	v_mad_i64_i32 v[1:2], null, s21, v0, 0
	v_lshlrev_b64 v[1:2], 3, v[1:2]
	v_add_co_u32 v1, vcc_lo, s2, v1
	v_add_co_ci_u32_e64 v2, null, s3, v2, vcc_lo
	global_load_dwordx2 v[1:2], v[1:2], off
	s_waitcnt vmcnt(0)
	v_mul_f64 v[1:2], s[16:17], v[1:2]
	ds_write_b64 v3, v[1:2]
.LBB69_19:
	s_or_b32 exec_lo, exec_lo, s7
	s_cmp_lt_i32 s23, 1
	s_waitcnt lgkmcnt(0)
	s_waitcnt_vscnt null, 0x0
	s_barrier
	buffer_gl0_inv
	s_cbranch_scc1 .LBB69_34
; %bb.20:
	s_clause 0x1
	s_load_dword s2, s[4:5], 0x28
	s_load_dwordx4 s[16:19], s[4:5], 0x18
	s_lshl_b64 s[4:5], s[24:25], 3
	s_mul_i32 s1, s1, s6
	s_add_u32 s3, s12, s4
	s_addc_u32 s7, s13, s5
	s_lshl_b64 s[4:5], s[14:15], 3
	s_mul_hi_u32 s21, s0, s6
	s_add_u32 s4, s3, s4
	s_mul_i32 s0, s0, s6
	s_addc_u32 s5, s7, s5
	s_ashr_i32 s6, s20, 31
	v_cmp_neq_f64_e64 s9, s[10:11], 0
	s_waitcnt lgkmcnt(0)
	s_ashr_i32 s3, s2, 31
	s_cmp_gt_i32 s22, 0
	v_mad_i64_i32 v[1:2], null, s2, v0, 0
	s_cselect_b32 s7, -1, 0
	s_and_b32 s8, s22, 7
	s_cmp_gt_u32 s22, 7
	s_cselect_b32 s12, -1, 0
	s_and_b32 s13, s22, 0x7ffffff8
	s_cmp_lg_u32 s8, 0
	v_lshlrev_b64 v[1:2], 3, v[1:2]
	s_cselect_b32 s14, -1, 0
	s_add_i32 s1, s21, s1
	s_lshl_b64 s[18:19], s[18:19], 3
	s_lshl_b64 s[0:1], s[0:1], 3
	s_add_u32 s15, s16, s18
	s_addc_u32 s16, s17, s19
	s_add_u32 s0, s15, s0
	s_addc_u32 s1, s16, s1
	v_add_co_u32 v9, vcc_lo, s0, v1
	v_add_co_ci_u32_e64 v10, null, s1, v2, vcc_lo
	s_mov_b32 s1, 0
	v_add_co_u32 v1, vcc_lo, v9, 56
	v_add_co_ci_u32_e64 v2, null, 0, v10, vcc_lo
	s_lshl_b64 s[2:3], s[2:3], 11
	s_mov_b32 s15, 0
	s_branch .LBB69_23
.LBB69_21:                              ;   in Loop: Header=BB69_23 Depth=1
	v_add_co_u32 v3, vcc_lo, s4, v3
	v_add_co_ci_u32_e64 v4, null, s5, v4, vcc_lo
	global_store_dwordx2 v[3:4], v[5:6], off
.LBB69_22:                              ;   in Loop: Header=BB69_23 Depth=1
	s_or_b32 exec_lo, exec_lo, s16
	v_add_co_u32 v1, vcc_lo, v1, s2
	v_add_co_ci_u32_e64 v2, null, s3, v2, vcc_lo
	v_add_co_u32 v9, vcc_lo, v9, s2
	v_add_co_ci_u32_e64 v10, null, s3, v10, vcc_lo
	s_addk_i32 s15, 0x100
	s_cmp_ge_i32 s15, s23
	s_cbranch_scc1 .LBB69_34
.LBB69_23:                              ; =>This Loop Header: Depth=1
                                        ;     Child Loop BB69_29 Depth 2
                                        ;     Child Loop BB69_33 Depth 2
	v_add_nc_u32_e32 v3, s15, v0
	s_mov_b32 s16, exec_lo
	v_cmpx_gt_i32_e64 s23, v3
	s_cbranch_execz .LBB69_22
; %bb.24:                               ;   in Loop: Header=BB69_23 Depth=1
	v_mad_u64_u32 v[4:5], null, v3, s20, 0
	s_andn2_b32 vcc_lo, exec_lo, s9
	v_mad_u64_u32 v[5:6], null, v3, s6, v[5:6]
	v_lshlrev_b64 v[3:4], 3, v[4:5]
	s_cbranch_vccnz .LBB69_26
; %bb.25:                               ;   in Loop: Header=BB69_23 Depth=1
	v_add_co_u32 v5, vcc_lo, s4, v3
	v_add_co_ci_u32_e64 v6, null, s5, v4, vcc_lo
	global_load_dwordx2 v[5:6], v[5:6], off
	s_waitcnt vmcnt(0)
	v_mul_f64 v[5:6], s[10:11], v[5:6]
	s_andn2_b32 vcc_lo, exec_lo, s7
	s_cbranch_vccz .LBB69_27
	s_branch .LBB69_21
.LBB69_26:                              ;   in Loop: Header=BB69_23 Depth=1
	v_mov_b32_e32 v5, 0
	v_mov_b32_e32 v6, 0
	s_andn2_b32 vcc_lo, exec_lo, s7
	s_cbranch_vccnz .LBB69_21
.LBB69_27:                              ;   in Loop: Header=BB69_23 Depth=1
	s_andn2_b32 vcc_lo, exec_lo, s12
	s_mov_b32 s0, 0
	s_cbranch_vccnz .LBB69_31
; %bb.28:                               ;   in Loop: Header=BB69_23 Depth=1
	v_mov_b32_e32 v8, v2
	v_mov_b32_e32 v7, v1
	s_mov_b32 s17, 0
	s_inst_prefetch 0x1
	.p2align	6
.LBB69_29:                              ;   Parent Loop BB69_23 Depth=1
                                        ; =>  This Inner Loop Header: Depth=2
	s_clause 0x3
	global_load_dwordx4 v[11:14], v[7:8], off offset:-56
	global_load_dwordx4 v[15:18], v[7:8], off offset:-40
	;; [unrolled: 1-line block ×4, first 2 shown]
	v_mov_b32_e32 v35, s0
	v_add_co_u32 v7, vcc_lo, v7, 64
	v_add_co_ci_u32_e64 v8, null, 0, v8, vcc_lo
	ds_read_b128 v[27:30], v35
	ds_read_b128 v[31:34], v35 offset:16
	s_add_i32 s17, s17, 8
	s_add_i32 s0, s0, 64
	s_cmp_eq_u32 s13, s17
	s_waitcnt vmcnt(3) lgkmcnt(1)
	v_fma_f64 v[5:6], v[27:28], v[11:12], v[5:6]
	v_fma_f64 v[5:6], v[29:30], v[13:14], v[5:6]
	s_waitcnt vmcnt(2) lgkmcnt(0)
	v_fma_f64 v[5:6], v[31:32], v[15:16], v[5:6]
	v_fma_f64 v[5:6], v[33:34], v[17:18], v[5:6]
	ds_read_b128 v[11:14], v35 offset:32
	ds_read_b128 v[15:18], v35 offset:48
	s_waitcnt vmcnt(1) lgkmcnt(1)
	v_fma_f64 v[5:6], v[11:12], v[19:20], v[5:6]
	v_fma_f64 v[5:6], v[13:14], v[21:22], v[5:6]
	s_waitcnt vmcnt(0) lgkmcnt(0)
	v_fma_f64 v[5:6], v[15:16], v[23:24], v[5:6]
	v_fma_f64 v[5:6], v[17:18], v[25:26], v[5:6]
	s_cbranch_scc0 .LBB69_29
; %bb.30:                               ;   in Loop: Header=BB69_23 Depth=1
	s_inst_prefetch 0x2
	s_mov_b32 s0, s13
.LBB69_31:                              ;   in Loop: Header=BB69_23 Depth=1
	s_andn2_b32 vcc_lo, exec_lo, s14
	s_cbranch_vccnz .LBB69_21
; %bb.32:                               ;   in Loop: Header=BB69_23 Depth=1
	s_lshl_b64 s[18:19], s[0:1], 3
	s_lshl_b32 s0, s0, 3
	v_add_co_u32 v7, vcc_lo, v9, s18
	v_add_co_ci_u32_e64 v8, null, s19, v10, vcc_lo
	s_mov_b32 s17, s8
.LBB69_33:                              ;   Parent Loop BB69_23 Depth=1
                                        ; =>  This Inner Loop Header: Depth=2
	global_load_dwordx2 v[11:12], v[7:8], off
	v_mov_b32_e32 v13, s0
	v_add_co_u32 v7, vcc_lo, v7, 8
	v_add_co_ci_u32_e64 v8, null, 0, v8, vcc_lo
	ds_read_b64 v[13:14], v13
	s_add_i32 s17, s17, -1
	s_add_i32 s0, s0, 8
	s_cmp_lg_u32 s17, 0
	s_waitcnt vmcnt(0) lgkmcnt(0)
	v_fma_f64 v[5:6], v[13:14], v[11:12], v[5:6]
	s_cbranch_scc1 .LBB69_33
	s_branch .LBB69_21
.LBB69_34:
	s_endpgm
	.section	.rodata,"a",@progbits
	.p2align	6, 0x0
	.amdhsa_kernel _ZL22rocblas_gemvtsm_kernelILb0ELi256EdddEviiT2_lPKT1_lilS3_lilS0_lPT3_lil
		.amdhsa_group_segment_fixed_size 512
		.amdhsa_private_segment_fixed_size 0
		.amdhsa_kernarg_size 136
		.amdhsa_user_sgpr_count 6
		.amdhsa_user_sgpr_private_segment_buffer 1
		.amdhsa_user_sgpr_dispatch_ptr 0
		.amdhsa_user_sgpr_queue_ptr 0
		.amdhsa_user_sgpr_kernarg_segment_ptr 1
		.amdhsa_user_sgpr_dispatch_id 0
		.amdhsa_user_sgpr_flat_scratch_init 0
		.amdhsa_user_sgpr_private_segment_size 0
		.amdhsa_wavefront_size32 1
		.amdhsa_uses_dynamic_stack 0
		.amdhsa_system_sgpr_private_segment_wavefront_offset 0
		.amdhsa_system_sgpr_workgroup_id_x 1
		.amdhsa_system_sgpr_workgroup_id_y 0
		.amdhsa_system_sgpr_workgroup_id_z 0
		.amdhsa_system_sgpr_workgroup_info 0
		.amdhsa_system_vgpr_workitem_id 0
		.amdhsa_next_free_vgpr 36
		.amdhsa_next_free_sgpr 27
		.amdhsa_reserve_vcc 1
		.amdhsa_reserve_flat_scratch 0
		.amdhsa_float_round_mode_32 0
		.amdhsa_float_round_mode_16_64 0
		.amdhsa_float_denorm_mode_32 3
		.amdhsa_float_denorm_mode_16_64 3
		.amdhsa_dx10_clamp 1
		.amdhsa_ieee_mode 1
		.amdhsa_fp16_overflow 0
		.amdhsa_workgroup_processor_mode 1
		.amdhsa_memory_ordered 1
		.amdhsa_forward_progress 1
		.amdhsa_shared_vgpr_count 0
		.amdhsa_exception_fp_ieee_invalid_op 0
		.amdhsa_exception_fp_denorm_src 0
		.amdhsa_exception_fp_ieee_div_zero 0
		.amdhsa_exception_fp_ieee_overflow 0
		.amdhsa_exception_fp_ieee_underflow 0
		.amdhsa_exception_fp_ieee_inexact 0
		.amdhsa_exception_int_div_zero 0
	.end_amdhsa_kernel
	.section	.text._ZL22rocblas_gemvtsm_kernelILb0ELi256EdddEviiT2_lPKT1_lilS3_lilS0_lPT3_lil,"axG",@progbits,_ZL22rocblas_gemvtsm_kernelILb0ELi256EdddEviiT2_lPKT1_lilS3_lilS0_lPT3_lil,comdat
.Lfunc_end69:
	.size	_ZL22rocblas_gemvtsm_kernelILb0ELi256EdddEviiT2_lPKT1_lilS3_lilS0_lPT3_lil, .Lfunc_end69-_ZL22rocblas_gemvtsm_kernelILb0ELi256EdddEviiT2_lPKT1_lilS3_lilS0_lPT3_lil
                                        ; -- End function
	.set _ZL22rocblas_gemvtsm_kernelILb0ELi256EdddEviiT2_lPKT1_lilS3_lilS0_lPT3_lil.num_vgpr, 36
	.set _ZL22rocblas_gemvtsm_kernelILb0ELi256EdddEviiT2_lPKT1_lilS3_lilS0_lPT3_lil.num_agpr, 0
	.set _ZL22rocblas_gemvtsm_kernelILb0ELi256EdddEviiT2_lPKT1_lilS3_lilS0_lPT3_lil.numbered_sgpr, 27
	.set _ZL22rocblas_gemvtsm_kernelILb0ELi256EdddEviiT2_lPKT1_lilS3_lilS0_lPT3_lil.num_named_barrier, 0
	.set _ZL22rocblas_gemvtsm_kernelILb0ELi256EdddEviiT2_lPKT1_lilS3_lilS0_lPT3_lil.private_seg_size, 0
	.set _ZL22rocblas_gemvtsm_kernelILb0ELi256EdddEviiT2_lPKT1_lilS3_lilS0_lPT3_lil.uses_vcc, 1
	.set _ZL22rocblas_gemvtsm_kernelILb0ELi256EdddEviiT2_lPKT1_lilS3_lilS0_lPT3_lil.uses_flat_scratch, 0
	.set _ZL22rocblas_gemvtsm_kernelILb0ELi256EdddEviiT2_lPKT1_lilS3_lilS0_lPT3_lil.has_dyn_sized_stack, 0
	.set _ZL22rocblas_gemvtsm_kernelILb0ELi256EdddEviiT2_lPKT1_lilS3_lilS0_lPT3_lil.has_recursion, 0
	.set _ZL22rocblas_gemvtsm_kernelILb0ELi256EdddEviiT2_lPKT1_lilS3_lilS0_lPT3_lil.has_indirect_call, 0
	.section	.AMDGPU.csdata,"",@progbits
; Kernel info:
; codeLenInByte = 1452
; TotalNumSgprs: 29
; NumVgprs: 36
; ScratchSize: 0
; MemoryBound: 0
; FloatMode: 240
; IeeeMode: 1
; LDSByteSize: 512 bytes/workgroup (compile time only)
; SGPRBlocks: 0
; VGPRBlocks: 4
; NumSGPRsForWavesPerEU: 29
; NumVGPRsForWavesPerEU: 36
; Occupancy: 16
; WaveLimiterHint : 1
; COMPUTE_PGM_RSRC2:SCRATCH_EN: 0
; COMPUTE_PGM_RSRC2:USER_SGPR: 6
; COMPUTE_PGM_RSRC2:TRAP_HANDLER: 0
; COMPUTE_PGM_RSRC2:TGID_X_EN: 1
; COMPUTE_PGM_RSRC2:TGID_Y_EN: 0
; COMPUTE_PGM_RSRC2:TGID_Z_EN: 0
; COMPUTE_PGM_RSRC2:TIDIG_COMP_CNT: 0
	.section	.text._ZL23rocblas_gemvt_sn_kernelILb0ELi256ELi4EidPKddEviiT4_lPKT3_lilS5_lilPT5_i,"axG",@progbits,_ZL23rocblas_gemvt_sn_kernelILb0ELi256ELi4EidPKddEviiT4_lPKT3_lilS5_lilPT5_i,comdat
	.globl	_ZL23rocblas_gemvt_sn_kernelILb0ELi256ELi4EidPKddEviiT4_lPKT3_lilS5_lilPT5_i ; -- Begin function _ZL23rocblas_gemvt_sn_kernelILb0ELi256ELi4EidPKddEviiT4_lPKT3_lilS5_lilPT5_i
	.p2align	8
	.type	_ZL23rocblas_gemvt_sn_kernelILb0ELi256ELi4EidPKddEviiT4_lPKT3_lilS5_lilPT5_i,@function
_ZL23rocblas_gemvt_sn_kernelILb0ELi256ELi4EidPKddEviiT4_lPKT3_lilS5_lilPT5_i: ; @_ZL23rocblas_gemvt_sn_kernelILb0ELi256ELi4EidPKddEviiT4_lPKT3_lilS5_lilPT5_i
; %bb.0:
	s_load_dwordx8 s[8:15], s[4:5], 0x8
	s_waitcnt lgkmcnt(0)
	s_mul_i32 s1, s11, s7
	s_mul_hi_u32 s2, s10, s7
	s_mul_i32 s0, s10, s7
	s_add_i32 s1, s2, s1
	s_lshl_b64 s[0:1], s[0:1], 3
	s_add_u32 s0, s8, s0
	s_addc_u32 s1, s9, s1
	s_load_dwordx2 s[16:17], s[0:1], 0x0
	s_clause 0x2
	s_load_dwordx2 s[18:19], s[4:5], 0x0
	s_load_dword s20, s[4:5], 0x68
	s_load_dwordx4 s[8:11], s[4:5], 0x50
	s_waitcnt lgkmcnt(0)
	v_cmp_neq_f64_e64 s2, s[16:17], 0
	s_ashr_i32 s24, s19, 31
	s_mul_hi_u32 s0, s19, s7
	s_mul_i32 s1, s24, s7
	s_mul_i32 s3, s19, s7
	s_add_i32 s0, s0, s1
	s_mul_hi_u32 s1, s3, s20
	s_mul_i32 s21, s0, s20
	s_mul_i32 s0, s3, s20
	s_add_i32 s1, s1, s21
	s_mov_b32 s21, 0
	s_lshl_b64 s[0:1], s[0:1], 3
	s_add_u32 s39, s10, s0
	v_cmp_eq_u32_e64 s0, 0, v0
	s_addc_u32 s38, s11, s1
	s_and_b32 vcc_lo, exec_lo, s2
	s_cbranch_vccnz .LBB70_5
; %bb.1:
	s_cmp_gt_i32 s19, 0
	s_cselect_b32 s1, -1, 0
	s_and_b32 s0, s0, s1
	s_and_saveexec_b32 s10, s0
	s_cbranch_execz .LBB70_4
; %bb.2:
	v_mov_b32_e32 v1, 0
	s_mov_b32 s0, s7
	s_mov_b32 s7, 0
	;; [unrolled: 1-line block ×3, first 2 shown]
	s_lshl_b64 s[2:3], s[6:7], 3
	v_mov_b32_e32 v2, v1
	s_mov_b32 s7, s0
	s_add_u32 s0, s39, s2
	s_addc_u32 s1, s38, s3
	s_lshl_b64 s[2:3], s[20:21], 3
.LBB70_3:                               ; =>This Inner Loop Header: Depth=1
	s_add_i32 s11, s11, -1
	global_store_dwordx2 v1, v[1:2], s[0:1]
	s_add_u32 s0, s0, s2
	s_addc_u32 s1, s1, s3
	s_cmp_eq_u32 s11, 0
	s_cbranch_scc0 .LBB70_3
.LBB70_4:
	s_or_b32 exec_lo, exec_lo, s10
	s_cbranch_execz .LBB70_6
	s_branch .LBB70_58
.LBB70_5:
.LBB70_6:
	s_clause 0x1
	s_load_dwordx4 s[0:3], s[4:5], 0x30
	s_load_dwordx2 s[10:11], s[4:5], 0x40
	s_mul_i32 s9, s9, s7
	s_mul_hi_u32 s21, s8, s7
	s_mul_i32 s8, s8, s7
	s_add_i32 s9, s21, s9
	s_load_dword s21, s[4:5], 0x48
	s_lshl_b64 s[8:9], s[8:9], 3
	v_and_b32_e32 v20, 31, v0
	v_mbcnt_lo_u32_b32 v38, -1, 0
	v_lshrrev_b32_e32 v39, 2, v0
	s_waitcnt lgkmcnt(0)
	s_add_u32 s8, s2, s8
	s_addc_u32 s9, s3, s9
	s_lshl_b64 s[2:3], s[10:11], 3
	s_mul_i32 s1, s1, s7
	s_mul_hi_u32 s22, s0, s7
	s_add_u32 s33, s8, s2
	s_mul_i32 s0, s0, s7
	s_addc_u32 s36, s9, s3
	s_add_i32 s1, s22, s1
	s_load_dword s10, s[4:5], 0x28
	s_lshl_b64 s[22:23], s[0:1], 3
	v_cmp_gt_u32_e64 s0, 32, v0
	s_add_u32 s1, s12, s22
	s_addc_u32 s2, s13, s23
	s_lshl_b64 s[14:15], s[14:15], 3
	s_add_u32 s3, s1, s14
	s_addc_u32 s2, s2, s15
	s_lshl_b32 s1, s6, 10
	s_ashr_i32 s4, s18, 31
	v_lshl_or_b32 v1, v0, 2, s1
	s_lshr_b32 s4, s4, 30
	s_lshr_b32 s5, s24, 30
	s_add_i32 s4, s18, s4
	s_add_i32 s5, s19, s5
	v_ashrrev_i32_e32 v2, 31, v1
	s_and_b32 s4, s4, -4
	v_mul_lo_u32 v19, s21, v1
	s_sub_i32 s37, s18, s4
	v_cmp_gt_u32_e64 s1, 8, v0
	v_lshlrev_b64 v[21:22], 3, v[1:2]
	v_add_nc_u32_e32 v40, 4, v1
	v_add_nc_u32_e32 v41, s37, v1
	s_and_b32 s40, s5, -4
	s_cmp_lt_i32 s40, 1
	v_add_co_u32 v36, vcc_lo, s3, v21
	v_add_co_ci_u32_e64 v37, null, s2, v22, vcc_lo
	s_cbranch_scc1 .LBB70_33
; %bb.7:
	v_cmp_gt_u32_e32 vcc_lo, 24, v38
	v_mul_lo_u32 v23, s21, v1
	v_mov_b32_e32 v9, 0
	s_cmp_gt_i32 s37, 0
	s_mov_b32 s25, 0
	v_cndmask_b32_e64 v2, 0, 8, vcc_lo
	v_cmp_gt_u32_e32 vcc_lo, 28, v38
	s_cselect_b32 s41, -1, 0
	s_waitcnt lgkmcnt(0)
	s_lshl_b32 s42, s10, 2
	v_ashrrev_i32_e32 v24, 31, v23
	v_add_lshl_u32 v43, v2, v38, 2
	v_cndmask_b32_e64 v3, 0, 4, vcc_lo
	v_cmp_gt_u32_e32 vcc_lo, 30, v38
	s_lshl_b32 s24, s10, 1
	v_lshlrev_b64 v[5:6], 3, v[23:24]
	s_add_u32 s7, s22, s14
	v_add_lshl_u32 v44, v3, v38, 2
	v_cndmask_b32_e64 v1, 0, 2, vcc_lo
	v_cmp_ne_u32_e32 vcc_lo, 31, v38
	s_addc_u32 s8, s23, s15
	v_mov_b32_e32 v10, v9
	v_mov_b32_e32 v11, v9
	v_add_lshl_u32 v45, v1, v38, 2
	v_add_nc_u32_e32 v1, s21, v23
	v_add_co_ci_u32_e64 v4, null, 0, v38, vcc_lo
	v_add_co_u32 v24, vcc_lo, s33, v5
	v_add_nc_u32_e32 v3, s21, v1
	v_ashrrev_i32_e32 v2, 31, v1
	v_lshlrev_b32_e32 v46, 2, v4
	v_add_co_ci_u32_e64 v25, null, s36, v6, vcc_lo
	v_add_nc_u32_e32 v7, s21, v3
	v_lshlrev_b64 v[1:2], 3, v[1:2]
	v_ashrrev_i32_e32 v4, 31, v3
	v_mov_b32_e32 v12, v9
	v_mov_b32_e32 v13, v9
	v_ashrrev_i32_e32 v8, 31, v7
	v_mov_b32_e32 v14, v9
	v_lshlrev_b64 v[3:4], 3, v[3:4]
	v_add_co_u32 v26, vcc_lo, s33, v1
	v_add_co_ci_u32_e64 v27, null, s36, v2, vcc_lo
	v_lshlrev_b64 v[1:2], 3, v[7:8]
	v_add_co_u32 v28, vcc_lo, s33, v3
	v_mov_b32_e32 v15, v9
	v_mov_b32_e32 v16, v9
	v_add_co_ci_u32_e64 v29, null, s36, v4, vcc_lo
	v_add_co_u32 v30, vcc_lo, s33, v1
	s_add_u32 s7, s12, s7
	v_add_co_ci_u32_e64 v31, null, s36, v2, vcc_lo
	s_addc_u32 s8, s13, s8
	v_add_co_u32 v49, vcc_lo, s7, v21
	v_mov_b32_e32 v1, v9
	v_cmp_ge_i32_e64 s2, s18, v40
	v_cmp_ge_i32_e64 s3, s18, v41
	v_lshl_or_b32 v42, v38, 2, 64
	v_cmp_eq_u32_e64 s4, 0, v20
	v_lshlrev_b32_e32 v47, 3, v20
	v_and_b32_e32 v48, 56, v39
	v_cmp_eq_u32_e64 s5, 0, v0
	v_add_co_ci_u32_e64 v50, null, s8, v22, vcc_lo
	v_mov_b32_e32 v2, v10
	v_mov_b32_e32 v3, v11
	;; [unrolled: 1-line block ×7, first 2 shown]
	s_mov_b32 s11, s25
	s_mul_i32 s43, s10, 3
	s_mov_b32 s44, s25
	s_mov_b32 s26, s25
	s_mov_b64 s[28:29], s[24:25]
	s_mov_b64 s[30:31], s[10:11]
	s_mov_b32 s11, 0
	s_branch .LBB70_9
.LBB70_8:                               ;   in Loop: Header=BB70_9 Depth=1
	s_or_b32 exec_lo, exec_lo, s7
	s_add_i32 s11, s11, 4
	s_add_u32 s30, s30, s42
	s_addc_u32 s31, s31, 0
	s_add_u32 s28, s28, s42
	s_addc_u32 s29, s29, 0
	;; [unrolled: 2-line block ×3, first 2 shown]
	s_add_i32 s26, s26, s42
	s_cmp_ge_i32 s11, s40
	s_cbranch_scc1 .LBB70_34
.LBB70_9:                               ; =>This Loop Header: Depth=1
                                        ;     Child Loop BB70_15 Depth 2
                                        ;     Child Loop BB70_18 Depth 2
	;; [unrolled: 1-line block ×3, first 2 shown]
                                        ; implicit-def: $vgpr11_vgpr12_vgpr13_vgpr14_vgpr15_vgpr16_vgpr17_vgpr18
	s_and_saveexec_b32 s7, s2
	s_xor_b32 s7, exec_lo, s7
	s_cbranch_execz .LBB70_11
; %bb.10:                               ;   in Loop: Header=BB70_9 Depth=1
	s_mul_i32 s8, s11, s10
	s_ashr_i32 s9, s8, 31
	s_add_i32 s34, s8, s10
	s_lshl_b64 s[8:9], s[8:9], 3
	s_ashr_i32 s35, s34, 31
	v_add_co_u32 v5, vcc_lo, v36, s8
	v_add_co_ci_u32_e64 v6, null, s9, v37, vcc_lo
	s_lshl_b64 s[8:9], s[34:35], 3
	s_add_i32 s34, s34, s10
	v_add_co_u32 v7, vcc_lo, v36, s8
	s_ashr_i32 s35, s34, 31
	s_add_i32 s8, s34, s10
	v_add_co_ci_u32_e64 v8, null, s9, v37, vcc_lo
	s_lshl_b64 s[34:35], s[34:35], 3
	s_ashr_i32 s9, s8, 31
	v_add_co_u32 v63, vcc_lo, v36, s34
	s_lshl_b64 s[8:9], s[8:9], 3
	v_add_co_ci_u32_e64 v64, null, s35, v37, vcc_lo
	v_add_co_u32 v67, vcc_lo, v36, s8
	v_add_co_ci_u32_e64 v68, null, s9, v37, vcc_lo
	global_load_dwordx2 v[1:2], v[24:25], off
	s_clause 0x3
	global_load_dwordx4 v[10:13], v[5:6], off
	global_load_dwordx4 v[14:17], v[7:8], off
	;; [unrolled: 1-line block ×4, first 2 shown]
	global_load_dwordx2 v[3:4], v[26:27], off
	global_load_dwordx4 v[55:58], v[5:6], off offset:16
	global_load_dwordx2 v[5:6], v[28:29], off
	s_clause 0x2
	global_load_dwordx4 v[59:62], v[7:8], off offset:16
	global_load_dwordx4 v[63:66], v[63:64], off offset:16
	;; [unrolled: 1-line block ×3, first 2 shown]
	global_load_dwordx2 v[7:8], v[30:31], off
	s_waitcnt vmcnt(10)
	v_fma_f64 v[10:11], v[1:2], v[10:11], 0
	s_waitcnt vmcnt(9)
	v_fma_f64 v[14:15], v[1:2], v[14:15], 0
	;; [unrolled: 2-line block ×5, first 2 shown]
	v_fma_f64 v[12:13], v[3:4], v[16:17], v[14:15]
	v_fma_f64 v[14:15], v[3:4], v[34:35], v[32:33]
	;; [unrolled: 1-line block ×3, first 2 shown]
	s_waitcnt vmcnt(4)
	v_fma_f64 v[10:11], v[5:6], v[55:56], v[10:11]
	s_waitcnt vmcnt(3)
	v_fma_f64 v[32:33], v[5:6], v[59:60], v[12:13]
	;; [unrolled: 2-line block ×5, first 2 shown]
	v_fma_f64 v[13:14], v[7:8], v[61:62], v[32:33]
	v_fma_f64 v[15:16], v[7:8], v[65:66], v[34:35]
	;; [unrolled: 1-line block ×3, first 2 shown]
.LBB70_11:                              ;   in Loop: Header=BB70_9 Depth=1
	s_andn2_saveexec_b32 s24, s7
	s_cbranch_execz .LBB70_21
; %bb.12:                               ;   in Loop: Header=BB70_9 Depth=1
	v_mov_b32_e32 v16, v9
	v_mov_b32_e32 v10, v9
	;; [unrolled: 1-line block ×15, first 2 shown]
	s_and_saveexec_b32 s45, s3
	s_cbranch_execz .LBB70_20
; %bb.13:                               ;   in Loop: Header=BB70_9 Depth=1
	s_andn2_b32 vcc_lo, exec_lo, s41
	s_cbranch_vccnz .LBB70_16
; %bb.14:                               ;   in Loop: Header=BB70_9 Depth=1
	v_mov_b32_e32 v10, v23
	s_mov_b64 s[34:35], 0
	s_inst_prefetch 0x1
	.p2align	6
.LBB70_15:                              ;   Parent Loop BB70_9 Depth=1
                                        ; =>  This Inner Loop Header: Depth=2
	v_ashrrev_i32_e32 v11, 31, v10
	s_cmp_eq_u32 s34, 3
	v_lshlrev_b64 v[11:12], 3, v[10:11]
	v_add_nc_u32_e32 v10, s21, v10
	v_add_co_u32 v11, vcc_lo, s33, v11
	v_add_co_ci_u32_e64 v12, null, s36, v12, vcc_lo
	s_cselect_b32 vcc_lo, -1, 0
	s_cmp_eq_u32 s34, 2
	s_cselect_b32 s7, -1, 0
	global_load_dwordx2 v[11:12], v[11:12], off
	s_cmp_eq_u32 s34, 1
	s_cselect_b32 s8, -1, 0
	s_cmp_eq_u32 s34, 0
	s_cselect_b32 s9, -1, 0
	s_add_u32 s34, s34, 1
	s_addc_u32 s35, s35, 0
	s_cmp_eq_u32 s37, s34
	s_waitcnt vmcnt(0)
	v_cndmask_b32_e32 v8, v8, v12, vcc_lo
	v_cndmask_b32_e32 v7, v7, v11, vcc_lo
	v_cndmask_b32_e64 v6, v6, v12, s7
	v_cndmask_b32_e64 v5, v5, v11, s7
	;; [unrolled: 1-line block ×6, first 2 shown]
	s_cbranch_scc0 .LBB70_15
.LBB70_16:                              ;   in Loop: Header=BB70_9 Depth=1
	s_inst_prefetch 0x2
	s_andn2_b32 vcc_lo, exec_lo, s41
	s_cbranch_vccnz .LBB70_19
; %bb.17:                               ;   in Loop: Header=BB70_9 Depth=1
	s_ashr_i32 s27, s26, 31
	v_mov_b32_e32 v11, 0
	s_lshl_b64 s[8:9], s[26:27], 3
	v_mov_b32_e32 v13, 0
	v_add_co_u32 v32, vcc_lo, v49, s8
	v_mov_b32_e32 v15, 0
	v_mov_b32_e32 v17, 0
	;; [unrolled: 1-line block ×6, first 2 shown]
	v_add_co_ci_u32_e64 v33, null, s9, v50, vcc_lo
	s_mov_b64 s[34:35], 0
.LBB70_18:                              ;   Parent Loop BB70_9 Depth=1
                                        ; =>  This Inner Loop Header: Depth=2
	s_cmp_eq_u32 s34, 1
	s_cselect_b32 vcc_lo, -1, 0
	s_cmp_eq_u32 s34, 2
	v_cndmask_b32_e32 v10, v2, v4, vcc_lo
	s_cselect_b32 s7, -1, 0
	s_cmp_eq_u32 s34, 3
	v_cndmask_b32_e32 v57, v1, v3, vcc_lo
	s_cselect_b32 s8, -1, 0
	s_add_i32 s46, s30, s34
	s_add_i32 s48, s28, s34
	s_ashr_i32 s47, s46, 31
	s_add_i32 s50, s43, s34
	s_ashr_i32 s49, s48, 31
	s_lshl_b64 s[46:47], s[46:47], 3
	s_ashr_i32 s51, s50, 31
	s_lshl_b64 s[48:49], s[48:49], 3
	v_add_co_u32 v34, s9, v36, s46
	s_lshl_b64 s[50:51], s[50:51], 3
	v_add_co_ci_u32_e64 v35, null, s47, v37, s9
	v_add_co_u32 v51, s9, v36, s48
	v_add_co_ci_u32_e64 v52, null, s49, v37, s9
	v_add_co_u32 v53, s9, v36, s50
	v_add_co_ci_u32_e64 v54, null, s51, v37, s9
	global_load_dwordx2 v[55:56], v[32:33], off
	s_clause 0x2
	global_load_dwordx2 v[34:35], v[34:35], off
	global_load_dwordx2 v[51:52], v[51:52], off
	;; [unrolled: 1-line block ×3, first 2 shown]
	v_cndmask_b32_e64 v10, v10, v6, s7
	v_cndmask_b32_e64 v57, v57, v5, s7
	v_add_co_u32 v32, vcc_lo, v32, 8
	v_add_co_ci_u32_e64 v33, null, 0, v33, vcc_lo
	v_cndmask_b32_e64 v58, v10, v8, s8
	v_cndmask_b32_e64 v57, v57, v7, s8
	s_add_u32 s34, s34, 1
	s_addc_u32 s35, s35, 0
	s_cmp_lg_u32 s37, s34
	s_waitcnt vmcnt(3)
	v_fma_f64 v[11:12], v[57:58], v[55:56], v[11:12]
	s_waitcnt vmcnt(2)
	v_fma_f64 v[13:14], v[57:58], v[34:35], v[13:14]
	;; [unrolled: 2-line block ×4, first 2 shown]
	s_cbranch_scc1 .LBB70_18
	s_branch .LBB70_20
.LBB70_19:                              ;   in Loop: Header=BB70_9 Depth=1
	v_mov_b32_e32 v16, v9
	v_mov_b32_e32 v10, v9
	;; [unrolled: 1-line block ×15, first 2 shown]
.LBB70_20:                              ;   in Loop: Header=BB70_9 Depth=1
	s_or_b32 exec_lo, exec_lo, s45
.LBB70_21:                              ;   in Loop: Header=BB70_9 Depth=1
	s_or_b32 exec_lo, exec_lo, s24
	s_mov_b64 s[8:9], 0
	s_branch .LBB70_23
.LBB70_22:                              ;   in Loop: Header=BB70_23 Depth=2
	s_or_b32 exec_lo, exec_lo, s7
	s_cmp_eq_u32 s8, 3
	s_cselect_b32 vcc_lo, -1, 0
	s_cmp_eq_u32 s8, 2
	s_waitcnt lgkmcnt(0)
	v_cndmask_b32_e32 v18, v18, v33, vcc_lo
	v_cndmask_b32_e32 v17, v17, v32, vcc_lo
	s_cselect_b32 vcc_lo, -1, 0
	s_cmp_eq_u32 s8, 1
	v_cndmask_b32_e32 v16, v16, v33, vcc_lo
	v_cndmask_b32_e32 v15, v15, v32, vcc_lo
	s_cselect_b32 vcc_lo, -1, 0
	s_cmp_eq_u32 s8, 0
	v_cndmask_b32_e32 v14, v14, v33, vcc_lo
	v_cndmask_b32_e32 v13, v13, v32, vcc_lo
	s_cselect_b32 vcc_lo, -1, 0
	s_add_u32 s8, s8, 1
	v_cndmask_b32_e32 v12, v12, v33, vcc_lo
	v_cndmask_b32_e32 v11, v11, v32, vcc_lo
	s_addc_u32 s9, s9, 0
	s_cmp_eq_u32 s8, 4
	s_cbranch_scc1 .LBB70_31
.LBB70_23:                              ;   Parent Loop BB70_9 Depth=1
                                        ; =>  This Inner Loop Header: Depth=2
	s_and_saveexec_b32 s7, s0
; %bb.24:                               ;   in Loop: Header=BB70_23 Depth=2
	v_mov_b32_e32 v10, v9
	ds_write_b64 v47, v[9:10]
; %bb.25:                               ;   in Loop: Header=BB70_23 Depth=2
	s_or_b32 exec_lo, exec_lo, s7
	s_cmp_eq_u32 s8, 1
	s_waitcnt lgkmcnt(0)
	s_waitcnt_vscnt null, 0x0
	s_cselect_b32 vcc_lo, -1, 0
	s_cmp_eq_u32 s8, 2
	v_cndmask_b32_e32 v10, v12, v14, vcc_lo
	v_cndmask_b32_e32 v32, v11, v13, vcc_lo
	s_cselect_b32 vcc_lo, -1, 0
	s_cmp_eq_u32 s8, 3
	s_barrier
	v_cndmask_b32_e32 v10, v10, v16, vcc_lo
	v_cndmask_b32_e32 v32, v32, v15, vcc_lo
	s_cselect_b32 vcc_lo, -1, 0
	buffer_gl0_inv
	v_cndmask_b32_e32 v33, v10, v18, vcc_lo
	v_cndmask_b32_e32 v32, v32, v17, vcc_lo
	ds_bpermute_b32 v35, v42, v33
	ds_bpermute_b32 v34, v42, v32
	s_waitcnt lgkmcnt(0)
	v_add_f64 v[32:33], v[32:33], v[34:35]
	ds_bpermute_b32 v34, v43, v32
	ds_bpermute_b32 v35, v43, v33
	s_waitcnt lgkmcnt(0)
	v_add_f64 v[32:33], v[32:33], v[34:35]
	;; [unrolled: 4-line block ×4, first 2 shown]
	ds_bpermute_b32 v34, v46, v32
	ds_bpermute_b32 v35, v46, v33
	s_and_saveexec_b32 s7, s4
	s_cbranch_execz .LBB70_27
; %bb.26:                               ;   in Loop: Header=BB70_23 Depth=2
	s_waitcnt lgkmcnt(0)
	v_add_f64 v[32:33], v[32:33], v[34:35]
	ds_write_b64 v48, v[32:33]
.LBB70_27:                              ;   in Loop: Header=BB70_23 Depth=2
	s_or_b32 exec_lo, exec_lo, s7
	v_mov_b32_e32 v32, 0
	v_mov_b32_e32 v33, 0
	s_waitcnt lgkmcnt(0)
	s_barrier
	buffer_gl0_inv
	s_and_saveexec_b32 s7, s1
; %bb.28:                               ;   in Loop: Header=BB70_23 Depth=2
	ds_read_b64 v[32:33], v47
; %bb.29:                               ;   in Loop: Header=BB70_23 Depth=2
	s_or_b32 exec_lo, exec_lo, s7
	s_and_saveexec_b32 s7, s0
	s_cbranch_execz .LBB70_22
; %bb.30:                               ;   in Loop: Header=BB70_23 Depth=2
	s_waitcnt lgkmcnt(0)
	ds_bpermute_b32 v34, v44, v32
	ds_bpermute_b32 v35, v44, v33
	s_waitcnt lgkmcnt(0)
	v_add_f64 v[32:33], v[32:33], v[34:35]
	ds_bpermute_b32 v34, v45, v32
	ds_bpermute_b32 v35, v45, v33
	s_waitcnt lgkmcnt(0)
	v_add_f64 v[32:33], v[32:33], v[34:35]
	;; [unrolled: 4-line block ×3, first 2 shown]
	s_branch .LBB70_22
.LBB70_31:                              ;   in Loop: Header=BB70_9 Depth=1
	s_and_saveexec_b32 s7, s5
	s_cbranch_execz .LBB70_8
; %bb.32:                               ;   in Loop: Header=BB70_9 Depth=1
	s_mul_i32 s8, s11, s20
	v_mul_f64 v[10:11], s[16:17], v[11:12]
	v_mul_f64 v[12:13], s[16:17], v[13:14]
	;; [unrolled: 1-line block ×3, first 2 shown]
	s_add_i32 s24, s8, s6
	v_mul_f64 v[16:17], s[16:17], v[17:18]
	s_lshl_b64 s[8:9], s[24:25], 3
	s_add_u32 s8, s39, s8
	s_addc_u32 s9, s38, s9
	s_add_i32 s24, s24, s20
	s_lshl_b64 s[34:35], s[24:25], 3
	s_add_u32 s34, s39, s34
	s_addc_u32 s35, s38, s35
	s_add_i32 s24, s24, s20
	global_store_dwordx2 v9, v[10:11], s[8:9]
	global_store_dwordx2 v9, v[12:13], s[34:35]
	s_lshl_b64 s[46:47], s[24:25], 3
	s_add_u32 s46, s39, s46
	s_addc_u32 s47, s38, s47
	s_add_i32 s24, s24, s20
	s_lshl_b64 s[48:49], s[24:25], 3
	s_add_u32 s48, s39, s48
	s_addc_u32 s49, s38, s49
	global_store_dwordx2 v9, v[14:15], s[46:47]
	global_store_dwordx2 v9, v[16:17], s[48:49]
	s_branch .LBB70_8
.LBB70_33:
	v_mov_b32_e32 v1, 0
	s_mov_b32 s11, 0
	v_mov_b32_e32 v2, v1
	v_mov_b32_e32 v3, v1
	;; [unrolled: 1-line block ×7, first 2 shown]
.LBB70_34:
	s_cmp_ge_i32 s11, s19
	s_cbranch_scc1 .LBB70_58
; %bb.35:
	v_cmp_gt_u32_e32 vcc_lo, 24, v38
	v_lshlrev_b32_e32 v24, 3, v20
	v_cmp_eq_u32_e64 s3, 0, v20
	v_ashrrev_i32_e32 v20, 31, v19
	s_cmp_gt_i32 s37, 0
	v_cndmask_b32_e64 v9, 0, 8, vcc_lo
	v_cmp_gt_u32_e32 vcc_lo, 28, v38
	s_mov_b32 s7, 0
	v_lshlrev_b64 v[13:14], 3, v[19:20]
	v_cmp_ge_i32_e64 s0, s18, v40
	v_add_lshl_u32 v26, v9, v38, 2
	v_cndmask_b32_e64 v10, 0, 4, vcc_lo
	v_cmp_gt_u32_e32 vcc_lo, 30, v38
	v_add_nc_u32_e32 v9, s21, v19
	v_cmp_ge_i32_e64 s1, s18, v41
	s_cselect_b32 s18, -1, 0
	v_add_lshl_u32 v27, v10, v38, 2
	v_cndmask_b32_e64 v11, 0, 2, vcc_lo
	v_cmp_ne_u32_e32 vcc_lo, 31, v38
	v_ashrrev_i32_e32 v10, 31, v9
	s_lshl_b64 s[8:9], s[6:7], 3
	v_cmp_gt_u32_e64 s2, 32, v0
	v_add_lshl_u32 v28, v11, v38, 2
	v_add_nc_u32_e32 v11, s21, v9
	v_add_co_ci_u32_e64 v12, null, 0, v38, vcc_lo
	v_lshlrev_b64 v[15:16], 3, v[9:10]
	v_add_co_u32 v9, vcc_lo, s33, v13
	v_add_nc_u32_e32 v17, s21, v11
	v_lshlrev_b32_e32 v29, 2, v12
	v_ashrrev_i32_e32 v12, 31, v11
	v_add_co_ci_u32_e64 v10, null, s36, v14, vcc_lo
	v_ashrrev_i32_e32 v18, 31, v17
	s_add_u32 s24, s39, s8
	v_lshlrev_b64 v[13:14], 3, v[11:12]
	v_add_co_u32 v11, vcc_lo, s33, v15
	v_add_co_ci_u32_e64 v12, null, s36, v16, vcc_lo
	v_lshlrev_b64 v[15:16], 3, v[17:18]
	s_addc_u32 s25, s38, s9
	v_add_co_u32 v13, vcc_lo, s33, v13
	s_add_u32 s6, s22, s14
	s_addc_u32 s8, s23, s15
	v_add_co_ci_u32_e64 v14, null, s36, v14, vcc_lo
	v_add_co_u32 v15, vcc_lo, s33, v15
	s_add_u32 s6, s12, s6
	v_cmp_gt_u32_e64 s4, 8, v0
	v_cmp_eq_u32_e64 s5, 0, v0
	v_add_co_ci_u32_e64 v16, null, s36, v16, vcc_lo
	s_addc_u32 s8, s13, s8
	v_add_co_u32 v0, vcc_lo, s6, v21
	v_lshl_or_b32 v25, v38, 2, 64
	v_and_b32_e32 v30, 56, v39
	v_add_co_ci_u32_e64 v31, null, s8, v22, vcc_lo
	v_mov_b32_e32 v17, 0
	s_waitcnt lgkmcnt(0)
	s_mul_i32 s12, s11, s10
	s_branch .LBB70_37
.LBB70_36:                              ;   in Loop: Header=BB70_37 Depth=1
	s_or_b32 exec_lo, exec_lo, s6
	s_add_i32 s11, s11, 1
	s_add_i32 s12, s12, s10
	s_cmp_ge_i32 s11, s19
	s_cbranch_scc1 .LBB70_58
.LBB70_37:                              ; =>This Loop Header: Depth=1
                                        ;     Child Loop BB70_50 Depth 2
                                        ;     Child Loop BB70_53 Depth 2
	s_waitcnt lgkmcnt(0)
	v_mov_b32_e32 v20, s7
	v_mov_b32_e32 v21, s7
	s_and_saveexec_b32 s6, s0
	s_xor_b32 s6, exec_lo, s6
	s_cbranch_execnz .LBB70_46
; %bb.38:                               ;   in Loop: Header=BB70_37 Depth=1
	s_andn2_saveexec_b32 s22, s6
	s_cbranch_execnz .LBB70_47
.LBB70_39:                              ;   in Loop: Header=BB70_37 Depth=1
	s_or_b32 exec_lo, exec_lo, s22
	s_and_saveexec_b32 s6, s2
.LBB70_40:                              ;   in Loop: Header=BB70_37 Depth=1
	v_mov_b32_e32 v18, v17
	ds_write_b64 v24, v[17:18]
.LBB70_41:                              ;   in Loop: Header=BB70_37 Depth=1
	s_or_b32 exec_lo, exec_lo, s6
	ds_bpermute_b32 v22, v25, v20
	ds_bpermute_b32 v23, v25, v21
	s_waitcnt lgkmcnt(0)
	s_waitcnt_vscnt null, 0x0
	s_barrier
	buffer_gl0_inv
	v_add_f64 v[20:21], v[20:21], v[22:23]
	ds_bpermute_b32 v22, v26, v20
	ds_bpermute_b32 v23, v26, v21
	s_waitcnt lgkmcnt(0)
	v_add_f64 v[20:21], v[20:21], v[22:23]
	ds_bpermute_b32 v22, v27, v20
	ds_bpermute_b32 v23, v27, v21
	s_waitcnt lgkmcnt(0)
	;; [unrolled: 4-line block ×3, first 2 shown]
	v_add_f64 v[20:21], v[20:21], v[22:23]
	ds_bpermute_b32 v22, v29, v20
	ds_bpermute_b32 v23, v29, v21
	s_and_saveexec_b32 s6, s3
	s_cbranch_execz .LBB70_43
; %bb.42:                               ;   in Loop: Header=BB70_37 Depth=1
	s_waitcnt lgkmcnt(0)
	v_add_f64 v[20:21], v[20:21], v[22:23]
	ds_write_b64 v30, v[20:21]
.LBB70_43:                              ;   in Loop: Header=BB70_37 Depth=1
	s_or_b32 exec_lo, exec_lo, s6
	v_mov_b32_e32 v20, 0
	v_mov_b32_e32 v21, 0
	s_waitcnt lgkmcnt(0)
	s_barrier
	buffer_gl0_inv
	s_and_saveexec_b32 s6, s4
	s_cbranch_execnz .LBB70_55
; %bb.44:                               ;   in Loop: Header=BB70_37 Depth=1
	s_or_b32 exec_lo, exec_lo, s6
	s_and_saveexec_b32 s6, s2
	s_cbranch_execnz .LBB70_56
.LBB70_45:                              ;   in Loop: Header=BB70_37 Depth=1
	s_or_b32 exec_lo, exec_lo, s6
	s_and_saveexec_b32 s6, s5
	s_cbranch_execz .LBB70_36
	s_branch .LBB70_57
.LBB70_46:                              ;   in Loop: Header=BB70_37 Depth=1
	s_mul_i32 s8, s11, s10
	s_ashr_i32 s9, s8, 31
	s_lshl_b64 s[8:9], s[8:9], 3
	v_add_co_u32 v5, vcc_lo, v36, s8
	v_add_co_ci_u32_e64 v6, null, s9, v37, vcc_lo
	global_load_dwordx4 v[20:23], v[5:6], off
	s_clause 0x1
	global_load_dwordx2 v[1:2], v[9:10], off
	global_load_dwordx2 v[3:4], v[11:12], off
	global_load_dwordx4 v[32:35], v[5:6], off offset:16
	s_clause 0x1
	global_load_dwordx2 v[5:6], v[13:14], off
	global_load_dwordx2 v[7:8], v[15:16], off
	s_waitcnt vmcnt(4)
	v_fma_f64 v[20:21], v[1:2], v[20:21], 0
	s_waitcnt vmcnt(3)
	v_fma_f64 v[20:21], v[3:4], v[22:23], v[20:21]
	;; [unrolled: 2-line block ×4, first 2 shown]
	s_andn2_saveexec_b32 s22, s6
	s_cbranch_execz .LBB70_39
.LBB70_47:                              ;   in Loop: Header=BB70_37 Depth=1
	s_and_saveexec_b32 s23, s1
	s_cbranch_execz .LBB70_54
; %bb.48:                               ;   in Loop: Header=BB70_37 Depth=1
	s_andn2_b32 vcc_lo, exec_lo, s18
	s_cbranch_vccnz .LBB70_51
; %bb.49:                               ;   in Loop: Header=BB70_37 Depth=1
	v_mov_b32_e32 v22, v19
	s_mov_b64 s[14:15], 0
	s_inst_prefetch 0x1
	.p2align	6
.LBB70_50:                              ;   Parent Loop BB70_37 Depth=1
                                        ; =>  This Inner Loop Header: Depth=2
	v_ashrrev_i32_e32 v23, 31, v22
	s_cmp_eq_u32 s14, 3
	v_lshlrev_b64 v[32:33], 3, v[22:23]
	v_add_nc_u32_e32 v22, s21, v22
	v_add_co_u32 v32, vcc_lo, s33, v32
	v_add_co_ci_u32_e64 v33, null, s36, v33, vcc_lo
	s_cselect_b32 vcc_lo, -1, 0
	s_cmp_eq_u32 s14, 2
	s_cselect_b32 s6, -1, 0
	global_load_dwordx2 v[32:33], v[32:33], off
	s_cmp_eq_u32 s14, 1
	s_cselect_b32 s8, -1, 0
	s_cmp_eq_u32 s14, 0
	s_cselect_b32 s9, -1, 0
	s_add_u32 s14, s14, 1
	s_addc_u32 s15, s15, 0
	s_cmp_eq_u32 s37, s14
	s_waitcnt vmcnt(0)
	v_cndmask_b32_e32 v8, v8, v33, vcc_lo
	v_cndmask_b32_e32 v7, v7, v32, vcc_lo
	v_cndmask_b32_e64 v6, v6, v33, s6
	v_cndmask_b32_e64 v5, v5, v32, s6
	;; [unrolled: 1-line block ×6, first 2 shown]
	s_cbranch_scc0 .LBB70_50
.LBB70_51:                              ;   in Loop: Header=BB70_37 Depth=1
	s_inst_prefetch 0x2
	s_andn2_b32 vcc_lo, exec_lo, s18
	s_cbranch_vccnz .LBB70_54
; %bb.52:                               ;   in Loop: Header=BB70_37 Depth=1
	s_ashr_i32 s13, s12, 31
	s_lshl_b64 s[8:9], s[12:13], 3
	v_add_co_u32 v22, vcc_lo, v0, s8
	v_add_co_ci_u32_e64 v23, null, s9, v31, vcc_lo
	s_mov_b64 s[8:9], 0
	.p2align	6
.LBB70_53:                              ;   Parent Loop BB70_37 Depth=1
                                        ; =>  This Inner Loop Header: Depth=2
	global_load_dwordx2 v[32:33], v[22:23], off
	s_cmp_eq_u32 s8, 1
	s_cselect_b32 vcc_lo, -1, 0
	s_cmp_eq_u32 s8, 2
	v_cndmask_b32_e32 v18, v2, v4, vcc_lo
	v_cndmask_b32_e32 v34, v1, v3, vcc_lo
	s_cselect_b32 vcc_lo, -1, 0
	s_cmp_eq_u32 s8, 3
	v_cndmask_b32_e32 v18, v18, v6, vcc_lo
	v_cndmask_b32_e32 v34, v34, v5, vcc_lo
	s_cselect_b32 vcc_lo, -1, 0
	s_add_u32 s8, s8, 1
	s_addc_u32 s9, s9, 0
	v_cndmask_b32_e32 v35, v18, v8, vcc_lo
	v_cndmask_b32_e32 v34, v34, v7, vcc_lo
	v_add_co_u32 v22, vcc_lo, v22, 8
	v_add_co_ci_u32_e64 v23, null, 0, v23, vcc_lo
	s_cmp_lg_u32 s37, s8
	s_waitcnt vmcnt(0)
	v_fma_f64 v[20:21], v[34:35], v[32:33], v[20:21]
	s_cbranch_scc1 .LBB70_53
.LBB70_54:                              ;   in Loop: Header=BB70_37 Depth=1
	s_or_b32 exec_lo, exec_lo, s23
	s_or_b32 exec_lo, exec_lo, s22
	s_and_saveexec_b32 s6, s2
	s_cbranch_execnz .LBB70_40
	s_branch .LBB70_41
.LBB70_55:                              ;   in Loop: Header=BB70_37 Depth=1
	ds_read_b64 v[20:21], v24
	s_or_b32 exec_lo, exec_lo, s6
	s_and_saveexec_b32 s6, s2
	s_cbranch_execz .LBB70_45
.LBB70_56:                              ;   in Loop: Header=BB70_37 Depth=1
	s_waitcnt lgkmcnt(0)
	ds_bpermute_b32 v22, v27, v20
	ds_bpermute_b32 v23, v27, v21
	s_waitcnt lgkmcnt(0)
	v_add_f64 v[20:21], v[20:21], v[22:23]
	ds_bpermute_b32 v22, v28, v20
	ds_bpermute_b32 v23, v28, v21
	s_waitcnt lgkmcnt(0)
	v_add_f64 v[20:21], v[20:21], v[22:23]
	;; [unrolled: 4-line block ×3, first 2 shown]
	s_or_b32 exec_lo, exec_lo, s6
	s_and_saveexec_b32 s6, s5
	s_cbranch_execz .LBB70_36
.LBB70_57:                              ;   in Loop: Header=BB70_37 Depth=1
	s_waitcnt lgkmcnt(0)
	v_mul_f64 v[20:21], s[16:17], v[20:21]
	s_mul_hi_u32 s9, s11, s20
	s_mul_i32 s8, s11, s20
	s_lshl_b64 s[8:9], s[8:9], 3
	s_add_u32 s8, s24, s8
	s_addc_u32 s9, s25, s9
	global_store_dwordx2 v17, v[20:21], s[8:9]
	s_branch .LBB70_36
.LBB70_58:
	s_endpgm
	.section	.rodata,"a",@progbits
	.p2align	6, 0x0
	.amdhsa_kernel _ZL23rocblas_gemvt_sn_kernelILb0ELi256ELi4EidPKddEviiT4_lPKT3_lilS5_lilPT5_i
		.amdhsa_group_segment_fixed_size 256
		.amdhsa_private_segment_fixed_size 0
		.amdhsa_kernarg_size 360
		.amdhsa_user_sgpr_count 6
		.amdhsa_user_sgpr_private_segment_buffer 1
		.amdhsa_user_sgpr_dispatch_ptr 0
		.amdhsa_user_sgpr_queue_ptr 0
		.amdhsa_user_sgpr_kernarg_segment_ptr 1
		.amdhsa_user_sgpr_dispatch_id 0
		.amdhsa_user_sgpr_flat_scratch_init 0
		.amdhsa_user_sgpr_private_segment_size 0
		.amdhsa_wavefront_size32 1
		.amdhsa_uses_dynamic_stack 0
		.amdhsa_system_sgpr_private_segment_wavefront_offset 0
		.amdhsa_system_sgpr_workgroup_id_x 1
		.amdhsa_system_sgpr_workgroup_id_y 0
		.amdhsa_system_sgpr_workgroup_id_z 1
		.amdhsa_system_sgpr_workgroup_info 0
		.amdhsa_system_vgpr_workitem_id 0
		.amdhsa_next_free_vgpr 71
		.amdhsa_next_free_sgpr 52
		.amdhsa_reserve_vcc 1
		.amdhsa_reserve_flat_scratch 0
		.amdhsa_float_round_mode_32 0
		.amdhsa_float_round_mode_16_64 0
		.amdhsa_float_denorm_mode_32 3
		.amdhsa_float_denorm_mode_16_64 3
		.amdhsa_dx10_clamp 1
		.amdhsa_ieee_mode 1
		.amdhsa_fp16_overflow 0
		.amdhsa_workgroup_processor_mode 1
		.amdhsa_memory_ordered 1
		.amdhsa_forward_progress 1
		.amdhsa_shared_vgpr_count 0
		.amdhsa_exception_fp_ieee_invalid_op 0
		.amdhsa_exception_fp_denorm_src 0
		.amdhsa_exception_fp_ieee_div_zero 0
		.amdhsa_exception_fp_ieee_overflow 0
		.amdhsa_exception_fp_ieee_underflow 0
		.amdhsa_exception_fp_ieee_inexact 0
		.amdhsa_exception_int_div_zero 0
	.end_amdhsa_kernel
	.section	.text._ZL23rocblas_gemvt_sn_kernelILb0ELi256ELi4EidPKddEviiT4_lPKT3_lilS5_lilPT5_i,"axG",@progbits,_ZL23rocblas_gemvt_sn_kernelILb0ELi256ELi4EidPKddEviiT4_lPKT3_lilS5_lilPT5_i,comdat
.Lfunc_end70:
	.size	_ZL23rocblas_gemvt_sn_kernelILb0ELi256ELi4EidPKddEviiT4_lPKT3_lilS5_lilPT5_i, .Lfunc_end70-_ZL23rocblas_gemvt_sn_kernelILb0ELi256ELi4EidPKddEviiT4_lPKT3_lilS5_lilPT5_i
                                        ; -- End function
	.set _ZL23rocblas_gemvt_sn_kernelILb0ELi256ELi4EidPKddEviiT4_lPKT3_lilS5_lilPT5_i.num_vgpr, 71
	.set _ZL23rocblas_gemvt_sn_kernelILb0ELi256ELi4EidPKddEviiT4_lPKT3_lilS5_lilPT5_i.num_agpr, 0
	.set _ZL23rocblas_gemvt_sn_kernelILb0ELi256ELi4EidPKddEviiT4_lPKT3_lilS5_lilPT5_i.numbered_sgpr, 52
	.set _ZL23rocblas_gemvt_sn_kernelILb0ELi256ELi4EidPKddEviiT4_lPKT3_lilS5_lilPT5_i.num_named_barrier, 0
	.set _ZL23rocblas_gemvt_sn_kernelILb0ELi256ELi4EidPKddEviiT4_lPKT3_lilS5_lilPT5_i.private_seg_size, 0
	.set _ZL23rocblas_gemvt_sn_kernelILb0ELi256ELi4EidPKddEviiT4_lPKT3_lilS5_lilPT5_i.uses_vcc, 1
	.set _ZL23rocblas_gemvt_sn_kernelILb0ELi256ELi4EidPKddEviiT4_lPKT3_lilS5_lilPT5_i.uses_flat_scratch, 0
	.set _ZL23rocblas_gemvt_sn_kernelILb0ELi256ELi4EidPKddEviiT4_lPKT3_lilS5_lilPT5_i.has_dyn_sized_stack, 0
	.set _ZL23rocblas_gemvt_sn_kernelILb0ELi256ELi4EidPKddEviiT4_lPKT3_lilS5_lilPT5_i.has_recursion, 0
	.set _ZL23rocblas_gemvt_sn_kernelILb0ELi256ELi4EidPKddEviiT4_lPKT3_lilS5_lilPT5_i.has_indirect_call, 0
	.section	.AMDGPU.csdata,"",@progbits
; Kernel info:
; codeLenInByte = 4000
; TotalNumSgprs: 54
; NumVgprs: 71
; ScratchSize: 0
; MemoryBound: 1
; FloatMode: 240
; IeeeMode: 1
; LDSByteSize: 256 bytes/workgroup (compile time only)
; SGPRBlocks: 0
; VGPRBlocks: 8
; NumSGPRsForWavesPerEU: 54
; NumVGPRsForWavesPerEU: 71
; Occupancy: 12
; WaveLimiterHint : 1
; COMPUTE_PGM_RSRC2:SCRATCH_EN: 0
; COMPUTE_PGM_RSRC2:USER_SGPR: 6
; COMPUTE_PGM_RSRC2:TRAP_HANDLER: 0
; COMPUTE_PGM_RSRC2:TGID_X_EN: 1
; COMPUTE_PGM_RSRC2:TGID_Y_EN: 0
; COMPUTE_PGM_RSRC2:TGID_Z_EN: 1
; COMPUTE_PGM_RSRC2:TIDIG_COMP_CNT: 0
	.section	.text._ZL23rocblas_gemvt_sn_kernelILb0ELi256ELi4EldPKddEviiT4_lPKT3_lilS5_lilPT5_i,"axG",@progbits,_ZL23rocblas_gemvt_sn_kernelILb0ELi256ELi4EldPKddEviiT4_lPKT3_lilS5_lilPT5_i,comdat
	.globl	_ZL23rocblas_gemvt_sn_kernelILb0ELi256ELi4EldPKddEviiT4_lPKT3_lilS5_lilPT5_i ; -- Begin function _ZL23rocblas_gemvt_sn_kernelILb0ELi256ELi4EldPKddEviiT4_lPKT3_lilS5_lilPT5_i
	.p2align	8
	.type	_ZL23rocblas_gemvt_sn_kernelILb0ELi256ELi4EldPKddEviiT4_lPKT3_lilS5_lilPT5_i,@function
_ZL23rocblas_gemvt_sn_kernelILb0ELi256ELi4EldPKddEviiT4_lPKT3_lilS5_lilPT5_i: ; @_ZL23rocblas_gemvt_sn_kernelILb0ELi256ELi4EldPKddEviiT4_lPKT3_lilS5_lilPT5_i
; %bb.0:
	s_load_dwordx8 s[8:15], s[4:5], 0x8
	s_mov_b32 s25, 0
	s_waitcnt lgkmcnt(0)
	s_mul_i32 s1, s11, s7
	s_mul_hi_u32 s2, s10, s7
	s_mul_i32 s0, s10, s7
	s_add_i32 s1, s2, s1
	s_lshl_b64 s[0:1], s[0:1], 3
	s_add_u32 s0, s8, s0
	s_addc_u32 s1, s9, s1
	s_load_dwordx2 s[20:21], s[0:1], 0x0
	s_clause 0x2
	s_load_dwordx2 s[22:23], s[4:5], 0x0
	s_load_dword s24, s[4:5], 0x68
	s_load_dwordx4 s[8:11], s[4:5], 0x50
	s_waitcnt lgkmcnt(0)
	v_cmp_neq_f64_e64 s2, s[20:21], 0
	s_ashr_i32 s36, s23, 31
	s_mul_hi_u32 s0, s23, s7
	s_mul_i32 s1, s36, s7
	s_mul_i32 s3, s23, s7
	s_add_i32 s0, s0, s1
	s_mul_hi_u32 s1, s3, s24
	s_mul_i32 s16, s0, s24
	s_mul_i32 s0, s3, s24
	s_add_i32 s1, s1, s16
	s_lshl_b64 s[0:1], s[0:1], 3
	s_add_u32 s33, s10, s0
	v_cmp_eq_u32_e64 s0, 0, v0
	s_addc_u32 s46, s11, s1
	s_and_b32 vcc_lo, exec_lo, s2
	s_cbranch_vccnz .LBB71_5
; %bb.1:
	s_cmp_gt_i32 s23, 0
	s_cselect_b32 s1, -1, 0
	s_and_b32 s0, s0, s1
	s_and_saveexec_b32 s10, s0
	s_cbranch_execz .LBB71_4
; %bb.2:
	v_mov_b32_e32 v1, 0
	s_mov_b32 s0, s7
	s_mov_b32 s7, 0
	;; [unrolled: 1-line block ×3, first 2 shown]
	s_lshl_b64 s[2:3], s[6:7], 3
	v_mov_b32_e32 v2, v1
	s_mov_b32 s7, s0
	s_add_u32 s0, s33, s2
	s_addc_u32 s1, s46, s3
	s_lshl_b64 s[2:3], s[24:25], 3
.LBB71_3:                               ; =>This Inner Loop Header: Depth=1
	s_add_i32 s11, s11, -1
	global_store_dwordx2 v1, v[1:2], s[0:1]
	s_add_u32 s0, s0, s2
	s_addc_u32 s1, s1, s3
	s_cmp_eq_u32 s11, 0
	s_cbranch_scc0 .LBB71_3
.LBB71_4:
	s_or_b32 exec_lo, exec_lo, s10
	s_cbranch_execz .LBB71_6
	s_branch .LBB71_58
.LBB71_5:
.LBB71_6:
	s_clause 0x3
	s_load_dword s26, s[4:5], 0x28
	s_load_dword s28, s[4:5], 0x48
	s_load_dwordx4 s[16:19], s[4:5], 0x30
	s_load_dwordx2 s[0:1], s[4:5], 0x40
	s_mul_i32 s3, s9, s7
	s_mul_hi_u32 s4, s8, s7
	s_mul_i32 s2, s8, s7
	s_add_i32 s3, s4, s3
	v_and_b32_e32 v40, 31, v0
	s_lshl_b64 s[30:31], s[2:3], 3
	v_mbcnt_lo_u32_b32 v43, -1, 0
	v_lshrrev_b32_e32 v45, 2, v0
	s_waitcnt lgkmcnt(0)
	s_ashr_i32 s27, s26, 31
	s_ashr_i32 s29, s28, 31
	s_add_u32 s5, s18, s30
	s_addc_u32 s8, s19, s31
	s_lshl_b64 s[34:35], s[0:1], 3
	s_mul_i32 s3, s17, s7
	s_mul_hi_u32 s4, s16, s7
	s_add_u32 s47, s5, s34
	s_mul_i32 s2, s16, s7
	s_addc_u32 s48, s8, s35
	s_add_i32 s3, s4, s3
	v_cmp_gt_u32_e64 s0, 32, v0
	s_lshl_b64 s[16:17], s[2:3], 3
	v_cmp_gt_u32_e64 s1, 8, v0
	s_add_u32 s2, s12, s16
	s_addc_u32 s3, s13, s17
	s_lshl_b64 s[14:15], s[14:15], 3
	s_add_u32 s2, s2, s14
	s_addc_u32 s3, s3, s15
	s_lshl_b32 s4, s6, 10
	s_ashr_i32 s5, s22, 31
	v_lshl_or_b32 v23, v0, 2, s4
	s_lshr_b32 s4, s36, 30
	s_lshr_b32 s5, s5, 30
	s_add_i32 s4, s23, s4
	s_add_i32 s5, s22, s5
	v_ashrrev_i32_e32 v24, 31, v23
	s_and_b32 s49, s4, -4
	s_and_b32 s4, s5, -4
	v_add_nc_u32_e32 v46, 4, v23
	s_sub_i32 s25, s22, s4
	v_lshlrev_b64 v[21:22], 3, v[23:24]
	v_or_b32_e32 v44, 1, v23
	v_or_b32_e32 v42, 2, v23
	v_add_nc_u32_e32 v47, s25, v23
	v_or_b32_e32 v41, 3, v23
	s_cmp_lt_i32 s49, 1
	v_add_co_u32 v19, vcc_lo, s2, v21
	v_add_co_ci_u32_e64 v20, null, s3, v22, vcc_lo
	s_cbranch_scc1 .LBB71_33
; %bb.7:
	v_cmp_gt_u32_e32 vcc_lo, 24, v43
	v_mad_i64_i32 v[5:6], null, s28, v42, 0
	v_mad_i64_i32 v[7:8], null, s28, v41, 0
	v_cndmask_b32_e64 v1, 0, 8, vcc_lo
	v_cmp_gt_u32_e32 vcc_lo, 28, v43
	s_cmp_gt_i32 s25, 0
	s_mov_b32 s7, 0
	v_lshlrev_b64 v[5:6], 3, v[5:6]
	v_add_lshl_u32 v49, v1, v43, 2
	v_cndmask_b32_e64 v2, 0, 4, vcc_lo
	v_cmp_gt_u32_e32 vcc_lo, 30, v43
	s_cselect_b32 s50, -1, 0
	s_lshl_b64 s[8:9], s[6:7], 3
	v_mov_b32_e32 v9, 0
	v_add_lshl_u32 v50, v2, v43, 2
	v_cndmask_b32_e64 v3, 0, 2, vcc_lo
	v_cmp_ne_u32_e32 vcc_lo, 31, v43
	v_mad_i64_i32 v[1:2], null, s28, v23, 0
	s_add_u32 s51, s33, s8
	v_add_lshl_u32 v51, v3, v43, 2
	v_add_co_ci_u32_e64 v4, null, 0, v43, vcc_lo
	s_addc_u32 s52, s46, s9
	s_add_u32 s8, s18, s34
	v_lshlrev_b64 v[1:2], 3, v[1:2]
	v_lshlrev_b32_e32 v52, 2, v4
	v_mad_i64_i32 v[3:4], null, s28, v44, 0
	s_addc_u32 s9, s19, s35
	s_add_u32 s8, s8, s30
	v_add_co_u32 v24, vcc_lo, s47, v1
	v_add_co_ci_u32_e64 v25, null, s48, v2, vcc_lo
	v_lshlrev_b64 v[3:4], 3, v[3:4]
	v_mov_b32_e32 v10, v9
	v_mov_b32_e32 v11, v9
	;; [unrolled: 1-line block ×5, first 2 shown]
	v_add_co_u32 v26, vcc_lo, s47, v3
	v_add_co_ci_u32_e64 v27, null, s48, v4, vcc_lo
	v_lshlrev_b64 v[3:4], 3, v[7:8]
	v_add_co_u32 v28, vcc_lo, s47, v5
	v_add_co_ci_u32_e64 v29, null, s48, v6, vcc_lo
	v_mov_b32_e32 v15, v9
	v_add_co_u32 v30, vcc_lo, s47, v3
	v_mov_b32_e32 v16, v9
	v_add_co_ci_u32_e64 v31, null, s48, v4, vcc_lo
	s_addc_u32 s9, s9, s31
	v_add_co_u32 v32, vcc_lo, s8, v1
	v_add_co_ci_u32_e64 v33, null, s9, v2, vcc_lo
	v_mov_b32_e32 v35, v20
	v_mov_b32_e32 v1, v9
	v_cmp_ge_i32_e64 s2, s22, v46
	v_cmp_ge_i32_e64 s3, s22, v47
	v_lshl_or_b32 v48, v43, 2, 64
	v_cmp_eq_u32_e64 s4, 0, v40
	v_lshlrev_b32_e32 v53, 3, v40
	v_and_b32_e32 v54, 56, v45
	v_cmp_eq_u32_e64 s5, 0, v0
	v_mov_b32_e32 v34, v19
	v_mov_b32_e32 v2, v10
	;; [unrolled: 1-line block ×8, first 2 shown]
	s_lshl_b64 s[36:37], s[28:29], 3
	s_lshl_b64 s[38:39], s[26:27], 5
	;; [unrolled: 1-line block ×4, first 2 shown]
	s_mul_hi_i32 s53, s26, 24
	s_mul_i32 s54, s26, 24
	s_branch .LBB71_9
.LBB71_8:                               ;   in Loop: Header=BB71_9 Depth=1
	s_or_b32 exec_lo, exec_lo, s8
	v_add_co_u32 v34, vcc_lo, v34, s38
	v_add_co_ci_u32_e64 v35, null, s39, v35, vcc_lo
	s_add_i32 s7, s7, 4
	s_cmp_ge_i32 s7, s49
	s_cbranch_scc1 .LBB71_34
.LBB71_9:                               ; =>This Loop Header: Depth=1
                                        ;     Child Loop BB71_15 Depth 2
                                        ;     Child Loop BB71_18 Depth 2
	;; [unrolled: 1-line block ×3, first 2 shown]
                                        ; implicit-def: $vgpr11_vgpr12_vgpr13_vgpr14_vgpr15_vgpr16_vgpr17_vgpr18
	s_and_saveexec_b32 s8, s2
	s_xor_b32 s8, exec_lo, s8
	s_cbranch_execz .LBB71_11
; %bb.10:                               ;   in Loop: Header=BB71_9 Depth=1
	s_mul_i32 s9, s7, s27
	s_mul_hi_u32 s10, s7, s26
	s_add_i32 s11, s10, s9
	s_mul_i32 s10, s7, s26
	s_or_b32 s9, s7, 1
	s_lshl_b64 s[10:11], s[10:11], 3
	s_mul_i32 s44, s9, s27
	s_mul_hi_u32 s45, s9, s26
	v_add_co_u32 v5, vcc_lo, v19, s10
	v_add_co_ci_u32_e64 v6, null, s11, v20, vcc_lo
	s_add_i32 s11, s45, s44
	s_mul_i32 s10, s9, s26
	s_or_b32 s9, s7, 2
	s_lshl_b64 s[10:11], s[10:11], 3
	s_mul_i32 s44, s9, s27
	s_mul_hi_u32 s45, s9, s26
	v_add_co_u32 v7, vcc_lo, v19, s10
	v_add_co_ci_u32_e64 v8, null, s11, v20, vcc_lo
	s_add_i32 s11, s45, s44
	s_or_b32 s44, s7, 3
	s_mul_i32 s10, s9, s26
	s_mul_i32 s9, s44, s27
	s_mul_hi_u32 s45, s44, s26
	s_lshl_b64 s[10:11], s[10:11], 3
	s_add_i32 s45, s45, s9
	s_mul_i32 s44, s44, s26
	v_add_co_u32 v67, vcc_lo, v19, s10
	v_add_co_ci_u32_e64 v68, null, s11, v20, vcc_lo
	s_lshl_b64 s[10:11], s[44:45], 3
	v_add_co_u32 v71, vcc_lo, v19, s10
	v_add_co_ci_u32_e64 v72, null, s11, v20, vcc_lo
	global_load_dwordx2 v[1:2], v[24:25], off
	s_clause 0x3
	global_load_dwordx4 v[10:13], v[5:6], off
	global_load_dwordx4 v[14:17], v[7:8], off
	;; [unrolled: 1-line block ×4, first 2 shown]
	global_load_dwordx2 v[3:4], v[26:27], off
	global_load_dwordx4 v[59:62], v[5:6], off offset:16
	global_load_dwordx2 v[5:6], v[28:29], off
	s_clause 0x2
	global_load_dwordx4 v[63:66], v[7:8], off offset:16
	global_load_dwordx4 v[67:70], v[67:68], off offset:16
	;; [unrolled: 1-line block ×3, first 2 shown]
	global_load_dwordx2 v[7:8], v[30:31], off
	s_waitcnt vmcnt(10)
	v_fma_f64 v[10:11], v[1:2], v[10:11], 0
	s_waitcnt vmcnt(9)
	v_fma_f64 v[14:15], v[1:2], v[14:15], 0
	;; [unrolled: 2-line block ×5, first 2 shown]
	v_fma_f64 v[12:13], v[3:4], v[16:17], v[14:15]
	v_fma_f64 v[14:15], v[3:4], v[38:39], v[36:37]
	;; [unrolled: 1-line block ×3, first 2 shown]
	s_waitcnt vmcnt(4)
	v_fma_f64 v[10:11], v[5:6], v[59:60], v[10:11]
	s_waitcnt vmcnt(3)
	v_fma_f64 v[36:37], v[5:6], v[63:64], v[12:13]
	;; [unrolled: 2-line block ×5, first 2 shown]
	v_fma_f64 v[13:14], v[7:8], v[65:66], v[36:37]
	v_fma_f64 v[15:16], v[7:8], v[69:70], v[38:39]
	;; [unrolled: 1-line block ×3, first 2 shown]
.LBB71_11:                              ;   in Loop: Header=BB71_9 Depth=1
	s_andn2_saveexec_b32 s55, s8
	s_cbranch_execz .LBB71_21
; %bb.12:                               ;   in Loop: Header=BB71_9 Depth=1
	v_mov_b32_e32 v16, v9
	v_mov_b32_e32 v10, v9
	;; [unrolled: 1-line block ×15, first 2 shown]
	s_and_saveexec_b32 s56, s3
	s_cbranch_execz .LBB71_20
; %bb.13:                               ;   in Loop: Header=BB71_9 Depth=1
	s_andn2_b32 vcc_lo, exec_lo, s50
	s_cbranch_vccnz .LBB71_16
; %bb.14:                               ;   in Loop: Header=BB71_9 Depth=1
	v_mov_b32_e32 v10, v32
	v_mov_b32_e32 v11, v33
	s_mov_b64 s[44:45], 0
	.p2align	6
.LBB71_15:                              ;   Parent Loop BB71_9 Depth=1
                                        ; =>  This Inner Loop Header: Depth=2
	global_load_dwordx2 v[12:13], v[10:11], off
	s_cmp_eq_u32 s44, 3
	v_add_co_u32 v10, vcc_lo, v10, s36
	v_add_co_ci_u32_e64 v11, null, s37, v11, vcc_lo
	s_cselect_b32 vcc_lo, -1, 0
	s_cmp_eq_u32 s44, 2
	s_cselect_b32 s8, -1, 0
	s_cmp_eq_u32 s44, 1
	s_cselect_b32 s9, -1, 0
	;; [unrolled: 2-line block ×3, first 2 shown]
	s_add_u32 s44, s44, 1
	s_addc_u32 s45, s45, 0
	s_cmp_eq_u32 s25, s44
	s_waitcnt vmcnt(0)
	v_cndmask_b32_e32 v8, v8, v13, vcc_lo
	v_cndmask_b32_e32 v7, v7, v12, vcc_lo
	v_cndmask_b32_e64 v6, v6, v13, s8
	v_cndmask_b32_e64 v5, v5, v12, s8
	;; [unrolled: 1-line block ×6, first 2 shown]
	s_cbranch_scc0 .LBB71_15
.LBB71_16:                              ;   in Loop: Header=BB71_9 Depth=1
	s_andn2_b32 vcc_lo, exec_lo, s50
	s_cbranch_vccnz .LBB71_19
; %bb.17:                               ;   in Loop: Header=BB71_9 Depth=1
	v_mov_b32_e32 v11, 0
	v_mov_b32_e32 v13, 0
	;; [unrolled: 1-line block ×10, first 2 shown]
	s_mov_b64 s[10:11], 0
.LBB71_18:                              ;   Parent Loop BB71_9 Depth=1
                                        ; =>  This Inner Loop Header: Depth=2
	v_add_co_u32 v38, vcc_lo, v36, s40
	v_add_co_ci_u32_e64 v39, null, s41, v37, vcc_lo
	v_add_co_u32 v55, vcc_lo, v36, s42
	v_add_co_ci_u32_e64 v56, null, s43, v37, vcc_lo
	;; [unrolled: 2-line block ×3, first 2 shown]
	s_clause 0x3
	global_load_dwordx2 v[59:60], v[36:37], off
	global_load_dwordx2 v[38:39], v[38:39], off
	;; [unrolled: 1-line block ×4, first 2 shown]
	s_cmp_eq_u32 s10, 1
	s_cselect_b32 vcc_lo, -1, 0
	s_cmp_eq_u32 s10, 2
	v_cndmask_b32_e32 v10, v2, v4, vcc_lo
	v_cndmask_b32_e32 v61, v1, v3, vcc_lo
	s_cselect_b32 vcc_lo, -1, 0
	s_cmp_eq_u32 s10, 3
	v_cndmask_b32_e32 v10, v10, v6, vcc_lo
	v_cndmask_b32_e32 v61, v61, v5, vcc_lo
	s_cselect_b32 s8, -1, 0
	v_add_co_u32 v36, vcc_lo, v36, 8
	v_cndmask_b32_e64 v62, v10, v8, s8
	v_cndmask_b32_e64 v61, v61, v7, s8
	v_add_co_ci_u32_e64 v37, null, 0, v37, vcc_lo
	s_add_u32 s10, s10, 1
	s_addc_u32 s11, s11, 0
	s_cmp_lg_u32 s25, s10
	s_waitcnt vmcnt(3)
	v_fma_f64 v[11:12], v[61:62], v[59:60], v[11:12]
	s_waitcnt vmcnt(2)
	v_fma_f64 v[13:14], v[61:62], v[38:39], v[13:14]
	;; [unrolled: 2-line block ×4, first 2 shown]
	s_cbranch_scc1 .LBB71_18
	s_branch .LBB71_20
.LBB71_19:                              ;   in Loop: Header=BB71_9 Depth=1
	v_mov_b32_e32 v16, v9
	v_mov_b32_e32 v10, v9
	;; [unrolled: 1-line block ×15, first 2 shown]
.LBB71_20:                              ;   in Loop: Header=BB71_9 Depth=1
	s_or_b32 exec_lo, exec_lo, s56
.LBB71_21:                              ;   in Loop: Header=BB71_9 Depth=1
	s_or_b32 exec_lo, exec_lo, s55
	s_mov_b64 s[8:9], 0
	s_branch .LBB71_23
.LBB71_22:                              ;   in Loop: Header=BB71_23 Depth=2
	s_or_b32 exec_lo, exec_lo, s10
	s_cmp_eq_u32 s8, 3
	s_cselect_b32 vcc_lo, -1, 0
	s_cmp_eq_u32 s8, 2
	s_waitcnt lgkmcnt(0)
	v_cndmask_b32_e32 v18, v18, v37, vcc_lo
	v_cndmask_b32_e32 v17, v17, v36, vcc_lo
	s_cselect_b32 vcc_lo, -1, 0
	s_cmp_eq_u32 s8, 1
	v_cndmask_b32_e32 v16, v16, v37, vcc_lo
	v_cndmask_b32_e32 v15, v15, v36, vcc_lo
	s_cselect_b32 vcc_lo, -1, 0
	s_cmp_eq_u32 s8, 0
	v_cndmask_b32_e32 v14, v14, v37, vcc_lo
	v_cndmask_b32_e32 v13, v13, v36, vcc_lo
	s_cselect_b32 vcc_lo, -1, 0
	s_add_u32 s8, s8, 1
	v_cndmask_b32_e32 v12, v12, v37, vcc_lo
	v_cndmask_b32_e32 v11, v11, v36, vcc_lo
	s_addc_u32 s9, s9, 0
	s_cmp_eq_u32 s8, 4
	s_cbranch_scc1 .LBB71_31
.LBB71_23:                              ;   Parent Loop BB71_9 Depth=1
                                        ; =>  This Inner Loop Header: Depth=2
	s_and_saveexec_b32 s10, s0
; %bb.24:                               ;   in Loop: Header=BB71_23 Depth=2
	v_mov_b32_e32 v10, v9
	ds_write_b64 v53, v[9:10]
; %bb.25:                               ;   in Loop: Header=BB71_23 Depth=2
	s_or_b32 exec_lo, exec_lo, s10
	s_cmp_eq_u32 s8, 1
	s_waitcnt lgkmcnt(0)
	s_waitcnt_vscnt null, 0x0
	s_cselect_b32 vcc_lo, -1, 0
	s_cmp_eq_u32 s8, 2
	v_cndmask_b32_e32 v10, v12, v14, vcc_lo
	v_cndmask_b32_e32 v36, v11, v13, vcc_lo
	s_cselect_b32 vcc_lo, -1, 0
	s_cmp_eq_u32 s8, 3
	s_barrier
	v_cndmask_b32_e32 v10, v10, v16, vcc_lo
	v_cndmask_b32_e32 v36, v36, v15, vcc_lo
	s_cselect_b32 vcc_lo, -1, 0
	buffer_gl0_inv
	v_cndmask_b32_e32 v37, v10, v18, vcc_lo
	v_cndmask_b32_e32 v36, v36, v17, vcc_lo
	ds_bpermute_b32 v39, v48, v37
	ds_bpermute_b32 v38, v48, v36
	s_waitcnt lgkmcnt(0)
	v_add_f64 v[36:37], v[36:37], v[38:39]
	ds_bpermute_b32 v38, v49, v36
	ds_bpermute_b32 v39, v49, v37
	s_waitcnt lgkmcnt(0)
	v_add_f64 v[36:37], v[36:37], v[38:39]
	;; [unrolled: 4-line block ×4, first 2 shown]
	ds_bpermute_b32 v38, v52, v36
	ds_bpermute_b32 v39, v52, v37
	s_and_saveexec_b32 s10, s4
	s_cbranch_execz .LBB71_27
; %bb.26:                               ;   in Loop: Header=BB71_23 Depth=2
	s_waitcnt lgkmcnt(0)
	v_add_f64 v[36:37], v[36:37], v[38:39]
	ds_write_b64 v54, v[36:37]
.LBB71_27:                              ;   in Loop: Header=BB71_23 Depth=2
	s_or_b32 exec_lo, exec_lo, s10
	v_mov_b32_e32 v36, 0
	v_mov_b32_e32 v37, 0
	s_waitcnt lgkmcnt(0)
	s_barrier
	buffer_gl0_inv
	s_and_saveexec_b32 s10, s1
; %bb.28:                               ;   in Loop: Header=BB71_23 Depth=2
	ds_read_b64 v[36:37], v53
; %bb.29:                               ;   in Loop: Header=BB71_23 Depth=2
	s_or_b32 exec_lo, exec_lo, s10
	s_and_saveexec_b32 s10, s0
	s_cbranch_execz .LBB71_22
; %bb.30:                               ;   in Loop: Header=BB71_23 Depth=2
	s_waitcnt lgkmcnt(0)
	ds_bpermute_b32 v38, v50, v36
	ds_bpermute_b32 v39, v50, v37
	s_waitcnt lgkmcnt(0)
	v_add_f64 v[36:37], v[36:37], v[38:39]
	ds_bpermute_b32 v38, v51, v36
	ds_bpermute_b32 v39, v51, v37
	s_waitcnt lgkmcnt(0)
	v_add_f64 v[36:37], v[36:37], v[38:39]
	;; [unrolled: 4-line block ×3, first 2 shown]
	s_branch .LBB71_22
.LBB71_31:                              ;   in Loop: Header=BB71_9 Depth=1
	s_and_saveexec_b32 s8, s5
	s_cbranch_execz .LBB71_8
; %bb.32:                               ;   in Loop: Header=BB71_9 Depth=1
	s_mul_hi_u32 s11, s7, s24
	s_mul_i32 s10, s7, s24
	v_mul_f64 v[10:11], s[20:21], v[11:12]
	s_lshl_b64 s[10:11], s[10:11], 3
	v_mul_f64 v[12:13], s[20:21], v[13:14]
	s_add_u32 s10, s51, s10
	s_addc_u32 s11, s52, s11
	s_or_b32 s9, s7, 1
	v_mul_f64 v[14:15], s[20:21], v[15:16]
	v_mul_f64 v[16:17], s[20:21], v[17:18]
	s_mul_hi_u32 s45, s9, s24
	s_mul_i32 s44, s9, s24
	s_lshl_b64 s[44:45], s[44:45], 3
	s_add_u32 s44, s51, s44
	s_addc_u32 s45, s52, s45
	s_or_b32 s9, s7, 2
	s_mul_hi_u32 s57, s9, s24
	s_mul_i32 s56, s9, s24
	s_lshl_b64 s[56:57], s[56:57], 3
	s_add_u32 s56, s51, s56
	s_addc_u32 s57, s52, s57
	s_or_b32 s9, s7, 3
	global_store_dwordx2 v9, v[10:11], s[10:11]
	s_mul_hi_u32 s59, s9, s24
	s_mul_i32 s58, s9, s24
	global_store_dwordx2 v9, v[12:13], s[44:45]
	s_lshl_b64 s[10:11], s[58:59], 3
	s_add_u32 s10, s51, s10
	s_addc_u32 s11, s52, s11
	global_store_dwordx2 v9, v[14:15], s[56:57]
	global_store_dwordx2 v9, v[16:17], s[10:11]
	s_branch .LBB71_8
.LBB71_33:
	v_mov_b32_e32 v1, 0
	s_mov_b32 s7, 0
	v_mov_b32_e32 v2, v1
	v_mov_b32_e32 v3, v1
	;; [unrolled: 1-line block ×7, first 2 shown]
.LBB71_34:
	s_cmp_ge_i32 s7, s23
	s_cbranch_scc1 .LBB71_58
; %bb.35:
	v_cmp_gt_u32_e32 vcc_lo, 24, v43
	v_mad_i64_i32 v[13:14], null, s28, v42, 0
	v_mad_i64_i32 v[15:16], null, s28, v41, 0
	v_cndmask_b32_e64 v9, 0, 8, vcc_lo
	v_cmp_gt_u32_e32 vcc_lo, 28, v43
	s_cmp_gt_i32 s25, 0
	s_mov_b32 s11, 0
	s_mov_b32 s10, s6
	v_add_lshl_u32 v31, v9, v43, 2
	v_cndmask_b32_e64 v10, 0, 4, vcc_lo
	v_cmp_gt_u32_e32 vcc_lo, 30, v43
	v_lshlrev_b64 v[13:14], 3, v[13:14]
	v_cmp_ge_i32_e64 s0, s22, v46
	v_cmp_ge_i32_e64 s1, s22, v47
	v_add_lshl_u32 v32, v10, v43, 2
	v_cndmask_b32_e64 v11, 0, 2, vcc_lo
	v_cmp_ne_u32_e32 vcc_lo, 31, v43
	v_mad_i64_i32 v[9:10], null, s28, v23, 0
	s_cselect_b32 s22, -1, 0
	v_add_lshl_u32 v33, v11, v43, 2
	v_add_co_ci_u32_e64 v12, null, 0, v43, vcc_lo
	s_lshl_b64 s[8:9], s[10:11], 3
	v_lshlrev_b64 v[15:16], 3, v[15:16]
	v_lshlrev_b64 v[17:18], 3, v[9:10]
	v_lshlrev_b32_e32 v34, 2, v12
	v_mad_i64_i32 v[11:12], null, s28, v44, 0
	s_add_u32 s10, s33, s8
	s_addc_u32 s33, s46, s9
	v_add_co_u32 v9, vcc_lo, s47, v17
	v_add_co_ci_u32_e64 v10, null, s48, v18, vcc_lo
	v_lshlrev_b64 v[11:12], 3, v[11:12]
	s_add_u32 s6, s18, s34
	s_addc_u32 s8, s19, s35
	s_mul_i32 s9, s27, s7
	s_mul_hi_u32 s18, s26, s7
	s_add_u32 s6, s6, s30
	v_add_co_u32 v11, vcc_lo, s47, v11
	v_add_co_ci_u32_e64 v12, null, s48, v12, vcc_lo
	v_add_co_u32 v13, vcc_lo, s47, v13
	v_add_co_ci_u32_e64 v14, null, s48, v14, vcc_lo
	v_add_co_u32 v15, vcc_lo, s47, v15
	s_addc_u32 s19, s8, s31
	s_add_i32 s9, s18, s9
	s_mul_i32 s8, s26, s7
	v_add_co_ci_u32_e64 v16, null, s48, v16, vcc_lo
	v_add_co_u32 v17, vcc_lo, s6, v17
	s_lshl_b64 s[8:9], s[8:9], 3
	v_add_co_ci_u32_e64 v18, null, s19, v18, vcc_lo
	s_lshl_b64 s[18:19], s[28:29], 3
	s_add_u32 s6, s16, s8
	s_addc_u32 s8, s17, s9
	s_add_u32 s6, s6, s14
	s_addc_u32 s8, s8, s15
	;; [unrolled: 2-line block ×3, first 2 shown]
	v_add_co_u32 v21, vcc_lo, s6, v21
	v_cmp_gt_u32_e64 s2, 32, v0
	v_lshlrev_b32_e32 v29, 3, v40
	v_lshl_or_b32 v30, v43, 2, 64
	v_cmp_eq_u32_e64 s3, 0, v40
	v_and_b32_e32 v35, 56, v45
	v_cmp_gt_u32_e64 s4, 8, v0
	v_cmp_eq_u32_e64 s5, 0, v0
	v_add_co_ci_u32_e64 v22, null, s8, v22, vcc_lo
	v_mov_b32_e32 v23, 0
	s_lshl_b64 s[12:13], s[26:27], 3
	s_branch .LBB71_37
.LBB71_36:                              ;   in Loop: Header=BB71_37 Depth=1
	s_or_b32 exec_lo, exec_lo, s6
	v_add_co_u32 v21, vcc_lo, v21, s12
	v_add_co_ci_u32_e64 v22, null, s13, v22, vcc_lo
	s_add_i32 s7, s7, 1
	s_cmp_ge_i32 s7, s23
	s_cbranch_scc1 .LBB71_58
.LBB71_37:                              ; =>This Loop Header: Depth=1
                                        ;     Child Loop BB71_50 Depth 2
                                        ;     Child Loop BB71_53 Depth 2
	s_waitcnt lgkmcnt(0)
	v_mov_b32_e32 v25, s11
	v_mov_b32_e32 v26, s11
	s_and_saveexec_b32 s6, s0
	s_xor_b32 s6, exec_lo, s6
	s_cbranch_execnz .LBB71_46
; %bb.38:                               ;   in Loop: Header=BB71_37 Depth=1
	s_andn2_saveexec_b32 s16, s6
	s_cbranch_execnz .LBB71_47
.LBB71_39:                              ;   in Loop: Header=BB71_37 Depth=1
	s_or_b32 exec_lo, exec_lo, s16
	s_and_saveexec_b32 s6, s2
.LBB71_40:                              ;   in Loop: Header=BB71_37 Depth=1
	v_mov_b32_e32 v24, v23
	ds_write_b64 v29, v[23:24]
.LBB71_41:                              ;   in Loop: Header=BB71_37 Depth=1
	s_or_b32 exec_lo, exec_lo, s6
	ds_bpermute_b32 v27, v30, v25
	ds_bpermute_b32 v28, v30, v26
	s_waitcnt lgkmcnt(0)
	s_waitcnt_vscnt null, 0x0
	s_barrier
	buffer_gl0_inv
	v_add_f64 v[24:25], v[25:26], v[27:28]
	ds_bpermute_b32 v26, v31, v24
	ds_bpermute_b32 v27, v31, v25
	s_waitcnt lgkmcnt(0)
	v_add_f64 v[24:25], v[24:25], v[26:27]
	ds_bpermute_b32 v26, v32, v24
	ds_bpermute_b32 v27, v32, v25
	s_waitcnt lgkmcnt(0)
	;; [unrolled: 4-line block ×3, first 2 shown]
	v_add_f64 v[24:25], v[24:25], v[26:27]
	ds_bpermute_b32 v26, v34, v24
	ds_bpermute_b32 v27, v34, v25
	s_and_saveexec_b32 s6, s3
	s_cbranch_execz .LBB71_43
; %bb.42:                               ;   in Loop: Header=BB71_37 Depth=1
	s_waitcnt lgkmcnt(0)
	v_add_f64 v[24:25], v[24:25], v[26:27]
	ds_write_b64 v35, v[24:25]
.LBB71_43:                              ;   in Loop: Header=BB71_37 Depth=1
	s_or_b32 exec_lo, exec_lo, s6
	v_mov_b32_e32 v24, 0
	v_mov_b32_e32 v25, 0
	s_waitcnt lgkmcnt(0)
	s_barrier
	buffer_gl0_inv
	s_and_saveexec_b32 s6, s4
	s_cbranch_execnz .LBB71_55
; %bb.44:                               ;   in Loop: Header=BB71_37 Depth=1
	s_or_b32 exec_lo, exec_lo, s6
	s_and_saveexec_b32 s6, s2
	s_cbranch_execnz .LBB71_56
.LBB71_45:                              ;   in Loop: Header=BB71_37 Depth=1
	s_or_b32 exec_lo, exec_lo, s6
	s_and_saveexec_b32 s6, s5
	s_cbranch_execz .LBB71_36
	s_branch .LBB71_57
.LBB71_46:                              ;   in Loop: Header=BB71_37 Depth=1
	s_mul_i32 s9, s7, s27
	s_mul_hi_u32 s14, s7, s26
	s_mul_i32 s8, s7, s26
	s_add_i32 s9, s14, s9
	s_lshl_b64 s[8:9], s[8:9], 3
	v_add_co_u32 v5, vcc_lo, v19, s8
	v_add_co_ci_u32_e64 v6, null, s9, v20, vcc_lo
	global_load_dwordx4 v[24:27], v[5:6], off
	s_clause 0x1
	global_load_dwordx2 v[1:2], v[9:10], off
	global_load_dwordx2 v[3:4], v[11:12], off
	global_load_dwordx4 v[36:39], v[5:6], off offset:16
	s_clause 0x1
	global_load_dwordx2 v[5:6], v[13:14], off
	global_load_dwordx2 v[7:8], v[15:16], off
	s_waitcnt vmcnt(4)
	v_fma_f64 v[24:25], v[1:2], v[24:25], 0
	s_waitcnt vmcnt(3)
	v_fma_f64 v[24:25], v[3:4], v[26:27], v[24:25]
	;; [unrolled: 2-line block ×4, first 2 shown]
	s_andn2_saveexec_b32 s16, s6
	s_cbranch_execz .LBB71_39
.LBB71_47:                              ;   in Loop: Header=BB71_37 Depth=1
	s_and_saveexec_b32 s17, s1
	s_cbranch_execz .LBB71_54
; %bb.48:                               ;   in Loop: Header=BB71_37 Depth=1
	s_andn2_b32 vcc_lo, exec_lo, s22
	s_cbranch_vccnz .LBB71_51
; %bb.49:                               ;   in Loop: Header=BB71_37 Depth=1
	v_mov_b32_e32 v28, v18
	v_mov_b32_e32 v27, v17
	s_mov_b64 s[14:15], 0
	.p2align	6
.LBB71_50:                              ;   Parent Loop BB71_37 Depth=1
                                        ; =>  This Inner Loop Header: Depth=2
	global_load_dwordx2 v[36:37], v[27:28], off
	s_cmp_eq_u32 s14, 3
	v_add_co_u32 v27, vcc_lo, v27, s18
	v_add_co_ci_u32_e64 v28, null, s19, v28, vcc_lo
	s_cselect_b32 vcc_lo, -1, 0
	s_cmp_eq_u32 s14, 2
	s_cselect_b32 s6, -1, 0
	s_cmp_eq_u32 s14, 1
	s_cselect_b32 s8, -1, 0
	;; [unrolled: 2-line block ×3, first 2 shown]
	s_add_u32 s14, s14, 1
	s_addc_u32 s15, s15, 0
	s_cmp_eq_u32 s25, s14
	s_waitcnt vmcnt(0)
	v_cndmask_b32_e32 v8, v8, v37, vcc_lo
	v_cndmask_b32_e32 v7, v7, v36, vcc_lo
	v_cndmask_b32_e64 v6, v6, v37, s6
	v_cndmask_b32_e64 v5, v5, v36, s6
	;; [unrolled: 1-line block ×6, first 2 shown]
	s_cbranch_scc0 .LBB71_50
.LBB71_51:                              ;   in Loop: Header=BB71_37 Depth=1
	s_andn2_b32 vcc_lo, exec_lo, s22
	s_cbranch_vccnz .LBB71_54
; %bb.52:                               ;   in Loop: Header=BB71_37 Depth=1
	v_mov_b32_e32 v28, v22
	v_mov_b32_e32 v27, v21
	s_mov_b64 s[8:9], 0
	.p2align	6
.LBB71_53:                              ;   Parent Loop BB71_37 Depth=1
                                        ; =>  This Inner Loop Header: Depth=2
	global_load_dwordx2 v[36:37], v[27:28], off
	s_cmp_eq_u32 s8, 1
	s_cselect_b32 vcc_lo, -1, 0
	s_cmp_eq_u32 s8, 2
	v_cndmask_b32_e32 v0, v2, v4, vcc_lo
	v_cndmask_b32_e32 v24, v1, v3, vcc_lo
	s_cselect_b32 vcc_lo, -1, 0
	s_cmp_eq_u32 s8, 3
	v_cndmask_b32_e32 v0, v0, v6, vcc_lo
	v_cndmask_b32_e32 v24, v24, v5, vcc_lo
	s_cselect_b32 vcc_lo, -1, 0
	s_add_u32 s8, s8, 1
	s_addc_u32 s9, s9, 0
	v_cndmask_b32_e32 v39, v0, v8, vcc_lo
	v_cndmask_b32_e32 v38, v24, v7, vcc_lo
	v_add_co_u32 v27, vcc_lo, v27, 8
	v_add_co_ci_u32_e64 v28, null, 0, v28, vcc_lo
	s_cmp_lg_u32 s25, s8
	s_waitcnt vmcnt(0)
	v_fma_f64 v[25:26], v[38:39], v[36:37], v[25:26]
	s_cbranch_scc1 .LBB71_53
.LBB71_54:                              ;   in Loop: Header=BB71_37 Depth=1
	s_or_b32 exec_lo, exec_lo, s17
	s_or_b32 exec_lo, exec_lo, s16
	s_and_saveexec_b32 s6, s2
	s_cbranch_execnz .LBB71_40
	s_branch .LBB71_41
.LBB71_55:                              ;   in Loop: Header=BB71_37 Depth=1
	ds_read_b64 v[24:25], v29
	s_or_b32 exec_lo, exec_lo, s6
	s_and_saveexec_b32 s6, s2
	s_cbranch_execz .LBB71_45
.LBB71_56:                              ;   in Loop: Header=BB71_37 Depth=1
	s_waitcnt lgkmcnt(0)
	ds_bpermute_b32 v26, v32, v24
	ds_bpermute_b32 v27, v32, v25
	s_waitcnt lgkmcnt(0)
	v_add_f64 v[24:25], v[24:25], v[26:27]
	ds_bpermute_b32 v26, v33, v24
	ds_bpermute_b32 v27, v33, v25
	s_waitcnt lgkmcnt(0)
	v_add_f64 v[24:25], v[24:25], v[26:27]
	;; [unrolled: 4-line block ×3, first 2 shown]
	s_or_b32 exec_lo, exec_lo, s6
	s_and_saveexec_b32 s6, s5
	s_cbranch_execz .LBB71_36
.LBB71_57:                              ;   in Loop: Header=BB71_37 Depth=1
	s_waitcnt lgkmcnt(0)
	v_mul_f64 v[24:25], s[20:21], v[24:25]
	s_mul_hi_u32 s9, s7, s24
	s_mul_i32 s8, s7, s24
	s_lshl_b64 s[8:9], s[8:9], 3
	s_add_u32 s8, s10, s8
	s_addc_u32 s9, s33, s9
	global_store_dwordx2 v23, v[24:25], s[8:9]
	s_branch .LBB71_36
.LBB71_58:
	s_endpgm
	.section	.rodata,"a",@progbits
	.p2align	6, 0x0
	.amdhsa_kernel _ZL23rocblas_gemvt_sn_kernelILb0ELi256ELi4EldPKddEviiT4_lPKT3_lilS5_lilPT5_i
		.amdhsa_group_segment_fixed_size 256
		.amdhsa_private_segment_fixed_size 0
		.amdhsa_kernarg_size 360
		.amdhsa_user_sgpr_count 6
		.amdhsa_user_sgpr_private_segment_buffer 1
		.amdhsa_user_sgpr_dispatch_ptr 0
		.amdhsa_user_sgpr_queue_ptr 0
		.amdhsa_user_sgpr_kernarg_segment_ptr 1
		.amdhsa_user_sgpr_dispatch_id 0
		.amdhsa_user_sgpr_flat_scratch_init 0
		.amdhsa_user_sgpr_private_segment_size 0
		.amdhsa_wavefront_size32 1
		.amdhsa_uses_dynamic_stack 0
		.amdhsa_system_sgpr_private_segment_wavefront_offset 0
		.amdhsa_system_sgpr_workgroup_id_x 1
		.amdhsa_system_sgpr_workgroup_id_y 0
		.amdhsa_system_sgpr_workgroup_id_z 1
		.amdhsa_system_sgpr_workgroup_info 0
		.amdhsa_system_vgpr_workitem_id 0
		.amdhsa_next_free_vgpr 75
		.amdhsa_next_free_sgpr 60
		.amdhsa_reserve_vcc 1
		.amdhsa_reserve_flat_scratch 0
		.amdhsa_float_round_mode_32 0
		.amdhsa_float_round_mode_16_64 0
		.amdhsa_float_denorm_mode_32 3
		.amdhsa_float_denorm_mode_16_64 3
		.amdhsa_dx10_clamp 1
		.amdhsa_ieee_mode 1
		.amdhsa_fp16_overflow 0
		.amdhsa_workgroup_processor_mode 1
		.amdhsa_memory_ordered 1
		.amdhsa_forward_progress 1
		.amdhsa_shared_vgpr_count 0
		.amdhsa_exception_fp_ieee_invalid_op 0
		.amdhsa_exception_fp_denorm_src 0
		.amdhsa_exception_fp_ieee_div_zero 0
		.amdhsa_exception_fp_ieee_overflow 0
		.amdhsa_exception_fp_ieee_underflow 0
		.amdhsa_exception_fp_ieee_inexact 0
		.amdhsa_exception_int_div_zero 0
	.end_amdhsa_kernel
	.section	.text._ZL23rocblas_gemvt_sn_kernelILb0ELi256ELi4EldPKddEviiT4_lPKT3_lilS5_lilPT5_i,"axG",@progbits,_ZL23rocblas_gemvt_sn_kernelILb0ELi256ELi4EldPKddEviiT4_lPKT3_lilS5_lilPT5_i,comdat
.Lfunc_end71:
	.size	_ZL23rocblas_gemvt_sn_kernelILb0ELi256ELi4EldPKddEviiT4_lPKT3_lilS5_lilPT5_i, .Lfunc_end71-_ZL23rocblas_gemvt_sn_kernelILb0ELi256ELi4EldPKddEviiT4_lPKT3_lilS5_lilPT5_i
                                        ; -- End function
	.set _ZL23rocblas_gemvt_sn_kernelILb0ELi256ELi4EldPKddEviiT4_lPKT3_lilS5_lilPT5_i.num_vgpr, 75
	.set _ZL23rocblas_gemvt_sn_kernelILb0ELi256ELi4EldPKddEviiT4_lPKT3_lilS5_lilPT5_i.num_agpr, 0
	.set _ZL23rocblas_gemvt_sn_kernelILb0ELi256ELi4EldPKddEviiT4_lPKT3_lilS5_lilPT5_i.numbered_sgpr, 60
	.set _ZL23rocblas_gemvt_sn_kernelILb0ELi256ELi4EldPKddEviiT4_lPKT3_lilS5_lilPT5_i.num_named_barrier, 0
	.set _ZL23rocblas_gemvt_sn_kernelILb0ELi256ELi4EldPKddEviiT4_lPKT3_lilS5_lilPT5_i.private_seg_size, 0
	.set _ZL23rocblas_gemvt_sn_kernelILb0ELi256ELi4EldPKddEviiT4_lPKT3_lilS5_lilPT5_i.uses_vcc, 1
	.set _ZL23rocblas_gemvt_sn_kernelILb0ELi256ELi4EldPKddEviiT4_lPKT3_lilS5_lilPT5_i.uses_flat_scratch, 0
	.set _ZL23rocblas_gemvt_sn_kernelILb0ELi256ELi4EldPKddEviiT4_lPKT3_lilS5_lilPT5_i.has_dyn_sized_stack, 0
	.set _ZL23rocblas_gemvt_sn_kernelILb0ELi256ELi4EldPKddEviiT4_lPKT3_lilS5_lilPT5_i.has_recursion, 0
	.set _ZL23rocblas_gemvt_sn_kernelILb0ELi256ELi4EldPKddEviiT4_lPKT3_lilS5_lilPT5_i.has_indirect_call, 0
	.section	.AMDGPU.csdata,"",@progbits
; Kernel info:
; codeLenInByte = 4128
; TotalNumSgprs: 62
; NumVgprs: 75
; ScratchSize: 0
; MemoryBound: 1
; FloatMode: 240
; IeeeMode: 1
; LDSByteSize: 256 bytes/workgroup (compile time only)
; SGPRBlocks: 0
; VGPRBlocks: 9
; NumSGPRsForWavesPerEU: 62
; NumVGPRsForWavesPerEU: 75
; Occupancy: 12
; WaveLimiterHint : 1
; COMPUTE_PGM_RSRC2:SCRATCH_EN: 0
; COMPUTE_PGM_RSRC2:USER_SGPR: 6
; COMPUTE_PGM_RSRC2:TRAP_HANDLER: 0
; COMPUTE_PGM_RSRC2:TGID_X_EN: 1
; COMPUTE_PGM_RSRC2:TGID_Y_EN: 0
; COMPUTE_PGM_RSRC2:TGID_Z_EN: 1
; COMPUTE_PGM_RSRC2:TIDIG_COMP_CNT: 0
	.section	.text._ZL23rocblas_gemvt_sn_reduceILi256ELi8EdPKddEviT2_lPT3_lilPT1_i,"axG",@progbits,_ZL23rocblas_gemvt_sn_reduceILi256ELi8EdPKddEviT2_lPT3_lilPT1_i,comdat
	.globl	_ZL23rocblas_gemvt_sn_reduceILi256ELi8EdPKddEviT2_lPT3_lilPT1_i ; -- Begin function _ZL23rocblas_gemvt_sn_reduceILi256ELi8EdPKddEviT2_lPT3_lilPT1_i
	.p2align	8
	.type	_ZL23rocblas_gemvt_sn_reduceILi256ELi8EdPKddEviT2_lPT3_lilPT1_i,@function
_ZL23rocblas_gemvt_sn_reduceILi256ELi8EdPKddEviT2_lPT3_lilPT1_i: ; @_ZL23rocblas_gemvt_sn_reduceILi256ELi8EdPKddEviT2_lPT3_lilPT1_i
; %bb.0:
	s_clause 0x2
	s_load_dwordx8 s[12:19], s[4:5], 0x8
	s_load_dword s6, s[4:5], 0x0
	s_load_dword s9, s[4:5], 0x4c
	v_mov_b32_e32 v1, 0
	v_lshlrev_b32_e32 v5, 3, v0
	v_mov_b32_e32 v2, 0
	s_waitcnt lgkmcnt(0)
	s_mul_i32 s0, s15, s8
	s_mul_hi_u32 s1, s14, s8
	s_mul_i32 s9, s9, s8
	s_add_i32 s1, s1, s0
	s_mul_i32 s0, s14, s8
	s_ashr_i32 s14, s6, 31
	s_lshl_b64 s[0:1], s[0:1], 3
	s_mov_b32 s15, 0
	s_add_u32 s0, s12, s0
	s_addc_u32 s1, s13, s1
	s_load_dwordx2 s[10:11], s[4:5], 0x38
	s_load_dwordx2 s[2:3], s[0:1], 0x0
	s_add_u32 s0, s4, 0x48
	s_addc_u32 s1, s5, 0
	s_add_i32 s12, s9, s7
	s_lshr_b32 s9, s14, 29
	s_mul_i32 s13, s12, s14
	s_add_i32 s9, s6, s9
	s_mul_hi_u32 s14, s12, s6
	s_and_b32 s9, s9, -8
	s_add_i32 s13, s14, s13
	s_mul_i32 s12, s12, s6
	s_mov_b32 s14, exec_lo
	v_cmpx_gt_i32_e64 s9, v5
	s_cbranch_execz .LBB72_4
; %bb.1:
	s_load_dword s0, s[0:1], 0xc
	v_lshlrev_b32_e32 v1, 6, v0
	s_lshl_b64 s[20:21], s[12:13], 3
	s_waitcnt lgkmcnt(0)
	s_and_b32 s0, s0, 0xffff
	s_lshl_b32 s1, s0, 3
	s_add_u32 s20, s10, s20
	s_addc_u32 s21, s11, s21
	v_add_co_u32 v3, s20, s20, v1
	v_add_co_ci_u32_e64 v4, null, s21, 0, s20
	v_mov_b32_e32 v1, 0
	v_add_co_u32 v3, vcc_lo, v3, 56
	v_mov_b32_e32 v2, 0
	v_add_co_ci_u32_e64 v4, null, 0, v4, vcc_lo
	s_lshl_b32 s20, s0, 6
	s_inst_prefetch 0x1
	.p2align	6
.LBB72_2:                               ; =>This Inner Loop Header: Depth=1
	s_clause 0x3
	global_load_dwordx4 v[6:9], v[3:4], off offset:-56
	global_load_dwordx4 v[10:13], v[3:4], off offset:-40
	;; [unrolled: 1-line block ×4, first 2 shown]
	v_add_nc_u32_e32 v5, s1, v5
	v_add_co_u32 v3, s0, v3, s20
	v_add_co_ci_u32_e64 v4, null, 0, v4, s0
	v_cmp_le_i32_e32 vcc_lo, s9, v5
	s_or_b32 s15, vcc_lo, s15
	s_waitcnt vmcnt(3)
	v_add_f64 v[1:2], v[1:2], v[6:7]
	v_add_f64 v[1:2], v[1:2], v[8:9]
	s_waitcnt vmcnt(2)
	v_add_f64 v[1:2], v[1:2], v[10:11]
	v_add_f64 v[1:2], v[1:2], v[12:13]
	;; [unrolled: 3-line block ×4, first 2 shown]
	s_andn2_b32 exec_lo, exec_lo, s15
	s_cbranch_execnz .LBB72_2
; %bb.3:
	s_inst_prefetch 0x2
	s_or_b32 exec_lo, exec_lo, s15
.LBB72_4:
	s_or_b32 exec_lo, exec_lo, s14
	s_sub_i32 s0, s6, s9
	v_cmp_gt_u32_e32 vcc_lo, s0, v0
	s_and_saveexec_b32 s0, vcc_lo
	s_cbranch_execz .LBB72_6
; %bb.5:
	v_xad_u32 v3, v0, -1, s6
	v_mov_b32_e32 v4, 0
	s_lshl_b64 s[12:13], s[12:13], 3
	s_waitcnt lgkmcnt(0)
	s_add_u32 s1, s10, s12
	s_addc_u32 s6, s11, s13
	v_lshlrev_b64 v[3:4], 3, v[3:4]
	v_add_co_u32 v3, vcc_lo, s1, v3
	v_add_co_ci_u32_e64 v4, null, s6, v4, vcc_lo
	global_load_dwordx2 v[3:4], v[3:4], off
	s_waitcnt vmcnt(0)
	v_add_f64 v[1:2], v[1:2], v[3:4]
.LBB72_6:
	s_or_b32 exec_lo, exec_lo, s0
	v_and_b32_e32 v9, 31, v0
	v_cmp_gt_u32_e32 vcc_lo, 32, v0
	v_lshlrev_b32_e32 v5, 3, v9
	s_and_saveexec_b32 s0, vcc_lo
; %bb.7:
	v_mov_b32_e32 v3, 0
	v_mov_b32_e32 v4, v3
	ds_write_b64 v5, v[3:4]
; %bb.8:
	s_or_b32 exec_lo, exec_lo, s0
	v_mbcnt_lo_u32_b32 v8, -1, 0
	s_mov_b32 s1, exec_lo
	s_waitcnt lgkmcnt(0)
	s_barrier
	buffer_gl0_inv
	v_lshl_or_b32 v4, v8, 2, 64
	v_cmp_gt_u32_e64 s0, 24, v8
	ds_bpermute_b32 v3, v4, v1
	ds_bpermute_b32 v4, v4, v2
	s_waitcnt lgkmcnt(0)
	v_add_f64 v[1:2], v[1:2], v[3:4]
	v_cndmask_b32_e64 v3, 0, 8, s0
	v_cmp_gt_u32_e64 s0, 28, v8
	v_add_lshl_u32 v4, v3, v8, 2
	ds_bpermute_b32 v3, v4, v1
	ds_bpermute_b32 v4, v4, v2
	s_waitcnt lgkmcnt(0)
	v_add_f64 v[1:2], v[1:2], v[3:4]
	v_cndmask_b32_e64 v3, 0, 4, s0
	v_cmp_gt_u32_e64 s0, 30, v8
	v_add_lshl_u32 v6, v3, v8, 2
	ds_bpermute_b32 v3, v6, v1
	ds_bpermute_b32 v4, v6, v2
	s_waitcnt lgkmcnt(0)
	v_add_f64 v[1:2], v[1:2], v[3:4]
	v_cndmask_b32_e64 v3, 0, 2, s0
	v_cmp_ne_u32_e64 s0, 31, v8
	v_add_lshl_u32 v7, v3, v8, 2
	ds_bpermute_b32 v3, v7, v1
	ds_bpermute_b32 v4, v7, v2
	s_waitcnt lgkmcnt(0)
	v_add_f64 v[1:2], v[1:2], v[3:4]
	v_add_co_ci_u32_e64 v3, null, 0, v8, s0
	v_lshlrev_b32_e32 v8, 2, v3
	ds_bpermute_b32 v3, v8, v1
	ds_bpermute_b32 v4, v8, v2
	v_cmpx_eq_u32_e32 0, v9
	s_cbranch_execz .LBB72_10
; %bb.9:
	s_waitcnt lgkmcnt(0)
	v_add_f64 v[1:2], v[1:2], v[3:4]
	v_lshrrev_b32_e32 v3, 2, v0
	v_and_b32_e32 v3, 56, v3
	ds_write_b64 v3, v[1:2]
.LBB72_10:
	s_or_b32 exec_lo, exec_lo, s1
	v_mov_b32_e32 v1, 0
	v_mov_b32_e32 v2, 0
	s_mov_b32 s1, exec_lo
	s_waitcnt lgkmcnt(0)
	s_barrier
	buffer_gl0_inv
	v_cmpx_gt_u32_e32 8, v0
; %bb.11:
	ds_read_b64 v[1:2], v5
; %bb.12:
	s_or_b32 exec_lo, exec_lo, s1
	s_and_saveexec_b32 s0, vcc_lo
	s_cbranch_execz .LBB72_14
; %bb.13:
	s_waitcnt lgkmcnt(0)
	ds_bpermute_b32 v3, v6, v1
	ds_bpermute_b32 v4, v6, v2
	s_waitcnt lgkmcnt(0)
	v_add_f64 v[1:2], v[1:2], v[3:4]
	ds_bpermute_b32 v3, v7, v1
	ds_bpermute_b32 v4, v7, v2
	s_waitcnt lgkmcnt(0)
	v_add_f64 v[1:2], v[1:2], v[3:4]
	;; [unrolled: 4-line block ×3, first 2 shown]
.LBB72_14:
	s_or_b32 exec_lo, exec_lo, s0
	s_mov_b32 s0, exec_lo
	v_cmpx_eq_u32_e32 0, v0
	s_cbranch_execz .LBB72_18
; %bb.15:
	s_clause 0x1
	s_load_dwordx2 s[0:1], s[4:5], 0x30
	s_load_dword s6, s[4:5], 0x28
	v_cmp_eq_f64_e64 s9, s[2:3], 0
	s_waitcnt lgkmcnt(0)
	s_mul_i32 s1, s1, s8
	s_mul_hi_u32 s4, s0, s8
	s_mul_i32 s0, s0, s8
	s_add_i32 s1, s4, s1
	s_ashr_i32 s4, s6, 31
	s_lshl_b64 s[0:1], s[0:1], 3
	s_mul_hi_u32 s8, s6, s7
	s_add_u32 s5, s16, s0
	s_addc_u32 s10, s17, s1
	s_lshl_b64 s[0:1], s[18:19], 3
	s_mul_i32 s11, s4, s7
	s_add_u32 s4, s5, s0
	s_addc_u32 s5, s10, s1
	s_add_i32 s1, s8, s11
	s_and_b32 vcc_lo, exec_lo, s9
	s_mul_i32 s0, s6, s7
	s_cbranch_vccnz .LBB72_17
; %bb.16:
	s_lshl_b64 s[6:7], s[0:1], 3
	s_add_u32 s6, s4, s6
	s_addc_u32 s7, s5, s7
	s_load_dwordx2 s[6:7], s[6:7], 0x0
	s_waitcnt lgkmcnt(0)
	v_fma_f64 v[1:2], s[2:3], s[6:7], v[1:2]
.LBB72_17:
	s_lshl_b64 s[0:1], s[0:1], 3
	v_mov_b32_e32 v0, 0
	s_add_u32 s0, s4, s0
	s_addc_u32 s1, s5, s1
	global_store_dwordx2 v0, v[1:2], s[0:1]
.LBB72_18:
	s_endpgm
	.section	.rodata,"a",@progbits
	.p2align	6, 0x0
	.amdhsa_kernel _ZL23rocblas_gemvt_sn_reduceILi256ELi8EdPKddEviT2_lPT3_lilPT1_i
		.amdhsa_group_segment_fixed_size 256
		.amdhsa_private_segment_fixed_size 0
		.amdhsa_kernarg_size 328
		.amdhsa_user_sgpr_count 6
		.amdhsa_user_sgpr_private_segment_buffer 1
		.amdhsa_user_sgpr_dispatch_ptr 0
		.amdhsa_user_sgpr_queue_ptr 0
		.amdhsa_user_sgpr_kernarg_segment_ptr 1
		.amdhsa_user_sgpr_dispatch_id 0
		.amdhsa_user_sgpr_flat_scratch_init 0
		.amdhsa_user_sgpr_private_segment_size 0
		.amdhsa_wavefront_size32 1
		.amdhsa_uses_dynamic_stack 0
		.amdhsa_system_sgpr_private_segment_wavefront_offset 0
		.amdhsa_system_sgpr_workgroup_id_x 1
		.amdhsa_system_sgpr_workgroup_id_y 1
		.amdhsa_system_sgpr_workgroup_id_z 1
		.amdhsa_system_sgpr_workgroup_info 0
		.amdhsa_system_vgpr_workitem_id 0
		.amdhsa_next_free_vgpr 22
		.amdhsa_next_free_sgpr 22
		.amdhsa_reserve_vcc 1
		.amdhsa_reserve_flat_scratch 0
		.amdhsa_float_round_mode_32 0
		.amdhsa_float_round_mode_16_64 0
		.amdhsa_float_denorm_mode_32 3
		.amdhsa_float_denorm_mode_16_64 3
		.amdhsa_dx10_clamp 1
		.amdhsa_ieee_mode 1
		.amdhsa_fp16_overflow 0
		.amdhsa_workgroup_processor_mode 1
		.amdhsa_memory_ordered 1
		.amdhsa_forward_progress 1
		.amdhsa_shared_vgpr_count 0
		.amdhsa_exception_fp_ieee_invalid_op 0
		.amdhsa_exception_fp_denorm_src 0
		.amdhsa_exception_fp_ieee_div_zero 0
		.amdhsa_exception_fp_ieee_overflow 0
		.amdhsa_exception_fp_ieee_underflow 0
		.amdhsa_exception_fp_ieee_inexact 0
		.amdhsa_exception_int_div_zero 0
	.end_amdhsa_kernel
	.section	.text._ZL23rocblas_gemvt_sn_reduceILi256ELi8EdPKddEviT2_lPT3_lilPT1_i,"axG",@progbits,_ZL23rocblas_gemvt_sn_reduceILi256ELi8EdPKddEviT2_lPT3_lilPT1_i,comdat
.Lfunc_end72:
	.size	_ZL23rocblas_gemvt_sn_reduceILi256ELi8EdPKddEviT2_lPT3_lilPT1_i, .Lfunc_end72-_ZL23rocblas_gemvt_sn_reduceILi256ELi8EdPKddEviT2_lPT3_lilPT1_i
                                        ; -- End function
	.set _ZL23rocblas_gemvt_sn_reduceILi256ELi8EdPKddEviT2_lPT3_lilPT1_i.num_vgpr, 22
	.set _ZL23rocblas_gemvt_sn_reduceILi256ELi8EdPKddEviT2_lPT3_lilPT1_i.num_agpr, 0
	.set _ZL23rocblas_gemvt_sn_reduceILi256ELi8EdPKddEviT2_lPT3_lilPT1_i.numbered_sgpr, 22
	.set _ZL23rocblas_gemvt_sn_reduceILi256ELi8EdPKddEviT2_lPT3_lilPT1_i.num_named_barrier, 0
	.set _ZL23rocblas_gemvt_sn_reduceILi256ELi8EdPKddEviT2_lPT3_lilPT1_i.private_seg_size, 0
	.set _ZL23rocblas_gemvt_sn_reduceILi256ELi8EdPKddEviT2_lPT3_lilPT1_i.uses_vcc, 1
	.set _ZL23rocblas_gemvt_sn_reduceILi256ELi8EdPKddEviT2_lPT3_lilPT1_i.uses_flat_scratch, 0
	.set _ZL23rocblas_gemvt_sn_reduceILi256ELi8EdPKddEviT2_lPT3_lilPT1_i.has_dyn_sized_stack, 0
	.set _ZL23rocblas_gemvt_sn_reduceILi256ELi8EdPKddEviT2_lPT3_lilPT1_i.has_recursion, 0
	.set _ZL23rocblas_gemvt_sn_reduceILi256ELi8EdPKddEviT2_lPT3_lilPT1_i.has_indirect_call, 0
	.section	.AMDGPU.csdata,"",@progbits
; Kernel info:
; codeLenInByte = 1160
; TotalNumSgprs: 24
; NumVgprs: 22
; ScratchSize: 0
; MemoryBound: 1
; FloatMode: 240
; IeeeMode: 1
; LDSByteSize: 256 bytes/workgroup (compile time only)
; SGPRBlocks: 0
; VGPRBlocks: 2
; NumSGPRsForWavesPerEU: 24
; NumVGPRsForWavesPerEU: 22
; Occupancy: 16
; WaveLimiterHint : 0
; COMPUTE_PGM_RSRC2:SCRATCH_EN: 0
; COMPUTE_PGM_RSRC2:USER_SGPR: 6
; COMPUTE_PGM_RSRC2:TRAP_HANDLER: 0
; COMPUTE_PGM_RSRC2:TGID_X_EN: 1
; COMPUTE_PGM_RSRC2:TGID_Y_EN: 1
; COMPUTE_PGM_RSRC2:TGID_Z_EN: 1
; COMPUTE_PGM_RSRC2:TIDIG_COMP_CNT: 0
	.section	.text._ZL23rocblas_gemvt_sn_kernelILb0ELi256ELi4EidddEviiT4_lPKT3_lilS3_lilPT5_i,"axG",@progbits,_ZL23rocblas_gemvt_sn_kernelILb0ELi256ELi4EidddEviiT4_lPKT3_lilS3_lilPT5_i,comdat
	.globl	_ZL23rocblas_gemvt_sn_kernelILb0ELi256ELi4EidddEviiT4_lPKT3_lilS3_lilPT5_i ; -- Begin function _ZL23rocblas_gemvt_sn_kernelILb0ELi256ELi4EidddEviiT4_lPKT3_lilS3_lilPT5_i
	.p2align	8
	.type	_ZL23rocblas_gemvt_sn_kernelILb0ELi256ELi4EidddEviiT4_lPKT3_lilS3_lilPT5_i,@function
_ZL23rocblas_gemvt_sn_kernelILb0ELi256ELi4EidddEviiT4_lPKT3_lilS3_lilPT5_i: ; @_ZL23rocblas_gemvt_sn_kernelILb0ELi256ELi4EidddEviiT4_lPKT3_lilS3_lilPT5_i
; %bb.0:
	s_clause 0x2
	s_load_dwordx4 s[12:15], s[4:5], 0x0
	s_load_dword s20, s[4:5], 0x68
	s_load_dwordx4 s[8:11], s[4:5], 0x50
	s_mov_b32 s21, 0
	s_waitcnt lgkmcnt(0)
	v_cmp_neq_f64_e64 s2, s[14:15], 0
	s_ashr_i32 s24, s13, 31
	s_mul_hi_u32 s0, s13, s7
	s_mul_i32 s1, s24, s7
	s_mul_i32 s3, s13, s7
	s_add_i32 s0, s0, s1
	s_mul_hi_u32 s1, s3, s20
	s_mul_i32 s16, s0, s20
	s_mul_i32 s0, s3, s20
	s_add_i32 s1, s1, s16
	s_lshl_b64 s[0:1], s[0:1], 3
	s_add_u32 s39, s10, s0
	v_cmp_eq_u32_e64 s0, 0, v0
	s_addc_u32 s38, s11, s1
	s_and_b32 vcc_lo, exec_lo, s2
	s_cbranch_vccnz .LBB73_5
; %bb.1:
	s_cmp_gt_i32 s13, 0
	s_cselect_b32 s1, -1, 0
	s_and_b32 s0, s0, s1
	s_and_saveexec_b32 s10, s0
	s_cbranch_execz .LBB73_4
; %bb.2:
	v_mov_b32_e32 v1, 0
	s_mov_b32 s0, s7
	s_mov_b32 s7, 0
	;; [unrolled: 1-line block ×3, first 2 shown]
	s_lshl_b64 s[2:3], s[6:7], 3
	v_mov_b32_e32 v2, v1
	s_mov_b32 s7, s0
	s_add_u32 s0, s39, s2
	s_addc_u32 s1, s38, s3
	s_lshl_b64 s[2:3], s[20:21], 3
.LBB73_3:                               ; =>This Inner Loop Header: Depth=1
	s_add_i32 s11, s11, -1
	global_store_dwordx2 v1, v[1:2], s[0:1]
	s_add_u32 s0, s0, s2
	s_addc_u32 s1, s1, s3
	s_cmp_eq_u32 s11, 0
	s_cbranch_scc0 .LBB73_3
.LBB73_4:
	s_or_b32 exec_lo, exec_lo, s10
	s_cbranch_execz .LBB73_6
	s_branch .LBB73_58
.LBB73_5:
.LBB73_6:
	s_clause 0x2
	s_load_dwordx4 s[0:3], s[4:5], 0x30
	s_load_dwordx2 s[22:23], s[4:5], 0x40
	s_load_dwordx4 s[16:19], s[4:5], 0x18
	s_mul_i32 s9, s9, s7
	s_mul_hi_u32 s10, s8, s7
	s_mul_i32 s8, s8, s7
	s_add_i32 s9, s10, s9
	s_clause 0x1
	s_load_dword s10, s[4:5], 0x28
	s_load_dword s36, s[4:5], 0x48
	s_lshl_b64 s[8:9], s[8:9], 3
	v_and_b32_e32 v20, 31, v0
	v_mbcnt_lo_u32_b32 v38, -1, 0
	v_lshrrev_b32_e32 v39, 2, v0
	s_waitcnt lgkmcnt(0)
	s_add_u32 s8, s2, s8
	s_addc_u32 s9, s3, s9
	s_lshl_b64 s[2:3], s[22:23], 3
	s_mul_i32 s1, s1, s7
	s_mul_hi_u32 s11, s0, s7
	s_add_u32 s21, s8, s2
	s_mul_i32 s0, s0, s7
	s_addc_u32 s33, s9, s3
	s_add_i32 s1, s11, s1
	s_lshl_b64 s[22:23], s[0:1], 3
	v_cmp_gt_u32_e64 s0, 32, v0
	s_add_u32 s1, s16, s22
	s_addc_u32 s2, s17, s23
	s_lshl_b64 s[18:19], s[18:19], 3
	s_add_u32 s3, s1, s18
	s_addc_u32 s2, s2, s19
	s_lshl_b32 s1, s6, 10
	s_ashr_i32 s4, s12, 31
	v_lshl_or_b32 v1, v0, 2, s1
	s_lshr_b32 s4, s4, 30
	s_lshr_b32 s5, s24, 30
	s_add_i32 s4, s12, s4
	s_add_i32 s5, s13, s5
	v_ashrrev_i32_e32 v2, 31, v1
	s_and_b32 s4, s4, -4
	v_mul_lo_u32 v19, s36, v1
	s_sub_i32 s37, s12, s4
	v_cmp_gt_u32_e64 s1, 8, v0
	v_lshlrev_b64 v[21:22], 3, v[1:2]
	v_add_nc_u32_e32 v40, 4, v1
	v_add_nc_u32_e32 v41, s37, v1
	s_and_b32 s40, s5, -4
	s_cmp_lt_i32 s40, 1
	v_add_co_u32 v36, vcc_lo, s3, v21
	v_add_co_ci_u32_e64 v37, null, s2, v22, vcc_lo
	s_cbranch_scc1 .LBB73_33
; %bb.7:
	v_cmp_gt_u32_e32 vcc_lo, 24, v38
	v_mul_lo_u32 v23, s36, v1
	v_mov_b32_e32 v9, 0
	s_cmp_gt_i32 s37, 0
	s_mov_b32 s25, 0
	v_cndmask_b32_e64 v2, 0, 8, vcc_lo
	v_cmp_gt_u32_e32 vcc_lo, 28, v38
	s_cselect_b32 s41, -1, 0
	s_lshl_b32 s42, s10, 2
	v_ashrrev_i32_e32 v24, 31, v23
	v_add_lshl_u32 v43, v2, v38, 2
	v_cndmask_b32_e64 v3, 0, 4, vcc_lo
	v_cmp_gt_u32_e32 vcc_lo, 30, v38
	s_lshl_b32 s24, s10, 1
	v_lshlrev_b64 v[5:6], 3, v[23:24]
	s_add_u32 s7, s22, s18
	v_add_lshl_u32 v44, v3, v38, 2
	v_cndmask_b32_e64 v1, 0, 2, vcc_lo
	v_cmp_ne_u32_e32 vcc_lo, 31, v38
	s_addc_u32 s8, s23, s19
	v_mov_b32_e32 v10, v9
	v_mov_b32_e32 v11, v9
	v_add_lshl_u32 v45, v1, v38, 2
	v_add_nc_u32_e32 v1, s36, v23
	v_add_co_ci_u32_e64 v4, null, 0, v38, vcc_lo
	v_add_co_u32 v24, vcc_lo, s21, v5
	v_add_nc_u32_e32 v3, s36, v1
	v_ashrrev_i32_e32 v2, 31, v1
	v_lshlrev_b32_e32 v46, 2, v4
	v_add_co_ci_u32_e64 v25, null, s33, v6, vcc_lo
	v_add_nc_u32_e32 v7, s36, v3
	v_lshlrev_b64 v[1:2], 3, v[1:2]
	v_ashrrev_i32_e32 v4, 31, v3
	v_mov_b32_e32 v12, v9
	v_mov_b32_e32 v13, v9
	v_ashrrev_i32_e32 v8, 31, v7
	v_mov_b32_e32 v14, v9
	v_lshlrev_b64 v[3:4], 3, v[3:4]
	v_add_co_u32 v26, vcc_lo, s21, v1
	v_add_co_ci_u32_e64 v27, null, s33, v2, vcc_lo
	v_lshlrev_b64 v[1:2], 3, v[7:8]
	v_add_co_u32 v28, vcc_lo, s21, v3
	v_mov_b32_e32 v15, v9
	v_mov_b32_e32 v16, v9
	v_add_co_ci_u32_e64 v29, null, s33, v4, vcc_lo
	v_add_co_u32 v30, vcc_lo, s21, v1
	s_add_u32 s7, s16, s7
	v_add_co_ci_u32_e64 v31, null, s33, v2, vcc_lo
	s_addc_u32 s8, s17, s8
	v_add_co_u32 v49, vcc_lo, s7, v21
	v_mov_b32_e32 v1, v9
	v_cmp_ge_i32_e64 s2, s12, v40
	v_cmp_ge_i32_e64 s3, s12, v41
	v_lshl_or_b32 v42, v38, 2, 64
	v_cmp_eq_u32_e64 s4, 0, v20
	v_lshlrev_b32_e32 v47, 3, v20
	v_and_b32_e32 v48, 56, v39
	v_cmp_eq_u32_e64 s5, 0, v0
	v_add_co_ci_u32_e64 v50, null, s8, v22, vcc_lo
	v_mov_b32_e32 v2, v10
	v_mov_b32_e32 v3, v11
	;; [unrolled: 1-line block ×7, first 2 shown]
	s_mov_b32 s11, s25
	s_mul_i32 s43, s10, 3
	s_mov_b32 s44, s25
	s_mov_b32 s26, s25
	s_mov_b64 s[28:29], s[24:25]
	s_mov_b64 s[30:31], s[10:11]
	s_mov_b32 s11, 0
	s_branch .LBB73_9
.LBB73_8:                               ;   in Loop: Header=BB73_9 Depth=1
	s_or_b32 exec_lo, exec_lo, s7
	s_add_i32 s11, s11, 4
	s_add_u32 s30, s30, s42
	s_addc_u32 s31, s31, 0
	s_add_u32 s28, s28, s42
	s_addc_u32 s29, s29, 0
	;; [unrolled: 2-line block ×3, first 2 shown]
	s_add_i32 s26, s26, s42
	s_cmp_ge_i32 s11, s40
	s_cbranch_scc1 .LBB73_34
.LBB73_9:                               ; =>This Loop Header: Depth=1
                                        ;     Child Loop BB73_15 Depth 2
                                        ;     Child Loop BB73_18 Depth 2
                                        ;     Child Loop BB73_23 Depth 2
                                        ; implicit-def: $vgpr11_vgpr12_vgpr13_vgpr14_vgpr15_vgpr16_vgpr17_vgpr18
	s_and_saveexec_b32 s7, s2
	s_xor_b32 s7, exec_lo, s7
	s_cbranch_execz .LBB73_11
; %bb.10:                               ;   in Loop: Header=BB73_9 Depth=1
	s_mul_i32 s8, s11, s10
	s_ashr_i32 s9, s8, 31
	s_add_i32 s34, s8, s10
	s_lshl_b64 s[8:9], s[8:9], 3
	s_ashr_i32 s35, s34, 31
	v_add_co_u32 v5, vcc_lo, v36, s8
	v_add_co_ci_u32_e64 v6, null, s9, v37, vcc_lo
	s_lshl_b64 s[8:9], s[34:35], 3
	s_add_i32 s34, s34, s10
	v_add_co_u32 v7, vcc_lo, v36, s8
	s_ashr_i32 s35, s34, 31
	s_add_i32 s8, s34, s10
	v_add_co_ci_u32_e64 v8, null, s9, v37, vcc_lo
	s_lshl_b64 s[34:35], s[34:35], 3
	s_ashr_i32 s9, s8, 31
	v_add_co_u32 v63, vcc_lo, v36, s34
	s_lshl_b64 s[8:9], s[8:9], 3
	v_add_co_ci_u32_e64 v64, null, s35, v37, vcc_lo
	v_add_co_u32 v67, vcc_lo, v36, s8
	v_add_co_ci_u32_e64 v68, null, s9, v37, vcc_lo
	global_load_dwordx2 v[1:2], v[24:25], off
	s_clause 0x3
	global_load_dwordx4 v[10:13], v[5:6], off
	global_load_dwordx4 v[14:17], v[7:8], off
	;; [unrolled: 1-line block ×4, first 2 shown]
	global_load_dwordx2 v[3:4], v[26:27], off
	global_load_dwordx4 v[55:58], v[5:6], off offset:16
	global_load_dwordx2 v[5:6], v[28:29], off
	s_clause 0x2
	global_load_dwordx4 v[59:62], v[7:8], off offset:16
	global_load_dwordx4 v[63:66], v[63:64], off offset:16
	;; [unrolled: 1-line block ×3, first 2 shown]
	global_load_dwordx2 v[7:8], v[30:31], off
	s_waitcnt vmcnt(10)
	v_fma_f64 v[10:11], v[1:2], v[10:11], 0
	s_waitcnt vmcnt(9)
	v_fma_f64 v[14:15], v[1:2], v[14:15], 0
	;; [unrolled: 2-line block ×5, first 2 shown]
	v_fma_f64 v[12:13], v[3:4], v[16:17], v[14:15]
	v_fma_f64 v[14:15], v[3:4], v[34:35], v[32:33]
	;; [unrolled: 1-line block ×3, first 2 shown]
	s_waitcnt vmcnt(4)
	v_fma_f64 v[10:11], v[5:6], v[55:56], v[10:11]
	s_waitcnt vmcnt(3)
	v_fma_f64 v[32:33], v[5:6], v[59:60], v[12:13]
	;; [unrolled: 2-line block ×5, first 2 shown]
	v_fma_f64 v[13:14], v[7:8], v[61:62], v[32:33]
	v_fma_f64 v[15:16], v[7:8], v[65:66], v[34:35]
	;; [unrolled: 1-line block ×3, first 2 shown]
.LBB73_11:                              ;   in Loop: Header=BB73_9 Depth=1
	s_andn2_saveexec_b32 s24, s7
	s_cbranch_execz .LBB73_21
; %bb.12:                               ;   in Loop: Header=BB73_9 Depth=1
	v_mov_b32_e32 v16, v9
	v_mov_b32_e32 v10, v9
	;; [unrolled: 1-line block ×15, first 2 shown]
	s_and_saveexec_b32 s45, s3
	s_cbranch_execz .LBB73_20
; %bb.13:                               ;   in Loop: Header=BB73_9 Depth=1
	s_andn2_b32 vcc_lo, exec_lo, s41
	s_cbranch_vccnz .LBB73_16
; %bb.14:                               ;   in Loop: Header=BB73_9 Depth=1
	v_mov_b32_e32 v10, v23
	s_mov_b64 s[34:35], 0
	s_inst_prefetch 0x1
	.p2align	6
.LBB73_15:                              ;   Parent Loop BB73_9 Depth=1
                                        ; =>  This Inner Loop Header: Depth=2
	v_ashrrev_i32_e32 v11, 31, v10
	s_cmp_eq_u32 s34, 3
	v_lshlrev_b64 v[11:12], 3, v[10:11]
	v_add_nc_u32_e32 v10, s36, v10
	v_add_co_u32 v11, vcc_lo, s21, v11
	v_add_co_ci_u32_e64 v12, null, s33, v12, vcc_lo
	s_cselect_b32 vcc_lo, -1, 0
	s_cmp_eq_u32 s34, 2
	s_cselect_b32 s7, -1, 0
	global_load_dwordx2 v[11:12], v[11:12], off
	s_cmp_eq_u32 s34, 1
	s_cselect_b32 s8, -1, 0
	s_cmp_eq_u32 s34, 0
	s_cselect_b32 s9, -1, 0
	s_add_u32 s34, s34, 1
	s_addc_u32 s35, s35, 0
	s_cmp_eq_u32 s37, s34
	s_waitcnt vmcnt(0)
	v_cndmask_b32_e32 v8, v8, v12, vcc_lo
	v_cndmask_b32_e32 v7, v7, v11, vcc_lo
	v_cndmask_b32_e64 v6, v6, v12, s7
	v_cndmask_b32_e64 v5, v5, v11, s7
	;; [unrolled: 1-line block ×6, first 2 shown]
	s_cbranch_scc0 .LBB73_15
.LBB73_16:                              ;   in Loop: Header=BB73_9 Depth=1
	s_inst_prefetch 0x2
	s_andn2_b32 vcc_lo, exec_lo, s41
	s_cbranch_vccnz .LBB73_19
; %bb.17:                               ;   in Loop: Header=BB73_9 Depth=1
	s_ashr_i32 s27, s26, 31
	v_mov_b32_e32 v11, 0
	s_lshl_b64 s[8:9], s[26:27], 3
	v_mov_b32_e32 v13, 0
	v_add_co_u32 v32, vcc_lo, v49, s8
	v_mov_b32_e32 v15, 0
	v_mov_b32_e32 v17, 0
	;; [unrolled: 1-line block ×6, first 2 shown]
	v_add_co_ci_u32_e64 v33, null, s9, v50, vcc_lo
	s_mov_b64 s[34:35], 0
.LBB73_18:                              ;   Parent Loop BB73_9 Depth=1
                                        ; =>  This Inner Loop Header: Depth=2
	s_cmp_eq_u32 s34, 1
	s_cselect_b32 vcc_lo, -1, 0
	s_cmp_eq_u32 s34, 2
	v_cndmask_b32_e32 v10, v2, v4, vcc_lo
	s_cselect_b32 s7, -1, 0
	s_cmp_eq_u32 s34, 3
	v_cndmask_b32_e32 v57, v1, v3, vcc_lo
	s_cselect_b32 s8, -1, 0
	s_add_i32 s46, s30, s34
	s_add_i32 s48, s28, s34
	s_ashr_i32 s47, s46, 31
	s_add_i32 s50, s43, s34
	s_ashr_i32 s49, s48, 31
	s_lshl_b64 s[46:47], s[46:47], 3
	s_ashr_i32 s51, s50, 31
	s_lshl_b64 s[48:49], s[48:49], 3
	v_add_co_u32 v34, s9, v36, s46
	s_lshl_b64 s[50:51], s[50:51], 3
	v_add_co_ci_u32_e64 v35, null, s47, v37, s9
	v_add_co_u32 v51, s9, v36, s48
	v_add_co_ci_u32_e64 v52, null, s49, v37, s9
	v_add_co_u32 v53, s9, v36, s50
	v_add_co_ci_u32_e64 v54, null, s51, v37, s9
	global_load_dwordx2 v[55:56], v[32:33], off
	s_clause 0x2
	global_load_dwordx2 v[34:35], v[34:35], off
	global_load_dwordx2 v[51:52], v[51:52], off
	;; [unrolled: 1-line block ×3, first 2 shown]
	v_cndmask_b32_e64 v10, v10, v6, s7
	v_cndmask_b32_e64 v57, v57, v5, s7
	v_add_co_u32 v32, vcc_lo, v32, 8
	v_add_co_ci_u32_e64 v33, null, 0, v33, vcc_lo
	v_cndmask_b32_e64 v58, v10, v8, s8
	v_cndmask_b32_e64 v57, v57, v7, s8
	s_add_u32 s34, s34, 1
	s_addc_u32 s35, s35, 0
	s_cmp_lg_u32 s37, s34
	s_waitcnt vmcnt(3)
	v_fma_f64 v[11:12], v[57:58], v[55:56], v[11:12]
	s_waitcnt vmcnt(2)
	v_fma_f64 v[13:14], v[57:58], v[34:35], v[13:14]
	;; [unrolled: 2-line block ×4, first 2 shown]
	s_cbranch_scc1 .LBB73_18
	s_branch .LBB73_20
.LBB73_19:                              ;   in Loop: Header=BB73_9 Depth=1
	v_mov_b32_e32 v16, v9
	v_mov_b32_e32 v10, v9
	;; [unrolled: 1-line block ×15, first 2 shown]
.LBB73_20:                              ;   in Loop: Header=BB73_9 Depth=1
	s_or_b32 exec_lo, exec_lo, s45
.LBB73_21:                              ;   in Loop: Header=BB73_9 Depth=1
	s_or_b32 exec_lo, exec_lo, s24
	s_mov_b64 s[8:9], 0
	s_branch .LBB73_23
.LBB73_22:                              ;   in Loop: Header=BB73_23 Depth=2
	s_or_b32 exec_lo, exec_lo, s7
	s_cmp_eq_u32 s8, 3
	s_cselect_b32 vcc_lo, -1, 0
	s_cmp_eq_u32 s8, 2
	s_waitcnt lgkmcnt(0)
	v_cndmask_b32_e32 v18, v18, v33, vcc_lo
	v_cndmask_b32_e32 v17, v17, v32, vcc_lo
	s_cselect_b32 vcc_lo, -1, 0
	s_cmp_eq_u32 s8, 1
	v_cndmask_b32_e32 v16, v16, v33, vcc_lo
	v_cndmask_b32_e32 v15, v15, v32, vcc_lo
	s_cselect_b32 vcc_lo, -1, 0
	s_cmp_eq_u32 s8, 0
	v_cndmask_b32_e32 v14, v14, v33, vcc_lo
	v_cndmask_b32_e32 v13, v13, v32, vcc_lo
	s_cselect_b32 vcc_lo, -1, 0
	s_add_u32 s8, s8, 1
	v_cndmask_b32_e32 v12, v12, v33, vcc_lo
	v_cndmask_b32_e32 v11, v11, v32, vcc_lo
	s_addc_u32 s9, s9, 0
	s_cmp_eq_u32 s8, 4
	s_cbranch_scc1 .LBB73_31
.LBB73_23:                              ;   Parent Loop BB73_9 Depth=1
                                        ; =>  This Inner Loop Header: Depth=2
	s_and_saveexec_b32 s7, s0
; %bb.24:                               ;   in Loop: Header=BB73_23 Depth=2
	v_mov_b32_e32 v10, v9
	ds_write_b64 v47, v[9:10]
; %bb.25:                               ;   in Loop: Header=BB73_23 Depth=2
	s_or_b32 exec_lo, exec_lo, s7
	s_cmp_eq_u32 s8, 1
	s_waitcnt lgkmcnt(0)
	s_waitcnt_vscnt null, 0x0
	s_cselect_b32 vcc_lo, -1, 0
	s_cmp_eq_u32 s8, 2
	v_cndmask_b32_e32 v10, v12, v14, vcc_lo
	v_cndmask_b32_e32 v32, v11, v13, vcc_lo
	s_cselect_b32 vcc_lo, -1, 0
	s_cmp_eq_u32 s8, 3
	s_barrier
	v_cndmask_b32_e32 v10, v10, v16, vcc_lo
	v_cndmask_b32_e32 v32, v32, v15, vcc_lo
	s_cselect_b32 vcc_lo, -1, 0
	buffer_gl0_inv
	v_cndmask_b32_e32 v33, v10, v18, vcc_lo
	v_cndmask_b32_e32 v32, v32, v17, vcc_lo
	ds_bpermute_b32 v35, v42, v33
	ds_bpermute_b32 v34, v42, v32
	s_waitcnt lgkmcnt(0)
	v_add_f64 v[32:33], v[32:33], v[34:35]
	ds_bpermute_b32 v34, v43, v32
	ds_bpermute_b32 v35, v43, v33
	s_waitcnt lgkmcnt(0)
	v_add_f64 v[32:33], v[32:33], v[34:35]
	;; [unrolled: 4-line block ×4, first 2 shown]
	ds_bpermute_b32 v34, v46, v32
	ds_bpermute_b32 v35, v46, v33
	s_and_saveexec_b32 s7, s4
	s_cbranch_execz .LBB73_27
; %bb.26:                               ;   in Loop: Header=BB73_23 Depth=2
	s_waitcnt lgkmcnt(0)
	v_add_f64 v[32:33], v[32:33], v[34:35]
	ds_write_b64 v48, v[32:33]
.LBB73_27:                              ;   in Loop: Header=BB73_23 Depth=2
	s_or_b32 exec_lo, exec_lo, s7
	v_mov_b32_e32 v32, 0
	v_mov_b32_e32 v33, 0
	s_waitcnt lgkmcnt(0)
	s_barrier
	buffer_gl0_inv
	s_and_saveexec_b32 s7, s1
; %bb.28:                               ;   in Loop: Header=BB73_23 Depth=2
	ds_read_b64 v[32:33], v47
; %bb.29:                               ;   in Loop: Header=BB73_23 Depth=2
	s_or_b32 exec_lo, exec_lo, s7
	s_and_saveexec_b32 s7, s0
	s_cbranch_execz .LBB73_22
; %bb.30:                               ;   in Loop: Header=BB73_23 Depth=2
	s_waitcnt lgkmcnt(0)
	ds_bpermute_b32 v34, v44, v32
	ds_bpermute_b32 v35, v44, v33
	s_waitcnt lgkmcnt(0)
	v_add_f64 v[32:33], v[32:33], v[34:35]
	ds_bpermute_b32 v34, v45, v32
	ds_bpermute_b32 v35, v45, v33
	s_waitcnt lgkmcnt(0)
	v_add_f64 v[32:33], v[32:33], v[34:35]
	;; [unrolled: 4-line block ×3, first 2 shown]
	s_branch .LBB73_22
.LBB73_31:                              ;   in Loop: Header=BB73_9 Depth=1
	s_and_saveexec_b32 s7, s5
	s_cbranch_execz .LBB73_8
; %bb.32:                               ;   in Loop: Header=BB73_9 Depth=1
	s_mul_i32 s8, s11, s20
	v_mul_f64 v[10:11], s[14:15], v[11:12]
	v_mul_f64 v[12:13], s[14:15], v[13:14]
	;; [unrolled: 1-line block ×3, first 2 shown]
	s_add_i32 s24, s8, s6
	v_mul_f64 v[16:17], s[14:15], v[17:18]
	s_lshl_b64 s[8:9], s[24:25], 3
	s_add_u32 s8, s39, s8
	s_addc_u32 s9, s38, s9
	s_add_i32 s24, s24, s20
	s_lshl_b64 s[34:35], s[24:25], 3
	s_add_u32 s34, s39, s34
	s_addc_u32 s35, s38, s35
	s_add_i32 s24, s24, s20
	global_store_dwordx2 v9, v[10:11], s[8:9]
	global_store_dwordx2 v9, v[12:13], s[34:35]
	s_lshl_b64 s[46:47], s[24:25], 3
	s_add_u32 s46, s39, s46
	s_addc_u32 s47, s38, s47
	s_add_i32 s24, s24, s20
	s_lshl_b64 s[48:49], s[24:25], 3
	s_add_u32 s48, s39, s48
	s_addc_u32 s49, s38, s49
	global_store_dwordx2 v9, v[14:15], s[46:47]
	global_store_dwordx2 v9, v[16:17], s[48:49]
	s_branch .LBB73_8
.LBB73_33:
	v_mov_b32_e32 v1, 0
	s_mov_b32 s11, 0
	v_mov_b32_e32 v2, v1
	v_mov_b32_e32 v3, v1
	;; [unrolled: 1-line block ×7, first 2 shown]
.LBB73_34:
	s_cmp_ge_i32 s11, s13
	s_cbranch_scc1 .LBB73_58
; %bb.35:
	v_cmp_gt_u32_e32 vcc_lo, 24, v38
	v_lshlrev_b32_e32 v24, 3, v20
	v_cmp_eq_u32_e64 s3, 0, v20
	v_ashrrev_i32_e32 v20, 31, v19
	s_cmp_gt_i32 s37, 0
	v_cndmask_b32_e64 v9, 0, 8, vcc_lo
	v_cmp_gt_u32_e32 vcc_lo, 28, v38
	s_mov_b32 s7, 0
	v_lshlrev_b64 v[13:14], 3, v[19:20]
	v_cmp_ge_i32_e64 s0, s12, v40
	v_add_lshl_u32 v26, v9, v38, 2
	v_cndmask_b32_e64 v10, 0, 4, vcc_lo
	v_cmp_gt_u32_e32 vcc_lo, 30, v38
	v_add_nc_u32_e32 v9, s36, v19
	v_cmp_ge_i32_e64 s1, s12, v41
	s_cselect_b32 s12, -1, 0
	v_add_lshl_u32 v27, v10, v38, 2
	v_cndmask_b32_e64 v11, 0, 2, vcc_lo
	v_cmp_ne_u32_e32 vcc_lo, 31, v38
	v_ashrrev_i32_e32 v10, 31, v9
	s_lshl_b64 s[8:9], s[6:7], 3
	v_cmp_gt_u32_e64 s2, 32, v0
	v_add_lshl_u32 v28, v11, v38, 2
	v_add_nc_u32_e32 v11, s36, v9
	v_add_co_ci_u32_e64 v12, null, 0, v38, vcc_lo
	v_lshlrev_b64 v[15:16], 3, v[9:10]
	v_add_co_u32 v9, vcc_lo, s21, v13
	v_add_nc_u32_e32 v17, s36, v11
	v_lshlrev_b32_e32 v29, 2, v12
	v_ashrrev_i32_e32 v12, 31, v11
	v_add_co_ci_u32_e64 v10, null, s33, v14, vcc_lo
	v_ashrrev_i32_e32 v18, 31, v17
	s_add_u32 s24, s39, s8
	v_lshlrev_b64 v[13:14], 3, v[11:12]
	v_add_co_u32 v11, vcc_lo, s21, v15
	v_add_co_ci_u32_e64 v12, null, s33, v16, vcc_lo
	v_lshlrev_b64 v[15:16], 3, v[17:18]
	s_addc_u32 s25, s38, s9
	v_add_co_u32 v13, vcc_lo, s21, v13
	s_add_u32 s6, s22, s18
	s_addc_u32 s8, s23, s19
	v_add_co_ci_u32_e64 v14, null, s33, v14, vcc_lo
	v_add_co_u32 v15, vcc_lo, s21, v15
	s_add_u32 s6, s16, s6
	v_cmp_gt_u32_e64 s4, 8, v0
	v_cmp_eq_u32_e64 s5, 0, v0
	v_add_co_ci_u32_e64 v16, null, s33, v16, vcc_lo
	s_addc_u32 s8, s17, s8
	v_add_co_u32 v0, vcc_lo, s6, v21
	v_lshl_or_b32 v25, v38, 2, 64
	v_and_b32_e32 v30, 56, v39
	v_add_co_ci_u32_e64 v31, null, s8, v22, vcc_lo
	v_mov_b32_e32 v17, 0
	s_mul_i32 s16, s11, s10
	s_branch .LBB73_37
.LBB73_36:                              ;   in Loop: Header=BB73_37 Depth=1
	s_or_b32 exec_lo, exec_lo, s6
	s_add_i32 s11, s11, 1
	s_add_i32 s16, s16, s10
	s_cmp_ge_i32 s11, s13
	s_cbranch_scc1 .LBB73_58
.LBB73_37:                              ; =>This Loop Header: Depth=1
                                        ;     Child Loop BB73_50 Depth 2
                                        ;     Child Loop BB73_53 Depth 2
	s_waitcnt lgkmcnt(0)
	v_mov_b32_e32 v20, s7
	v_mov_b32_e32 v21, s7
	s_and_saveexec_b32 s6, s0
	s_xor_b32 s6, exec_lo, s6
	s_cbranch_execnz .LBB73_46
; %bb.38:                               ;   in Loop: Header=BB73_37 Depth=1
	s_andn2_saveexec_b32 s22, s6
	s_cbranch_execnz .LBB73_47
.LBB73_39:                              ;   in Loop: Header=BB73_37 Depth=1
	s_or_b32 exec_lo, exec_lo, s22
	s_and_saveexec_b32 s6, s2
.LBB73_40:                              ;   in Loop: Header=BB73_37 Depth=1
	v_mov_b32_e32 v18, v17
	ds_write_b64 v24, v[17:18]
.LBB73_41:                              ;   in Loop: Header=BB73_37 Depth=1
	s_or_b32 exec_lo, exec_lo, s6
	ds_bpermute_b32 v22, v25, v20
	ds_bpermute_b32 v23, v25, v21
	s_waitcnt lgkmcnt(0)
	s_waitcnt_vscnt null, 0x0
	s_barrier
	buffer_gl0_inv
	v_add_f64 v[20:21], v[20:21], v[22:23]
	ds_bpermute_b32 v22, v26, v20
	ds_bpermute_b32 v23, v26, v21
	s_waitcnt lgkmcnt(0)
	v_add_f64 v[20:21], v[20:21], v[22:23]
	ds_bpermute_b32 v22, v27, v20
	ds_bpermute_b32 v23, v27, v21
	s_waitcnt lgkmcnt(0)
	v_add_f64 v[20:21], v[20:21], v[22:23]
	ds_bpermute_b32 v22, v28, v20
	ds_bpermute_b32 v23, v28, v21
	s_waitcnt lgkmcnt(0)
	v_add_f64 v[20:21], v[20:21], v[22:23]
	ds_bpermute_b32 v22, v29, v20
	ds_bpermute_b32 v23, v29, v21
	s_and_saveexec_b32 s6, s3
	s_cbranch_execz .LBB73_43
; %bb.42:                               ;   in Loop: Header=BB73_37 Depth=1
	s_waitcnt lgkmcnt(0)
	v_add_f64 v[20:21], v[20:21], v[22:23]
	ds_write_b64 v30, v[20:21]
.LBB73_43:                              ;   in Loop: Header=BB73_37 Depth=1
	s_or_b32 exec_lo, exec_lo, s6
	v_mov_b32_e32 v20, 0
	v_mov_b32_e32 v21, 0
	s_waitcnt lgkmcnt(0)
	s_barrier
	buffer_gl0_inv
	s_and_saveexec_b32 s6, s4
	s_cbranch_execnz .LBB73_55
; %bb.44:                               ;   in Loop: Header=BB73_37 Depth=1
	s_or_b32 exec_lo, exec_lo, s6
	s_and_saveexec_b32 s6, s2
	s_cbranch_execnz .LBB73_56
.LBB73_45:                              ;   in Loop: Header=BB73_37 Depth=1
	s_or_b32 exec_lo, exec_lo, s6
	s_and_saveexec_b32 s6, s5
	s_cbranch_execz .LBB73_36
	s_branch .LBB73_57
.LBB73_46:                              ;   in Loop: Header=BB73_37 Depth=1
	s_mul_i32 s8, s11, s10
	s_ashr_i32 s9, s8, 31
	s_lshl_b64 s[8:9], s[8:9], 3
	v_add_co_u32 v5, vcc_lo, v36, s8
	v_add_co_ci_u32_e64 v6, null, s9, v37, vcc_lo
	global_load_dwordx4 v[20:23], v[5:6], off
	s_clause 0x1
	global_load_dwordx2 v[1:2], v[9:10], off
	global_load_dwordx2 v[3:4], v[11:12], off
	global_load_dwordx4 v[32:35], v[5:6], off offset:16
	s_clause 0x1
	global_load_dwordx2 v[5:6], v[13:14], off
	global_load_dwordx2 v[7:8], v[15:16], off
	s_waitcnt vmcnt(4)
	v_fma_f64 v[20:21], v[1:2], v[20:21], 0
	s_waitcnt vmcnt(3)
	v_fma_f64 v[20:21], v[3:4], v[22:23], v[20:21]
	;; [unrolled: 2-line block ×4, first 2 shown]
	s_andn2_saveexec_b32 s22, s6
	s_cbranch_execz .LBB73_39
.LBB73_47:                              ;   in Loop: Header=BB73_37 Depth=1
	s_and_saveexec_b32 s23, s1
	s_cbranch_execz .LBB73_54
; %bb.48:                               ;   in Loop: Header=BB73_37 Depth=1
	s_andn2_b32 vcc_lo, exec_lo, s12
	s_cbranch_vccnz .LBB73_51
; %bb.49:                               ;   in Loop: Header=BB73_37 Depth=1
	v_mov_b32_e32 v22, v19
	s_mov_b64 s[18:19], 0
	s_inst_prefetch 0x1
	.p2align	6
.LBB73_50:                              ;   Parent Loop BB73_37 Depth=1
                                        ; =>  This Inner Loop Header: Depth=2
	v_ashrrev_i32_e32 v23, 31, v22
	s_cmp_eq_u32 s18, 3
	v_lshlrev_b64 v[32:33], 3, v[22:23]
	v_add_nc_u32_e32 v22, s36, v22
	v_add_co_u32 v32, vcc_lo, s21, v32
	v_add_co_ci_u32_e64 v33, null, s33, v33, vcc_lo
	s_cselect_b32 vcc_lo, -1, 0
	s_cmp_eq_u32 s18, 2
	s_cselect_b32 s6, -1, 0
	global_load_dwordx2 v[32:33], v[32:33], off
	s_cmp_eq_u32 s18, 1
	s_cselect_b32 s8, -1, 0
	s_cmp_eq_u32 s18, 0
	s_cselect_b32 s9, -1, 0
	s_add_u32 s18, s18, 1
	s_addc_u32 s19, s19, 0
	s_cmp_eq_u32 s37, s18
	s_waitcnt vmcnt(0)
	v_cndmask_b32_e32 v8, v8, v33, vcc_lo
	v_cndmask_b32_e32 v7, v7, v32, vcc_lo
	v_cndmask_b32_e64 v6, v6, v33, s6
	v_cndmask_b32_e64 v5, v5, v32, s6
	;; [unrolled: 1-line block ×6, first 2 shown]
	s_cbranch_scc0 .LBB73_50
.LBB73_51:                              ;   in Loop: Header=BB73_37 Depth=1
	s_inst_prefetch 0x2
	s_andn2_b32 vcc_lo, exec_lo, s12
	s_cbranch_vccnz .LBB73_54
; %bb.52:                               ;   in Loop: Header=BB73_37 Depth=1
	s_ashr_i32 s17, s16, 31
	s_lshl_b64 s[8:9], s[16:17], 3
	v_add_co_u32 v22, vcc_lo, v0, s8
	v_add_co_ci_u32_e64 v23, null, s9, v31, vcc_lo
	s_mov_b64 s[8:9], 0
	.p2align	6
.LBB73_53:                              ;   Parent Loop BB73_37 Depth=1
                                        ; =>  This Inner Loop Header: Depth=2
	global_load_dwordx2 v[32:33], v[22:23], off
	s_cmp_eq_u32 s8, 1
	s_cselect_b32 vcc_lo, -1, 0
	s_cmp_eq_u32 s8, 2
	v_cndmask_b32_e32 v18, v2, v4, vcc_lo
	v_cndmask_b32_e32 v34, v1, v3, vcc_lo
	s_cselect_b32 vcc_lo, -1, 0
	s_cmp_eq_u32 s8, 3
	v_cndmask_b32_e32 v18, v18, v6, vcc_lo
	v_cndmask_b32_e32 v34, v34, v5, vcc_lo
	s_cselect_b32 vcc_lo, -1, 0
	s_add_u32 s8, s8, 1
	s_addc_u32 s9, s9, 0
	v_cndmask_b32_e32 v35, v18, v8, vcc_lo
	v_cndmask_b32_e32 v34, v34, v7, vcc_lo
	v_add_co_u32 v22, vcc_lo, v22, 8
	v_add_co_ci_u32_e64 v23, null, 0, v23, vcc_lo
	s_cmp_lg_u32 s37, s8
	s_waitcnt vmcnt(0)
	v_fma_f64 v[20:21], v[34:35], v[32:33], v[20:21]
	s_cbranch_scc1 .LBB73_53
.LBB73_54:                              ;   in Loop: Header=BB73_37 Depth=1
	s_or_b32 exec_lo, exec_lo, s23
	s_or_b32 exec_lo, exec_lo, s22
	s_and_saveexec_b32 s6, s2
	s_cbranch_execnz .LBB73_40
	s_branch .LBB73_41
.LBB73_55:                              ;   in Loop: Header=BB73_37 Depth=1
	ds_read_b64 v[20:21], v24
	s_or_b32 exec_lo, exec_lo, s6
	s_and_saveexec_b32 s6, s2
	s_cbranch_execz .LBB73_45
.LBB73_56:                              ;   in Loop: Header=BB73_37 Depth=1
	s_waitcnt lgkmcnt(0)
	ds_bpermute_b32 v22, v27, v20
	ds_bpermute_b32 v23, v27, v21
	s_waitcnt lgkmcnt(0)
	v_add_f64 v[20:21], v[20:21], v[22:23]
	ds_bpermute_b32 v22, v28, v20
	ds_bpermute_b32 v23, v28, v21
	s_waitcnt lgkmcnt(0)
	v_add_f64 v[20:21], v[20:21], v[22:23]
	;; [unrolled: 4-line block ×3, first 2 shown]
	s_or_b32 exec_lo, exec_lo, s6
	s_and_saveexec_b32 s6, s5
	s_cbranch_execz .LBB73_36
.LBB73_57:                              ;   in Loop: Header=BB73_37 Depth=1
	s_waitcnt lgkmcnt(0)
	v_mul_f64 v[20:21], s[14:15], v[20:21]
	s_mul_hi_u32 s9, s11, s20
	s_mul_i32 s8, s11, s20
	s_lshl_b64 s[8:9], s[8:9], 3
	s_add_u32 s8, s24, s8
	s_addc_u32 s9, s25, s9
	global_store_dwordx2 v17, v[20:21], s[8:9]
	s_branch .LBB73_36
.LBB73_58:
	s_endpgm
	.section	.rodata,"a",@progbits
	.p2align	6, 0x0
	.amdhsa_kernel _ZL23rocblas_gemvt_sn_kernelILb0ELi256ELi4EidddEviiT4_lPKT3_lilS3_lilPT5_i
		.amdhsa_group_segment_fixed_size 256
		.amdhsa_private_segment_fixed_size 0
		.amdhsa_kernarg_size 360
		.amdhsa_user_sgpr_count 6
		.amdhsa_user_sgpr_private_segment_buffer 1
		.amdhsa_user_sgpr_dispatch_ptr 0
		.amdhsa_user_sgpr_queue_ptr 0
		.amdhsa_user_sgpr_kernarg_segment_ptr 1
		.amdhsa_user_sgpr_dispatch_id 0
		.amdhsa_user_sgpr_flat_scratch_init 0
		.amdhsa_user_sgpr_private_segment_size 0
		.amdhsa_wavefront_size32 1
		.amdhsa_uses_dynamic_stack 0
		.amdhsa_system_sgpr_private_segment_wavefront_offset 0
		.amdhsa_system_sgpr_workgroup_id_x 1
		.amdhsa_system_sgpr_workgroup_id_y 0
		.amdhsa_system_sgpr_workgroup_id_z 1
		.amdhsa_system_sgpr_workgroup_info 0
		.amdhsa_system_vgpr_workitem_id 0
		.amdhsa_next_free_vgpr 71
		.amdhsa_next_free_sgpr 52
		.amdhsa_reserve_vcc 1
		.amdhsa_reserve_flat_scratch 0
		.amdhsa_float_round_mode_32 0
		.amdhsa_float_round_mode_16_64 0
		.amdhsa_float_denorm_mode_32 3
		.amdhsa_float_denorm_mode_16_64 3
		.amdhsa_dx10_clamp 1
		.amdhsa_ieee_mode 1
		.amdhsa_fp16_overflow 0
		.amdhsa_workgroup_processor_mode 1
		.amdhsa_memory_ordered 1
		.amdhsa_forward_progress 1
		.amdhsa_shared_vgpr_count 0
		.amdhsa_exception_fp_ieee_invalid_op 0
		.amdhsa_exception_fp_denorm_src 0
		.amdhsa_exception_fp_ieee_div_zero 0
		.amdhsa_exception_fp_ieee_overflow 0
		.amdhsa_exception_fp_ieee_underflow 0
		.amdhsa_exception_fp_ieee_inexact 0
		.amdhsa_exception_int_div_zero 0
	.end_amdhsa_kernel
	.section	.text._ZL23rocblas_gemvt_sn_kernelILb0ELi256ELi4EidddEviiT4_lPKT3_lilS3_lilPT5_i,"axG",@progbits,_ZL23rocblas_gemvt_sn_kernelILb0ELi256ELi4EidddEviiT4_lPKT3_lilS3_lilPT5_i,comdat
.Lfunc_end73:
	.size	_ZL23rocblas_gemvt_sn_kernelILb0ELi256ELi4EidddEviiT4_lPKT3_lilS3_lilPT5_i, .Lfunc_end73-_ZL23rocblas_gemvt_sn_kernelILb0ELi256ELi4EidddEviiT4_lPKT3_lilS3_lilPT5_i
                                        ; -- End function
	.set _ZL23rocblas_gemvt_sn_kernelILb0ELi256ELi4EidddEviiT4_lPKT3_lilS3_lilPT5_i.num_vgpr, 71
	.set _ZL23rocblas_gemvt_sn_kernelILb0ELi256ELi4EidddEviiT4_lPKT3_lilS3_lilPT5_i.num_agpr, 0
	.set _ZL23rocblas_gemvt_sn_kernelILb0ELi256ELi4EidddEviiT4_lPKT3_lilS3_lilPT5_i.numbered_sgpr, 52
	.set _ZL23rocblas_gemvt_sn_kernelILb0ELi256ELi4EidddEviiT4_lPKT3_lilS3_lilPT5_i.num_named_barrier, 0
	.set _ZL23rocblas_gemvt_sn_kernelILb0ELi256ELi4EidddEviiT4_lPKT3_lilS3_lilPT5_i.private_seg_size, 0
	.set _ZL23rocblas_gemvt_sn_kernelILb0ELi256ELi4EidddEviiT4_lPKT3_lilS3_lilPT5_i.uses_vcc, 1
	.set _ZL23rocblas_gemvt_sn_kernelILb0ELi256ELi4EidddEviiT4_lPKT3_lilS3_lilPT5_i.uses_flat_scratch, 0
	.set _ZL23rocblas_gemvt_sn_kernelILb0ELi256ELi4EidddEviiT4_lPKT3_lilS3_lilPT5_i.has_dyn_sized_stack, 0
	.set _ZL23rocblas_gemvt_sn_kernelILb0ELi256ELi4EidddEviiT4_lPKT3_lilS3_lilPT5_i.has_recursion, 0
	.set _ZL23rocblas_gemvt_sn_kernelILb0ELi256ELi4EidddEviiT4_lPKT3_lilS3_lilPT5_i.has_indirect_call, 0
	.section	.AMDGPU.csdata,"",@progbits
; Kernel info:
; codeLenInByte = 3936
; TotalNumSgprs: 54
; NumVgprs: 71
; ScratchSize: 0
; MemoryBound: 1
; FloatMode: 240
; IeeeMode: 1
; LDSByteSize: 256 bytes/workgroup (compile time only)
; SGPRBlocks: 0
; VGPRBlocks: 8
; NumSGPRsForWavesPerEU: 54
; NumVGPRsForWavesPerEU: 71
; Occupancy: 12
; WaveLimiterHint : 1
; COMPUTE_PGM_RSRC2:SCRATCH_EN: 0
; COMPUTE_PGM_RSRC2:USER_SGPR: 6
; COMPUTE_PGM_RSRC2:TRAP_HANDLER: 0
; COMPUTE_PGM_RSRC2:TGID_X_EN: 1
; COMPUTE_PGM_RSRC2:TGID_Y_EN: 0
; COMPUTE_PGM_RSRC2:TGID_Z_EN: 1
; COMPUTE_PGM_RSRC2:TIDIG_COMP_CNT: 0
	.section	.text._ZL23rocblas_gemvt_sn_kernelILb0ELi256ELi4EldddEviiT4_lPKT3_lilS3_lilPT5_i,"axG",@progbits,_ZL23rocblas_gemvt_sn_kernelILb0ELi256ELi4EldddEviiT4_lPKT3_lilS3_lilPT5_i,comdat
	.globl	_ZL23rocblas_gemvt_sn_kernelILb0ELi256ELi4EldddEviiT4_lPKT3_lilS3_lilPT5_i ; -- Begin function _ZL23rocblas_gemvt_sn_kernelILb0ELi256ELi4EldddEviiT4_lPKT3_lilS3_lilPT5_i
	.p2align	8
	.type	_ZL23rocblas_gemvt_sn_kernelILb0ELi256ELi4EldddEviiT4_lPKT3_lilS3_lilPT5_i,@function
_ZL23rocblas_gemvt_sn_kernelILb0ELi256ELi4EldddEviiT4_lPKT3_lilS3_lilPT5_i: ; @_ZL23rocblas_gemvt_sn_kernelILb0ELi256ELi4EldddEviiT4_lPKT3_lilS3_lilPT5_i
; %bb.0:
	s_clause 0x2
	s_load_dwordx4 s[12:15], s[4:5], 0x0
	s_load_dword s24, s[4:5], 0x68
	s_load_dwordx4 s[8:11], s[4:5], 0x50
	s_mov_b32 s25, 0
	s_waitcnt lgkmcnt(0)
	v_cmp_neq_f64_e64 s2, s[14:15], 0
	s_ashr_i32 s36, s13, 31
	s_mul_hi_u32 s0, s13, s7
	s_mul_i32 s1, s36, s7
	s_mul_i32 s3, s13, s7
	s_add_i32 s0, s0, s1
	s_mul_hi_u32 s1, s3, s24
	s_mul_i32 s16, s0, s24
	s_mul_i32 s0, s3, s24
	s_add_i32 s1, s1, s16
	s_lshl_b64 s[0:1], s[0:1], 3
	s_add_u32 s33, s10, s0
	v_cmp_eq_u32_e64 s0, 0, v0
	s_addc_u32 s46, s11, s1
	s_and_b32 vcc_lo, exec_lo, s2
	s_cbranch_vccnz .LBB74_5
; %bb.1:
	s_cmp_gt_i32 s13, 0
	s_cselect_b32 s1, -1, 0
	s_and_b32 s0, s0, s1
	s_and_saveexec_b32 s10, s0
	s_cbranch_execz .LBB74_4
; %bb.2:
	v_mov_b32_e32 v1, 0
	s_mov_b32 s0, s7
	s_mov_b32 s7, 0
	s_mov_b32 s11, s13
	s_lshl_b64 s[2:3], s[6:7], 3
	v_mov_b32_e32 v2, v1
	s_mov_b32 s7, s0
	s_add_u32 s0, s33, s2
	s_addc_u32 s1, s46, s3
	s_lshl_b64 s[2:3], s[24:25], 3
.LBB74_3:                               ; =>This Inner Loop Header: Depth=1
	s_add_i32 s11, s11, -1
	global_store_dwordx2 v1, v[1:2], s[0:1]
	s_add_u32 s0, s0, s2
	s_addc_u32 s1, s1, s3
	s_cmp_eq_u32 s11, 0
	s_cbranch_scc0 .LBB74_3
.LBB74_4:
	s_or_b32 exec_lo, exec_lo, s10
	s_cbranch_execz .LBB74_6
	s_branch .LBB74_58
.LBB74_5:
.LBB74_6:
	s_clause 0x4
	s_load_dword s26, s[4:5], 0x28
	s_load_dword s28, s[4:5], 0x48
	s_load_dwordx4 s[20:23], s[4:5], 0x30
	s_load_dwordx2 s[0:1], s[4:5], 0x40
	s_load_dwordx4 s[16:19], s[4:5], 0x18
	s_mul_i32 s3, s9, s7
	s_mul_hi_u32 s4, s8, s7
	s_mul_i32 s2, s8, s7
	s_add_i32 s3, s4, s3
	v_and_b32_e32 v40, 31, v0
	s_lshl_b64 s[30:31], s[2:3], 3
	v_mbcnt_lo_u32_b32 v43, -1, 0
	v_lshrrev_b32_e32 v45, 2, v0
	s_waitcnt lgkmcnt(0)
	s_ashr_i32 s27, s26, 31
	s_ashr_i32 s29, s28, 31
	s_add_u32 s5, s22, s30
	s_addc_u32 s8, s23, s31
	s_lshl_b64 s[34:35], s[0:1], 3
	s_mul_i32 s3, s21, s7
	s_mul_hi_u32 s4, s20, s7
	s_add_u32 s47, s5, s34
	s_mul_i32 s2, s20, s7
	s_addc_u32 s48, s8, s35
	s_add_i32 s3, s4, s3
	v_cmp_gt_u32_e64 s0, 32, v0
	s_lshl_b64 s[20:21], s[2:3], 3
	v_cmp_gt_u32_e64 s1, 8, v0
	s_add_u32 s2, s16, s20
	s_addc_u32 s3, s17, s21
	s_lshl_b64 s[18:19], s[18:19], 3
	s_add_u32 s2, s2, s18
	s_addc_u32 s3, s3, s19
	s_lshl_b32 s4, s6, 10
	s_ashr_i32 s5, s12, 31
	v_lshl_or_b32 v23, v0, 2, s4
	s_lshr_b32 s4, s36, 30
	s_lshr_b32 s5, s5, 30
	s_add_i32 s4, s13, s4
	s_add_i32 s5, s12, s5
	v_ashrrev_i32_e32 v24, 31, v23
	s_and_b32 s49, s4, -4
	s_and_b32 s4, s5, -4
	v_add_nc_u32_e32 v46, 4, v23
	s_sub_i32 s25, s12, s4
	v_lshlrev_b64 v[21:22], 3, v[23:24]
	v_or_b32_e32 v44, 1, v23
	v_or_b32_e32 v42, 2, v23
	v_add_nc_u32_e32 v47, s25, v23
	v_or_b32_e32 v41, 3, v23
	s_cmp_lt_i32 s49, 1
	v_add_co_u32 v19, vcc_lo, s2, v21
	v_add_co_ci_u32_e64 v20, null, s3, v22, vcc_lo
	s_cbranch_scc1 .LBB74_33
; %bb.7:
	v_cmp_gt_u32_e32 vcc_lo, 24, v43
	v_mad_i64_i32 v[5:6], null, s28, v42, 0
	v_mad_i64_i32 v[7:8], null, s28, v41, 0
	v_cndmask_b32_e64 v1, 0, 8, vcc_lo
	v_cmp_gt_u32_e32 vcc_lo, 28, v43
	s_cmp_gt_i32 s25, 0
	s_mov_b32 s7, 0
	v_lshlrev_b64 v[5:6], 3, v[5:6]
	v_add_lshl_u32 v49, v1, v43, 2
	v_cndmask_b32_e64 v2, 0, 4, vcc_lo
	v_cmp_gt_u32_e32 vcc_lo, 30, v43
	s_cselect_b32 s50, -1, 0
	s_lshl_b64 s[8:9], s[6:7], 3
	v_mov_b32_e32 v9, 0
	v_add_lshl_u32 v50, v2, v43, 2
	v_cndmask_b32_e64 v3, 0, 2, vcc_lo
	v_cmp_ne_u32_e32 vcc_lo, 31, v43
	v_mad_i64_i32 v[1:2], null, s28, v23, 0
	s_add_u32 s51, s33, s8
	v_add_lshl_u32 v51, v3, v43, 2
	v_add_co_ci_u32_e64 v4, null, 0, v43, vcc_lo
	s_addc_u32 s52, s46, s9
	s_add_u32 s8, s22, s34
	v_lshlrev_b64 v[1:2], 3, v[1:2]
	v_lshlrev_b32_e32 v52, 2, v4
	v_mad_i64_i32 v[3:4], null, s28, v44, 0
	s_addc_u32 s9, s23, s35
	s_add_u32 s8, s8, s30
	v_add_co_u32 v24, vcc_lo, s47, v1
	v_add_co_ci_u32_e64 v25, null, s48, v2, vcc_lo
	v_lshlrev_b64 v[3:4], 3, v[3:4]
	v_mov_b32_e32 v10, v9
	v_mov_b32_e32 v11, v9
	;; [unrolled: 1-line block ×5, first 2 shown]
	v_add_co_u32 v26, vcc_lo, s47, v3
	v_add_co_ci_u32_e64 v27, null, s48, v4, vcc_lo
	v_lshlrev_b64 v[3:4], 3, v[7:8]
	v_add_co_u32 v28, vcc_lo, s47, v5
	v_add_co_ci_u32_e64 v29, null, s48, v6, vcc_lo
	v_mov_b32_e32 v15, v9
	v_add_co_u32 v30, vcc_lo, s47, v3
	v_mov_b32_e32 v16, v9
	v_add_co_ci_u32_e64 v31, null, s48, v4, vcc_lo
	s_addc_u32 s9, s9, s31
	v_add_co_u32 v32, vcc_lo, s8, v1
	v_add_co_ci_u32_e64 v33, null, s9, v2, vcc_lo
	v_mov_b32_e32 v35, v20
	v_mov_b32_e32 v1, v9
	v_cmp_ge_i32_e64 s2, s12, v46
	v_cmp_ge_i32_e64 s3, s12, v47
	v_lshl_or_b32 v48, v43, 2, 64
	v_cmp_eq_u32_e64 s4, 0, v40
	v_lshlrev_b32_e32 v53, 3, v40
	v_and_b32_e32 v54, 56, v45
	v_cmp_eq_u32_e64 s5, 0, v0
	v_mov_b32_e32 v34, v19
	v_mov_b32_e32 v2, v10
	;; [unrolled: 1-line block ×8, first 2 shown]
	s_lshl_b64 s[36:37], s[28:29], 3
	s_lshl_b64 s[38:39], s[26:27], 5
	s_lshl_b64 s[40:41], s[26:27], 3
	s_lshl_b64 s[42:43], s[26:27], 4
	s_mul_hi_i32 s53, s26, 24
	s_mul_i32 s54, s26, 24
	s_branch .LBB74_9
.LBB74_8:                               ;   in Loop: Header=BB74_9 Depth=1
	s_or_b32 exec_lo, exec_lo, s8
	v_add_co_u32 v34, vcc_lo, v34, s38
	v_add_co_ci_u32_e64 v35, null, s39, v35, vcc_lo
	s_add_i32 s7, s7, 4
	s_cmp_ge_i32 s7, s49
	s_cbranch_scc1 .LBB74_34
.LBB74_9:                               ; =>This Loop Header: Depth=1
                                        ;     Child Loop BB74_15 Depth 2
                                        ;     Child Loop BB74_18 Depth 2
	;; [unrolled: 1-line block ×3, first 2 shown]
                                        ; implicit-def: $vgpr11_vgpr12_vgpr13_vgpr14_vgpr15_vgpr16_vgpr17_vgpr18
	s_and_saveexec_b32 s8, s2
	s_xor_b32 s8, exec_lo, s8
	s_cbranch_execz .LBB74_11
; %bb.10:                               ;   in Loop: Header=BB74_9 Depth=1
	s_mul_i32 s9, s7, s27
	s_mul_hi_u32 s10, s7, s26
	s_add_i32 s11, s10, s9
	s_mul_i32 s10, s7, s26
	s_or_b32 s9, s7, 1
	s_lshl_b64 s[10:11], s[10:11], 3
	s_mul_i32 s44, s9, s27
	s_mul_hi_u32 s45, s9, s26
	v_add_co_u32 v5, vcc_lo, v19, s10
	v_add_co_ci_u32_e64 v6, null, s11, v20, vcc_lo
	s_add_i32 s11, s45, s44
	s_mul_i32 s10, s9, s26
	s_or_b32 s9, s7, 2
	s_lshl_b64 s[10:11], s[10:11], 3
	s_mul_i32 s44, s9, s27
	s_mul_hi_u32 s45, s9, s26
	v_add_co_u32 v7, vcc_lo, v19, s10
	v_add_co_ci_u32_e64 v8, null, s11, v20, vcc_lo
	s_add_i32 s11, s45, s44
	s_or_b32 s44, s7, 3
	s_mul_i32 s10, s9, s26
	s_mul_i32 s9, s44, s27
	s_mul_hi_u32 s45, s44, s26
	s_lshl_b64 s[10:11], s[10:11], 3
	s_add_i32 s45, s45, s9
	s_mul_i32 s44, s44, s26
	v_add_co_u32 v67, vcc_lo, v19, s10
	v_add_co_ci_u32_e64 v68, null, s11, v20, vcc_lo
	s_lshl_b64 s[10:11], s[44:45], 3
	v_add_co_u32 v71, vcc_lo, v19, s10
	v_add_co_ci_u32_e64 v72, null, s11, v20, vcc_lo
	global_load_dwordx2 v[1:2], v[24:25], off
	s_clause 0x3
	global_load_dwordx4 v[10:13], v[5:6], off
	global_load_dwordx4 v[14:17], v[7:8], off
	;; [unrolled: 1-line block ×4, first 2 shown]
	global_load_dwordx2 v[3:4], v[26:27], off
	global_load_dwordx4 v[59:62], v[5:6], off offset:16
	global_load_dwordx2 v[5:6], v[28:29], off
	s_clause 0x2
	global_load_dwordx4 v[63:66], v[7:8], off offset:16
	global_load_dwordx4 v[67:70], v[67:68], off offset:16
	;; [unrolled: 1-line block ×3, first 2 shown]
	global_load_dwordx2 v[7:8], v[30:31], off
	s_waitcnt vmcnt(10)
	v_fma_f64 v[10:11], v[1:2], v[10:11], 0
	s_waitcnt vmcnt(9)
	v_fma_f64 v[14:15], v[1:2], v[14:15], 0
	;; [unrolled: 2-line block ×5, first 2 shown]
	v_fma_f64 v[12:13], v[3:4], v[16:17], v[14:15]
	v_fma_f64 v[14:15], v[3:4], v[38:39], v[36:37]
	v_fma_f64 v[16:17], v[3:4], v[57:58], v[55:56]
	s_waitcnt vmcnt(4)
	v_fma_f64 v[10:11], v[5:6], v[59:60], v[10:11]
	s_waitcnt vmcnt(3)
	v_fma_f64 v[36:37], v[5:6], v[63:64], v[12:13]
	;; [unrolled: 2-line block ×5, first 2 shown]
	v_fma_f64 v[13:14], v[7:8], v[65:66], v[36:37]
	v_fma_f64 v[15:16], v[7:8], v[69:70], v[38:39]
	;; [unrolled: 1-line block ×3, first 2 shown]
.LBB74_11:                              ;   in Loop: Header=BB74_9 Depth=1
	s_andn2_saveexec_b32 s55, s8
	s_cbranch_execz .LBB74_21
; %bb.12:                               ;   in Loop: Header=BB74_9 Depth=1
	v_mov_b32_e32 v16, v9
	v_mov_b32_e32 v10, v9
	;; [unrolled: 1-line block ×15, first 2 shown]
	s_and_saveexec_b32 s56, s3
	s_cbranch_execz .LBB74_20
; %bb.13:                               ;   in Loop: Header=BB74_9 Depth=1
	s_andn2_b32 vcc_lo, exec_lo, s50
	s_cbranch_vccnz .LBB74_16
; %bb.14:                               ;   in Loop: Header=BB74_9 Depth=1
	v_mov_b32_e32 v10, v32
	v_mov_b32_e32 v11, v33
	s_mov_b64 s[44:45], 0
	.p2align	6
.LBB74_15:                              ;   Parent Loop BB74_9 Depth=1
                                        ; =>  This Inner Loop Header: Depth=2
	global_load_dwordx2 v[12:13], v[10:11], off
	s_cmp_eq_u32 s44, 3
	v_add_co_u32 v10, vcc_lo, v10, s36
	v_add_co_ci_u32_e64 v11, null, s37, v11, vcc_lo
	s_cselect_b32 vcc_lo, -1, 0
	s_cmp_eq_u32 s44, 2
	s_cselect_b32 s8, -1, 0
	s_cmp_eq_u32 s44, 1
	s_cselect_b32 s9, -1, 0
	s_cmp_eq_u32 s44, 0
	s_cselect_b32 s10, -1, 0
	s_add_u32 s44, s44, 1
	s_addc_u32 s45, s45, 0
	s_cmp_eq_u32 s25, s44
	s_waitcnt vmcnt(0)
	v_cndmask_b32_e32 v8, v8, v13, vcc_lo
	v_cndmask_b32_e32 v7, v7, v12, vcc_lo
	v_cndmask_b32_e64 v6, v6, v13, s8
	v_cndmask_b32_e64 v5, v5, v12, s8
	;; [unrolled: 1-line block ×6, first 2 shown]
	s_cbranch_scc0 .LBB74_15
.LBB74_16:                              ;   in Loop: Header=BB74_9 Depth=1
	s_andn2_b32 vcc_lo, exec_lo, s50
	s_cbranch_vccnz .LBB74_19
; %bb.17:                               ;   in Loop: Header=BB74_9 Depth=1
	v_mov_b32_e32 v11, 0
	v_mov_b32_e32 v13, 0
	;; [unrolled: 1-line block ×10, first 2 shown]
	s_mov_b64 s[10:11], 0
.LBB74_18:                              ;   Parent Loop BB74_9 Depth=1
                                        ; =>  This Inner Loop Header: Depth=2
	v_add_co_u32 v38, vcc_lo, v36, s40
	v_add_co_ci_u32_e64 v39, null, s41, v37, vcc_lo
	v_add_co_u32 v55, vcc_lo, v36, s42
	v_add_co_ci_u32_e64 v56, null, s43, v37, vcc_lo
	;; [unrolled: 2-line block ×3, first 2 shown]
	s_clause 0x3
	global_load_dwordx2 v[59:60], v[36:37], off
	global_load_dwordx2 v[38:39], v[38:39], off
	;; [unrolled: 1-line block ×4, first 2 shown]
	s_cmp_eq_u32 s10, 1
	s_cselect_b32 vcc_lo, -1, 0
	s_cmp_eq_u32 s10, 2
	v_cndmask_b32_e32 v10, v2, v4, vcc_lo
	v_cndmask_b32_e32 v61, v1, v3, vcc_lo
	s_cselect_b32 vcc_lo, -1, 0
	s_cmp_eq_u32 s10, 3
	v_cndmask_b32_e32 v10, v10, v6, vcc_lo
	v_cndmask_b32_e32 v61, v61, v5, vcc_lo
	s_cselect_b32 s8, -1, 0
	v_add_co_u32 v36, vcc_lo, v36, 8
	v_cndmask_b32_e64 v62, v10, v8, s8
	v_cndmask_b32_e64 v61, v61, v7, s8
	v_add_co_ci_u32_e64 v37, null, 0, v37, vcc_lo
	s_add_u32 s10, s10, 1
	s_addc_u32 s11, s11, 0
	s_cmp_lg_u32 s25, s10
	s_waitcnt vmcnt(3)
	v_fma_f64 v[11:12], v[61:62], v[59:60], v[11:12]
	s_waitcnt vmcnt(2)
	v_fma_f64 v[13:14], v[61:62], v[38:39], v[13:14]
	;; [unrolled: 2-line block ×4, first 2 shown]
	s_cbranch_scc1 .LBB74_18
	s_branch .LBB74_20
.LBB74_19:                              ;   in Loop: Header=BB74_9 Depth=1
	v_mov_b32_e32 v16, v9
	v_mov_b32_e32 v10, v9
	;; [unrolled: 1-line block ×15, first 2 shown]
.LBB74_20:                              ;   in Loop: Header=BB74_9 Depth=1
	s_or_b32 exec_lo, exec_lo, s56
.LBB74_21:                              ;   in Loop: Header=BB74_9 Depth=1
	s_or_b32 exec_lo, exec_lo, s55
	s_mov_b64 s[8:9], 0
	s_branch .LBB74_23
.LBB74_22:                              ;   in Loop: Header=BB74_23 Depth=2
	s_or_b32 exec_lo, exec_lo, s10
	s_cmp_eq_u32 s8, 3
	s_cselect_b32 vcc_lo, -1, 0
	s_cmp_eq_u32 s8, 2
	s_waitcnt lgkmcnt(0)
	v_cndmask_b32_e32 v18, v18, v37, vcc_lo
	v_cndmask_b32_e32 v17, v17, v36, vcc_lo
	s_cselect_b32 vcc_lo, -1, 0
	s_cmp_eq_u32 s8, 1
	v_cndmask_b32_e32 v16, v16, v37, vcc_lo
	v_cndmask_b32_e32 v15, v15, v36, vcc_lo
	s_cselect_b32 vcc_lo, -1, 0
	s_cmp_eq_u32 s8, 0
	v_cndmask_b32_e32 v14, v14, v37, vcc_lo
	v_cndmask_b32_e32 v13, v13, v36, vcc_lo
	s_cselect_b32 vcc_lo, -1, 0
	s_add_u32 s8, s8, 1
	v_cndmask_b32_e32 v12, v12, v37, vcc_lo
	v_cndmask_b32_e32 v11, v11, v36, vcc_lo
	s_addc_u32 s9, s9, 0
	s_cmp_eq_u32 s8, 4
	s_cbranch_scc1 .LBB74_31
.LBB74_23:                              ;   Parent Loop BB74_9 Depth=1
                                        ; =>  This Inner Loop Header: Depth=2
	s_and_saveexec_b32 s10, s0
; %bb.24:                               ;   in Loop: Header=BB74_23 Depth=2
	v_mov_b32_e32 v10, v9
	ds_write_b64 v53, v[9:10]
; %bb.25:                               ;   in Loop: Header=BB74_23 Depth=2
	s_or_b32 exec_lo, exec_lo, s10
	s_cmp_eq_u32 s8, 1
	s_waitcnt lgkmcnt(0)
	s_waitcnt_vscnt null, 0x0
	s_cselect_b32 vcc_lo, -1, 0
	s_cmp_eq_u32 s8, 2
	v_cndmask_b32_e32 v10, v12, v14, vcc_lo
	v_cndmask_b32_e32 v36, v11, v13, vcc_lo
	s_cselect_b32 vcc_lo, -1, 0
	s_cmp_eq_u32 s8, 3
	s_barrier
	v_cndmask_b32_e32 v10, v10, v16, vcc_lo
	v_cndmask_b32_e32 v36, v36, v15, vcc_lo
	s_cselect_b32 vcc_lo, -1, 0
	buffer_gl0_inv
	v_cndmask_b32_e32 v37, v10, v18, vcc_lo
	v_cndmask_b32_e32 v36, v36, v17, vcc_lo
	ds_bpermute_b32 v39, v48, v37
	ds_bpermute_b32 v38, v48, v36
	s_waitcnt lgkmcnt(0)
	v_add_f64 v[36:37], v[36:37], v[38:39]
	ds_bpermute_b32 v38, v49, v36
	ds_bpermute_b32 v39, v49, v37
	s_waitcnt lgkmcnt(0)
	v_add_f64 v[36:37], v[36:37], v[38:39]
	;; [unrolled: 4-line block ×4, first 2 shown]
	ds_bpermute_b32 v38, v52, v36
	ds_bpermute_b32 v39, v52, v37
	s_and_saveexec_b32 s10, s4
	s_cbranch_execz .LBB74_27
; %bb.26:                               ;   in Loop: Header=BB74_23 Depth=2
	s_waitcnt lgkmcnt(0)
	v_add_f64 v[36:37], v[36:37], v[38:39]
	ds_write_b64 v54, v[36:37]
.LBB74_27:                              ;   in Loop: Header=BB74_23 Depth=2
	s_or_b32 exec_lo, exec_lo, s10
	v_mov_b32_e32 v36, 0
	v_mov_b32_e32 v37, 0
	s_waitcnt lgkmcnt(0)
	s_barrier
	buffer_gl0_inv
	s_and_saveexec_b32 s10, s1
; %bb.28:                               ;   in Loop: Header=BB74_23 Depth=2
	ds_read_b64 v[36:37], v53
; %bb.29:                               ;   in Loop: Header=BB74_23 Depth=2
	s_or_b32 exec_lo, exec_lo, s10
	s_and_saveexec_b32 s10, s0
	s_cbranch_execz .LBB74_22
; %bb.30:                               ;   in Loop: Header=BB74_23 Depth=2
	s_waitcnt lgkmcnt(0)
	ds_bpermute_b32 v38, v50, v36
	ds_bpermute_b32 v39, v50, v37
	s_waitcnt lgkmcnt(0)
	v_add_f64 v[36:37], v[36:37], v[38:39]
	ds_bpermute_b32 v38, v51, v36
	ds_bpermute_b32 v39, v51, v37
	s_waitcnt lgkmcnt(0)
	v_add_f64 v[36:37], v[36:37], v[38:39]
	;; [unrolled: 4-line block ×3, first 2 shown]
	s_branch .LBB74_22
.LBB74_31:                              ;   in Loop: Header=BB74_9 Depth=1
	s_and_saveexec_b32 s8, s5
	s_cbranch_execz .LBB74_8
; %bb.32:                               ;   in Loop: Header=BB74_9 Depth=1
	s_mul_hi_u32 s11, s7, s24
	s_mul_i32 s10, s7, s24
	v_mul_f64 v[10:11], s[14:15], v[11:12]
	s_lshl_b64 s[10:11], s[10:11], 3
	v_mul_f64 v[12:13], s[14:15], v[13:14]
	s_add_u32 s10, s51, s10
	s_addc_u32 s11, s52, s11
	s_or_b32 s9, s7, 1
	v_mul_f64 v[14:15], s[14:15], v[15:16]
	v_mul_f64 v[16:17], s[14:15], v[17:18]
	s_mul_hi_u32 s45, s9, s24
	s_mul_i32 s44, s9, s24
	s_lshl_b64 s[44:45], s[44:45], 3
	s_add_u32 s44, s51, s44
	s_addc_u32 s45, s52, s45
	s_or_b32 s9, s7, 2
	s_mul_hi_u32 s57, s9, s24
	s_mul_i32 s56, s9, s24
	s_lshl_b64 s[56:57], s[56:57], 3
	s_add_u32 s56, s51, s56
	s_addc_u32 s57, s52, s57
	s_or_b32 s9, s7, 3
	global_store_dwordx2 v9, v[10:11], s[10:11]
	s_mul_hi_u32 s59, s9, s24
	s_mul_i32 s58, s9, s24
	global_store_dwordx2 v9, v[12:13], s[44:45]
	s_lshl_b64 s[10:11], s[58:59], 3
	s_add_u32 s10, s51, s10
	s_addc_u32 s11, s52, s11
	global_store_dwordx2 v9, v[14:15], s[56:57]
	global_store_dwordx2 v9, v[16:17], s[10:11]
	s_branch .LBB74_8
.LBB74_33:
	v_mov_b32_e32 v1, 0
	s_mov_b32 s7, 0
	v_mov_b32_e32 v2, v1
	v_mov_b32_e32 v3, v1
	;; [unrolled: 1-line block ×7, first 2 shown]
.LBB74_34:
	s_cmp_ge_i32 s7, s13
	s_cbranch_scc1 .LBB74_58
; %bb.35:
	v_cmp_gt_u32_e32 vcc_lo, 24, v43
	v_mad_i64_i32 v[13:14], null, s28, v42, 0
	v_mad_i64_i32 v[15:16], null, s28, v41, 0
	v_cndmask_b32_e64 v9, 0, 8, vcc_lo
	v_cmp_gt_u32_e32 vcc_lo, 28, v43
	s_cmp_gt_i32 s25, 0
	s_mov_b32 s11, 0
	s_mov_b32 s10, s6
	v_add_lshl_u32 v31, v9, v43, 2
	v_cndmask_b32_e64 v10, 0, 4, vcc_lo
	v_cmp_gt_u32_e32 vcc_lo, 30, v43
	v_lshlrev_b64 v[13:14], 3, v[13:14]
	v_cmp_ge_i32_e64 s0, s12, v46
	v_cmp_ge_i32_e64 s1, s12, v47
	v_add_lshl_u32 v32, v10, v43, 2
	v_cndmask_b32_e64 v11, 0, 2, vcc_lo
	v_cmp_ne_u32_e32 vcc_lo, 31, v43
	v_mad_i64_i32 v[9:10], null, s28, v23, 0
	s_cselect_b32 s12, -1, 0
	v_add_lshl_u32 v33, v11, v43, 2
	v_add_co_ci_u32_e64 v12, null, 0, v43, vcc_lo
	s_lshl_b64 s[8:9], s[10:11], 3
	v_lshlrev_b64 v[15:16], 3, v[15:16]
	v_lshlrev_b64 v[17:18], 3, v[9:10]
	v_lshlrev_b32_e32 v34, 2, v12
	v_mad_i64_i32 v[11:12], null, s28, v44, 0
	s_add_u32 s10, s33, s8
	s_addc_u32 s33, s46, s9
	v_add_co_u32 v9, vcc_lo, s47, v17
	v_add_co_ci_u32_e64 v10, null, s48, v18, vcc_lo
	v_lshlrev_b64 v[11:12], 3, v[11:12]
	s_add_u32 s6, s22, s34
	s_addc_u32 s8, s23, s35
	s_mul_i32 s9, s27, s7
	s_mul_hi_u32 s22, s26, s7
	s_add_u32 s6, s6, s30
	v_add_co_u32 v11, vcc_lo, s47, v11
	v_add_co_ci_u32_e64 v12, null, s48, v12, vcc_lo
	v_add_co_u32 v13, vcc_lo, s47, v13
	v_add_co_ci_u32_e64 v14, null, s48, v14, vcc_lo
	v_add_co_u32 v15, vcc_lo, s47, v15
	s_addc_u32 s23, s8, s31
	s_add_i32 s9, s22, s9
	s_mul_i32 s8, s26, s7
	v_add_co_ci_u32_e64 v16, null, s48, v16, vcc_lo
	v_add_co_u32 v17, vcc_lo, s6, v17
	s_lshl_b64 s[8:9], s[8:9], 3
	v_add_co_ci_u32_e64 v18, null, s23, v18, vcc_lo
	s_lshl_b64 s[22:23], s[28:29], 3
	s_add_u32 s6, s20, s8
	s_addc_u32 s8, s21, s9
	s_add_u32 s6, s6, s18
	s_addc_u32 s8, s8, s19
	;; [unrolled: 2-line block ×3, first 2 shown]
	v_add_co_u32 v21, vcc_lo, s6, v21
	v_cmp_gt_u32_e64 s2, 32, v0
	v_lshlrev_b32_e32 v29, 3, v40
	v_lshl_or_b32 v30, v43, 2, 64
	v_cmp_eq_u32_e64 s3, 0, v40
	v_and_b32_e32 v35, 56, v45
	v_cmp_gt_u32_e64 s4, 8, v0
	v_cmp_eq_u32_e64 s5, 0, v0
	v_add_co_ci_u32_e64 v22, null, s8, v22, vcc_lo
	v_mov_b32_e32 v23, 0
	s_lshl_b64 s[16:17], s[26:27], 3
	s_branch .LBB74_37
.LBB74_36:                              ;   in Loop: Header=BB74_37 Depth=1
	s_or_b32 exec_lo, exec_lo, s6
	v_add_co_u32 v21, vcc_lo, v21, s16
	v_add_co_ci_u32_e64 v22, null, s17, v22, vcc_lo
	s_add_i32 s7, s7, 1
	s_cmp_ge_i32 s7, s13
	s_cbranch_scc1 .LBB74_58
.LBB74_37:                              ; =>This Loop Header: Depth=1
                                        ;     Child Loop BB74_50 Depth 2
                                        ;     Child Loop BB74_53 Depth 2
	s_waitcnt lgkmcnt(0)
	v_mov_b32_e32 v25, s11
	v_mov_b32_e32 v26, s11
	s_and_saveexec_b32 s6, s0
	s_xor_b32 s6, exec_lo, s6
	s_cbranch_execnz .LBB74_46
; %bb.38:                               ;   in Loop: Header=BB74_37 Depth=1
	s_andn2_saveexec_b32 s20, s6
	s_cbranch_execnz .LBB74_47
.LBB74_39:                              ;   in Loop: Header=BB74_37 Depth=1
	s_or_b32 exec_lo, exec_lo, s20
	s_and_saveexec_b32 s6, s2
.LBB74_40:                              ;   in Loop: Header=BB74_37 Depth=1
	v_mov_b32_e32 v24, v23
	ds_write_b64 v29, v[23:24]
.LBB74_41:                              ;   in Loop: Header=BB74_37 Depth=1
	s_or_b32 exec_lo, exec_lo, s6
	ds_bpermute_b32 v27, v30, v25
	ds_bpermute_b32 v28, v30, v26
	s_waitcnt lgkmcnt(0)
	s_waitcnt_vscnt null, 0x0
	s_barrier
	buffer_gl0_inv
	v_add_f64 v[24:25], v[25:26], v[27:28]
	ds_bpermute_b32 v26, v31, v24
	ds_bpermute_b32 v27, v31, v25
	s_waitcnt lgkmcnt(0)
	v_add_f64 v[24:25], v[24:25], v[26:27]
	ds_bpermute_b32 v26, v32, v24
	ds_bpermute_b32 v27, v32, v25
	s_waitcnt lgkmcnt(0)
	;; [unrolled: 4-line block ×3, first 2 shown]
	v_add_f64 v[24:25], v[24:25], v[26:27]
	ds_bpermute_b32 v26, v34, v24
	ds_bpermute_b32 v27, v34, v25
	s_and_saveexec_b32 s6, s3
	s_cbranch_execz .LBB74_43
; %bb.42:                               ;   in Loop: Header=BB74_37 Depth=1
	s_waitcnt lgkmcnt(0)
	v_add_f64 v[24:25], v[24:25], v[26:27]
	ds_write_b64 v35, v[24:25]
.LBB74_43:                              ;   in Loop: Header=BB74_37 Depth=1
	s_or_b32 exec_lo, exec_lo, s6
	v_mov_b32_e32 v24, 0
	v_mov_b32_e32 v25, 0
	s_waitcnt lgkmcnt(0)
	s_barrier
	buffer_gl0_inv
	s_and_saveexec_b32 s6, s4
	s_cbranch_execnz .LBB74_55
; %bb.44:                               ;   in Loop: Header=BB74_37 Depth=1
	s_or_b32 exec_lo, exec_lo, s6
	s_and_saveexec_b32 s6, s2
	s_cbranch_execnz .LBB74_56
.LBB74_45:                              ;   in Loop: Header=BB74_37 Depth=1
	s_or_b32 exec_lo, exec_lo, s6
	s_and_saveexec_b32 s6, s5
	s_cbranch_execz .LBB74_36
	s_branch .LBB74_57
.LBB74_46:                              ;   in Loop: Header=BB74_37 Depth=1
	s_mul_i32 s9, s7, s27
	s_mul_hi_u32 s18, s7, s26
	s_mul_i32 s8, s7, s26
	s_add_i32 s9, s18, s9
	s_lshl_b64 s[8:9], s[8:9], 3
	v_add_co_u32 v5, vcc_lo, v19, s8
	v_add_co_ci_u32_e64 v6, null, s9, v20, vcc_lo
	global_load_dwordx4 v[24:27], v[5:6], off
	s_clause 0x1
	global_load_dwordx2 v[1:2], v[9:10], off
	global_load_dwordx2 v[3:4], v[11:12], off
	global_load_dwordx4 v[36:39], v[5:6], off offset:16
	s_clause 0x1
	global_load_dwordx2 v[5:6], v[13:14], off
	global_load_dwordx2 v[7:8], v[15:16], off
	s_waitcnt vmcnt(4)
	v_fma_f64 v[24:25], v[1:2], v[24:25], 0
	s_waitcnt vmcnt(3)
	v_fma_f64 v[24:25], v[3:4], v[26:27], v[24:25]
	;; [unrolled: 2-line block ×4, first 2 shown]
	s_andn2_saveexec_b32 s20, s6
	s_cbranch_execz .LBB74_39
.LBB74_47:                              ;   in Loop: Header=BB74_37 Depth=1
	s_and_saveexec_b32 s21, s1
	s_cbranch_execz .LBB74_54
; %bb.48:                               ;   in Loop: Header=BB74_37 Depth=1
	s_andn2_b32 vcc_lo, exec_lo, s12
	s_cbranch_vccnz .LBB74_51
; %bb.49:                               ;   in Loop: Header=BB74_37 Depth=1
	v_mov_b32_e32 v28, v18
	v_mov_b32_e32 v27, v17
	s_mov_b64 s[18:19], 0
	.p2align	6
.LBB74_50:                              ;   Parent Loop BB74_37 Depth=1
                                        ; =>  This Inner Loop Header: Depth=2
	global_load_dwordx2 v[36:37], v[27:28], off
	s_cmp_eq_u32 s18, 3
	v_add_co_u32 v27, vcc_lo, v27, s22
	v_add_co_ci_u32_e64 v28, null, s23, v28, vcc_lo
	s_cselect_b32 vcc_lo, -1, 0
	s_cmp_eq_u32 s18, 2
	s_cselect_b32 s6, -1, 0
	s_cmp_eq_u32 s18, 1
	s_cselect_b32 s8, -1, 0
	;; [unrolled: 2-line block ×3, first 2 shown]
	s_add_u32 s18, s18, 1
	s_addc_u32 s19, s19, 0
	s_cmp_eq_u32 s25, s18
	s_waitcnt vmcnt(0)
	v_cndmask_b32_e32 v8, v8, v37, vcc_lo
	v_cndmask_b32_e32 v7, v7, v36, vcc_lo
	v_cndmask_b32_e64 v6, v6, v37, s6
	v_cndmask_b32_e64 v5, v5, v36, s6
	;; [unrolled: 1-line block ×6, first 2 shown]
	s_cbranch_scc0 .LBB74_50
.LBB74_51:                              ;   in Loop: Header=BB74_37 Depth=1
	s_andn2_b32 vcc_lo, exec_lo, s12
	s_cbranch_vccnz .LBB74_54
; %bb.52:                               ;   in Loop: Header=BB74_37 Depth=1
	v_mov_b32_e32 v28, v22
	v_mov_b32_e32 v27, v21
	s_mov_b64 s[8:9], 0
	.p2align	6
.LBB74_53:                              ;   Parent Loop BB74_37 Depth=1
                                        ; =>  This Inner Loop Header: Depth=2
	global_load_dwordx2 v[36:37], v[27:28], off
	s_cmp_eq_u32 s8, 1
	s_cselect_b32 vcc_lo, -1, 0
	s_cmp_eq_u32 s8, 2
	v_cndmask_b32_e32 v0, v2, v4, vcc_lo
	v_cndmask_b32_e32 v24, v1, v3, vcc_lo
	s_cselect_b32 vcc_lo, -1, 0
	s_cmp_eq_u32 s8, 3
	v_cndmask_b32_e32 v0, v0, v6, vcc_lo
	v_cndmask_b32_e32 v24, v24, v5, vcc_lo
	s_cselect_b32 vcc_lo, -1, 0
	s_add_u32 s8, s8, 1
	s_addc_u32 s9, s9, 0
	v_cndmask_b32_e32 v39, v0, v8, vcc_lo
	v_cndmask_b32_e32 v38, v24, v7, vcc_lo
	v_add_co_u32 v27, vcc_lo, v27, 8
	v_add_co_ci_u32_e64 v28, null, 0, v28, vcc_lo
	s_cmp_lg_u32 s25, s8
	s_waitcnt vmcnt(0)
	v_fma_f64 v[25:26], v[38:39], v[36:37], v[25:26]
	s_cbranch_scc1 .LBB74_53
.LBB74_54:                              ;   in Loop: Header=BB74_37 Depth=1
	s_or_b32 exec_lo, exec_lo, s21
	s_or_b32 exec_lo, exec_lo, s20
	s_and_saveexec_b32 s6, s2
	s_cbranch_execnz .LBB74_40
	s_branch .LBB74_41
.LBB74_55:                              ;   in Loop: Header=BB74_37 Depth=1
	ds_read_b64 v[24:25], v29
	s_or_b32 exec_lo, exec_lo, s6
	s_and_saveexec_b32 s6, s2
	s_cbranch_execz .LBB74_45
.LBB74_56:                              ;   in Loop: Header=BB74_37 Depth=1
	s_waitcnt lgkmcnt(0)
	ds_bpermute_b32 v26, v32, v24
	ds_bpermute_b32 v27, v32, v25
	s_waitcnt lgkmcnt(0)
	v_add_f64 v[24:25], v[24:25], v[26:27]
	ds_bpermute_b32 v26, v33, v24
	ds_bpermute_b32 v27, v33, v25
	s_waitcnt lgkmcnt(0)
	v_add_f64 v[24:25], v[24:25], v[26:27]
	;; [unrolled: 4-line block ×3, first 2 shown]
	s_or_b32 exec_lo, exec_lo, s6
	s_and_saveexec_b32 s6, s5
	s_cbranch_execz .LBB74_36
.LBB74_57:                              ;   in Loop: Header=BB74_37 Depth=1
	s_waitcnt lgkmcnt(0)
	v_mul_f64 v[24:25], s[14:15], v[24:25]
	s_mul_hi_u32 s9, s7, s24
	s_mul_i32 s8, s7, s24
	s_lshl_b64 s[8:9], s[8:9], 3
	s_add_u32 s8, s10, s8
	s_addc_u32 s9, s33, s9
	global_store_dwordx2 v23, v[24:25], s[8:9]
	s_branch .LBB74_36
.LBB74_58:
	s_endpgm
	.section	.rodata,"a",@progbits
	.p2align	6, 0x0
	.amdhsa_kernel _ZL23rocblas_gemvt_sn_kernelILb0ELi256ELi4EldddEviiT4_lPKT3_lilS3_lilPT5_i
		.amdhsa_group_segment_fixed_size 256
		.amdhsa_private_segment_fixed_size 0
		.amdhsa_kernarg_size 360
		.amdhsa_user_sgpr_count 6
		.amdhsa_user_sgpr_private_segment_buffer 1
		.amdhsa_user_sgpr_dispatch_ptr 0
		.amdhsa_user_sgpr_queue_ptr 0
		.amdhsa_user_sgpr_kernarg_segment_ptr 1
		.amdhsa_user_sgpr_dispatch_id 0
		.amdhsa_user_sgpr_flat_scratch_init 0
		.amdhsa_user_sgpr_private_segment_size 0
		.amdhsa_wavefront_size32 1
		.amdhsa_uses_dynamic_stack 0
		.amdhsa_system_sgpr_private_segment_wavefront_offset 0
		.amdhsa_system_sgpr_workgroup_id_x 1
		.amdhsa_system_sgpr_workgroup_id_y 0
		.amdhsa_system_sgpr_workgroup_id_z 1
		.amdhsa_system_sgpr_workgroup_info 0
		.amdhsa_system_vgpr_workitem_id 0
		.amdhsa_next_free_vgpr 75
		.amdhsa_next_free_sgpr 60
		.amdhsa_reserve_vcc 1
		.amdhsa_reserve_flat_scratch 0
		.amdhsa_float_round_mode_32 0
		.amdhsa_float_round_mode_16_64 0
		.amdhsa_float_denorm_mode_32 3
		.amdhsa_float_denorm_mode_16_64 3
		.amdhsa_dx10_clamp 1
		.amdhsa_ieee_mode 1
		.amdhsa_fp16_overflow 0
		.amdhsa_workgroup_processor_mode 1
		.amdhsa_memory_ordered 1
		.amdhsa_forward_progress 1
		.amdhsa_shared_vgpr_count 0
		.amdhsa_exception_fp_ieee_invalid_op 0
		.amdhsa_exception_fp_denorm_src 0
		.amdhsa_exception_fp_ieee_div_zero 0
		.amdhsa_exception_fp_ieee_overflow 0
		.amdhsa_exception_fp_ieee_underflow 0
		.amdhsa_exception_fp_ieee_inexact 0
		.amdhsa_exception_int_div_zero 0
	.end_amdhsa_kernel
	.section	.text._ZL23rocblas_gemvt_sn_kernelILb0ELi256ELi4EldddEviiT4_lPKT3_lilS3_lilPT5_i,"axG",@progbits,_ZL23rocblas_gemvt_sn_kernelILb0ELi256ELi4EldddEviiT4_lPKT3_lilS3_lilPT5_i,comdat
.Lfunc_end74:
	.size	_ZL23rocblas_gemvt_sn_kernelILb0ELi256ELi4EldddEviiT4_lPKT3_lilS3_lilPT5_i, .Lfunc_end74-_ZL23rocblas_gemvt_sn_kernelILb0ELi256ELi4EldddEviiT4_lPKT3_lilS3_lilPT5_i
                                        ; -- End function
	.set _ZL23rocblas_gemvt_sn_kernelILb0ELi256ELi4EldddEviiT4_lPKT3_lilS3_lilPT5_i.num_vgpr, 75
	.set _ZL23rocblas_gemvt_sn_kernelILb0ELi256ELi4EldddEviiT4_lPKT3_lilS3_lilPT5_i.num_agpr, 0
	.set _ZL23rocblas_gemvt_sn_kernelILb0ELi256ELi4EldddEviiT4_lPKT3_lilS3_lilPT5_i.numbered_sgpr, 60
	.set _ZL23rocblas_gemvt_sn_kernelILb0ELi256ELi4EldddEviiT4_lPKT3_lilS3_lilPT5_i.num_named_barrier, 0
	.set _ZL23rocblas_gemvt_sn_kernelILb0ELi256ELi4EldddEviiT4_lPKT3_lilS3_lilPT5_i.private_seg_size, 0
	.set _ZL23rocblas_gemvt_sn_kernelILb0ELi256ELi4EldddEviiT4_lPKT3_lilS3_lilPT5_i.uses_vcc, 1
	.set _ZL23rocblas_gemvt_sn_kernelILb0ELi256ELi4EldddEviiT4_lPKT3_lilS3_lilPT5_i.uses_flat_scratch, 0
	.set _ZL23rocblas_gemvt_sn_kernelILb0ELi256ELi4EldddEviiT4_lPKT3_lilS3_lilPT5_i.has_dyn_sized_stack, 0
	.set _ZL23rocblas_gemvt_sn_kernelILb0ELi256ELi4EldddEviiT4_lPKT3_lilS3_lilPT5_i.has_recursion, 0
	.set _ZL23rocblas_gemvt_sn_kernelILb0ELi256ELi4EldddEviiT4_lPKT3_lilS3_lilPT5_i.has_indirect_call, 0
	.section	.AMDGPU.csdata,"",@progbits
; Kernel info:
; codeLenInByte = 4064
; TotalNumSgprs: 62
; NumVgprs: 75
; ScratchSize: 0
; MemoryBound: 1
; FloatMode: 240
; IeeeMode: 1
; LDSByteSize: 256 bytes/workgroup (compile time only)
; SGPRBlocks: 0
; VGPRBlocks: 9
; NumSGPRsForWavesPerEU: 62
; NumVGPRsForWavesPerEU: 75
; Occupancy: 12
; WaveLimiterHint : 1
; COMPUTE_PGM_RSRC2:SCRATCH_EN: 0
; COMPUTE_PGM_RSRC2:USER_SGPR: 6
; COMPUTE_PGM_RSRC2:TRAP_HANDLER: 0
; COMPUTE_PGM_RSRC2:TGID_X_EN: 1
; COMPUTE_PGM_RSRC2:TGID_Y_EN: 0
; COMPUTE_PGM_RSRC2:TGID_Z_EN: 1
; COMPUTE_PGM_RSRC2:TIDIG_COMP_CNT: 0
	.section	.text._ZL23rocblas_gemvt_sn_reduceILi256ELi8EdddEviT2_lPT3_lilPT1_i,"axG",@progbits,_ZL23rocblas_gemvt_sn_reduceILi256ELi8EdddEviT2_lPT3_lilPT1_i,comdat
	.globl	_ZL23rocblas_gemvt_sn_reduceILi256ELi8EdddEviT2_lPT3_lilPT1_i ; -- Begin function _ZL23rocblas_gemvt_sn_reduceILi256ELi8EdddEviT2_lPT3_lilPT1_i
	.p2align	8
	.type	_ZL23rocblas_gemvt_sn_reduceILi256ELi8EdddEviT2_lPT3_lilPT1_i,@function
_ZL23rocblas_gemvt_sn_reduceILi256ELi8EdddEviT2_lPT3_lilPT1_i: ; @_ZL23rocblas_gemvt_sn_reduceILi256ELi8EdddEviT2_lPT3_lilPT1_i
; %bb.0:
	s_clause 0x2
	s_load_dword s6, s[4:5], 0x0
	s_load_dword s0, s[4:5], 0x4c
	s_load_dwordx2 s[2:3], s[4:5], 0x38
	v_mov_b32_e32 v1, 0
	v_lshlrev_b32_e32 v5, 3, v0
	v_mov_b32_e32 v2, 0
	s_waitcnt lgkmcnt(0)
	s_ashr_i32 s9, s6, 31
	s_mul_i32 s10, s0, s8
	s_add_u32 s0, s4, 0x48
	s_addc_u32 s1, s5, 0
	s_add_i32 s10, s10, s7
	s_lshr_b32 s11, s9, 29
	s_mul_i32 s12, s10, s9
	s_add_i32 s9, s6, s11
	s_mul_hi_u32 s11, s10, s6
	s_and_b32 s9, s9, -8
	s_add_i32 s11, s11, s12
	s_mul_i32 s10, s10, s6
	s_mov_b32 s12, exec_lo
	v_cmpx_gt_i32_e64 s9, v5
	s_cbranch_execz .LBB75_4
; %bb.1:
	s_load_dword s0, s[0:1], 0xc
	v_lshlrev_b32_e32 v1, 6, v0
	s_lshl_b64 s[14:15], s[10:11], 3
	s_waitcnt lgkmcnt(0)
	s_and_b32 s0, s0, 0xffff
	s_lshl_b32 s1, s0, 3
	s_add_u32 s13, s2, s14
	s_addc_u32 s14, s3, s15
	v_add_co_u32 v3, s13, s13, v1
	v_add_co_ci_u32_e64 v4, null, s14, 0, s13
	v_mov_b32_e32 v1, 0
	v_add_co_u32 v3, vcc_lo, v3, 56
	v_mov_b32_e32 v2, 0
	v_add_co_ci_u32_e64 v4, null, 0, v4, vcc_lo
	s_mov_b32 s13, 0
	s_lshl_b32 s14, s0, 6
	s_inst_prefetch 0x1
	.p2align	6
.LBB75_2:                               ; =>This Inner Loop Header: Depth=1
	s_clause 0x3
	global_load_dwordx4 v[6:9], v[3:4], off offset:-56
	global_load_dwordx4 v[10:13], v[3:4], off offset:-40
	;; [unrolled: 1-line block ×4, first 2 shown]
	v_add_nc_u32_e32 v5, s1, v5
	v_add_co_u32 v3, s0, v3, s14
	v_add_co_ci_u32_e64 v4, null, 0, v4, s0
	v_cmp_le_i32_e32 vcc_lo, s9, v5
	s_or_b32 s13, vcc_lo, s13
	s_waitcnt vmcnt(3)
	v_add_f64 v[1:2], v[1:2], v[6:7]
	v_add_f64 v[1:2], v[1:2], v[8:9]
	s_waitcnt vmcnt(2)
	v_add_f64 v[1:2], v[1:2], v[10:11]
	v_add_f64 v[1:2], v[1:2], v[12:13]
	;; [unrolled: 3-line block ×4, first 2 shown]
	s_andn2_b32 exec_lo, exec_lo, s13
	s_cbranch_execnz .LBB75_2
; %bb.3:
	s_inst_prefetch 0x2
	s_or_b32 exec_lo, exec_lo, s13
.LBB75_4:
	s_or_b32 exec_lo, exec_lo, s12
	s_sub_i32 s0, s6, s9
	v_cmp_gt_u32_e32 vcc_lo, s0, v0
	s_and_saveexec_b32 s0, vcc_lo
	s_cbranch_execz .LBB75_6
; %bb.5:
	v_xad_u32 v3, v0, -1, s6
	v_mov_b32_e32 v4, 0
	s_lshl_b64 s[10:11], s[10:11], 3
	s_add_u32 s1, s2, s10
	s_addc_u32 s2, s3, s11
	v_lshlrev_b64 v[3:4], 3, v[3:4]
	v_add_co_u32 v3, vcc_lo, s1, v3
	v_add_co_ci_u32_e64 v4, null, s2, v4, vcc_lo
	global_load_dwordx2 v[3:4], v[3:4], off
	s_waitcnt vmcnt(0)
	v_add_f64 v[1:2], v[1:2], v[3:4]
.LBB75_6:
	s_or_b32 exec_lo, exec_lo, s0
	v_and_b32_e32 v9, 31, v0
	v_cmp_gt_u32_e32 vcc_lo, 32, v0
	v_lshlrev_b32_e32 v5, 3, v9
	s_and_saveexec_b32 s0, vcc_lo
; %bb.7:
	v_mov_b32_e32 v3, 0
	v_mov_b32_e32 v4, v3
	ds_write_b64 v5, v[3:4]
; %bb.8:
	s_or_b32 exec_lo, exec_lo, s0
	v_mbcnt_lo_u32_b32 v8, -1, 0
	s_mov_b32 s1, exec_lo
	s_waitcnt lgkmcnt(0)
	s_barrier
	buffer_gl0_inv
	v_lshl_or_b32 v4, v8, 2, 64
	v_cmp_gt_u32_e64 s0, 24, v8
	ds_bpermute_b32 v3, v4, v1
	ds_bpermute_b32 v4, v4, v2
	s_waitcnt lgkmcnt(0)
	v_add_f64 v[1:2], v[1:2], v[3:4]
	v_cndmask_b32_e64 v3, 0, 8, s0
	v_cmp_gt_u32_e64 s0, 28, v8
	v_add_lshl_u32 v4, v3, v8, 2
	ds_bpermute_b32 v3, v4, v1
	ds_bpermute_b32 v4, v4, v2
	s_waitcnt lgkmcnt(0)
	v_add_f64 v[1:2], v[1:2], v[3:4]
	v_cndmask_b32_e64 v3, 0, 4, s0
	v_cmp_gt_u32_e64 s0, 30, v8
	v_add_lshl_u32 v6, v3, v8, 2
	ds_bpermute_b32 v3, v6, v1
	ds_bpermute_b32 v4, v6, v2
	s_waitcnt lgkmcnt(0)
	v_add_f64 v[1:2], v[1:2], v[3:4]
	v_cndmask_b32_e64 v3, 0, 2, s0
	v_cmp_ne_u32_e64 s0, 31, v8
	v_add_lshl_u32 v7, v3, v8, 2
	ds_bpermute_b32 v3, v7, v1
	ds_bpermute_b32 v4, v7, v2
	s_waitcnt lgkmcnt(0)
	v_add_f64 v[1:2], v[1:2], v[3:4]
	v_add_co_ci_u32_e64 v3, null, 0, v8, s0
	v_lshlrev_b32_e32 v8, 2, v3
	ds_bpermute_b32 v3, v8, v1
	ds_bpermute_b32 v4, v8, v2
	v_cmpx_eq_u32_e32 0, v9
	s_cbranch_execz .LBB75_10
; %bb.9:
	s_waitcnt lgkmcnt(0)
	v_add_f64 v[1:2], v[1:2], v[3:4]
	v_lshrrev_b32_e32 v3, 2, v0
	v_and_b32_e32 v3, 56, v3
	ds_write_b64 v3, v[1:2]
.LBB75_10:
	s_or_b32 exec_lo, exec_lo, s1
	v_mov_b32_e32 v1, 0
	v_mov_b32_e32 v2, 0
	s_mov_b32 s1, exec_lo
	s_waitcnt lgkmcnt(0)
	s_barrier
	buffer_gl0_inv
	v_cmpx_gt_u32_e32 8, v0
; %bb.11:
	ds_read_b64 v[1:2], v5
; %bb.12:
	s_or_b32 exec_lo, exec_lo, s1
	s_and_saveexec_b32 s0, vcc_lo
	s_cbranch_execz .LBB75_14
; %bb.13:
	s_waitcnt lgkmcnt(0)
	ds_bpermute_b32 v3, v6, v1
	ds_bpermute_b32 v4, v6, v2
	s_waitcnt lgkmcnt(0)
	v_add_f64 v[1:2], v[1:2], v[3:4]
	ds_bpermute_b32 v3, v7, v1
	ds_bpermute_b32 v4, v7, v2
	s_waitcnt lgkmcnt(0)
	v_add_f64 v[1:2], v[1:2], v[3:4]
	;; [unrolled: 4-line block ×3, first 2 shown]
.LBB75_14:
	s_or_b32 exec_lo, exec_lo, s0
	s_mov_b32 s0, exec_lo
	v_cmpx_eq_u32_e32 0, v0
	s_cbranch_execz .LBB75_18
; %bb.15:
	s_clause 0x3
	s_load_dwordx2 s[0:1], s[4:5], 0x8
	s_load_dwordx2 s[2:3], s[4:5], 0x30
	s_load_dword s6, s[4:5], 0x28
	s_load_dwordx4 s[12:15], s[4:5], 0x18
	s_waitcnt lgkmcnt(0)
	v_cmp_eq_f64_e64 s9, s[0:1], 0
	s_mul_i32 s3, s3, s8
	s_mul_hi_u32 s4, s2, s8
	s_mul_i32 s2, s2, s8
	s_add_i32 s3, s4, s3
	s_ashr_i32 s5, s6, 31
	s_lshl_b64 s[2:3], s[2:3], 3
	s_mul_i32 s10, s5, s7
	s_add_u32 s4, s12, s2
	s_addc_u32 s8, s13, s3
	s_lshl_b64 s[2:3], s[14:15], 3
	s_add_u32 s4, s4, s2
	s_mul_hi_u32 s2, s6, s7
	s_addc_u32 s5, s8, s3
	s_add_i32 s3, s2, s10
	s_mul_i32 s2, s6, s7
	s_and_b32 vcc_lo, exec_lo, s9
	s_cbranch_vccnz .LBB75_17
; %bb.16:
	s_lshl_b64 s[6:7], s[2:3], 3
	s_add_u32 s6, s4, s6
	s_addc_u32 s7, s5, s7
	s_load_dwordx2 s[6:7], s[6:7], 0x0
	s_waitcnt lgkmcnt(0)
	v_fma_f64 v[1:2], s[0:1], s[6:7], v[1:2]
.LBB75_17:
	s_lshl_b64 s[0:1], s[2:3], 3
	v_mov_b32_e32 v0, 0
	s_add_u32 s0, s4, s0
	s_addc_u32 s1, s5, s1
	global_store_dwordx2 v0, v[1:2], s[0:1]
.LBB75_18:
	s_endpgm
	.section	.rodata,"a",@progbits
	.p2align	6, 0x0
	.amdhsa_kernel _ZL23rocblas_gemvt_sn_reduceILi256ELi8EdddEviT2_lPT3_lilPT1_i
		.amdhsa_group_segment_fixed_size 256
		.amdhsa_private_segment_fixed_size 0
		.amdhsa_kernarg_size 328
		.amdhsa_user_sgpr_count 6
		.amdhsa_user_sgpr_private_segment_buffer 1
		.amdhsa_user_sgpr_dispatch_ptr 0
		.amdhsa_user_sgpr_queue_ptr 0
		.amdhsa_user_sgpr_kernarg_segment_ptr 1
		.amdhsa_user_sgpr_dispatch_id 0
		.amdhsa_user_sgpr_flat_scratch_init 0
		.amdhsa_user_sgpr_private_segment_size 0
		.amdhsa_wavefront_size32 1
		.amdhsa_uses_dynamic_stack 0
		.amdhsa_system_sgpr_private_segment_wavefront_offset 0
		.amdhsa_system_sgpr_workgroup_id_x 1
		.amdhsa_system_sgpr_workgroup_id_y 1
		.amdhsa_system_sgpr_workgroup_id_z 1
		.amdhsa_system_sgpr_workgroup_info 0
		.amdhsa_system_vgpr_workitem_id 0
		.amdhsa_next_free_vgpr 22
		.amdhsa_next_free_sgpr 16
		.amdhsa_reserve_vcc 1
		.amdhsa_reserve_flat_scratch 0
		.amdhsa_float_round_mode_32 0
		.amdhsa_float_round_mode_16_64 0
		.amdhsa_float_denorm_mode_32 3
		.amdhsa_float_denorm_mode_16_64 3
		.amdhsa_dx10_clamp 1
		.amdhsa_ieee_mode 1
		.amdhsa_fp16_overflow 0
		.amdhsa_workgroup_processor_mode 1
		.amdhsa_memory_ordered 1
		.amdhsa_forward_progress 1
		.amdhsa_shared_vgpr_count 0
		.amdhsa_exception_fp_ieee_invalid_op 0
		.amdhsa_exception_fp_denorm_src 0
		.amdhsa_exception_fp_ieee_div_zero 0
		.amdhsa_exception_fp_ieee_overflow 0
		.amdhsa_exception_fp_ieee_underflow 0
		.amdhsa_exception_fp_ieee_inexact 0
		.amdhsa_exception_int_div_zero 0
	.end_amdhsa_kernel
	.section	.text._ZL23rocblas_gemvt_sn_reduceILi256ELi8EdddEviT2_lPT3_lilPT1_i,"axG",@progbits,_ZL23rocblas_gemvt_sn_reduceILi256ELi8EdddEviT2_lPT3_lilPT1_i,comdat
.Lfunc_end75:
	.size	_ZL23rocblas_gemvt_sn_reduceILi256ELi8EdddEviT2_lPT3_lilPT1_i, .Lfunc_end75-_ZL23rocblas_gemvt_sn_reduceILi256ELi8EdddEviT2_lPT3_lilPT1_i
                                        ; -- End function
	.set _ZL23rocblas_gemvt_sn_reduceILi256ELi8EdddEviT2_lPT3_lilPT1_i.num_vgpr, 22
	.set _ZL23rocblas_gemvt_sn_reduceILi256ELi8EdddEviT2_lPT3_lilPT1_i.num_agpr, 0
	.set _ZL23rocblas_gemvt_sn_reduceILi256ELi8EdddEviT2_lPT3_lilPT1_i.numbered_sgpr, 16
	.set _ZL23rocblas_gemvt_sn_reduceILi256ELi8EdddEviT2_lPT3_lilPT1_i.num_named_barrier, 0
	.set _ZL23rocblas_gemvt_sn_reduceILi256ELi8EdddEviT2_lPT3_lilPT1_i.private_seg_size, 0
	.set _ZL23rocblas_gemvt_sn_reduceILi256ELi8EdddEviT2_lPT3_lilPT1_i.uses_vcc, 1
	.set _ZL23rocblas_gemvt_sn_reduceILi256ELi8EdddEviT2_lPT3_lilPT1_i.uses_flat_scratch, 0
	.set _ZL23rocblas_gemvt_sn_reduceILi256ELi8EdddEviT2_lPT3_lilPT1_i.has_dyn_sized_stack, 0
	.set _ZL23rocblas_gemvt_sn_reduceILi256ELi8EdddEviT2_lPT3_lilPT1_i.has_recursion, 0
	.set _ZL23rocblas_gemvt_sn_reduceILi256ELi8EdddEviT2_lPT3_lilPT1_i.has_indirect_call, 0
	.section	.AMDGPU.csdata,"",@progbits
; Kernel info:
; codeLenInByte = 1172
; TotalNumSgprs: 18
; NumVgprs: 22
; ScratchSize: 0
; MemoryBound: 1
; FloatMode: 240
; IeeeMode: 1
; LDSByteSize: 256 bytes/workgroup (compile time only)
; SGPRBlocks: 0
; VGPRBlocks: 2
; NumSGPRsForWavesPerEU: 18
; NumVGPRsForWavesPerEU: 22
; Occupancy: 16
; WaveLimiterHint : 0
; COMPUTE_PGM_RSRC2:SCRATCH_EN: 0
; COMPUTE_PGM_RSRC2:USER_SGPR: 6
; COMPUTE_PGM_RSRC2:TRAP_HANDLER: 0
; COMPUTE_PGM_RSRC2:TGID_X_EN: 1
; COMPUTE_PGM_RSRC2:TGID_Y_EN: 1
; COMPUTE_PGM_RSRC2:TGID_Z_EN: 1
; COMPUTE_PGM_RSRC2:TIDIG_COMP_CNT: 0
	.section	.text._ZL36rocblas_gemvt_double_buffered_kernelILb0ELi128ELi4ELi16EdPKddEviiT4_lPKT3_lilS5_lilPT5_lili,"axG",@progbits,_ZL36rocblas_gemvt_double_buffered_kernelILb0ELi128ELi4ELi16EdPKddEviiT4_lPKT3_lilS5_lilPT5_lili,comdat
	.globl	_ZL36rocblas_gemvt_double_buffered_kernelILb0ELi128ELi4ELi16EdPKddEviiT4_lPKT3_lilS5_lilPT5_lili ; -- Begin function _ZL36rocblas_gemvt_double_buffered_kernelILb0ELi128ELi4ELi16EdPKddEviiT4_lPKT3_lilS5_lilPT5_lili
	.p2align	8
	.type	_ZL36rocblas_gemvt_double_buffered_kernelILb0ELi128ELi4ELi16EdPKddEviiT4_lPKT3_lilS5_lilPT5_lili,@function
_ZL36rocblas_gemvt_double_buffered_kernelILb0ELi128ELi4ELi16EdPKddEviiT4_lPKT3_lilS5_lilPT5_lili: ; @_ZL36rocblas_gemvt_double_buffered_kernelILb0ELi128ELi4ELi16EdPKddEviiT4_lPKT3_lilS5_lilPT5_lili
; %bb.0:
	s_load_dwordx8 s[12:19], s[4:5], 0x8
	s_waitcnt lgkmcnt(0)
	s_mul_i32 s0, s15, s8
	s_mul_hi_u32 s1, s14, s8
	s_add_i32 s1, s1, s0
	s_mul_i32 s0, s14, s8
	s_lshl_b64 s[0:1], s[0:1], 3
	s_add_u32 s0, s12, s0
	s_addc_u32 s1, s13, s1
	s_load_dwordx2 s[10:11], s[0:1], 0x0
	s_waitcnt lgkmcnt(0)
	v_cmp_eq_f64_e64 s0, s[10:11], 0
	s_and_b32 vcc_lo, exec_lo, s0
	s_cbranch_vccnz .LBB76_12
; %bb.1:
	s_clause 0x1
	s_load_dword s0, s[4:5], 0x84
	s_load_dword s1, s[4:5], 0x0
	s_waitcnt lgkmcnt(0)
	v_cvt_f32_u32_e32 v2, s0
	s_ashr_i32 s3, s1, 31
	s_sub_i32 s9, 0, s0
	s_lshr_b32 s3, s3, 25
	s_add_i32 s1, s1, s3
	v_rcp_iflag_f32_e32 v2, v2
	s_ashr_i32 s1, s1, 7
	v_mul_f32_e32 v2, 0x4f7ffffe, v2
	v_cvt_u32_f32_e32 v2, v2
	v_readfirstlane_b32 s2, v2
	s_mul_i32 s9, s9, s2
	s_mul_hi_u32 s3, s2, s9
	s_add_i32 s2, s2, s3
	s_mul_hi_u32 s2, s1, s2
	s_mul_i32 s3, s2, s0
	s_add_i32 s9, s2, 1
	s_sub_i32 s3, s1, s3
	s_sub_i32 s12, s3, s0
	s_cmp_ge_u32 s3, s0
	s_cselect_b32 s2, s9, s2
	s_cselect_b32 s3, s12, s3
	s_add_i32 s9, s2, 1
	s_cmp_ge_u32 s3, s0
	s_cselect_b32 s20, s9, s2
	s_mul_i32 s0, s20, s0
	s_sub_i32 s21, s1, s0
	s_cmp_lt_u32 s7, s21
	s_cselect_b32 s0, -1, 0
	s_cmp_lg_u32 s0, 0
	s_addc_u32 s9, s20, 0
	s_cmp_eq_u32 s9, 0
	s_cbranch_scc1 .LBB76_12
; %bb.2:
	s_clause 0x1
	s_load_dwordx4 s[0:3], s[4:5], 0x50
	s_load_dwordx2 s[12:13], s[4:5], 0x60
	v_lshl_add_u32 v35, v1, 7, v0
	v_and_b32_e32 v2, 63, v0
	s_lshl_b32 s14, s6, 7
	s_ashr_i32 s15, s14, 31
	v_lshrrev_b32_e32 v141, 2, v35
	v_lshlrev_b32_e32 v142, 3, v2
	s_cmp_lt_i32 s9, 1
	v_and_b32_e32 v143, 0x7ff0, v141
	s_cbranch_scc1 .LBB76_8
; %bb.3:
	v_cvt_f64_i32_e32 v[3:4], s7
	v_cvt_f64_u32_e32 v[5:6], s21
	s_mul_i32 s20, s20, s7
	s_load_dwordx4 s[28:31], s[4:5], 0x30
	v_cvt_f64_u32_e32 v[7:8], s20
	s_clause 0x2
	s_load_dword s20, s[4:5], 0x28
	s_load_dword s22, s[4:5], 0x48
	s_load_dwordx2 s[6:7], s[4:5], 0x40
	s_waitcnt lgkmcnt(0)
	s_mul_i32 s1, s1, s8
	s_mul_hi_u32 s33, s0, s8
	s_mul_i32 s0, s0, s8
	v_lshlrev_b32_e32 v67, 1, v35
	v_mov_b32_e32 v35, 0
	v_mov_b32_e32 v63, 0
	;; [unrolled: 1-line block ×4, first 2 shown]
	v_and_b32_e32 v69, 0x3ff80, v67
	v_mov_b32_e32 v55, 0
	v_mov_b32_e32 v57, 0
	;; [unrolled: 1-line block ×8, first 2 shown]
	v_min_f64 v[3:4], v[3:4], v[5:6]
	s_mul_i32 s21, s29, s8
	s_mul_hi_u32 s23, s28, s8
	s_mul_i32 s24, s28, s8
	s_add_i32 s25, s23, s21
	s_ashr_i32 s21, s20, 31
	s_lshl_b64 s[24:25], s[24:25], 3
	s_ashr_i32 s23, s22, 31
	s_add_u32 s28, s16, s24
	s_addc_u32 s29, s17, s25
	s_lshl_b64 s[26:27], s[18:19], 3
	s_mul_hi_i32 s19, s20, s14
	s_add_u32 s34, s28, s26
	s_addc_u32 s35, s29, s27
	s_add_i32 s1, s33, s1
	s_mul_i32 s18, s20, s14
	s_lshl_b64 s[0:1], s[0:1], 3
	v_mov_b32_e32 v39, 0
	s_add_u32 s28, s30, s0
	s_addc_u32 s29, s31, s1
	s_lshl_b64 s[0:1], s[6:7], 3
	v_mov_b32_e32 v41, 0
	v_add_f64 v[4:5], v[3:4], v[7:8]
	v_mov_b32_e32 v3, 0
	s_add_u32 s28, s28, s0
	s_addc_u32 s29, s29, s1
	s_lshl_b64 s[0:1], s[18:19], 3
	v_mov_b32_e32 v37, 0
	s_add_u32 s7, s34, s0
	s_addc_u32 s18, s35, s1
	v_mov_b32_e32 v65, 0
	v_mov_b32_e32 v36, 0
	;; [unrolled: 1-line block ×14, first 2 shown]
	v_cvt_i32_f64_e32 v5, v[4:5]
	v_mad_i64_i32 v[3:4], null, s20, v143, v[2:3]
	v_mov_b32_e32 v42, 0
	v_mov_b32_e32 v38, 0
	;; [unrolled: 1-line block ×3, first 2 shown]
	v_lshlrev_b64 v[3:4], 3, v[3:4]
	v_readfirstlane_b32 s6, v5
	s_lshl_b32 s0, s6, 7
	s_ashr_i32 s1, s0, 31
	s_lshl_b64 s[0:1], s[0:1], 3
	s_add_u32 s6, s7, s0
	s_addc_u32 s7, s18, s1
	v_add_co_u32 v3, vcc_lo, s6, v3
	v_add_co_ci_u32_e64 v4, null, s7, v4, vcc_lo
	s_lshl_b64 s[6:7], s[20:21], 3
	v_or_b32_e32 v70, s0, v142
	s_sub_u32 s18, 0, s6
	v_mad_i64_i32 v[33:34], null, 0x78, s20, v[3:4]
	s_subb_u32 s19, 0, s7
	s_lshl_b64 s[34:35], s[14:15], 3
	s_add_i32 s30, s9, -1
	v_add_co_u32 v71, s15, v69, s34
	v_add_co_ci_u32_e64 v72, null, 0, s35, s15
	v_add_co_u32 v5, vcc_lo, v33, s18
	v_add_co_ci_u32_e64 v6, null, s19, v34, vcc_lo
	v_mul_lo_u32 v73, v70, s23
	v_add_co_u32 v7, vcc_lo, v5, s18
	v_add_co_ci_u32_e64 v8, null, s19, v6, vcc_lo
	v_mad_u64_u32 v[67:68], null, v70, s22, 0
	v_add_co_u32 v9, vcc_lo, v7, s18
	v_add_co_ci_u32_e64 v10, null, s19, v8, vcc_lo
	s_clause 0x2
	global_load_dwordx2 v[3:4], v[3:4], off
	global_load_dwordx2 v[5:6], v[5:6], off
	;; [unrolled: 1-line block ×3, first 2 shown]
	v_add_co_u32 v11, vcc_lo, v9, s18
	v_add_co_ci_u32_e64 v12, null, s19, v10, vcc_lo
	s_mul_i32 s31, s1, s22
	v_add_co_u32 v13, vcc_lo, v11, s18
	v_add_co_ci_u32_e64 v14, null, s19, v12, vcc_lo
	s_clause 0x1
	global_load_dwordx2 v[9:10], v[9:10], off
	global_load_dwordx2 v[11:12], v[11:12], off
	v_add_co_u32 v15, vcc_lo, v13, s18
	v_add_co_ci_u32_e64 v16, null, s19, v14, vcc_lo
	global_load_dwordx2 v[13:14], v[13:14], off
	v_add_co_u32 v17, vcc_lo, v15, s18
	v_add_co_ci_u32_e64 v18, null, s19, v16, vcc_lo
	;; [unrolled: 3-line block ×6, first 2 shown]
	v_add3_u32 v68, v68, v73, s31
	v_add_co_u32 v27, vcc_lo, v25, s18
	v_add_co_ci_u32_e64 v28, null, s19, v26, vcc_lo
	v_or_b32_e32 v70, 0x200, v70
	v_add_co_u32 v29, vcc_lo, v27, s18
	v_add_co_ci_u32_e64 v30, null, s19, v28, vcc_lo
	v_mul_lo_u32 v103, v70, s23
	v_add_co_u32 v31, vcc_lo, v29, s18
	v_add_co_ci_u32_e64 v32, null, s19, v30, vcc_lo
	global_load_dwordx2 v[23:24], v[23:24], off
	global_load_dwordx2 v[25:26], v[25:26], off
	;; [unrolled: 1-line block ×6, first 2 shown]
	v_add_co_u32 v75, vcc_lo, v71, 8
	v_add_co_ci_u32_e64 v76, null, 0, v72, vcc_lo
	v_add_co_u32 v77, vcc_lo, v71, 16
	v_add_co_ci_u32_e64 v78, null, 0, v72, vcc_lo
	;; [unrolled: 2-line block ×5, first 2 shown]
	v_add_co_u32 v85, vcc_lo, v71, 48
	s_lshl_b64 s[18:19], s[22:23], 10
	s_add_u32 s0, s16, s0
	v_add_co_ci_u32_e64 v86, null, 0, v72, vcc_lo
	v_add_co_u32 v87, vcc_lo, v71, 56
	s_addc_u32 s1, s17, s1
	s_add_u32 s0, s0, s26
	v_add_co_ci_u32_e64 v88, null, 0, v72, vcc_lo
	v_add_co_u32 v89, vcc_lo, v71, 64
	s_addc_u32 s1, s1, s27
	;; [unrolled: 4-line block ×3, first 2 shown]
	v_add_co_ci_u32_e64 v92, null, 0, v72, vcc_lo
	v_add_co_u32 v93, vcc_lo, 0x50, v71
	v_mad_u64_u32 v[73:74], null, v75, s20, s[0:1]
	v_mul_lo_u32 v108, v75, s21
	v_mul_lo_u32 v109, v76, s20
	v_add_co_ci_u32_e64 v94, null, 0, v72, vcc_lo
	v_add_co_u32 v95, vcc_lo, 0x58, v71
	v_mad_u64_u32 v[75:76], null, v77, s20, s[0:1]
	v_mul_lo_u32 v110, v77, s21
	v_mul_lo_u32 v111, v78, s20
	;; [unrolled: 5-line block ×5, first 2 shown]
	v_add3_u32 v74, v109, v74, v108
	v_add_co_ci_u32_e64 v102, null, 0, v72, vcc_lo
	v_add_co_u32 v106, vcc_lo, 0x78, v71
	v_mad_u64_u32 v[83:84], null, v85, s20, s[0:1]
	v_mul_lo_u32 v118, v85, s21
	v_mul_lo_u32 v119, v86, s20
	v_add3_u32 v76, v111, v76, v110
	v_add_co_ci_u32_e64 v107, null, 0, v72, vcc_lo
	v_add_co_u32 v144, vcc_lo, 0x400, v73
	v_mad_u64_u32 v[85:86], null, v87, s20, s[0:1]
	v_mul_lo_u32 v120, v87, s21
	v_mul_lo_u32 v121, v88, s20
	;; [unrolled: 6-line block ×10, first 2 shown]
	v_add3_u32 v94, v129, v94, v128
	v_add_co_ci_u32_e64 v161, null, 0, v90, vcc_lo
	v_add_co_u32 v162, vcc_lo, 0x400, v91
	v_add3_u32 v96, v131, v96, v130
	v_add_co_ci_u32_e64 v163, null, 0, v92, vcc_lo
	v_add_co_u32 v164, vcc_lo, 0x400, v93
	v_add3_u32 v98, v133, v98, v132
	v_mad_u64_u32 v[69:70], null, v70, s22, 0
	v_mul_lo_u32 v104, v71, s21
	v_mul_lo_u32 v105, v72, s20
	v_mad_u64_u32 v[71:72], null, v71, s20, s[0:1]
	v_add_co_ci_u32_e64 v165, null, 0, v94, vcc_lo
	v_add_co_u32 v166, vcc_lo, 0x400, v95
	v_add3_u32 v100, v135, v100, v134
	v_add_co_ci_u32_e64 v167, null, 0, v96, vcc_lo
	v_add_co_u32 v168, vcc_lo, 0x400, v97
	v_add3_u32 v102, v107, v102, v106
	v_add_co_ci_u32_e64 v169, null, 0, v98, vcc_lo
	v_add_co_u32 v170, vcc_lo, 0x400, v99
	v_add_co_ci_u32_e64 v171, null, 0, v100, vcc_lo
	v_add_co_u32 v172, vcc_lo, 0x400, v101
	v_add3_u32 v70, v70, v103, s31
	v_add3_u32 v72, v105, v72, v104
	v_add_co_ci_u32_e64 v173, null, 0, v102, vcc_lo
	s_mov_b32 s1, 0
	s_waitcnt vmcnt(15)
	v_mov_b32_e32 v74, v4
	s_waitcnt vmcnt(14)
	v_mov_b32_e32 v102, v6
	;; [unrolled: 2-line block ×3, first 2 shown]
	v_mov_b32_e32 v73, v3
	v_mov_b32_e32 v101, v5
	;; [unrolled: 1-line block ×3, first 2 shown]
	s_waitcnt vmcnt(12)
	v_mov_b32_e32 v98, v10
	s_waitcnt vmcnt(11)
	v_mov_b32_e32 v96, v12
	v_mov_b32_e32 v97, v9
	;; [unrolled: 1-line block ×3, first 2 shown]
	s_waitcnt vmcnt(10)
	v_mov_b32_e32 v94, v14
	v_mov_b32_e32 v93, v13
	s_waitcnt vmcnt(9)
	v_mov_b32_e32 v92, v16
	v_mov_b32_e32 v91, v15
	;; [unrolled: 3-line block ×5, first 2 shown]
	s_waitcnt vmcnt(5)
	v_mov_b32_e32 v84, v24
	s_waitcnt vmcnt(4)
	v_mov_b32_e32 v82, v26
	;; [unrolled: 2-line block ×6, first 2 shown]
	v_mov_b32_e32 v83, v23
	v_mov_b32_e32 v81, v25
	;; [unrolled: 1-line block ×6, first 2 shown]
.LBB76_4:                               ; =>This Inner Loop Header: Depth=1
	v_add_co_u32 v139, vcc_lo, v71, v142
	v_add_co_ci_u32_e64 v140, null, 0, v72, vcc_lo
	s_cmp_lg_u32 s30, s1
	v_add_co_u32 v105, vcc_lo, 0x200, v139
	v_add_co_ci_u32_e64 v106, null, 0, v140, vcc_lo
	v_add_co_u32 v107, vcc_lo, v105, s6
	v_add_co_ci_u32_e64 v108, null, s7, v106, vcc_lo
	global_load_dwordx2 v[105:106], v[139:140], off offset:512
	v_add_co_u32 v109, vcc_lo, v107, s6
	v_add_co_ci_u32_e64 v110, null, s7, v108, vcc_lo
	v_add_co_u32 v137, vcc_lo, s28, v67
	v_add_co_u32 v111, s0, v109, s6
	v_add_co_ci_u32_e64 v112, null, s7, v110, s0
	v_add_co_ci_u32_e64 v138, null, s29, v68, vcc_lo
	v_add_co_u32 v113, vcc_lo, v111, s6
	v_add_co_ci_u32_e64 v114, null, s7, v112, vcc_lo
	s_clause 0x2
	global_load_dwordx2 v[107:108], v[107:108], off
	global_load_dwordx2 v[109:110], v[109:110], off
	;; [unrolled: 1-line block ×3, first 2 shown]
	v_add_co_u32 v115, vcc_lo, v113, s6
	v_add_co_ci_u32_e64 v116, null, s7, v114, vcc_lo
	global_load_dwordx2 v[113:114], v[113:114], off
	v_add_co_u32 v117, vcc_lo, v115, s6
	v_add_co_ci_u32_e64 v118, null, s7, v116, vcc_lo
	global_load_dwordx2 v[115:116], v[115:116], off
	;; [unrolled: 3-line block ×7, first 2 shown]
	v_add_co_u32 v129, vcc_lo, v127, s6
	v_add_co_ci_u32_e64 v130, null, s7, v128, vcc_lo
	v_add_co_u32 v131, vcc_lo, v129, s6
	v_add_co_ci_u32_e64 v132, null, s7, v130, vcc_lo
	;; [unrolled: 2-line block ×4, first 2 shown]
	global_load_dwordx2 v[127:128], v[127:128], off
	global_load_dwordx2 v[129:130], v[129:130], off
	;; [unrolled: 1-line block ×6, first 2 shown]
	s_cbranch_scc0 .LBB76_6
; %bb.5:                                ;   in Loop: Header=BB76_4 Depth=1
	v_add_co_u32 v75, vcc_lo, v144, v142
	v_add_co_ci_u32_e64 v76, null, 0, v145, vcc_lo
	v_add_co_u32 v77, vcc_lo, v146, v142
	v_add_co_ci_u32_e64 v78, null, 0, v147, vcc_lo
	;; [unrolled: 2-line block ×15, first 2 shown]
	global_load_dwordx2 v[73:74], v[139:140], off offset:1024
	global_load_dwordx2 v[75:76], v[75:76], off
	global_load_dwordx2 v[77:78], v[77:78], off
	;; [unrolled: 1-line block ×15, first 2 shown]
.LBB76_6:                               ;   in Loop: Header=BB76_4 Depth=1
	v_add_co_u32 v139, vcc_lo, s28, v69
	v_add_co_ci_u32_e64 v140, null, s29, v70, vcc_lo
	s_waitcnt vmcnt(0)
	v_fma_f64 v[3:4], v[3:4], v[137:138], v[35:36]
	v_fma_f64 v[31:32], v[31:32], v[137:138], v[63:64]
	;; [unrolled: 1-line block ×3, first 2 shown]
	global_load_dwordx2 v[139:140], v[139:140], off
	v_fma_f64 v[27:28], v[27:28], v[137:138], v[61:62]
	v_fma_f64 v[25:26], v[25:26], v[137:138], v[55:56]
	v_fma_f64 v[23:24], v[23:24], v[137:138], v[57:58]
	v_fma_f64 v[21:22], v[21:22], v[137:138], v[51:52]
	v_fma_f64 v[19:20], v[19:20], v[137:138], v[53:54]
	v_fma_f64 v[17:18], v[17:18], v[137:138], v[47:48]
	v_fma_f64 v[15:16], v[15:16], v[137:138], v[49:50]
	v_fma_f64 v[13:14], v[13:14], v[137:138], v[43:44]
	v_fma_f64 v[11:12], v[11:12], v[137:138], v[45:46]
	v_fma_f64 v[9:10], v[9:10], v[137:138], v[39:40]
	v_fma_f64 v[7:8], v[7:8], v[137:138], v[41:42]
	v_fma_f64 v[5:6], v[5:6], v[137:138], v[37:38]
	v_fma_f64 v[33:34], v[33:34], v[137:138], v[65:66]
	v_add_co_u32 v71, vcc_lo, 0x400, v71
	v_add_co_ci_u32_e64 v72, null, 0, v72, vcc_lo
	v_add_co_u32 v144, vcc_lo, 0x400, v144
	v_add_co_ci_u32_e64 v145, null, 0, v145, vcc_lo
	;; [unrolled: 2-line block ×15, first 2 shown]
	v_add_co_u32 v172, vcc_lo, 0x400, v172
	s_add_i32 s1, s1, 1
	v_add_co_ci_u32_e64 v173, null, 0, v173, vcc_lo
	s_add_u32 s28, s28, s18
	s_addc_u32 s29, s29, s19
	s_cmp_ge_i32 s1, s9
	s_waitcnt vmcnt(0)
	v_fma_f64 v[35:36], v[105:106], v[139:140], v[3:4]
	v_fma_f64 v[63:64], v[107:108], v[139:140], v[31:32]
	;; [unrolled: 1-line block ×16, first 2 shown]
	s_cbranch_scc1 .LBB76_9
; %bb.7:                                ;   in Loop: Header=BB76_4 Depth=1
	v_mov_b32_e32 v3, v73
	v_mov_b32_e32 v31, v75
	;; [unrolled: 1-line block ×32, first 2 shown]
	s_branch .LBB76_4
.LBB76_8:
	v_mov_b32_e32 v65, 0
	v_mov_b32_e32 v37, 0
	;; [unrolled: 1-line block ×32, first 2 shown]
.LBB76_9:
	v_lshlrev_b32_e32 v4, 9, v141
	v_lshl_or_b32 v3, v143, 9, v142
	s_waitcnt lgkmcnt(0)
	s_mov_b32 s0, 0
	s_mov_b32 s1, exec_lo
	ds_write2st64_b64 v3, v[35:36], v[63:64] offset1:1
	ds_write2st64_b64 v3, v[59:60], v[61:62] offset0:2 offset1:3
	ds_write2st64_b64 v3, v[55:56], v[57:58] offset0:4 offset1:5
	;; [unrolled: 1-line block ×3, first 2 shown]
	v_or3_b32 v4, v4, v142, 0x1e00
	ds_write2st64_b64 v3, v[47:48], v[49:50] offset0:8 offset1:9
	ds_write2st64_b64 v3, v[43:44], v[45:46] offset0:10 offset1:11
	;; [unrolled: 1-line block ×3, first 2 shown]
	ds_write_b64 v3, v[37:38] offset:7168
	ds_write_b64 v4, v[65:66]
	s_waitcnt lgkmcnt(0)
	s_barrier
	buffer_gl0_inv
	v_cmpx_eq_u32_e32 0, v1
	s_cbranch_execz .LBB76_12
; %bb.10:
	v_lshlrev_b32_e32 v1, 9, v0
	v_add_nc_u32_e32 v5, 1, v0
	v_add_nc_u32_e32 v6, 2, v0
	;; [unrolled: 1-line block ×3, first 2 shown]
	v_lshl_or_b32 v3, v2, 3, v1
	v_and_b32_e32 v5, 63, v5
	v_and_b32_e32 v6, 63, v6
	;; [unrolled: 1-line block ×3, first 2 shown]
	v_xor_b32_e32 v2, 32, v2
	ds_read_b64 v[3:4], v3
	v_lshl_or_b32 v5, v5, 3, v1
	v_lshl_or_b32 v8, v6, 3, v1
	;; [unrolled: 1-line block ×3, first 2 shown]
	ds_read_b64 v[5:6], v5
	ds_read_b64 v[7:8], v8
	;; [unrolled: 1-line block ×3, first 2 shown]
	s_waitcnt lgkmcnt(3)
	v_add_f64 v[3:4], v[3:4], 0
	s_waitcnt lgkmcnt(2)
	v_add_f64 v[3:4], v[3:4], v[5:6]
	v_add_nc_u32_e32 v5, 4, v0
	v_and_b32_e32 v5, 63, v5
	v_lshl_or_b32 v5, v5, 3, v1
	ds_read_b64 v[5:6], v5
	s_waitcnt lgkmcnt(2)
	v_add_f64 v[3:4], v[3:4], v[7:8]
	v_add_nc_u32_e32 v7, 5, v0
	v_add_nc_u32_e32 v8, 6, v0
	v_and_b32_e32 v7, 63, v7
	v_and_b32_e32 v8, 63, v8
	v_lshl_or_b32 v7, v7, 3, v1
	s_waitcnt lgkmcnt(1)
	v_add_f64 v[3:4], v[3:4], v[9:10]
	v_add_nc_u32_e32 v9, 7, v0
	v_lshl_or_b32 v10, v8, 3, v1
	v_and_b32_e32 v9, 63, v9
	v_lshl_or_b32 v11, v9, 3, v1
	ds_read_b64 v[7:8], v7
	ds_read_b64 v[9:10], v10
	ds_read_b64 v[11:12], v11
	s_waitcnt lgkmcnt(3)
	v_add_f64 v[3:4], v[3:4], v[5:6]
	v_add_nc_u32_e32 v5, 8, v0
	v_and_b32_e32 v5, 63, v5
	v_lshl_or_b32 v5, v5, 3, v1
	ds_read_b64 v[5:6], v5
	s_waitcnt lgkmcnt(3)
	v_add_f64 v[3:4], v[3:4], v[7:8]
	v_add_nc_u32_e32 v7, 9, v0
	v_add_nc_u32_e32 v8, 10, v0
	v_and_b32_e32 v7, 63, v7
	v_and_b32_e32 v8, 63, v8
	v_lshl_or_b32 v7, v7, 3, v1
	s_waitcnt lgkmcnt(2)
	v_add_f64 v[3:4], v[3:4], v[9:10]
	v_add_nc_u32_e32 v9, 11, v0
	v_lshl_or_b32 v10, v8, 3, v1
	v_and_b32_e32 v9, 63, v9
	s_waitcnt lgkmcnt(1)
	v_add_f64 v[3:4], v[3:4], v[11:12]
	v_lshl_or_b32 v11, v9, 3, v1
	ds_read_b64 v[7:8], v7
	ds_read_b64 v[9:10], v10
	ds_read_b64 v[11:12], v11
	s_waitcnt lgkmcnt(3)
	v_add_f64 v[3:4], v[3:4], v[5:6]
	v_add_nc_u32_e32 v5, 12, v0
	v_and_b32_e32 v5, 63, v5
	v_lshl_or_b32 v5, v5, 3, v1
	ds_read_b64 v[5:6], v5
	s_waitcnt lgkmcnt(3)
	v_add_f64 v[3:4], v[3:4], v[7:8]
	v_add_nc_u32_e32 v7, 13, v0
	v_add_nc_u32_e32 v8, 14, v0
	v_and_b32_e32 v7, 63, v7
	v_and_b32_e32 v8, 63, v8
	v_lshl_or_b32 v7, v7, 3, v1
	s_waitcnt lgkmcnt(2)
	v_add_f64 v[3:4], v[3:4], v[9:10]
	v_add_nc_u32_e32 v9, 15, v0
	v_lshl_or_b32 v10, v8, 3, v1
	v_and_b32_e32 v9, 63, v9
	s_waitcnt lgkmcnt(1)
	v_add_f64 v[3:4], v[3:4], v[11:12]
	;; [unrolled: 24-line block ×6, first 2 shown]
	v_lshl_or_b32 v11, v9, 3, v1
	ds_read_b64 v[7:8], v7
	ds_read_b64 v[9:10], v10
	;; [unrolled: 1-line block ×3, first 2 shown]
	s_waitcnt lgkmcnt(3)
	v_add_f64 v[3:4], v[3:4], v[5:6]
	v_lshl_or_b32 v5, v2, 3, v1
	v_add_nc_u32_e32 v6, 33, v0
	v_and_b32_e32 v6, 63, v6
	v_lshl_or_b32 v6, v6, 3, v1
	s_waitcnt lgkmcnt(2)
	v_add_f64 v[3:4], v[3:4], v[7:8]
	v_add_nc_u32_e32 v7, 34, v0
	v_add_nc_u32_e32 v8, 35, v0
	v_and_b32_e32 v7, 63, v7
	v_and_b32_e32 v8, 63, v8
	s_waitcnt lgkmcnt(1)
	v_add_f64 v[3:4], v[3:4], v[9:10]
	v_lshl_or_b32 v9, v7, 3, v1
	v_lshl_or_b32 v10, v8, 3, v1
	s_waitcnt lgkmcnt(0)
	v_add_f64 v[2:3], v[3:4], v[11:12]
	ds_read_b64 v[4:5], v5
	ds_read_b64 v[6:7], v6
	;; [unrolled: 1-line block ×4, first 2 shown]
	v_add_nc_u32_e32 v12, 55, v0
	v_and_b32_e32 v12, 63, v12
	v_lshl_or_b32 v14, v12, 3, v1
	s_waitcnt lgkmcnt(3)
	v_add_f64 v[2:3], v[2:3], v[4:5]
	v_add_nc_u32_e32 v4, 36, v0
	v_and_b32_e32 v4, 63, v4
	v_lshl_or_b32 v4, v4, 3, v1
	ds_read_b64 v[4:5], v4
	s_waitcnt lgkmcnt(3)
	v_add_f64 v[2:3], v[2:3], v[6:7]
	v_add_nc_u32_e32 v6, 37, v0
	v_add_nc_u32_e32 v7, 38, v0
	v_and_b32_e32 v6, 63, v6
	v_and_b32_e32 v7, 63, v7
	v_lshl_or_b32 v6, v6, 3, v1
	s_waitcnt lgkmcnt(2)
	v_add_f64 v[2:3], v[2:3], v[8:9]
	v_add_nc_u32_e32 v8, 39, v0
	v_lshl_or_b32 v9, v7, 3, v1
	v_and_b32_e32 v8, 63, v8
	s_waitcnt lgkmcnt(1)
	v_add_f64 v[2:3], v[2:3], v[10:11]
	v_lshl_or_b32 v10, v8, 3, v1
	ds_read_b64 v[6:7], v6
	ds_read_b64 v[8:9], v9
	ds_read_b64 v[10:11], v10
	s_waitcnt lgkmcnt(3)
	v_add_f64 v[2:3], v[2:3], v[4:5]
	v_add_nc_u32_e32 v4, 40, v0
	v_and_b32_e32 v4, 63, v4
	v_lshl_or_b32 v4, v4, 3, v1
	ds_read_b64 v[4:5], v4
	s_waitcnt lgkmcnt(3)
	v_add_f64 v[2:3], v[2:3], v[6:7]
	v_add_nc_u32_e32 v6, 41, v0
	v_add_nc_u32_e32 v7, 42, v0
	v_and_b32_e32 v6, 63, v6
	v_and_b32_e32 v7, 63, v7
	v_lshl_or_b32 v6, v6, 3, v1
	s_waitcnt lgkmcnt(2)
	v_add_f64 v[2:3], v[2:3], v[8:9]
	v_add_nc_u32_e32 v8, 43, v0
	v_lshl_or_b32 v9, v7, 3, v1
	v_and_b32_e32 v8, 63, v8
	s_waitcnt lgkmcnt(1)
	v_add_f64 v[2:3], v[2:3], v[10:11]
	v_lshl_or_b32 v10, v8, 3, v1
	ds_read_b64 v[6:7], v6
	ds_read_b64 v[8:9], v9
	ds_read_b64 v[10:11], v10
	;; [unrolled: 24-line block ×4, first 2 shown]
	s_clause 0x1
	s_load_dwordx2 s[6:7], s[4:5], 0x70
	s_load_dword s1, s[4:5], 0x68
	s_waitcnt lgkmcnt(0)
	v_add_f64 v[2:3], v[2:3], v[4:5]
	s_mul_i32 s4, s7, s8
	s_mul_hi_u32 s5, s6, s8
	v_mad_i64_i32 v[4:5], null, s1, v0, 0
	s_add_i32 s5, s5, s4
	s_mul_i32 s4, s6, s8
	s_lshl_b64 s[4:5], s[4:5], 3
	s_add_u32 s4, s2, s4
	s_addc_u32 s6, s3, s5
	s_lshl_b64 s[2:3], s[12:13], 3
	s_mul_hi_i32 s5, s1, s14
	s_add_u32 s7, s4, s2
	s_mul_i32 s4, s1, s14
	v_lshlrev_b64 v[4:5], 3, v[4:5]
	s_addc_u32 s1, s6, s3
	s_lshl_b64 s[2:3], s[4:5], 3
	s_add_u32 s2, s7, s2
	v_add_f64 v[2:3], v[2:3], v[6:7]
	s_addc_u32 s1, s1, s3
	v_add_co_u32 v4, vcc_lo, s2, v4
	v_add_co_ci_u32_e64 v5, null, s1, v5, vcc_lo
	v_add_f64 v[6:7], v[2:3], v[8:9]
	v_add_nc_u32_e32 v8, 52, v0
	global_load_dwordx2 v[2:3], v[4:5], off
	v_and_b32_e32 v8, 63, v8
	v_lshl_or_b32 v8, v8, 3, v1
	ds_read_b64 v[8:9], v8
	v_add_f64 v[6:7], v[6:7], v[10:11]
	v_add_nc_u32_e32 v10, 53, v0
	v_add_nc_u32_e32 v11, 54, v0
	v_and_b32_e32 v10, 63, v10
	v_and_b32_e32 v11, 63, v11
	v_lshl_or_b32 v10, v10, 3, v1
	v_lshl_or_b32 v13, v11, 3, v1
	ds_read_b64 v[10:11], v10
	ds_read_b64 v[12:13], v13
	;; [unrolled: 1-line block ×3, first 2 shown]
	s_waitcnt lgkmcnt(3)
	v_add_f64 v[6:7], v[6:7], v[8:9]
	v_add_nc_u32_e32 v8, 56, v0
	v_and_b32_e32 v8, 63, v8
	v_lshl_or_b32 v8, v8, 3, v1
	ds_read_b64 v[8:9], v8
	s_waitcnt lgkmcnt(3)
	v_add_f64 v[6:7], v[6:7], v[10:11]
	v_add_nc_u32_e32 v10, 57, v0
	v_add_nc_u32_e32 v11, 58, v0
	v_and_b32_e32 v10, 63, v10
	v_and_b32_e32 v11, 63, v11
	v_lshl_or_b32 v10, v10, 3, v1
	s_waitcnt lgkmcnt(2)
	v_add_f64 v[6:7], v[6:7], v[12:13]
	v_add_nc_u32_e32 v12, 59, v0
	v_lshl_or_b32 v13, v11, 3, v1
	v_and_b32_e32 v12, 63, v12
	s_waitcnt lgkmcnt(1)
	v_add_f64 v[6:7], v[6:7], v[14:15]
	v_lshl_or_b32 v14, v12, 3, v1
	ds_read_b64 v[10:11], v10
	ds_read_b64 v[12:13], v13
	;; [unrolled: 1-line block ×3, first 2 shown]
	s_waitcnt lgkmcnt(3)
	v_add_f64 v[6:7], v[6:7], v[8:9]
	v_add_nc_u32_e32 v8, 60, v0
	v_and_b32_e32 v8, 63, v8
	v_lshl_or_b32 v8, v8, 3, v1
	ds_read_b64 v[8:9], v8
	s_waitcnt lgkmcnt(3)
	v_add_f64 v[6:7], v[6:7], v[10:11]
	v_add_nc_u32_e32 v10, 61, v0
	v_add_nc_u32_e32 v11, 62, v0
	v_add_nc_u32_e32 v0, -1, v0
	v_and_b32_e32 v10, 63, v10
	v_and_b32_e32 v11, 63, v11
	v_and_b32_e32 v0, 63, v0
	v_lshl_or_b32 v10, v10, 3, v1
	v_lshl_or_b32 v11, v11, 3, v1
	s_waitcnt lgkmcnt(2)
	v_add_f64 v[6:7], v[6:7], v[12:13]
	v_lshl_or_b32 v12, v0, 3, v1
	ds_read_b64 v[0:1], v10
	ds_read_b64 v[10:11], v11
	;; [unrolled: 1-line block ×3, first 2 shown]
	s_waitcnt lgkmcnt(4)
	v_add_f64 v[6:7], v[6:7], v[14:15]
	s_waitcnt lgkmcnt(3)
	v_add_f64 v[6:7], v[6:7], v[8:9]
	;; [unrolled: 2-line block ×5, first 2 shown]
	v_mul_f64 v[6:7], s[10:11], v[0:1]
.LBB76_11:                              ; =>This Inner Loop Header: Depth=1
	s_waitcnt vmcnt(0)
	v_add_f64 v[0:1], v[2:3], v[6:7]
	global_atomic_cmpswap_x2 v[0:1], v[4:5], v[0:3], off glc
	s_waitcnt vmcnt(0)
	v_cmp_eq_u64_e32 vcc_lo, v[0:1], v[2:3]
	v_mov_b32_e32 v3, v1
	v_mov_b32_e32 v2, v0
	s_or_b32 s0, vcc_lo, s0
	s_andn2_b32 exec_lo, exec_lo, s0
	s_cbranch_execnz .LBB76_11
.LBB76_12:
	s_endpgm
	.section	.rodata,"a",@progbits
	.p2align	6, 0x0
	.amdhsa_kernel _ZL36rocblas_gemvt_double_buffered_kernelILb0ELi128ELi4ELi16EdPKddEviiT4_lPKT3_lilS5_lilPT5_lili
		.amdhsa_group_segment_fixed_size 65536
		.amdhsa_private_segment_fixed_size 0
		.amdhsa_kernarg_size 384
		.amdhsa_user_sgpr_count 6
		.amdhsa_user_sgpr_private_segment_buffer 1
		.amdhsa_user_sgpr_dispatch_ptr 0
		.amdhsa_user_sgpr_queue_ptr 0
		.amdhsa_user_sgpr_kernarg_segment_ptr 1
		.amdhsa_user_sgpr_dispatch_id 0
		.amdhsa_user_sgpr_flat_scratch_init 0
		.amdhsa_user_sgpr_private_segment_size 0
		.amdhsa_wavefront_size32 1
		.amdhsa_uses_dynamic_stack 0
		.amdhsa_system_sgpr_private_segment_wavefront_offset 0
		.amdhsa_system_sgpr_workgroup_id_x 1
		.amdhsa_system_sgpr_workgroup_id_y 1
		.amdhsa_system_sgpr_workgroup_id_z 1
		.amdhsa_system_sgpr_workgroup_info 0
		.amdhsa_system_vgpr_workitem_id 1
		.amdhsa_next_free_vgpr 174
		.amdhsa_next_free_sgpr 36
		.amdhsa_reserve_vcc 1
		.amdhsa_reserve_flat_scratch 0
		.amdhsa_float_round_mode_32 0
		.amdhsa_float_round_mode_16_64 0
		.amdhsa_float_denorm_mode_32 3
		.amdhsa_float_denorm_mode_16_64 3
		.amdhsa_dx10_clamp 1
		.amdhsa_ieee_mode 1
		.amdhsa_fp16_overflow 0
		.amdhsa_workgroup_processor_mode 1
		.amdhsa_memory_ordered 1
		.amdhsa_forward_progress 1
		.amdhsa_shared_vgpr_count 0
		.amdhsa_exception_fp_ieee_invalid_op 0
		.amdhsa_exception_fp_denorm_src 0
		.amdhsa_exception_fp_ieee_div_zero 0
		.amdhsa_exception_fp_ieee_overflow 0
		.amdhsa_exception_fp_ieee_underflow 0
		.amdhsa_exception_fp_ieee_inexact 0
		.amdhsa_exception_int_div_zero 0
	.end_amdhsa_kernel
	.section	.text._ZL36rocblas_gemvt_double_buffered_kernelILb0ELi128ELi4ELi16EdPKddEviiT4_lPKT3_lilS5_lilPT5_lili,"axG",@progbits,_ZL36rocblas_gemvt_double_buffered_kernelILb0ELi128ELi4ELi16EdPKddEviiT4_lPKT3_lilS5_lilPT5_lili,comdat
.Lfunc_end76:
	.size	_ZL36rocblas_gemvt_double_buffered_kernelILb0ELi128ELi4ELi16EdPKddEviiT4_lPKT3_lilS5_lilPT5_lili, .Lfunc_end76-_ZL36rocblas_gemvt_double_buffered_kernelILb0ELi128ELi4ELi16EdPKddEviiT4_lPKT3_lilS5_lilPT5_lili
                                        ; -- End function
	.set _ZL36rocblas_gemvt_double_buffered_kernelILb0ELi128ELi4ELi16EdPKddEviiT4_lPKT3_lilS5_lilPT5_lili.num_vgpr, 174
	.set _ZL36rocblas_gemvt_double_buffered_kernelILb0ELi128ELi4ELi16EdPKddEviiT4_lPKT3_lilS5_lilPT5_lili.num_agpr, 0
	.set _ZL36rocblas_gemvt_double_buffered_kernelILb0ELi128ELi4ELi16EdPKddEviiT4_lPKT3_lilS5_lilPT5_lili.numbered_sgpr, 36
	.set _ZL36rocblas_gemvt_double_buffered_kernelILb0ELi128ELi4ELi16EdPKddEviiT4_lPKT3_lilS5_lilPT5_lili.num_named_barrier, 0
	.set _ZL36rocblas_gemvt_double_buffered_kernelILb0ELi128ELi4ELi16EdPKddEviiT4_lPKT3_lilS5_lilPT5_lili.private_seg_size, 0
	.set _ZL36rocblas_gemvt_double_buffered_kernelILb0ELi128ELi4ELi16EdPKddEviiT4_lPKT3_lilS5_lilPT5_lili.uses_vcc, 1
	.set _ZL36rocblas_gemvt_double_buffered_kernelILb0ELi128ELi4ELi16EdPKddEviiT4_lPKT3_lilS5_lilPT5_lili.uses_flat_scratch, 0
	.set _ZL36rocblas_gemvt_double_buffered_kernelILb0ELi128ELi4ELi16EdPKddEviiT4_lPKT3_lilS5_lilPT5_lili.has_dyn_sized_stack, 0
	.set _ZL36rocblas_gemvt_double_buffered_kernelILb0ELi128ELi4ELi16EdPKddEviiT4_lPKT3_lilS5_lilPT5_lili.has_recursion, 0
	.set _ZL36rocblas_gemvt_double_buffered_kernelILb0ELi128ELi4ELi16EdPKddEviiT4_lPKT3_lilS5_lilPT5_lili.has_indirect_call, 0
	.section	.AMDGPU.csdata,"",@progbits
; Kernel info:
; codeLenInByte = 6740
; TotalNumSgprs: 38
; NumVgprs: 174
; ScratchSize: 0
; MemoryBound: 0
; FloatMode: 240
; IeeeMode: 1
; LDSByteSize: 65536 bytes/workgroup (compile time only)
; SGPRBlocks: 0
; VGPRBlocks: 21
; NumSGPRsForWavesPerEU: 38
; NumVGPRsForWavesPerEU: 174
; Occupancy: 5
; WaveLimiterHint : 0
; COMPUTE_PGM_RSRC2:SCRATCH_EN: 0
; COMPUTE_PGM_RSRC2:USER_SGPR: 6
; COMPUTE_PGM_RSRC2:TRAP_HANDLER: 0
; COMPUTE_PGM_RSRC2:TGID_X_EN: 1
; COMPUTE_PGM_RSRC2:TGID_Y_EN: 1
; COMPUTE_PGM_RSRC2:TGID_Z_EN: 1
; COMPUTE_PGM_RSRC2:TIDIG_COMP_CNT: 1
	.section	.text._ZL36rocblas_gemvt_double_buffered_kernelILb0ELi128ELi4ELi16EdddEviiT4_lPKT3_lilS3_lilPT5_lili,"axG",@progbits,_ZL36rocblas_gemvt_double_buffered_kernelILb0ELi128ELi4ELi16EdddEviiT4_lPKT3_lilS3_lilPT5_lili,comdat
	.globl	_ZL36rocblas_gemvt_double_buffered_kernelILb0ELi128ELi4ELi16EdddEviiT4_lPKT3_lilS3_lilPT5_lili ; -- Begin function _ZL36rocblas_gemvt_double_buffered_kernelILb0ELi128ELi4ELi16EdddEviiT4_lPKT3_lilS3_lilPT5_lili
	.p2align	8
	.type	_ZL36rocblas_gemvt_double_buffered_kernelILb0ELi128ELi4ELi16EdddEviiT4_lPKT3_lilS3_lilPT5_lili,@function
_ZL36rocblas_gemvt_double_buffered_kernelILb0ELi128ELi4ELi16EdddEviiT4_lPKT3_lilS3_lilPT5_lili: ; @_ZL36rocblas_gemvt_double_buffered_kernelILb0ELi128ELi4ELi16EdddEviiT4_lPKT3_lilS3_lilPT5_lili
; %bb.0:
	s_load_dwordx2 s[10:11], s[4:5], 0x8
	s_waitcnt lgkmcnt(0)
	v_cmp_eq_f64_e64 s0, s[10:11], 0
	s_and_b32 vcc_lo, exec_lo, s0
	s_cbranch_vccnz .LBB77_12
; %bb.1:
	s_clause 0x1
	s_load_dword s0, s[4:5], 0x84
	s_load_dword s1, s[4:5], 0x0
	s_waitcnt lgkmcnt(0)
	v_cvt_f32_u32_e32 v2, s0
	s_ashr_i32 s3, s1, 31
	s_sub_i32 s9, 0, s0
	s_lshr_b32 s3, s3, 25
	s_add_i32 s1, s1, s3
	v_rcp_iflag_f32_e32 v2, v2
	s_ashr_i32 s1, s1, 7
	v_mul_f32_e32 v2, 0x4f7ffffe, v2
	v_cvt_u32_f32_e32 v2, v2
	v_readfirstlane_b32 s2, v2
	s_mul_i32 s9, s9, s2
	s_mul_hi_u32 s3, s2, s9
	s_add_i32 s2, s2, s3
	s_mul_hi_u32 s2, s1, s2
	s_mul_i32 s3, s2, s0
	s_add_i32 s9, s2, 1
	s_sub_i32 s3, s1, s3
	s_sub_i32 s12, s3, s0
	s_cmp_ge_u32 s3, s0
	s_cselect_b32 s2, s9, s2
	s_cselect_b32 s3, s12, s3
	s_add_i32 s9, s2, 1
	s_cmp_ge_u32 s3, s0
	s_cselect_b32 s12, s9, s2
	s_mul_i32 s0, s12, s0
	s_sub_i32 s13, s1, s0
	s_cmp_lt_u32 s7, s13
	s_cselect_b32 s0, -1, 0
	s_cmp_lg_u32 s0, 0
	s_addc_u32 s9, s12, 0
	s_cmp_eq_u32 s9, 0
	s_cbranch_scc1 .LBB77_12
; %bb.2:
	s_clause 0x1
	s_load_dwordx4 s[0:3], s[4:5], 0x50
	s_load_dwordx2 s[16:17], s[4:5], 0x60
	v_lshl_add_u32 v35, v1, 7, v0
	v_and_b32_e32 v2, 63, v0
	s_lshl_b32 s18, s6, 7
	s_ashr_i32 s19, s18, 31
	v_lshrrev_b32_e32 v141, 2, v35
	v_lshlrev_b32_e32 v142, 3, v2
	s_cmp_lt_i32 s9, 1
	v_and_b32_e32 v143, 0x7ff0, v141
	s_cbranch_scc1 .LBB77_8
; %bb.3:
	v_cvt_f64_i32_e32 v[3:4], s7
	v_cvt_f64_u32_e32 v[5:6], s13
	s_mul_i32 s12, s12, s7
	s_load_dwordx4 s[28:31], s[4:5], 0x30
	v_cvt_f64_u32_e32 v[7:8], s12
	s_clause 0x3
	s_load_dword s20, s[4:5], 0x28
	s_load_dword s22, s[4:5], 0x48
	s_load_dwordx4 s[12:15], s[4:5], 0x18
	s_load_dwordx2 s[6:7], s[4:5], 0x40
	s_waitcnt lgkmcnt(0)
	s_mul_i32 s1, s1, s8
	s_mul_hi_u32 s33, s0, s8
	s_mul_i32 s0, s0, s8
	v_lshlrev_b32_e32 v67, 1, v35
	v_mov_b32_e32 v35, 0
	v_mov_b32_e32 v63, 0
	;; [unrolled: 1-line block ×4, first 2 shown]
	v_and_b32_e32 v69, 0x3ff80, v67
	v_mov_b32_e32 v55, 0
	v_mov_b32_e32 v57, 0
	;; [unrolled: 1-line block ×8, first 2 shown]
	v_min_f64 v[3:4], v[3:4], v[5:6]
	s_mul_i32 s21, s29, s8
	s_mul_hi_u32 s23, s28, s8
	s_mul_i32 s24, s28, s8
	s_add_i32 s25, s23, s21
	s_ashr_i32 s21, s20, 31
	s_lshl_b64 s[24:25], s[24:25], 3
	s_ashr_i32 s23, s22, 31
	s_add_u32 s28, s12, s24
	s_addc_u32 s29, s13, s25
	s_lshl_b64 s[26:27], s[14:15], 3
	s_mul_hi_i32 s15, s20, s18
	s_add_u32 s34, s28, s26
	s_addc_u32 s35, s29, s27
	s_add_i32 s1, s33, s1
	s_mul_i32 s14, s20, s18
	s_lshl_b64 s[0:1], s[0:1], 3
	v_mov_b32_e32 v39, 0
	s_add_u32 s28, s30, s0
	s_addc_u32 s29, s31, s1
	s_lshl_b64 s[0:1], s[6:7], 3
	v_mov_b32_e32 v41, 0
	v_add_f64 v[4:5], v[3:4], v[7:8]
	v_mov_b32_e32 v3, 0
	s_add_u32 s28, s28, s0
	s_addc_u32 s29, s29, s1
	s_lshl_b64 s[0:1], s[14:15], 3
	v_mov_b32_e32 v37, 0
	s_add_u32 s7, s34, s0
	s_addc_u32 s14, s35, s1
	v_mov_b32_e32 v65, 0
	v_mov_b32_e32 v36, 0
	;; [unrolled: 1-line block ×14, first 2 shown]
	v_cvt_i32_f64_e32 v5, v[4:5]
	v_mad_i64_i32 v[3:4], null, s20, v143, v[2:3]
	v_mov_b32_e32 v42, 0
	v_mov_b32_e32 v38, 0
	;; [unrolled: 1-line block ×3, first 2 shown]
	v_lshlrev_b64 v[3:4], 3, v[3:4]
	v_readfirstlane_b32 s6, v5
	s_lshl_b32 s0, s6, 7
	s_ashr_i32 s1, s0, 31
	s_lshl_b64 s[0:1], s[0:1], 3
	s_add_u32 s6, s7, s0
	s_addc_u32 s7, s14, s1
	v_add_co_u32 v3, vcc_lo, s6, v3
	v_add_co_ci_u32_e64 v4, null, s7, v4, vcc_lo
	s_lshl_b64 s[6:7], s[20:21], 3
	v_or_b32_e32 v70, s0, v142
	s_sub_u32 s14, 0, s6
	v_mad_i64_i32 v[33:34], null, 0x78, s20, v[3:4]
	s_subb_u32 s15, 0, s7
	s_lshl_b64 s[34:35], s[18:19], 3
	s_add_i32 s30, s9, -1
	v_mul_lo_u32 v73, v70, s23
	v_mad_u64_u32 v[67:68], null, v70, s22, 0
	v_add_co_u32 v5, vcc_lo, v33, s14
	v_add_co_ci_u32_e64 v6, null, s15, v34, vcc_lo
	s_mul_i32 s31, s1, s22
	v_add_co_u32 v7, vcc_lo, v5, s14
	v_add_co_ci_u32_e64 v8, null, s15, v6, vcc_lo
	v_add3_u32 v68, v68, v73, s31
	v_add_co_u32 v9, vcc_lo, v7, s14
	v_add_co_ci_u32_e64 v10, null, s15, v8, vcc_lo
	s_clause 0x2
	global_load_dwordx2 v[3:4], v[3:4], off
	global_load_dwordx2 v[5:6], v[5:6], off
	global_load_dwordx2 v[7:8], v[7:8], off
	v_add_co_u32 v11, vcc_lo, v9, s14
	v_add_co_ci_u32_e64 v12, null, s15, v10, vcc_lo
	v_or_b32_e32 v70, 0x200, v70
	v_add_co_u32 v13, vcc_lo, v11, s14
	v_add_co_ci_u32_e64 v14, null, s15, v12, vcc_lo
	s_clause 0x1
	global_load_dwordx2 v[9:10], v[9:10], off
	global_load_dwordx2 v[11:12], v[11:12], off
	v_add_co_u32 v15, vcc_lo, v13, s14
	v_add_co_ci_u32_e64 v16, null, s15, v14, vcc_lo
	global_load_dwordx2 v[13:14], v[13:14], off
	v_add_co_u32 v17, vcc_lo, v15, s14
	v_add_co_ci_u32_e64 v18, null, s15, v16, vcc_lo
	;; [unrolled: 3-line block ×6, first 2 shown]
	v_mul_lo_u32 v103, v70, s23
	v_add_co_u32 v27, vcc_lo, v25, s14
	v_add_co_ci_u32_e64 v28, null, s15, v26, vcc_lo
	v_add_co_u32 v29, vcc_lo, v27, s14
	v_add_co_ci_u32_e64 v30, null, s15, v28, vcc_lo
	;; [unrolled: 2-line block ×3, first 2 shown]
	global_load_dwordx2 v[23:24], v[23:24], off
	global_load_dwordx2 v[25:26], v[25:26], off
	;; [unrolled: 1-line block ×6, first 2 shown]
	s_lshl_b64 s[14:15], s[22:23], 10
	s_add_u32 s0, s12, s0
	v_add_co_u32 v71, s12, v69, s34
	v_add_co_ci_u32_e64 v72, null, 0, s35, s12
	s_addc_u32 s1, s13, s1
	v_add_co_u32 v75, vcc_lo, v71, 8
	v_add_co_ci_u32_e64 v76, null, 0, v72, vcc_lo
	v_add_co_u32 v77, vcc_lo, v71, 16
	v_add_co_ci_u32_e64 v78, null, 0, v72, vcc_lo
	;; [unrolled: 2-line block ×6, first 2 shown]
	v_add_co_u32 v87, vcc_lo, v71, 56
	s_add_u32 s0, s0, s26
	v_add_co_ci_u32_e64 v88, null, 0, v72, vcc_lo
	v_add_co_u32 v89, vcc_lo, v71, 64
	s_addc_u32 s1, s1, s27
	s_add_u32 s0, s0, s24
	v_add_co_ci_u32_e64 v90, null, 0, v72, vcc_lo
	v_add_co_u32 v91, vcc_lo, 0x48, v71
	s_addc_u32 s1, s1, s25
	v_add_co_ci_u32_e64 v92, null, 0, v72, vcc_lo
	v_add_co_u32 v93, vcc_lo, 0x50, v71
	v_mad_u64_u32 v[73:74], null, v75, s20, s[0:1]
	v_mul_lo_u32 v108, v75, s21
	v_mul_lo_u32 v109, v76, s20
	v_add_co_ci_u32_e64 v94, null, 0, v72, vcc_lo
	v_add_co_u32 v95, vcc_lo, 0x58, v71
	v_mad_u64_u32 v[75:76], null, v77, s20, s[0:1]
	v_mul_lo_u32 v110, v77, s21
	v_mul_lo_u32 v111, v78, s20
	v_add_co_ci_u32_e64 v96, null, 0, v72, vcc_lo
	v_add_co_u32 v97, vcc_lo, 0x60, v71
	v_mad_u64_u32 v[77:78], null, v79, s20, s[0:1]
	v_mul_lo_u32 v112, v79, s21
	v_mul_lo_u32 v113, v80, s20
	v_add_co_ci_u32_e64 v98, null, 0, v72, vcc_lo
	v_add_co_u32 v99, vcc_lo, 0x68, v71
	v_mad_u64_u32 v[79:80], null, v81, s20, s[0:1]
	v_mul_lo_u32 v114, v81, s21
	v_mul_lo_u32 v115, v82, s20
	v_add_co_ci_u32_e64 v100, null, 0, v72, vcc_lo
	v_add_co_u32 v101, vcc_lo, 0x70, v71
	v_mad_u64_u32 v[81:82], null, v83, s20, s[0:1]
	v_mul_lo_u32 v116, v83, s21
	v_mul_lo_u32 v117, v84, s20
	v_add3_u32 v74, v109, v74, v108
	v_add_co_ci_u32_e64 v102, null, 0, v72, vcc_lo
	v_add_co_u32 v106, vcc_lo, 0x78, v71
	v_mad_u64_u32 v[83:84], null, v85, s20, s[0:1]
	v_mul_lo_u32 v118, v85, s21
	v_mul_lo_u32 v119, v86, s20
	v_add3_u32 v76, v111, v76, v110
	v_add_co_ci_u32_e64 v107, null, 0, v72, vcc_lo
	v_add_co_u32 v144, vcc_lo, 0x400, v73
	v_mad_u64_u32 v[85:86], null, v87, s20, s[0:1]
	v_mul_lo_u32 v120, v87, s21
	v_mul_lo_u32 v121, v88, s20
	;; [unrolled: 6-line block ×10, first 2 shown]
	v_add3_u32 v94, v129, v94, v128
	v_add_co_ci_u32_e64 v161, null, 0, v90, vcc_lo
	v_add_co_u32 v162, vcc_lo, 0x400, v91
	v_add3_u32 v96, v131, v96, v130
	v_add_co_ci_u32_e64 v163, null, 0, v92, vcc_lo
	v_add_co_u32 v164, vcc_lo, 0x400, v93
	v_add3_u32 v98, v133, v98, v132
	v_mad_u64_u32 v[69:70], null, v70, s22, 0
	v_mul_lo_u32 v104, v71, s21
	v_mul_lo_u32 v105, v72, s20
	v_mad_u64_u32 v[71:72], null, v71, s20, s[0:1]
	v_add_co_ci_u32_e64 v165, null, 0, v94, vcc_lo
	v_add_co_u32 v166, vcc_lo, 0x400, v95
	v_add3_u32 v100, v135, v100, v134
	v_add_co_ci_u32_e64 v167, null, 0, v96, vcc_lo
	v_add_co_u32 v168, vcc_lo, 0x400, v97
	v_add3_u32 v102, v107, v102, v106
	v_add_co_ci_u32_e64 v169, null, 0, v98, vcc_lo
	v_add_co_u32 v170, vcc_lo, 0x400, v99
	v_add_co_ci_u32_e64 v171, null, 0, v100, vcc_lo
	v_add_co_u32 v172, vcc_lo, 0x400, v101
	v_add3_u32 v70, v70, v103, s31
	v_add3_u32 v72, v105, v72, v104
	v_add_co_ci_u32_e64 v173, null, 0, v102, vcc_lo
	s_mov_b32 s1, 0
	s_waitcnt vmcnt(15)
	v_mov_b32_e32 v74, v4
	s_waitcnt vmcnt(14)
	v_mov_b32_e32 v102, v6
	;; [unrolled: 2-line block ×3, first 2 shown]
	v_mov_b32_e32 v73, v3
	v_mov_b32_e32 v101, v5
	;; [unrolled: 1-line block ×3, first 2 shown]
	s_waitcnt vmcnt(12)
	v_mov_b32_e32 v98, v10
	s_waitcnt vmcnt(11)
	v_mov_b32_e32 v96, v12
	v_mov_b32_e32 v97, v9
	v_mov_b32_e32 v95, v11
	s_waitcnt vmcnt(10)
	v_mov_b32_e32 v94, v14
	v_mov_b32_e32 v93, v13
	s_waitcnt vmcnt(9)
	v_mov_b32_e32 v92, v16
	v_mov_b32_e32 v91, v15
	;; [unrolled: 3-line block ×5, first 2 shown]
	s_waitcnt vmcnt(5)
	v_mov_b32_e32 v84, v24
	s_waitcnt vmcnt(4)
	v_mov_b32_e32 v82, v26
	;; [unrolled: 2-line block ×6, first 2 shown]
	v_mov_b32_e32 v83, v23
	v_mov_b32_e32 v81, v25
	;; [unrolled: 1-line block ×6, first 2 shown]
.LBB77_4:                               ; =>This Inner Loop Header: Depth=1
	v_add_co_u32 v139, vcc_lo, v71, v142
	v_add_co_ci_u32_e64 v140, null, 0, v72, vcc_lo
	s_cmp_lg_u32 s30, s1
	v_add_co_u32 v105, vcc_lo, 0x200, v139
	v_add_co_ci_u32_e64 v106, null, 0, v140, vcc_lo
	v_add_co_u32 v107, vcc_lo, v105, s6
	v_add_co_ci_u32_e64 v108, null, s7, v106, vcc_lo
	global_load_dwordx2 v[105:106], v[139:140], off offset:512
	v_add_co_u32 v109, vcc_lo, v107, s6
	v_add_co_ci_u32_e64 v110, null, s7, v108, vcc_lo
	v_add_co_u32 v137, vcc_lo, s28, v67
	v_add_co_u32 v111, s0, v109, s6
	v_add_co_ci_u32_e64 v112, null, s7, v110, s0
	v_add_co_ci_u32_e64 v138, null, s29, v68, vcc_lo
	v_add_co_u32 v113, vcc_lo, v111, s6
	v_add_co_ci_u32_e64 v114, null, s7, v112, vcc_lo
	s_clause 0x2
	global_load_dwordx2 v[107:108], v[107:108], off
	global_load_dwordx2 v[109:110], v[109:110], off
	;; [unrolled: 1-line block ×3, first 2 shown]
	v_add_co_u32 v115, vcc_lo, v113, s6
	v_add_co_ci_u32_e64 v116, null, s7, v114, vcc_lo
	global_load_dwordx2 v[113:114], v[113:114], off
	v_add_co_u32 v117, vcc_lo, v115, s6
	v_add_co_ci_u32_e64 v118, null, s7, v116, vcc_lo
	global_load_dwordx2 v[115:116], v[115:116], off
	;; [unrolled: 3-line block ×7, first 2 shown]
	v_add_co_u32 v129, vcc_lo, v127, s6
	v_add_co_ci_u32_e64 v130, null, s7, v128, vcc_lo
	v_add_co_u32 v131, vcc_lo, v129, s6
	v_add_co_ci_u32_e64 v132, null, s7, v130, vcc_lo
	;; [unrolled: 2-line block ×4, first 2 shown]
	global_load_dwordx2 v[127:128], v[127:128], off
	global_load_dwordx2 v[129:130], v[129:130], off
	global_load_dwordx2 v[131:132], v[131:132], off
	global_load_dwordx2 v[133:134], v[133:134], off
	global_load_dwordx2 v[135:136], v[135:136], off
	global_load_dwordx2 v[137:138], v[137:138], off
	s_cbranch_scc0 .LBB77_6
; %bb.5:                                ;   in Loop: Header=BB77_4 Depth=1
	v_add_co_u32 v75, vcc_lo, v144, v142
	v_add_co_ci_u32_e64 v76, null, 0, v145, vcc_lo
	v_add_co_u32 v77, vcc_lo, v146, v142
	v_add_co_ci_u32_e64 v78, null, 0, v147, vcc_lo
	;; [unrolled: 2-line block ×15, first 2 shown]
	global_load_dwordx2 v[73:74], v[139:140], off offset:1024
	global_load_dwordx2 v[75:76], v[75:76], off
	global_load_dwordx2 v[77:78], v[77:78], off
	global_load_dwordx2 v[79:80], v[79:80], off
	global_load_dwordx2 v[81:82], v[81:82], off
	global_load_dwordx2 v[83:84], v[83:84], off
	global_load_dwordx2 v[85:86], v[85:86], off
	global_load_dwordx2 v[87:88], v[87:88], off
	global_load_dwordx2 v[89:90], v[89:90], off
	global_load_dwordx2 v[91:92], v[91:92], off
	global_load_dwordx2 v[93:94], v[93:94], off
	global_load_dwordx2 v[95:96], v[95:96], off
	global_load_dwordx2 v[97:98], v[97:98], off
	global_load_dwordx2 v[99:100], v[99:100], off
	global_load_dwordx2 v[101:102], v[101:102], off
	global_load_dwordx2 v[103:104], v[103:104], off
.LBB77_6:                               ;   in Loop: Header=BB77_4 Depth=1
	v_add_co_u32 v139, vcc_lo, s28, v69
	v_add_co_ci_u32_e64 v140, null, s29, v70, vcc_lo
	s_waitcnt vmcnt(0)
	v_fma_f64 v[3:4], v[3:4], v[137:138], v[35:36]
	v_fma_f64 v[31:32], v[31:32], v[137:138], v[63:64]
	;; [unrolled: 1-line block ×3, first 2 shown]
	global_load_dwordx2 v[139:140], v[139:140], off
	v_fma_f64 v[27:28], v[27:28], v[137:138], v[61:62]
	v_fma_f64 v[25:26], v[25:26], v[137:138], v[55:56]
	v_fma_f64 v[23:24], v[23:24], v[137:138], v[57:58]
	v_fma_f64 v[21:22], v[21:22], v[137:138], v[51:52]
	v_fma_f64 v[19:20], v[19:20], v[137:138], v[53:54]
	v_fma_f64 v[17:18], v[17:18], v[137:138], v[47:48]
	v_fma_f64 v[15:16], v[15:16], v[137:138], v[49:50]
	v_fma_f64 v[13:14], v[13:14], v[137:138], v[43:44]
	v_fma_f64 v[11:12], v[11:12], v[137:138], v[45:46]
	v_fma_f64 v[9:10], v[9:10], v[137:138], v[39:40]
	v_fma_f64 v[7:8], v[7:8], v[137:138], v[41:42]
	v_fma_f64 v[5:6], v[5:6], v[137:138], v[37:38]
	v_fma_f64 v[33:34], v[33:34], v[137:138], v[65:66]
	v_add_co_u32 v71, vcc_lo, 0x400, v71
	v_add_co_ci_u32_e64 v72, null, 0, v72, vcc_lo
	v_add_co_u32 v144, vcc_lo, 0x400, v144
	v_add_co_ci_u32_e64 v145, null, 0, v145, vcc_lo
	;; [unrolled: 2-line block ×15, first 2 shown]
	v_add_co_u32 v172, vcc_lo, 0x400, v172
	s_add_i32 s1, s1, 1
	v_add_co_ci_u32_e64 v173, null, 0, v173, vcc_lo
	s_add_u32 s28, s28, s14
	s_addc_u32 s29, s29, s15
	s_cmp_ge_i32 s1, s9
	s_waitcnt vmcnt(0)
	v_fma_f64 v[35:36], v[105:106], v[139:140], v[3:4]
	v_fma_f64 v[63:64], v[107:108], v[139:140], v[31:32]
	;; [unrolled: 1-line block ×16, first 2 shown]
	s_cbranch_scc1 .LBB77_9
; %bb.7:                                ;   in Loop: Header=BB77_4 Depth=1
	v_mov_b32_e32 v3, v73
	v_mov_b32_e32 v31, v75
	v_mov_b32_e32 v29, v77
	v_mov_b32_e32 v27, v79
	v_mov_b32_e32 v25, v81
	v_mov_b32_e32 v23, v83
	v_mov_b32_e32 v21, v85
	v_mov_b32_e32 v19, v87
	v_mov_b32_e32 v17, v89
	v_mov_b32_e32 v15, v91
	v_mov_b32_e32 v13, v93
	v_mov_b32_e32 v11, v95
	v_mov_b32_e32 v9, v97
	v_mov_b32_e32 v7, v99
	v_mov_b32_e32 v5, v101
	v_mov_b32_e32 v33, v103
	v_mov_b32_e32 v4, v74
	v_mov_b32_e32 v32, v76
	v_mov_b32_e32 v30, v78
	v_mov_b32_e32 v28, v80
	v_mov_b32_e32 v26, v82
	v_mov_b32_e32 v24, v84
	v_mov_b32_e32 v22, v86
	v_mov_b32_e32 v20, v88
	v_mov_b32_e32 v18, v90
	v_mov_b32_e32 v16, v92
	v_mov_b32_e32 v14, v94
	v_mov_b32_e32 v12, v96
	v_mov_b32_e32 v10, v98
	v_mov_b32_e32 v8, v100
	v_mov_b32_e32 v6, v102
	v_mov_b32_e32 v34, v104
	s_branch .LBB77_4
.LBB77_8:
	v_mov_b32_e32 v65, 0
	v_mov_b32_e32 v37, 0
	;; [unrolled: 1-line block ×32, first 2 shown]
.LBB77_9:
	v_lshlrev_b32_e32 v4, 9, v141
	v_lshl_or_b32 v3, v143, 9, v142
	s_waitcnt lgkmcnt(0)
	s_mov_b32 s0, 0
	s_mov_b32 s1, exec_lo
	ds_write2st64_b64 v3, v[35:36], v[63:64] offset1:1
	ds_write2st64_b64 v3, v[59:60], v[61:62] offset0:2 offset1:3
	ds_write2st64_b64 v3, v[55:56], v[57:58] offset0:4 offset1:5
	;; [unrolled: 1-line block ×3, first 2 shown]
	v_or3_b32 v4, v4, v142, 0x1e00
	ds_write2st64_b64 v3, v[47:48], v[49:50] offset0:8 offset1:9
	ds_write2st64_b64 v3, v[43:44], v[45:46] offset0:10 offset1:11
	;; [unrolled: 1-line block ×3, first 2 shown]
	ds_write_b64 v3, v[37:38] offset:7168
	ds_write_b64 v4, v[65:66]
	s_waitcnt lgkmcnt(0)
	s_barrier
	buffer_gl0_inv
	v_cmpx_eq_u32_e32 0, v1
	s_cbranch_execz .LBB77_12
; %bb.10:
	v_lshlrev_b32_e32 v1, 9, v0
	v_add_nc_u32_e32 v5, 1, v0
	v_add_nc_u32_e32 v6, 2, v0
	;; [unrolled: 1-line block ×3, first 2 shown]
	v_lshl_or_b32 v3, v2, 3, v1
	v_and_b32_e32 v5, 63, v5
	v_and_b32_e32 v6, 63, v6
	;; [unrolled: 1-line block ×3, first 2 shown]
	v_xor_b32_e32 v2, 32, v2
	ds_read_b64 v[3:4], v3
	v_lshl_or_b32 v5, v5, 3, v1
	v_lshl_or_b32 v8, v6, 3, v1
	;; [unrolled: 1-line block ×3, first 2 shown]
	ds_read_b64 v[5:6], v5
	ds_read_b64 v[7:8], v8
	;; [unrolled: 1-line block ×3, first 2 shown]
	s_waitcnt lgkmcnt(3)
	v_add_f64 v[3:4], v[3:4], 0
	s_waitcnt lgkmcnt(2)
	v_add_f64 v[3:4], v[3:4], v[5:6]
	v_add_nc_u32_e32 v5, 4, v0
	v_and_b32_e32 v5, 63, v5
	v_lshl_or_b32 v5, v5, 3, v1
	ds_read_b64 v[5:6], v5
	s_waitcnt lgkmcnt(2)
	v_add_f64 v[3:4], v[3:4], v[7:8]
	v_add_nc_u32_e32 v7, 5, v0
	v_add_nc_u32_e32 v8, 6, v0
	v_and_b32_e32 v7, 63, v7
	v_and_b32_e32 v8, 63, v8
	v_lshl_or_b32 v7, v7, 3, v1
	s_waitcnt lgkmcnt(1)
	v_add_f64 v[3:4], v[3:4], v[9:10]
	v_add_nc_u32_e32 v9, 7, v0
	v_lshl_or_b32 v10, v8, 3, v1
	v_and_b32_e32 v9, 63, v9
	v_lshl_or_b32 v11, v9, 3, v1
	ds_read_b64 v[7:8], v7
	ds_read_b64 v[9:10], v10
	ds_read_b64 v[11:12], v11
	s_waitcnt lgkmcnt(3)
	v_add_f64 v[3:4], v[3:4], v[5:6]
	v_add_nc_u32_e32 v5, 8, v0
	v_and_b32_e32 v5, 63, v5
	v_lshl_or_b32 v5, v5, 3, v1
	ds_read_b64 v[5:6], v5
	s_waitcnt lgkmcnt(3)
	v_add_f64 v[3:4], v[3:4], v[7:8]
	v_add_nc_u32_e32 v7, 9, v0
	v_add_nc_u32_e32 v8, 10, v0
	v_and_b32_e32 v7, 63, v7
	v_and_b32_e32 v8, 63, v8
	v_lshl_or_b32 v7, v7, 3, v1
	s_waitcnt lgkmcnt(2)
	v_add_f64 v[3:4], v[3:4], v[9:10]
	v_add_nc_u32_e32 v9, 11, v0
	v_lshl_or_b32 v10, v8, 3, v1
	v_and_b32_e32 v9, 63, v9
	s_waitcnt lgkmcnt(1)
	v_add_f64 v[3:4], v[3:4], v[11:12]
	v_lshl_or_b32 v11, v9, 3, v1
	ds_read_b64 v[7:8], v7
	ds_read_b64 v[9:10], v10
	ds_read_b64 v[11:12], v11
	s_waitcnt lgkmcnt(3)
	v_add_f64 v[3:4], v[3:4], v[5:6]
	v_add_nc_u32_e32 v5, 12, v0
	v_and_b32_e32 v5, 63, v5
	v_lshl_or_b32 v5, v5, 3, v1
	ds_read_b64 v[5:6], v5
	s_waitcnt lgkmcnt(3)
	v_add_f64 v[3:4], v[3:4], v[7:8]
	v_add_nc_u32_e32 v7, 13, v0
	v_add_nc_u32_e32 v8, 14, v0
	v_and_b32_e32 v7, 63, v7
	v_and_b32_e32 v8, 63, v8
	v_lshl_or_b32 v7, v7, 3, v1
	s_waitcnt lgkmcnt(2)
	v_add_f64 v[3:4], v[3:4], v[9:10]
	v_add_nc_u32_e32 v9, 15, v0
	v_lshl_or_b32 v10, v8, 3, v1
	v_and_b32_e32 v9, 63, v9
	s_waitcnt lgkmcnt(1)
	v_add_f64 v[3:4], v[3:4], v[11:12]
	;; [unrolled: 24-line block ×6, first 2 shown]
	v_lshl_or_b32 v11, v9, 3, v1
	ds_read_b64 v[7:8], v7
	ds_read_b64 v[9:10], v10
	;; [unrolled: 1-line block ×3, first 2 shown]
	s_waitcnt lgkmcnt(3)
	v_add_f64 v[3:4], v[3:4], v[5:6]
	v_lshl_or_b32 v5, v2, 3, v1
	v_add_nc_u32_e32 v6, 33, v0
	v_and_b32_e32 v6, 63, v6
	v_lshl_or_b32 v6, v6, 3, v1
	s_waitcnt lgkmcnt(2)
	v_add_f64 v[3:4], v[3:4], v[7:8]
	v_add_nc_u32_e32 v7, 34, v0
	v_add_nc_u32_e32 v8, 35, v0
	v_and_b32_e32 v7, 63, v7
	v_and_b32_e32 v8, 63, v8
	s_waitcnt lgkmcnt(1)
	v_add_f64 v[3:4], v[3:4], v[9:10]
	v_lshl_or_b32 v9, v7, 3, v1
	v_lshl_or_b32 v10, v8, 3, v1
	s_waitcnt lgkmcnt(0)
	v_add_f64 v[2:3], v[3:4], v[11:12]
	ds_read_b64 v[4:5], v5
	ds_read_b64 v[6:7], v6
	;; [unrolled: 1-line block ×4, first 2 shown]
	v_add_nc_u32_e32 v12, 55, v0
	v_and_b32_e32 v12, 63, v12
	v_lshl_or_b32 v14, v12, 3, v1
	s_waitcnt lgkmcnt(3)
	v_add_f64 v[2:3], v[2:3], v[4:5]
	v_add_nc_u32_e32 v4, 36, v0
	v_and_b32_e32 v4, 63, v4
	v_lshl_or_b32 v4, v4, 3, v1
	ds_read_b64 v[4:5], v4
	s_waitcnt lgkmcnt(3)
	v_add_f64 v[2:3], v[2:3], v[6:7]
	v_add_nc_u32_e32 v6, 37, v0
	v_add_nc_u32_e32 v7, 38, v0
	v_and_b32_e32 v6, 63, v6
	v_and_b32_e32 v7, 63, v7
	v_lshl_or_b32 v6, v6, 3, v1
	s_waitcnt lgkmcnt(2)
	v_add_f64 v[2:3], v[2:3], v[8:9]
	v_add_nc_u32_e32 v8, 39, v0
	v_lshl_or_b32 v9, v7, 3, v1
	v_and_b32_e32 v8, 63, v8
	s_waitcnt lgkmcnt(1)
	v_add_f64 v[2:3], v[2:3], v[10:11]
	v_lshl_or_b32 v10, v8, 3, v1
	ds_read_b64 v[6:7], v6
	ds_read_b64 v[8:9], v9
	ds_read_b64 v[10:11], v10
	s_waitcnt lgkmcnt(3)
	v_add_f64 v[2:3], v[2:3], v[4:5]
	v_add_nc_u32_e32 v4, 40, v0
	v_and_b32_e32 v4, 63, v4
	v_lshl_or_b32 v4, v4, 3, v1
	ds_read_b64 v[4:5], v4
	s_waitcnt lgkmcnt(3)
	v_add_f64 v[2:3], v[2:3], v[6:7]
	v_add_nc_u32_e32 v6, 41, v0
	v_add_nc_u32_e32 v7, 42, v0
	v_and_b32_e32 v6, 63, v6
	v_and_b32_e32 v7, 63, v7
	v_lshl_or_b32 v6, v6, 3, v1
	s_waitcnt lgkmcnt(2)
	v_add_f64 v[2:3], v[2:3], v[8:9]
	v_add_nc_u32_e32 v8, 43, v0
	v_lshl_or_b32 v9, v7, 3, v1
	v_and_b32_e32 v8, 63, v8
	s_waitcnt lgkmcnt(1)
	v_add_f64 v[2:3], v[2:3], v[10:11]
	v_lshl_or_b32 v10, v8, 3, v1
	ds_read_b64 v[6:7], v6
	ds_read_b64 v[8:9], v9
	ds_read_b64 v[10:11], v10
	;; [unrolled: 24-line block ×4, first 2 shown]
	s_clause 0x1
	s_load_dwordx2 s[6:7], s[4:5], 0x70
	s_load_dword s1, s[4:5], 0x68
	s_waitcnt lgkmcnt(0)
	v_add_f64 v[2:3], v[2:3], v[4:5]
	s_mul_i32 s4, s7, s8
	s_mul_hi_u32 s5, s6, s8
	v_mad_i64_i32 v[4:5], null, s1, v0, 0
	s_add_i32 s5, s5, s4
	s_mul_i32 s4, s6, s8
	s_lshl_b64 s[4:5], s[4:5], 3
	s_add_u32 s4, s2, s4
	s_addc_u32 s6, s3, s5
	s_lshl_b64 s[2:3], s[16:17], 3
	s_mul_hi_i32 s5, s1, s18
	s_add_u32 s7, s4, s2
	s_mul_i32 s4, s1, s18
	v_lshlrev_b64 v[4:5], 3, v[4:5]
	s_addc_u32 s1, s6, s3
	s_lshl_b64 s[2:3], s[4:5], 3
	s_add_u32 s2, s7, s2
	v_add_f64 v[2:3], v[2:3], v[6:7]
	s_addc_u32 s1, s1, s3
	v_add_co_u32 v4, vcc_lo, s2, v4
	v_add_co_ci_u32_e64 v5, null, s1, v5, vcc_lo
	v_add_f64 v[6:7], v[2:3], v[8:9]
	v_add_nc_u32_e32 v8, 52, v0
	global_load_dwordx2 v[2:3], v[4:5], off
	v_and_b32_e32 v8, 63, v8
	v_lshl_or_b32 v8, v8, 3, v1
	ds_read_b64 v[8:9], v8
	v_add_f64 v[6:7], v[6:7], v[10:11]
	v_add_nc_u32_e32 v10, 53, v0
	v_add_nc_u32_e32 v11, 54, v0
	v_and_b32_e32 v10, 63, v10
	v_and_b32_e32 v11, 63, v11
	v_lshl_or_b32 v10, v10, 3, v1
	v_lshl_or_b32 v13, v11, 3, v1
	ds_read_b64 v[10:11], v10
	ds_read_b64 v[12:13], v13
	;; [unrolled: 1-line block ×3, first 2 shown]
	s_waitcnt lgkmcnt(3)
	v_add_f64 v[6:7], v[6:7], v[8:9]
	v_add_nc_u32_e32 v8, 56, v0
	v_and_b32_e32 v8, 63, v8
	v_lshl_or_b32 v8, v8, 3, v1
	ds_read_b64 v[8:9], v8
	s_waitcnt lgkmcnt(3)
	v_add_f64 v[6:7], v[6:7], v[10:11]
	v_add_nc_u32_e32 v10, 57, v0
	v_add_nc_u32_e32 v11, 58, v0
	v_and_b32_e32 v10, 63, v10
	v_and_b32_e32 v11, 63, v11
	v_lshl_or_b32 v10, v10, 3, v1
	s_waitcnt lgkmcnt(2)
	v_add_f64 v[6:7], v[6:7], v[12:13]
	v_add_nc_u32_e32 v12, 59, v0
	v_lshl_or_b32 v13, v11, 3, v1
	v_and_b32_e32 v12, 63, v12
	s_waitcnt lgkmcnt(1)
	v_add_f64 v[6:7], v[6:7], v[14:15]
	v_lshl_or_b32 v14, v12, 3, v1
	ds_read_b64 v[10:11], v10
	ds_read_b64 v[12:13], v13
	;; [unrolled: 1-line block ×3, first 2 shown]
	s_waitcnt lgkmcnt(3)
	v_add_f64 v[6:7], v[6:7], v[8:9]
	v_add_nc_u32_e32 v8, 60, v0
	v_and_b32_e32 v8, 63, v8
	v_lshl_or_b32 v8, v8, 3, v1
	ds_read_b64 v[8:9], v8
	s_waitcnt lgkmcnt(3)
	v_add_f64 v[6:7], v[6:7], v[10:11]
	v_add_nc_u32_e32 v10, 61, v0
	v_add_nc_u32_e32 v11, 62, v0
	v_add_nc_u32_e32 v0, -1, v0
	v_and_b32_e32 v10, 63, v10
	v_and_b32_e32 v11, 63, v11
	;; [unrolled: 1-line block ×3, first 2 shown]
	v_lshl_or_b32 v10, v10, 3, v1
	v_lshl_or_b32 v11, v11, 3, v1
	s_waitcnt lgkmcnt(2)
	v_add_f64 v[6:7], v[6:7], v[12:13]
	v_lshl_or_b32 v12, v0, 3, v1
	ds_read_b64 v[0:1], v10
	ds_read_b64 v[10:11], v11
	ds_read_b64 v[12:13], v12
	s_waitcnt lgkmcnt(4)
	v_add_f64 v[6:7], v[6:7], v[14:15]
	s_waitcnt lgkmcnt(3)
	v_add_f64 v[6:7], v[6:7], v[8:9]
	;; [unrolled: 2-line block ×5, first 2 shown]
	v_mul_f64 v[6:7], s[10:11], v[0:1]
.LBB77_11:                              ; =>This Inner Loop Header: Depth=1
	s_waitcnt vmcnt(0)
	v_add_f64 v[0:1], v[2:3], v[6:7]
	global_atomic_cmpswap_x2 v[0:1], v[4:5], v[0:3], off glc
	s_waitcnt vmcnt(0)
	v_cmp_eq_u64_e32 vcc_lo, v[0:1], v[2:3]
	v_mov_b32_e32 v3, v1
	v_mov_b32_e32 v2, v0
	s_or_b32 s0, vcc_lo, s0
	s_andn2_b32 exec_lo, exec_lo, s0
	s_cbranch_execnz .LBB77_11
.LBB77_12:
	s_endpgm
	.section	.rodata,"a",@progbits
	.p2align	6, 0x0
	.amdhsa_kernel _ZL36rocblas_gemvt_double_buffered_kernelILb0ELi128ELi4ELi16EdddEviiT4_lPKT3_lilS3_lilPT5_lili
		.amdhsa_group_segment_fixed_size 65536
		.amdhsa_private_segment_fixed_size 0
		.amdhsa_kernarg_size 384
		.amdhsa_user_sgpr_count 6
		.amdhsa_user_sgpr_private_segment_buffer 1
		.amdhsa_user_sgpr_dispatch_ptr 0
		.amdhsa_user_sgpr_queue_ptr 0
		.amdhsa_user_sgpr_kernarg_segment_ptr 1
		.amdhsa_user_sgpr_dispatch_id 0
		.amdhsa_user_sgpr_flat_scratch_init 0
		.amdhsa_user_sgpr_private_segment_size 0
		.amdhsa_wavefront_size32 1
		.amdhsa_uses_dynamic_stack 0
		.amdhsa_system_sgpr_private_segment_wavefront_offset 0
		.amdhsa_system_sgpr_workgroup_id_x 1
		.amdhsa_system_sgpr_workgroup_id_y 1
		.amdhsa_system_sgpr_workgroup_id_z 1
		.amdhsa_system_sgpr_workgroup_info 0
		.amdhsa_system_vgpr_workitem_id 1
		.amdhsa_next_free_vgpr 174
		.amdhsa_next_free_sgpr 36
		.amdhsa_reserve_vcc 1
		.amdhsa_reserve_flat_scratch 0
		.amdhsa_float_round_mode_32 0
		.amdhsa_float_round_mode_16_64 0
		.amdhsa_float_denorm_mode_32 3
		.amdhsa_float_denorm_mode_16_64 3
		.amdhsa_dx10_clamp 1
		.amdhsa_ieee_mode 1
		.amdhsa_fp16_overflow 0
		.amdhsa_workgroup_processor_mode 1
		.amdhsa_memory_ordered 1
		.amdhsa_forward_progress 1
		.amdhsa_shared_vgpr_count 0
		.amdhsa_exception_fp_ieee_invalid_op 0
		.amdhsa_exception_fp_denorm_src 0
		.amdhsa_exception_fp_ieee_div_zero 0
		.amdhsa_exception_fp_ieee_overflow 0
		.amdhsa_exception_fp_ieee_underflow 0
		.amdhsa_exception_fp_ieee_inexact 0
		.amdhsa_exception_int_div_zero 0
	.end_amdhsa_kernel
	.section	.text._ZL36rocblas_gemvt_double_buffered_kernelILb0ELi128ELi4ELi16EdddEviiT4_lPKT3_lilS3_lilPT5_lili,"axG",@progbits,_ZL36rocblas_gemvt_double_buffered_kernelILb0ELi128ELi4ELi16EdddEviiT4_lPKT3_lilS3_lilPT5_lili,comdat
.Lfunc_end77:
	.size	_ZL36rocblas_gemvt_double_buffered_kernelILb0ELi128ELi4ELi16EdddEviiT4_lPKT3_lilS3_lilPT5_lili, .Lfunc_end77-_ZL36rocblas_gemvt_double_buffered_kernelILb0ELi128ELi4ELi16EdddEviiT4_lPKT3_lilS3_lilPT5_lili
                                        ; -- End function
	.set _ZL36rocblas_gemvt_double_buffered_kernelILb0ELi128ELi4ELi16EdddEviiT4_lPKT3_lilS3_lilPT5_lili.num_vgpr, 174
	.set _ZL36rocblas_gemvt_double_buffered_kernelILb0ELi128ELi4ELi16EdddEviiT4_lPKT3_lilS3_lilPT5_lili.num_agpr, 0
	.set _ZL36rocblas_gemvt_double_buffered_kernelILb0ELi128ELi4ELi16EdddEviiT4_lPKT3_lilS3_lilPT5_lili.numbered_sgpr, 36
	.set _ZL36rocblas_gemvt_double_buffered_kernelILb0ELi128ELi4ELi16EdddEviiT4_lPKT3_lilS3_lilPT5_lili.num_named_barrier, 0
	.set _ZL36rocblas_gemvt_double_buffered_kernelILb0ELi128ELi4ELi16EdddEviiT4_lPKT3_lilS3_lilPT5_lili.private_seg_size, 0
	.set _ZL36rocblas_gemvt_double_buffered_kernelILb0ELi128ELi4ELi16EdddEviiT4_lPKT3_lilS3_lilPT5_lili.uses_vcc, 1
	.set _ZL36rocblas_gemvt_double_buffered_kernelILb0ELi128ELi4ELi16EdddEviiT4_lPKT3_lilS3_lilPT5_lili.uses_flat_scratch, 0
	.set _ZL36rocblas_gemvt_double_buffered_kernelILb0ELi128ELi4ELi16EdddEviiT4_lPKT3_lilS3_lilPT5_lili.has_dyn_sized_stack, 0
	.set _ZL36rocblas_gemvt_double_buffered_kernelILb0ELi128ELi4ELi16EdddEviiT4_lPKT3_lilS3_lilPT5_lili.has_recursion, 0
	.set _ZL36rocblas_gemvt_double_buffered_kernelILb0ELi128ELi4ELi16EdddEviiT4_lPKT3_lilS3_lilPT5_lili.has_indirect_call, 0
	.section	.AMDGPU.csdata,"",@progbits
; Kernel info:
; codeLenInByte = 6708
; TotalNumSgprs: 38
; NumVgprs: 174
; ScratchSize: 0
; MemoryBound: 0
; FloatMode: 240
; IeeeMode: 1
; LDSByteSize: 65536 bytes/workgroup (compile time only)
; SGPRBlocks: 0
; VGPRBlocks: 21
; NumSGPRsForWavesPerEU: 38
; NumVGPRsForWavesPerEU: 174
; Occupancy: 5
; WaveLimiterHint : 0
; COMPUTE_PGM_RSRC2:SCRATCH_EN: 0
; COMPUTE_PGM_RSRC2:USER_SGPR: 6
; COMPUTE_PGM_RSRC2:TRAP_HANDLER: 0
; COMPUTE_PGM_RSRC2:TGID_X_EN: 1
; COMPUTE_PGM_RSRC2:TGID_Y_EN: 1
; COMPUTE_PGM_RSRC2:TGID_Z_EN: 1
; COMPUTE_PGM_RSRC2:TIDIG_COMP_CNT: 1
	.section	.text._ZL32rocblas_gemvt_warp_reduce_kernelILb0ELi256EidPKddEviiT3_lPKT2_lT1_lS5_lS6_lS2_lPT4_lS6_li,"axG",@progbits,_ZL32rocblas_gemvt_warp_reduce_kernelILb0ELi256EidPKddEviiT3_lPKT2_lT1_lS5_lS6_lS2_lPT4_lS6_li,comdat
	.globl	_ZL32rocblas_gemvt_warp_reduce_kernelILb0ELi256EidPKddEviiT3_lPKT2_lT1_lS5_lS6_lS2_lPT4_lS6_li ; -- Begin function _ZL32rocblas_gemvt_warp_reduce_kernelILb0ELi256EidPKddEviiT3_lPKT2_lT1_lS5_lS6_lS2_lPT4_lS6_li
	.p2align	8
	.type	_ZL32rocblas_gemvt_warp_reduce_kernelILb0ELi256EidPKddEviiT3_lPKT2_lT1_lS5_lS6_lS2_lPT4_lS6_li,@function
_ZL32rocblas_gemvt_warp_reduce_kernelILb0ELi256EidPKddEviiT3_lPKT2_lT1_lS5_lS6_lS2_lPT4_lS6_li: ; @_ZL32rocblas_gemvt_warp_reduce_kernelILb0ELi256EidPKddEviiT3_lPKT2_lT1_lS5_lS6_lS2_lPT4_lS6_li
; %bb.0:
	s_clause 0x1
	s_load_dwordx8 s[8:15], s[4:5], 0x8
	s_load_dwordx8 s[16:23], s[4:5], 0x50
	s_waitcnt lgkmcnt(0)
	s_mul_i32 s1, s11, s7
	s_mul_hi_u32 s2, s10, s7
	s_mul_i32 s0, s10, s7
	s_add_i32 s1, s2, s1
	s_mul_i32 s2, s21, s7
	s_lshl_b64 s[0:1], s[0:1], 3
	s_mul_hi_u32 s3, s20, s7
	s_add_u32 s0, s8, s0
	s_addc_u32 s1, s9, s1
	s_add_i32 s3, s3, s2
	s_mul_i32 s2, s20, s7
	s_lshl_b64 s[2:3], s[2:3], 3
	s_add_u32 s2, s18, s2
	s_addc_u32 s3, s19, s3
	s_load_dwordx2 s[8:9], s[0:1], 0x0
	s_load_dwordx2 s[2:3], s[2:3], 0x0
	s_waitcnt lgkmcnt(0)
	v_cmp_eq_f64_e64 s0, s[8:9], 0
	v_cmp_eq_f64_e64 s1, s[2:3], 1.0
	s_and_b32 s0, s0, s1
	s_and_b32 vcc_lo, exec_lo, s0
	s_cbranch_vccnz .LBB78_30
; %bb.1:
	s_clause 0x1
	s_load_dwordx2 s[0:1], s[4:5], 0x80
	s_load_dwordx2 s[10:11], s[4:5], 0x70
	v_cmp_neq_f64_e64 s19, s[8:9], 0
	s_load_dword s20, s[4:5], 0x78
	s_waitcnt lgkmcnt(0)
	s_mul_i32 s1, s1, s7
	s_mul_hi_u32 s18, s0, s7
	s_mul_i32 s0, s0, s7
	s_add_i32 s1, s18, s1
	s_lshl_b64 s[0:1], s[0:1], 3
	s_add_u32 s0, s22, s0
	s_addc_u32 s18, s23, s1
	s_lshl_b64 s[10:11], s[10:11], 3
	s_add_u32 s1, s0, s10
	v_cmp_eq_u32_e64 s0, 0, v0
	s_addc_u32 s18, s18, s11
	s_and_b32 vcc_lo, exec_lo, s19
	s_mov_b32 s19, 0
	s_cbranch_vccnz .LBB78_5
; %bb.2:
	s_mov_b32 s21, 0
                                        ; implicit-def: $vgpr1_vgpr2
                                        ; implicit-def: $sgpr10_sgpr11
	s_and_saveexec_b32 s22, s0
	s_cbranch_execz .LBB78_6
; %bb.3:
	v_cmp_eq_f64_e64 s0, s[2:3], 0
	s_mul_i32 s10, s20, s6
	s_ashr_i32 s11, s10, 31
	s_and_b32 vcc_lo, exec_lo, s0
	s_cbranch_vccnz .LBB78_7
; %bb.4:
	s_lshl_b64 s[24:25], s[10:11], 3
	s_add_u32 s24, s1, s24
	s_addc_u32 s25, s18, s25
	s_load_dwordx2 s[24:25], s[24:25], 0x0
	s_waitcnt lgkmcnt(0)
	v_mul_f64 v[1:2], s[2:3], s[24:25]
	s_branch .LBB78_8
.LBB78_5:
                                        ; implicit-def: $vgpr1_vgpr2
                                        ; implicit-def: $sgpr10_sgpr11
	s_cbranch_execnz .LBB78_9
	s_branch .LBB78_28
.LBB78_6:
	s_or_b32 exec_lo, exec_lo, s22
	s_and_b32 vcc_lo, exec_lo, s21
	s_cbranch_vccnz .LBB78_9
	s_branch .LBB78_28
.LBB78_7:
	v_mov_b32_e32 v1, 0
	v_mov_b32_e32 v2, 0
.LBB78_8:
	s_mov_b32 s19, exec_lo
	s_or_b32 exec_lo, exec_lo, s22
	s_and_b32 vcc_lo, exec_lo, s21
	s_cbranch_vccz .LBB78_28
.LBB78_9:
	s_clause 0x3
	s_load_dwordx4 s[24:27], s[4:5], 0x30
	s_load_dwordx2 s[22:23], s[4:5], 0x40
	s_load_dword s10, s[4:5], 0x0
	s_load_dword s0, s[4:5], 0x28
	s_mul_i32 s11, s17, s7
	s_mul_hi_u32 s17, s16, s7
	s_mul_i32 s16, s16, s7
	s_add_i32 s17, s17, s11
	s_load_dword s5, s[4:5], 0x48
	s_lshl_b64 s[16:17], s[16:17], 3
	s_waitcnt lgkmcnt(0)
	s_add_u32 s4, s26, s16
	s_addc_u32 s11, s27, s17
	v_cmp_gt_i32_e32 vcc_lo, s10, v0
	s_lshl_b64 s[16:17], s[22:23], 3
	s_mul_i32 s21, s25, s7
	s_mul_hi_u32 s25, s24, s7
	s_mul_i32 s22, s24, s7
	s_add_u32 s7, s4, s16
	v_cndmask_b32_e32 v1, 0, v0, vcc_lo
	s_addc_u32 s11, s11, s17
	s_add_i32 s23, s25, s21
	s_lshl_b64 s[16:17], s[22:23], 3
	s_mul_i32 s22, s0, s6
	s_add_u32 s0, s12, s16
	v_lshlrev_b32_e32 v1, 3, v1
	s_addc_u32 s4, s13, s17
	s_lshl_b64 s[12:13], s[14:15], 3
	s_add_u32 s0, s0, s12
	s_addc_u32 s4, s4, s13
	v_add_co_u32 v1, s0, s0, v1
	s_ashr_i32 s23, s22, 31
	s_ashr_i32 s12, s10, 31
	v_add_co_ci_u32_e64 v2, null, s4, 0, s0
	s_lshr_b32 s0, s12, 24
	s_lshl_b64 s[12:13], s[22:23], 3
	s_add_i32 s0, s10, s0
	v_add_co_u32 v3, vcc_lo, v1, s12
	v_add_co_ci_u32_e64 v4, null, s13, v2, vcc_lo
	v_mov_b32_e32 v1, 0
	v_mov_b32_e32 v2, 0
	s_and_b32 s4, s0, 0xffffff00
	s_mov_b32 s13, 0
	s_mov_b32 s12, exec_lo
	v_cmpx_gt_i32_e64 s4, v0
	s_cbranch_execz .LBB78_13
; %bb.10:
	v_mul_lo_u32 v5, v0, s5
	v_mov_b32_e32 v1, 0
	v_mov_b32_e32 v8, v4
	v_mov_b32_e32 v2, 0
	v_mov_b32_e32 v7, v3
	v_mov_b32_e32 v9, v0
	s_lshl_b32 s14, s5, 8
	.p2align	6
.LBB78_11:                              ; =>This Inner Loop Header: Depth=1
	v_ashrrev_i32_e32 v6, 31, v5
	v_add_nc_u32_e32 v9, 0x100, v9
	v_lshlrev_b64 v[10:11], 3, v[5:6]
	v_cmp_le_i32_e64 s0, s4, v9
	v_add_nc_u32_e32 v5, s14, v5
	s_or_b32 s13, s0, s13
	v_add_co_u32 v10, vcc_lo, s7, v10
	v_add_co_ci_u32_e64 v11, null, s11, v11, vcc_lo
	global_load_dwordx2 v[12:13], v[7:8], off
	global_load_dwordx2 v[10:11], v[10:11], off
	v_add_co_u32 v7, vcc_lo, 0x800, v7
	v_add_co_ci_u32_e64 v8, null, 0, v8, vcc_lo
	s_waitcnt vmcnt(0)
	v_fma_f64 v[1:2], v[12:13], v[10:11], v[1:2]
	s_andn2_b32 exec_lo, exec_lo, s13
	s_cbranch_execnz .LBB78_11
; %bb.12:
	s_or_b32 exec_lo, exec_lo, s13
.LBB78_13:
	s_or_b32 exec_lo, exec_lo, s12
	v_add_nc_u32_e32 v5, s4, v0
	s_mov_b32 s0, exec_lo
	v_cmpx_gt_i32_e64 s10, v5
	s_cbranch_execz .LBB78_15
; %bb.14:
	v_mul_lo_u32 v5, s5, v5
	s_ashr_i32 s5, s4, 31
	s_lshl_b64 s[4:5], s[4:5], 3
	v_add_co_u32 v3, vcc_lo, v3, s4
	v_add_co_ci_u32_e64 v4, null, s5, v4, vcc_lo
	v_ashrrev_i32_e32 v6, 31, v5
	v_lshlrev_b64 v[5:6], 3, v[5:6]
	v_add_co_u32 v5, vcc_lo, s7, v5
	v_add_co_ci_u32_e64 v6, null, s11, v6, vcc_lo
	global_load_dwordx2 v[3:4], v[3:4], off
	global_load_dwordx2 v[5:6], v[5:6], off
	s_waitcnt vmcnt(0)
	v_fma_f64 v[1:2], v[3:4], v[5:6], v[1:2]
.LBB78_15:
	s_or_b32 exec_lo, exec_lo, s0
	v_and_b32_e32 v9, 31, v0
	v_cmp_gt_u32_e32 vcc_lo, 32, v0
	v_lshlrev_b32_e32 v5, 3, v9
	s_and_saveexec_b32 s0, vcc_lo
; %bb.16:
	v_mov_b32_e32 v3, 0
	v_mov_b32_e32 v4, v3
	ds_write_b64 v5, v[3:4]
; %bb.17:
	s_or_b32 exec_lo, exec_lo, s0
	v_mbcnt_lo_u32_b32 v8, -1, 0
	s_mov_b32 s4, exec_lo
	s_waitcnt lgkmcnt(0)
	s_barrier
	buffer_gl0_inv
	v_lshl_or_b32 v4, v8, 2, 64
	v_cmp_gt_u32_e64 s0, 24, v8
	ds_bpermute_b32 v3, v4, v1
	ds_bpermute_b32 v4, v4, v2
	s_waitcnt lgkmcnt(0)
	v_add_f64 v[1:2], v[1:2], v[3:4]
	v_cndmask_b32_e64 v3, 0, 8, s0
	v_cmp_gt_u32_e64 s0, 28, v8
	v_add_lshl_u32 v4, v3, v8, 2
	ds_bpermute_b32 v3, v4, v1
	ds_bpermute_b32 v4, v4, v2
	s_waitcnt lgkmcnt(0)
	v_add_f64 v[1:2], v[1:2], v[3:4]
	v_cndmask_b32_e64 v3, 0, 4, s0
	v_cmp_gt_u32_e64 s0, 30, v8
	v_add_lshl_u32 v6, v3, v8, 2
	ds_bpermute_b32 v3, v6, v1
	ds_bpermute_b32 v4, v6, v2
	s_waitcnt lgkmcnt(0)
	v_add_f64 v[1:2], v[1:2], v[3:4]
	v_cndmask_b32_e64 v3, 0, 2, s0
	v_cmp_ne_u32_e64 s0, 31, v8
	v_add_lshl_u32 v7, v3, v8, 2
	ds_bpermute_b32 v3, v7, v1
	ds_bpermute_b32 v4, v7, v2
	s_waitcnt lgkmcnt(0)
	v_add_f64 v[1:2], v[1:2], v[3:4]
	v_add_co_ci_u32_e64 v3, null, 0, v8, s0
	v_lshlrev_b32_e32 v8, 2, v3
	ds_bpermute_b32 v3, v8, v1
	ds_bpermute_b32 v4, v8, v2
	v_cmpx_eq_u32_e32 0, v9
	s_cbranch_execz .LBB78_19
; %bb.18:
	s_waitcnt lgkmcnt(0)
	v_add_f64 v[1:2], v[1:2], v[3:4]
	v_lshrrev_b32_e32 v3, 2, v0
	v_and_b32_e32 v3, 56, v3
	ds_write_b64 v3, v[1:2]
.LBB78_19:
	s_or_b32 exec_lo, exec_lo, s4
	s_waitcnt lgkmcnt(0)
	v_mov_b32_e32 v3, 0
	v_mov_b32_e32 v4, 0
	s_mov_b32 s4, exec_lo
	s_barrier
	buffer_gl0_inv
	v_cmpx_gt_u32_e32 8, v0
; %bb.20:
	ds_read_b64 v[3:4], v5
; %bb.21:
	s_or_b32 exec_lo, exec_lo, s4
	s_and_saveexec_b32 s0, vcc_lo
	s_cbranch_execz .LBB78_23
; %bb.22:
	s_waitcnt lgkmcnt(0)
	ds_bpermute_b32 v1, v6, v3
	ds_bpermute_b32 v2, v6, v4
	s_waitcnt lgkmcnt(0)
	v_add_f64 v[1:2], v[3:4], v[1:2]
	ds_bpermute_b32 v3, v7, v1
	ds_bpermute_b32 v4, v7, v2
	s_waitcnt lgkmcnt(0)
	v_add_f64 v[1:2], v[1:2], v[3:4]
	;; [unrolled: 4-line block ×3, first 2 shown]
.LBB78_23:
	s_or_b32 exec_lo, exec_lo, s0
	s_mov_b32 s0, exec_lo
                                        ; implicit-def: $vgpr1_vgpr2
                                        ; implicit-def: $sgpr10_sgpr11
	v_cmpx_eq_u32_e32 0, v0
	s_cbranch_execz .LBB78_27
; %bb.24:
	v_cmp_eq_f64_e64 s4, s[2:3], 0
	s_waitcnt lgkmcnt(0)
	v_mul_f64 v[1:2], s[8:9], v[3:4]
	s_mul_i32 s10, s20, s6
	s_ashr_i32 s11, s10, 31
	s_and_b32 vcc_lo, exec_lo, s4
	s_cbranch_vccnz .LBB78_26
; %bb.25:
	s_lshl_b64 s[4:5], s[10:11], 3
	s_add_u32 s4, s1, s4
	s_addc_u32 s5, s18, s5
	s_load_dwordx2 s[4:5], s[4:5], 0x0
	s_waitcnt lgkmcnt(0)
	v_fma_f64 v[1:2], s[2:3], s[4:5], v[1:2]
.LBB78_26:
	s_or_b32 s19, s19, exec_lo
.LBB78_27:
	s_or_b32 exec_lo, exec_lo, s0
.LBB78_28:
	s_and_saveexec_b32 s0, s19
	s_cbranch_execz .LBB78_30
; %bb.29:
	s_lshl_b64 s[2:3], s[10:11], 3
	v_mov_b32_e32 v0, 0
	s_add_u32 s0, s1, s2
	s_addc_u32 s1, s18, s3
	global_store_dwordx2 v0, v[1:2], s[0:1]
.LBB78_30:
	s_endpgm
	.section	.rodata,"a",@progbits
	.p2align	6, 0x0
	.amdhsa_kernel _ZL32rocblas_gemvt_warp_reduce_kernelILb0ELi256EidPKddEviiT3_lPKT2_lT1_lS5_lS6_lS2_lPT4_lS6_li
		.amdhsa_group_segment_fixed_size 256
		.amdhsa_private_segment_fixed_size 0
		.amdhsa_kernarg_size 140
		.amdhsa_user_sgpr_count 6
		.amdhsa_user_sgpr_private_segment_buffer 1
		.amdhsa_user_sgpr_dispatch_ptr 0
		.amdhsa_user_sgpr_queue_ptr 0
		.amdhsa_user_sgpr_kernarg_segment_ptr 1
		.amdhsa_user_sgpr_dispatch_id 0
		.amdhsa_user_sgpr_flat_scratch_init 0
		.amdhsa_user_sgpr_private_segment_size 0
		.amdhsa_wavefront_size32 1
		.amdhsa_uses_dynamic_stack 0
		.amdhsa_system_sgpr_private_segment_wavefront_offset 0
		.amdhsa_system_sgpr_workgroup_id_x 1
		.amdhsa_system_sgpr_workgroup_id_y 0
		.amdhsa_system_sgpr_workgroup_id_z 1
		.amdhsa_system_sgpr_workgroup_info 0
		.amdhsa_system_vgpr_workitem_id 0
		.amdhsa_next_free_vgpr 14
		.amdhsa_next_free_sgpr 28
		.amdhsa_reserve_vcc 1
		.amdhsa_reserve_flat_scratch 0
		.amdhsa_float_round_mode_32 0
		.amdhsa_float_round_mode_16_64 0
		.amdhsa_float_denorm_mode_32 3
		.amdhsa_float_denorm_mode_16_64 3
		.amdhsa_dx10_clamp 1
		.amdhsa_ieee_mode 1
		.amdhsa_fp16_overflow 0
		.amdhsa_workgroup_processor_mode 1
		.amdhsa_memory_ordered 1
		.amdhsa_forward_progress 1
		.amdhsa_shared_vgpr_count 0
		.amdhsa_exception_fp_ieee_invalid_op 0
		.amdhsa_exception_fp_denorm_src 0
		.amdhsa_exception_fp_ieee_div_zero 0
		.amdhsa_exception_fp_ieee_overflow 0
		.amdhsa_exception_fp_ieee_underflow 0
		.amdhsa_exception_fp_ieee_inexact 0
		.amdhsa_exception_int_div_zero 0
	.end_amdhsa_kernel
	.section	.text._ZL32rocblas_gemvt_warp_reduce_kernelILb0ELi256EidPKddEviiT3_lPKT2_lT1_lS5_lS6_lS2_lPT4_lS6_li,"axG",@progbits,_ZL32rocblas_gemvt_warp_reduce_kernelILb0ELi256EidPKddEviiT3_lPKT2_lT1_lS5_lS6_lS2_lPT4_lS6_li,comdat
.Lfunc_end78:
	.size	_ZL32rocblas_gemvt_warp_reduce_kernelILb0ELi256EidPKddEviiT3_lPKT2_lT1_lS5_lS6_lS2_lPT4_lS6_li, .Lfunc_end78-_ZL32rocblas_gemvt_warp_reduce_kernelILb0ELi256EidPKddEviiT3_lPKT2_lT1_lS5_lS6_lS2_lPT4_lS6_li
                                        ; -- End function
	.set _ZL32rocblas_gemvt_warp_reduce_kernelILb0ELi256EidPKddEviiT3_lPKT2_lT1_lS5_lS6_lS2_lPT4_lS6_li.num_vgpr, 14
	.set _ZL32rocblas_gemvt_warp_reduce_kernelILb0ELi256EidPKddEviiT3_lPKT2_lT1_lS5_lS6_lS2_lPT4_lS6_li.num_agpr, 0
	.set _ZL32rocblas_gemvt_warp_reduce_kernelILb0ELi256EidPKddEviiT3_lPKT2_lT1_lS5_lS6_lS2_lPT4_lS6_li.numbered_sgpr, 28
	.set _ZL32rocblas_gemvt_warp_reduce_kernelILb0ELi256EidPKddEviiT3_lPKT2_lT1_lS5_lS6_lS2_lPT4_lS6_li.num_named_barrier, 0
	.set _ZL32rocblas_gemvt_warp_reduce_kernelILb0ELi256EidPKddEviiT3_lPKT2_lT1_lS5_lS6_lS2_lPT4_lS6_li.private_seg_size, 0
	.set _ZL32rocblas_gemvt_warp_reduce_kernelILb0ELi256EidPKddEviiT3_lPKT2_lT1_lS5_lS6_lS2_lPT4_lS6_li.uses_vcc, 1
	.set _ZL32rocblas_gemvt_warp_reduce_kernelILb0ELi256EidPKddEviiT3_lPKT2_lT1_lS5_lS6_lS2_lPT4_lS6_li.uses_flat_scratch, 0
	.set _ZL32rocblas_gemvt_warp_reduce_kernelILb0ELi256EidPKddEviiT3_lPKT2_lT1_lS5_lS6_lS2_lPT4_lS6_li.has_dyn_sized_stack, 0
	.set _ZL32rocblas_gemvt_warp_reduce_kernelILb0ELi256EidPKddEviiT3_lPKT2_lT1_lS5_lS6_lS2_lPT4_lS6_li.has_recursion, 0
	.set _ZL32rocblas_gemvt_warp_reduce_kernelILb0ELi256EidPKddEviiT3_lPKT2_lT1_lS5_lS6_lS2_lPT4_lS6_li.has_indirect_call, 0
	.section	.AMDGPU.csdata,"",@progbits
; Kernel info:
; codeLenInByte = 1468
; TotalNumSgprs: 30
; NumVgprs: 14
; ScratchSize: 0
; MemoryBound: 0
; FloatMode: 240
; IeeeMode: 1
; LDSByteSize: 256 bytes/workgroup (compile time only)
; SGPRBlocks: 0
; VGPRBlocks: 1
; NumSGPRsForWavesPerEU: 30
; NumVGPRsForWavesPerEU: 14
; Occupancy: 16
; WaveLimiterHint : 1
; COMPUTE_PGM_RSRC2:SCRATCH_EN: 0
; COMPUTE_PGM_RSRC2:USER_SGPR: 6
; COMPUTE_PGM_RSRC2:TRAP_HANDLER: 0
; COMPUTE_PGM_RSRC2:TGID_X_EN: 1
; COMPUTE_PGM_RSRC2:TGID_Y_EN: 0
; COMPUTE_PGM_RSRC2:TGID_Z_EN: 1
; COMPUTE_PGM_RSRC2:TIDIG_COMP_CNT: 0
	.section	.text._ZL32rocblas_gemvt_warp_reduce_kernelILb0ELi256EldPKddEviiT3_lPKT2_lT1_lS5_lS6_lS2_lPT4_lS6_li,"axG",@progbits,_ZL32rocblas_gemvt_warp_reduce_kernelILb0ELi256EldPKddEviiT3_lPKT2_lT1_lS5_lS6_lS2_lPT4_lS6_li,comdat
	.globl	_ZL32rocblas_gemvt_warp_reduce_kernelILb0ELi256EldPKddEviiT3_lPKT2_lT1_lS5_lS6_lS2_lPT4_lS6_li ; -- Begin function _ZL32rocblas_gemvt_warp_reduce_kernelILb0ELi256EldPKddEviiT3_lPKT2_lT1_lS5_lS6_lS2_lPT4_lS6_li
	.p2align	8
	.type	_ZL32rocblas_gemvt_warp_reduce_kernelILb0ELi256EldPKddEviiT3_lPKT2_lT1_lS5_lS6_lS2_lPT4_lS6_li,@function
_ZL32rocblas_gemvt_warp_reduce_kernelILb0ELi256EldPKddEviiT3_lPKT2_lT1_lS5_lS6_lS2_lPT4_lS6_li: ; @_ZL32rocblas_gemvt_warp_reduce_kernelILb0ELi256EldPKddEviiT3_lPKT2_lT1_lS5_lS6_lS2_lPT4_lS6_li
; %bb.0:
	s_clause 0x1
	s_load_dwordx16 s[36:51], s[4:5], 0x8
	s_load_dwordx16 s[8:23], s[4:5], 0x48
	s_waitcnt lgkmcnt(0)
	s_mul_i32 s1, s39, s7
	s_mul_hi_u32 s2, s38, s7
	s_mul_i32 s0, s38, s7
	s_add_i32 s1, s2, s1
	s_mul_i32 s2, s15, s7
	s_lshl_b64 s[0:1], s[0:1], 3
	s_mul_hi_u32 s3, s14, s7
	s_add_u32 s0, s36, s0
	s_addc_u32 s1, s37, s1
	s_add_i32 s3, s3, s2
	s_mul_i32 s2, s14, s7
	s_lshl_b64 s[2:3], s[2:3], 3
	s_add_u32 s2, s12, s2
	s_addc_u32 s3, s13, s3
	s_load_dwordx2 s[12:13], s[0:1], 0x0
	s_load_dwordx2 s[2:3], s[2:3], 0x0
	s_waitcnt lgkmcnt(0)
	v_cmp_eq_f64_e64 s0, s[12:13], 0
	v_cmp_eq_f64_e64 s1, s[2:3], 1.0
	s_and_b32 s0, s0, s1
	s_and_b32 vcc_lo, exec_lo, s0
	s_cbranch_vccnz .LBB79_30
; %bb.1:
	v_cmp_neq_f64_e64 s24, s[12:13], 0
	s_mul_i32 s1, s23, s7
	s_mul_hi_u32 s14, s22, s7
	s_mul_i32 s0, s22, s7
	s_add_i32 s1, s14, s1
	s_lshl_b64 s[0:1], s[0:1], 3
	s_add_u32 s0, s16, s0
	s_addc_u32 s16, s17, s1
	s_lshl_b64 s[14:15], s[18:19], 3
	s_mov_b32 s17, 0
	s_add_u32 s1, s0, s14
	v_cmp_eq_u32_e64 s0, 0, v0
	s_addc_u32 s16, s16, s15
	s_and_b32 vcc_lo, exec_lo, s24
	s_cbranch_vccnz .LBB79_5
; %bb.2:
	s_mov_b32 s18, 0
                                        ; implicit-def: $vgpr1_vgpr2
                                        ; implicit-def: $sgpr14_sgpr15
	s_and_saveexec_b32 s19, s0
	s_cbranch_execz .LBB79_6
; %bb.3:
	v_cmp_eq_f64_e64 s0, s[2:3], 0
	s_ashr_i32 s14, s6, 31
	s_mul_hi_u32 s15, s20, s6
	s_mul_i32 s14, s20, s14
	s_add_i32 s14, s15, s14
	s_mul_i32 s15, s21, s6
	s_add_i32 s15, s14, s15
	s_mul_i32 s14, s20, s6
	s_and_b32 vcc_lo, exec_lo, s0
	s_cbranch_vccnz .LBB79_7
; %bb.4:
	s_lshl_b64 s[22:23], s[14:15], 3
	s_add_u32 s22, s1, s22
	s_addc_u32 s23, s16, s23
	s_load_dwordx2 s[22:23], s[22:23], 0x0
	s_waitcnt lgkmcnt(0)
	v_mul_f64 v[1:2], s[2:3], s[22:23]
	s_branch .LBB79_8
.LBB79_5:
                                        ; implicit-def: $vgpr1_vgpr2
                                        ; implicit-def: $sgpr14_sgpr15
	s_cbranch_execnz .LBB79_9
	s_branch .LBB79_28
.LBB79_6:
	s_or_b32 exec_lo, exec_lo, s19
	s_and_b32 vcc_lo, exec_lo, s18
	s_cbranch_vccnz .LBB79_9
	s_branch .LBB79_28
.LBB79_7:
	v_mov_b32_e32 v1, 0
	v_mov_b32_e32 v2, 0
.LBB79_8:
	s_mov_b32 s17, exec_lo
	s_or_b32 exec_lo, exec_lo, s19
	s_and_b32 vcc_lo, exec_lo, s18
	s_cbranch_vccz .LBB79_28
.LBB79_9:
	s_load_dword s15, s[4:5], 0x0
	s_mul_i32 s0, s11, s7
	s_mul_i32 s5, s47, s7
	s_mul_hi_u32 s11, s46, s7
	s_mul_i32 s4, s46, s7
	s_add_i32 s5, s11, s5
	s_mul_hi_u32 s11, s10, s7
	s_lshl_b64 s[18:19], s[4:5], 3
	s_add_i32 s5, s11, s0
	s_add_u32 s0, s40, s18
	s_addc_u32 s4, s41, s19
	s_lshl_b64 s[18:19], s[42:43], 3
	s_mul_hi_u32 s11, s44, s6
	s_add_u32 s0, s0, s18
	s_addc_u32 s4, s4, s19
	s_ashr_i32 s18, s6, 31
	s_mul_i32 s19, s45, s6
	s_mul_i32 s14, s44, s18
	;; [unrolled: 1-line block ×3, first 2 shown]
	s_add_i32 s11, s11, s14
	s_waitcnt lgkmcnt(0)
	v_cmp_gt_i32_e32 vcc_lo, s15, v0
	s_add_i32 s23, s11, s19
	s_ashr_i32 s11, s15, 31
	s_lshl_b64 s[22:23], s[22:23], 3
	s_lshr_b32 s11, s11, 24
	v_cndmask_b32_e32 v1, 0, v0, vcc_lo
	s_mov_b32 s19, 0
	v_lshlrev_b32_e32 v1, 3, v1
	v_add_co_u32 v1, s0, s0, v1
	v_add_co_ci_u32_e64 v2, null, s4, 0, s0
	s_add_i32 s0, s15, s11
	v_add_co_u32 v3, vcc_lo, v1, s22
	v_add_co_ci_u32_e64 v4, null, s23, v2, vcc_lo
	v_mov_b32_e32 v1, 0
	v_mov_b32_e32 v2, 0
	s_and_b32 s14, s0, 0xffffff00
	s_mul_i32 s4, s10, s7
	s_mov_b32 s7, exec_lo
	v_cmpx_gt_i32_e64 s14, v0
	s_cbranch_execz .LBB79_13
; %bb.10:
	v_mad_u64_u32 v[7:8], null, s8, v0, 0
	s_lshl_b64 s[22:23], s[50:51], 3
	s_lshl_b64 s[10:11], s[4:5], 3
	s_add_u32 s0, s48, s22
	s_addc_u32 s22, s49, s23
	s_add_u32 s0, s0, s10
	s_addc_u32 s10, s22, s11
	v_mov_b32_e32 v1, v8
	v_mov_b32_e32 v6, v4
	;; [unrolled: 1-line block ×4, first 2 shown]
	v_mad_u64_u32 v[1:2], null, s9, v0, v[1:2]
	v_mov_b32_e32 v8, v1
	v_mov_b32_e32 v1, 0
	;; [unrolled: 1-line block ×3, first 2 shown]
	v_lshlrev_b64 v[7:8], 3, v[7:8]
	v_add_co_u32 v7, vcc_lo, s0, v7
	v_add_co_ci_u32_e64 v8, null, s10, v8, vcc_lo
	s_lshl_b64 s[10:11], s[8:9], 11
	.p2align	6
.LBB79_11:                              ; =>This Inner Loop Header: Depth=1
	global_load_dwordx2 v[10:11], v[5:6], off
	global_load_dwordx2 v[12:13], v[7:8], off
	v_add_nc_u32_e32 v9, 0x100, v9
	v_add_co_u32 v5, vcc_lo, 0x800, v5
	v_add_co_ci_u32_e64 v6, null, 0, v6, vcc_lo
	v_cmp_le_i32_e32 vcc_lo, s14, v9
	v_add_co_u32 v7, s0, v7, s10
	v_add_co_ci_u32_e64 v8, null, s11, v8, s0
	s_or_b32 s19, vcc_lo, s19
	s_waitcnt vmcnt(0)
	v_fma_f64 v[1:2], v[10:11], v[12:13], v[1:2]
	s_andn2_b32 exec_lo, exec_lo, s19
	s_cbranch_execnz .LBB79_11
; %bb.12:
	s_or_b32 exec_lo, exec_lo, s19
.LBB79_13:
	s_or_b32 exec_lo, exec_lo, s7
	v_add_nc_u32_e32 v5, s14, v0
	s_mov_b32 s0, exec_lo
	v_cmpx_gt_i32_e64 s15, v5
	s_cbranch_execz .LBB79_15
; %bb.14:
	v_ashrrev_i32_e32 v7, 31, v5
	v_mul_lo_u32 v8, s9, v5
	v_mad_u64_u32 v[5:6], null, s8, v5, 0
	s_lshl_b64 s[4:5], s[4:5], 3
	v_mul_lo_u32 v7, s8, v7
	s_add_u32 s7, s48, s4
	s_addc_u32 s8, s49, s5
	s_lshl_b64 s[4:5], s[50:51], 3
	s_add_u32 s7, s7, s4
	s_addc_u32 s8, s8, s5
	s_ashr_i32 s15, s14, 31
	v_add3_u32 v6, v6, v7, v8
	s_lshl_b64 s[4:5], s[14:15], 3
	v_add_co_u32 v3, vcc_lo, v3, s4
	v_lshlrev_b64 v[5:6], 3, v[5:6]
	v_add_co_ci_u32_e64 v4, null, s5, v4, vcc_lo
	v_add_co_u32 v5, vcc_lo, s7, v5
	v_add_co_ci_u32_e64 v6, null, s8, v6, vcc_lo
	global_load_dwordx2 v[3:4], v[3:4], off
	global_load_dwordx2 v[5:6], v[5:6], off
	s_waitcnt vmcnt(0)
	v_fma_f64 v[1:2], v[3:4], v[5:6], v[1:2]
.LBB79_15:
	s_or_b32 exec_lo, exec_lo, s0
	v_and_b32_e32 v9, 31, v0
	v_cmp_gt_u32_e32 vcc_lo, 32, v0
	v_lshlrev_b32_e32 v5, 3, v9
	s_and_saveexec_b32 s0, vcc_lo
; %bb.16:
	v_mov_b32_e32 v3, 0
	v_mov_b32_e32 v4, v3
	ds_write_b64 v5, v[3:4]
; %bb.17:
	s_or_b32 exec_lo, exec_lo, s0
	v_mbcnt_lo_u32_b32 v8, -1, 0
	s_mov_b32 s4, exec_lo
	s_waitcnt lgkmcnt(0)
	s_barrier
	buffer_gl0_inv
	v_lshl_or_b32 v4, v8, 2, 64
	v_cmp_gt_u32_e64 s0, 24, v8
	ds_bpermute_b32 v3, v4, v1
	ds_bpermute_b32 v4, v4, v2
	s_waitcnt lgkmcnt(0)
	v_add_f64 v[1:2], v[1:2], v[3:4]
	v_cndmask_b32_e64 v3, 0, 8, s0
	v_cmp_gt_u32_e64 s0, 28, v8
	v_add_lshl_u32 v4, v3, v8, 2
	ds_bpermute_b32 v3, v4, v1
	ds_bpermute_b32 v4, v4, v2
	s_waitcnt lgkmcnt(0)
	v_add_f64 v[1:2], v[1:2], v[3:4]
	v_cndmask_b32_e64 v3, 0, 4, s0
	v_cmp_gt_u32_e64 s0, 30, v8
	v_add_lshl_u32 v6, v3, v8, 2
	ds_bpermute_b32 v3, v6, v1
	ds_bpermute_b32 v4, v6, v2
	s_waitcnt lgkmcnt(0)
	v_add_f64 v[1:2], v[1:2], v[3:4]
	v_cndmask_b32_e64 v3, 0, 2, s0
	v_cmp_ne_u32_e64 s0, 31, v8
	v_add_lshl_u32 v7, v3, v8, 2
	ds_bpermute_b32 v3, v7, v1
	ds_bpermute_b32 v4, v7, v2
	s_waitcnt lgkmcnt(0)
	v_add_f64 v[1:2], v[1:2], v[3:4]
	v_add_co_ci_u32_e64 v3, null, 0, v8, s0
	v_lshlrev_b32_e32 v8, 2, v3
	ds_bpermute_b32 v3, v8, v1
	ds_bpermute_b32 v4, v8, v2
	v_cmpx_eq_u32_e32 0, v9
	s_cbranch_execz .LBB79_19
; %bb.18:
	s_waitcnt lgkmcnt(0)
	v_add_f64 v[1:2], v[1:2], v[3:4]
	v_lshrrev_b32_e32 v3, 2, v0
	v_and_b32_e32 v3, 56, v3
	ds_write_b64 v3, v[1:2]
.LBB79_19:
	s_or_b32 exec_lo, exec_lo, s4
	s_waitcnt lgkmcnt(0)
	v_mov_b32_e32 v3, 0
	v_mov_b32_e32 v4, 0
	s_mov_b32 s4, exec_lo
	s_barrier
	buffer_gl0_inv
	v_cmpx_gt_u32_e32 8, v0
; %bb.20:
	ds_read_b64 v[3:4], v5
; %bb.21:
	s_or_b32 exec_lo, exec_lo, s4
	s_and_saveexec_b32 s0, vcc_lo
	s_cbranch_execz .LBB79_23
; %bb.22:
	s_waitcnt lgkmcnt(0)
	ds_bpermute_b32 v1, v6, v3
	ds_bpermute_b32 v2, v6, v4
	s_waitcnt lgkmcnt(0)
	v_add_f64 v[1:2], v[3:4], v[1:2]
	ds_bpermute_b32 v3, v7, v1
	ds_bpermute_b32 v4, v7, v2
	s_waitcnt lgkmcnt(0)
	v_add_f64 v[1:2], v[1:2], v[3:4]
	;; [unrolled: 4-line block ×3, first 2 shown]
.LBB79_23:
	s_or_b32 exec_lo, exec_lo, s0
	s_mov_b32 s0, exec_lo
                                        ; implicit-def: $vgpr1_vgpr2
                                        ; implicit-def: $sgpr14_sgpr15
	v_cmpx_eq_u32_e32 0, v0
	s_cbranch_execz .LBB79_27
; %bb.24:
	v_cmp_eq_f64_e64 s4, s[2:3], 0
	s_waitcnt lgkmcnt(0)
	v_mul_f64 v[1:2], s[12:13], v[3:4]
	s_mul_i32 s5, s20, s18
	s_mul_hi_u32 s7, s20, s6
	s_mul_i32 s14, s20, s6
	s_add_i32 s5, s7, s5
	s_mul_i32 s7, s21, s6
	s_add_i32 s15, s5, s7
	s_and_b32 vcc_lo, exec_lo, s4
	s_cbranch_vccnz .LBB79_26
; %bb.25:
	s_lshl_b64 s[4:5], s[14:15], 3
	s_add_u32 s4, s1, s4
	s_addc_u32 s5, s16, s5
	s_load_dwordx2 s[4:5], s[4:5], 0x0
	s_waitcnt lgkmcnt(0)
	v_fma_f64 v[1:2], s[2:3], s[4:5], v[1:2]
.LBB79_26:
	s_or_b32 s17, s17, exec_lo
.LBB79_27:
	s_or_b32 exec_lo, exec_lo, s0
.LBB79_28:
	s_and_saveexec_b32 s0, s17
	s_cbranch_execz .LBB79_30
; %bb.29:
	s_lshl_b64 s[2:3], s[14:15], 3
	v_mov_b32_e32 v0, 0
	s_add_u32 s0, s1, s2
	s_addc_u32 s1, s16, s3
	global_store_dwordx2 v0, v[1:2], s[0:1]
.LBB79_30:
	s_endpgm
	.section	.rodata,"a",@progbits
	.p2align	6, 0x0
	.amdhsa_kernel _ZL32rocblas_gemvt_warp_reduce_kernelILb0ELi256EldPKddEviiT3_lPKT2_lT1_lS5_lS6_lS2_lPT4_lS6_li
		.amdhsa_group_segment_fixed_size 256
		.amdhsa_private_segment_fixed_size 0
		.amdhsa_kernarg_size 140
		.amdhsa_user_sgpr_count 6
		.amdhsa_user_sgpr_private_segment_buffer 1
		.amdhsa_user_sgpr_dispatch_ptr 0
		.amdhsa_user_sgpr_queue_ptr 0
		.amdhsa_user_sgpr_kernarg_segment_ptr 1
		.amdhsa_user_sgpr_dispatch_id 0
		.amdhsa_user_sgpr_flat_scratch_init 0
		.amdhsa_user_sgpr_private_segment_size 0
		.amdhsa_wavefront_size32 1
		.amdhsa_uses_dynamic_stack 0
		.amdhsa_system_sgpr_private_segment_wavefront_offset 0
		.amdhsa_system_sgpr_workgroup_id_x 1
		.amdhsa_system_sgpr_workgroup_id_y 0
		.amdhsa_system_sgpr_workgroup_id_z 1
		.amdhsa_system_sgpr_workgroup_info 0
		.amdhsa_system_vgpr_workitem_id 0
		.amdhsa_next_free_vgpr 14
		.amdhsa_next_free_sgpr 52
		.amdhsa_reserve_vcc 1
		.amdhsa_reserve_flat_scratch 0
		.amdhsa_float_round_mode_32 0
		.amdhsa_float_round_mode_16_64 0
		.amdhsa_float_denorm_mode_32 3
		.amdhsa_float_denorm_mode_16_64 3
		.amdhsa_dx10_clamp 1
		.amdhsa_ieee_mode 1
		.amdhsa_fp16_overflow 0
		.amdhsa_workgroup_processor_mode 1
		.amdhsa_memory_ordered 1
		.amdhsa_forward_progress 1
		.amdhsa_shared_vgpr_count 0
		.amdhsa_exception_fp_ieee_invalid_op 0
		.amdhsa_exception_fp_denorm_src 0
		.amdhsa_exception_fp_ieee_div_zero 0
		.amdhsa_exception_fp_ieee_overflow 0
		.amdhsa_exception_fp_ieee_underflow 0
		.amdhsa_exception_fp_ieee_inexact 0
		.amdhsa_exception_int_div_zero 0
	.end_amdhsa_kernel
	.section	.text._ZL32rocblas_gemvt_warp_reduce_kernelILb0ELi256EldPKddEviiT3_lPKT2_lT1_lS5_lS6_lS2_lPT4_lS6_li,"axG",@progbits,_ZL32rocblas_gemvt_warp_reduce_kernelILb0ELi256EldPKddEviiT3_lPKT2_lT1_lS5_lS6_lS2_lPT4_lS6_li,comdat
.Lfunc_end79:
	.size	_ZL32rocblas_gemvt_warp_reduce_kernelILb0ELi256EldPKddEviiT3_lPKT2_lT1_lS5_lS6_lS2_lPT4_lS6_li, .Lfunc_end79-_ZL32rocblas_gemvt_warp_reduce_kernelILb0ELi256EldPKddEviiT3_lPKT2_lT1_lS5_lS6_lS2_lPT4_lS6_li
                                        ; -- End function
	.set _ZL32rocblas_gemvt_warp_reduce_kernelILb0ELi256EldPKddEviiT3_lPKT2_lT1_lS5_lS6_lS2_lPT4_lS6_li.num_vgpr, 14
	.set _ZL32rocblas_gemvt_warp_reduce_kernelILb0ELi256EldPKddEviiT3_lPKT2_lT1_lS5_lS6_lS2_lPT4_lS6_li.num_agpr, 0
	.set _ZL32rocblas_gemvt_warp_reduce_kernelILb0ELi256EldPKddEviiT3_lPKT2_lT1_lS5_lS6_lS2_lPT4_lS6_li.numbered_sgpr, 52
	.set _ZL32rocblas_gemvt_warp_reduce_kernelILb0ELi256EldPKddEviiT3_lPKT2_lT1_lS5_lS6_lS2_lPT4_lS6_li.num_named_barrier, 0
	.set _ZL32rocblas_gemvt_warp_reduce_kernelILb0ELi256EldPKddEviiT3_lPKT2_lT1_lS5_lS6_lS2_lPT4_lS6_li.private_seg_size, 0
	.set _ZL32rocblas_gemvt_warp_reduce_kernelILb0ELi256EldPKddEviiT3_lPKT2_lT1_lS5_lS6_lS2_lPT4_lS6_li.uses_vcc, 1
	.set _ZL32rocblas_gemvt_warp_reduce_kernelILb0ELi256EldPKddEviiT3_lPKT2_lT1_lS5_lS6_lS2_lPT4_lS6_li.uses_flat_scratch, 0
	.set _ZL32rocblas_gemvt_warp_reduce_kernelILb0ELi256EldPKddEviiT3_lPKT2_lT1_lS5_lS6_lS2_lPT4_lS6_li.has_dyn_sized_stack, 0
	.set _ZL32rocblas_gemvt_warp_reduce_kernelILb0ELi256EldPKddEviiT3_lPKT2_lT1_lS5_lS6_lS2_lPT4_lS6_li.has_recursion, 0
	.set _ZL32rocblas_gemvt_warp_reduce_kernelILb0ELi256EldPKddEviiT3_lPKT2_lT1_lS5_lS6_lS2_lPT4_lS6_li.has_indirect_call, 0
	.section	.AMDGPU.csdata,"",@progbits
; Kernel info:
; codeLenInByte = 1512
; TotalNumSgprs: 54
; NumVgprs: 14
; ScratchSize: 0
; MemoryBound: 0
; FloatMode: 240
; IeeeMode: 1
; LDSByteSize: 256 bytes/workgroup (compile time only)
; SGPRBlocks: 0
; VGPRBlocks: 1
; NumSGPRsForWavesPerEU: 54
; NumVGPRsForWavesPerEU: 14
; Occupancy: 16
; WaveLimiterHint : 0
; COMPUTE_PGM_RSRC2:SCRATCH_EN: 0
; COMPUTE_PGM_RSRC2:USER_SGPR: 6
; COMPUTE_PGM_RSRC2:TRAP_HANDLER: 0
; COMPUTE_PGM_RSRC2:TGID_X_EN: 1
; COMPUTE_PGM_RSRC2:TGID_Y_EN: 0
; COMPUTE_PGM_RSRC2:TGID_Z_EN: 1
; COMPUTE_PGM_RSRC2:TIDIG_COMP_CNT: 0
	.section	.text._ZL32rocblas_gemvt_warp_reduce_kernelILb0ELi256EidddEviiT3_lPKT2_lT1_lS3_lS4_lS0_lPT4_lS4_li,"axG",@progbits,_ZL32rocblas_gemvt_warp_reduce_kernelILb0ELi256EidddEviiT3_lPKT2_lT1_lS3_lS4_lS0_lPT4_lS4_li,comdat
	.globl	_ZL32rocblas_gemvt_warp_reduce_kernelILb0ELi256EidddEviiT3_lPKT2_lT1_lS3_lS4_lS0_lPT4_lS4_li ; -- Begin function _ZL32rocblas_gemvt_warp_reduce_kernelILb0ELi256EidddEviiT3_lPKT2_lT1_lS3_lS4_lS0_lPT4_lS4_li
	.p2align	8
	.type	_ZL32rocblas_gemvt_warp_reduce_kernelILb0ELi256EidddEviiT3_lPKT2_lT1_lS3_lS4_lS0_lPT4_lS4_li,@function
_ZL32rocblas_gemvt_warp_reduce_kernelILb0ELi256EidddEviiT3_lPKT2_lT1_lS3_lS4_lS0_lPT4_lS4_li: ; @_ZL32rocblas_gemvt_warp_reduce_kernelILb0ELi256EidddEviiT3_lPKT2_lT1_lS3_lS4_lS0_lPT4_lS4_li
; %bb.0:
	s_clause 0x1
	s_load_dwordx2 s[2:3], s[4:5], 0x8
	s_load_dwordx4 s[8:11], s[4:5], 0x50
	s_waitcnt lgkmcnt(0)
	v_cmp_eq_f64_e64 s0, s[2:3], 0
	v_cmp_eq_f64_e64 s1, s[10:11], 1.0
	s_and_b32 s0, s0, s1
	s_and_b32 vcc_lo, exec_lo, s0
	s_cbranch_vccnz .LBB80_30
; %bb.1:
	s_clause 0x1
	s_load_dwordx2 s[0:1], s[4:5], 0x80
	s_load_dwordx4 s[12:15], s[4:5], 0x68
	v_cmp_neq_f64_e64 s17, s[2:3], 0
	s_load_dword s16, s[4:5], 0x78
	s_waitcnt lgkmcnt(0)
	s_mul_i32 s1, s1, s7
	s_mul_hi_u32 s18, s0, s7
	s_mul_i32 s0, s0, s7
	s_add_i32 s1, s18, s1
	s_lshl_b64 s[0:1], s[0:1], 3
	s_add_u32 s0, s12, s0
	s_addc_u32 s18, s13, s1
	s_lshl_b64 s[12:13], s[14:15], 3
	s_mov_b32 s15, 0
	s_add_u32 s1, s0, s12
	v_cmp_eq_u32_e64 s0, 0, v0
	s_addc_u32 s14, s18, s13
	s_and_b32 vcc_lo, exec_lo, s17
	s_cbranch_vccnz .LBB80_5
; %bb.2:
	s_mov_b32 s17, 0
                                        ; implicit-def: $vgpr1_vgpr2
                                        ; implicit-def: $sgpr12_sgpr13
	s_and_saveexec_b32 s18, s0
	s_cbranch_execz .LBB80_6
; %bb.3:
	v_cmp_eq_f64_e64 s0, s[10:11], 0
	s_mul_i32 s12, s16, s6
	s_ashr_i32 s13, s12, 31
	s_and_b32 vcc_lo, exec_lo, s0
	s_cbranch_vccnz .LBB80_7
; %bb.4:
	s_lshl_b64 s[20:21], s[12:13], 3
	s_add_u32 s20, s1, s20
	s_addc_u32 s21, s14, s21
	s_load_dwordx2 s[20:21], s[20:21], 0x0
	s_waitcnt lgkmcnt(0)
	v_mul_f64 v[1:2], s[10:11], s[20:21]
	s_branch .LBB80_8
.LBB80_5:
                                        ; implicit-def: $vgpr1_vgpr2
                                        ; implicit-def: $sgpr12_sgpr13
	s_cbranch_execnz .LBB80_9
	s_branch .LBB80_28
.LBB80_6:
	s_or_b32 exec_lo, exec_lo, s18
	s_and_b32 vcc_lo, exec_lo, s17
	s_cbranch_vccnz .LBB80_9
	s_branch .LBB80_28
.LBB80_7:
	v_mov_b32_e32 v1, 0
	v_mov_b32_e32 v2, 0
.LBB80_8:
	s_mov_b32 s15, exec_lo
	s_or_b32 exec_lo, exec_lo, s18
	s_and_b32 vcc_lo, exec_lo, s17
	s_cbranch_vccz .LBB80_28
.LBB80_9:
	s_clause 0x4
	s_load_dwordx4 s[20:23], s[4:5], 0x30
	s_load_dwordx2 s[18:19], s[4:5], 0x40
	s_load_dword s12, s[4:5], 0x0
	s_load_dwordx4 s[24:27], s[4:5], 0x18
	s_load_dword s0, s[4:5], 0x28
	s_mul_i32 s9, s9, s7
	s_mul_hi_u32 s13, s8, s7
	s_mul_i32 s8, s8, s7
	s_add_i32 s9, s13, s9
	s_load_dword s5, s[4:5], 0x48
	s_lshl_b64 s[8:9], s[8:9], 3
	s_waitcnt lgkmcnt(0)
	s_add_u32 s4, s22, s8
	s_mul_i32 s13, s21, s7
	v_cmp_gt_i32_e32 vcc_lo, s12, v0
	s_addc_u32 s21, s23, s9
	s_lshl_b64 s[8:9], s[18:19], 3
	s_mul_hi_u32 s17, s20, s7
	s_mul_i32 s18, s20, s7
	s_add_u32 s7, s4, s8
	v_cndmask_b32_e32 v1, 0, v0, vcc_lo
	s_addc_u32 s8, s21, s9
	s_add_i32 s19, s17, s13
	s_mul_i32 s20, s0, s6
	s_lshl_b64 s[18:19], s[18:19], 3
	v_lshlrev_b32_e32 v1, 3, v1
	s_add_u32 s0, s24, s18
	s_addc_u32 s4, s25, s19
	s_lshl_b64 s[18:19], s[26:27], 3
	s_mov_b32 s13, 0
	s_add_u32 s0, s0, s18
	s_addc_u32 s4, s4, s19
	v_add_co_u32 v1, s0, s0, v1
	s_ashr_i32 s21, s20, 31
	v_add_co_ci_u32_e64 v2, null, s4, 0, s0
	s_lshl_b64 s[18:19], s[20:21], 3
	s_ashr_i32 s9, s12, 31
	v_add_co_u32 v3, vcc_lo, v1, s18
	s_lshr_b32 s0, s9, 24
	v_add_co_ci_u32_e64 v4, null, s19, v2, vcc_lo
	v_mov_b32_e32 v1, 0
	v_mov_b32_e32 v2, 0
	s_add_i32 s0, s12, s0
	s_mov_b32 s9, exec_lo
	s_and_b32 s4, s0, 0xffffff00
	v_cmpx_gt_i32_e64 s4, v0
	s_cbranch_execz .LBB80_13
; %bb.10:
	v_mul_lo_u32 v5, v0, s5
	v_mov_b32_e32 v1, 0
	v_mov_b32_e32 v8, v4
	;; [unrolled: 1-line block ×5, first 2 shown]
	s_lshl_b32 s17, s5, 8
	.p2align	6
.LBB80_11:                              ; =>This Inner Loop Header: Depth=1
	v_ashrrev_i32_e32 v6, 31, v5
	v_add_nc_u32_e32 v9, 0x100, v9
	v_lshlrev_b64 v[10:11], 3, v[5:6]
	v_cmp_le_i32_e64 s0, s4, v9
	v_add_nc_u32_e32 v5, s17, v5
	s_or_b32 s13, s0, s13
	v_add_co_u32 v10, vcc_lo, s7, v10
	v_add_co_ci_u32_e64 v11, null, s8, v11, vcc_lo
	global_load_dwordx2 v[12:13], v[7:8], off
	global_load_dwordx2 v[10:11], v[10:11], off
	v_add_co_u32 v7, vcc_lo, 0x800, v7
	v_add_co_ci_u32_e64 v8, null, 0, v8, vcc_lo
	s_waitcnt vmcnt(0)
	v_fma_f64 v[1:2], v[12:13], v[10:11], v[1:2]
	s_andn2_b32 exec_lo, exec_lo, s13
	s_cbranch_execnz .LBB80_11
; %bb.12:
	s_or_b32 exec_lo, exec_lo, s13
.LBB80_13:
	s_or_b32 exec_lo, exec_lo, s9
	v_add_nc_u32_e32 v5, s4, v0
	s_mov_b32 s0, exec_lo
	v_cmpx_gt_i32_e64 s12, v5
	s_cbranch_execz .LBB80_15
; %bb.14:
	v_mul_lo_u32 v5, s5, v5
	s_ashr_i32 s5, s4, 31
	s_lshl_b64 s[4:5], s[4:5], 3
	v_add_co_u32 v3, vcc_lo, v3, s4
	v_add_co_ci_u32_e64 v4, null, s5, v4, vcc_lo
	v_ashrrev_i32_e32 v6, 31, v5
	v_lshlrev_b64 v[5:6], 3, v[5:6]
	v_add_co_u32 v5, vcc_lo, s7, v5
	v_add_co_ci_u32_e64 v6, null, s8, v6, vcc_lo
	global_load_dwordx2 v[3:4], v[3:4], off
	global_load_dwordx2 v[5:6], v[5:6], off
	s_waitcnt vmcnt(0)
	v_fma_f64 v[1:2], v[3:4], v[5:6], v[1:2]
.LBB80_15:
	s_or_b32 exec_lo, exec_lo, s0
	v_and_b32_e32 v9, 31, v0
	v_cmp_gt_u32_e32 vcc_lo, 32, v0
	v_lshlrev_b32_e32 v5, 3, v9
	s_and_saveexec_b32 s0, vcc_lo
; %bb.16:
	v_mov_b32_e32 v3, 0
	v_mov_b32_e32 v4, v3
	ds_write_b64 v5, v[3:4]
; %bb.17:
	s_or_b32 exec_lo, exec_lo, s0
	v_mbcnt_lo_u32_b32 v8, -1, 0
	s_mov_b32 s4, exec_lo
	s_waitcnt lgkmcnt(0)
	s_barrier
	buffer_gl0_inv
	v_lshl_or_b32 v4, v8, 2, 64
	v_cmp_gt_u32_e64 s0, 24, v8
	ds_bpermute_b32 v3, v4, v1
	ds_bpermute_b32 v4, v4, v2
	s_waitcnt lgkmcnt(0)
	v_add_f64 v[1:2], v[1:2], v[3:4]
	v_cndmask_b32_e64 v3, 0, 8, s0
	v_cmp_gt_u32_e64 s0, 28, v8
	v_add_lshl_u32 v4, v3, v8, 2
	ds_bpermute_b32 v3, v4, v1
	ds_bpermute_b32 v4, v4, v2
	s_waitcnt lgkmcnt(0)
	v_add_f64 v[1:2], v[1:2], v[3:4]
	v_cndmask_b32_e64 v3, 0, 4, s0
	v_cmp_gt_u32_e64 s0, 30, v8
	v_add_lshl_u32 v6, v3, v8, 2
	ds_bpermute_b32 v3, v6, v1
	ds_bpermute_b32 v4, v6, v2
	s_waitcnt lgkmcnt(0)
	v_add_f64 v[1:2], v[1:2], v[3:4]
	v_cndmask_b32_e64 v3, 0, 2, s0
	v_cmp_ne_u32_e64 s0, 31, v8
	v_add_lshl_u32 v7, v3, v8, 2
	ds_bpermute_b32 v3, v7, v1
	ds_bpermute_b32 v4, v7, v2
	s_waitcnt lgkmcnt(0)
	v_add_f64 v[1:2], v[1:2], v[3:4]
	v_add_co_ci_u32_e64 v3, null, 0, v8, s0
	v_lshlrev_b32_e32 v8, 2, v3
	ds_bpermute_b32 v3, v8, v1
	ds_bpermute_b32 v4, v8, v2
	v_cmpx_eq_u32_e32 0, v9
	s_cbranch_execz .LBB80_19
; %bb.18:
	s_waitcnt lgkmcnt(0)
	v_add_f64 v[1:2], v[1:2], v[3:4]
	v_lshrrev_b32_e32 v3, 2, v0
	v_and_b32_e32 v3, 56, v3
	ds_write_b64 v3, v[1:2]
.LBB80_19:
	s_or_b32 exec_lo, exec_lo, s4
	s_waitcnt lgkmcnt(0)
	v_mov_b32_e32 v3, 0
	v_mov_b32_e32 v4, 0
	s_mov_b32 s4, exec_lo
	s_barrier
	buffer_gl0_inv
	v_cmpx_gt_u32_e32 8, v0
; %bb.20:
	ds_read_b64 v[3:4], v5
; %bb.21:
	s_or_b32 exec_lo, exec_lo, s4
	s_and_saveexec_b32 s0, vcc_lo
	s_cbranch_execz .LBB80_23
; %bb.22:
	s_waitcnt lgkmcnt(0)
	ds_bpermute_b32 v1, v6, v3
	ds_bpermute_b32 v2, v6, v4
	s_waitcnt lgkmcnt(0)
	v_add_f64 v[1:2], v[3:4], v[1:2]
	ds_bpermute_b32 v3, v7, v1
	ds_bpermute_b32 v4, v7, v2
	s_waitcnt lgkmcnt(0)
	v_add_f64 v[1:2], v[1:2], v[3:4]
	;; [unrolled: 4-line block ×3, first 2 shown]
.LBB80_23:
	s_or_b32 exec_lo, exec_lo, s0
	s_mov_b32 s0, exec_lo
                                        ; implicit-def: $vgpr1_vgpr2
                                        ; implicit-def: $sgpr12_sgpr13
	v_cmpx_eq_u32_e32 0, v0
	s_cbranch_execz .LBB80_27
; %bb.24:
	v_cmp_eq_f64_e64 s4, s[10:11], 0
	s_waitcnt lgkmcnt(0)
	v_mul_f64 v[1:2], s[2:3], v[3:4]
	s_mul_i32 s12, s16, s6
	s_ashr_i32 s13, s12, 31
	s_and_b32 vcc_lo, exec_lo, s4
	s_cbranch_vccnz .LBB80_26
; %bb.25:
	s_lshl_b64 s[2:3], s[12:13], 3
	s_add_u32 s2, s1, s2
	s_addc_u32 s3, s14, s3
	s_load_dwordx2 s[2:3], s[2:3], 0x0
	s_waitcnt lgkmcnt(0)
	v_fma_f64 v[1:2], s[10:11], s[2:3], v[1:2]
.LBB80_26:
	s_or_b32 s15, s15, exec_lo
.LBB80_27:
	s_or_b32 exec_lo, exec_lo, s0
.LBB80_28:
	s_and_saveexec_b32 s0, s15
	s_cbranch_execz .LBB80_30
; %bb.29:
	s_lshl_b64 s[2:3], s[12:13], 3
	v_mov_b32_e32 v0, 0
	s_add_u32 s0, s1, s2
	s_addc_u32 s1, s14, s3
	global_store_dwordx2 v0, v[1:2], s[0:1]
.LBB80_30:
	s_endpgm
	.section	.rodata,"a",@progbits
	.p2align	6, 0x0
	.amdhsa_kernel _ZL32rocblas_gemvt_warp_reduce_kernelILb0ELi256EidddEviiT3_lPKT2_lT1_lS3_lS4_lS0_lPT4_lS4_li
		.amdhsa_group_segment_fixed_size 256
		.amdhsa_private_segment_fixed_size 0
		.amdhsa_kernarg_size 140
		.amdhsa_user_sgpr_count 6
		.amdhsa_user_sgpr_private_segment_buffer 1
		.amdhsa_user_sgpr_dispatch_ptr 0
		.amdhsa_user_sgpr_queue_ptr 0
		.amdhsa_user_sgpr_kernarg_segment_ptr 1
		.amdhsa_user_sgpr_dispatch_id 0
		.amdhsa_user_sgpr_flat_scratch_init 0
		.amdhsa_user_sgpr_private_segment_size 0
		.amdhsa_wavefront_size32 1
		.amdhsa_uses_dynamic_stack 0
		.amdhsa_system_sgpr_private_segment_wavefront_offset 0
		.amdhsa_system_sgpr_workgroup_id_x 1
		.amdhsa_system_sgpr_workgroup_id_y 0
		.amdhsa_system_sgpr_workgroup_id_z 1
		.amdhsa_system_sgpr_workgroup_info 0
		.amdhsa_system_vgpr_workitem_id 0
		.amdhsa_next_free_vgpr 14
		.amdhsa_next_free_sgpr 28
		.amdhsa_reserve_vcc 1
		.amdhsa_reserve_flat_scratch 0
		.amdhsa_float_round_mode_32 0
		.amdhsa_float_round_mode_16_64 0
		.amdhsa_float_denorm_mode_32 3
		.amdhsa_float_denorm_mode_16_64 3
		.amdhsa_dx10_clamp 1
		.amdhsa_ieee_mode 1
		.amdhsa_fp16_overflow 0
		.amdhsa_workgroup_processor_mode 1
		.amdhsa_memory_ordered 1
		.amdhsa_forward_progress 1
		.amdhsa_shared_vgpr_count 0
		.amdhsa_exception_fp_ieee_invalid_op 0
		.amdhsa_exception_fp_denorm_src 0
		.amdhsa_exception_fp_ieee_div_zero 0
		.amdhsa_exception_fp_ieee_overflow 0
		.amdhsa_exception_fp_ieee_underflow 0
		.amdhsa_exception_fp_ieee_inexact 0
		.amdhsa_exception_int_div_zero 0
	.end_amdhsa_kernel
	.section	.text._ZL32rocblas_gemvt_warp_reduce_kernelILb0ELi256EidddEviiT3_lPKT2_lT1_lS3_lS4_lS0_lPT4_lS4_li,"axG",@progbits,_ZL32rocblas_gemvt_warp_reduce_kernelILb0ELi256EidddEviiT3_lPKT2_lT1_lS3_lS4_lS0_lPT4_lS4_li,comdat
.Lfunc_end80:
	.size	_ZL32rocblas_gemvt_warp_reduce_kernelILb0ELi256EidddEviiT3_lPKT2_lT1_lS3_lS4_lS0_lPT4_lS4_li, .Lfunc_end80-_ZL32rocblas_gemvt_warp_reduce_kernelILb0ELi256EidddEviiT3_lPKT2_lT1_lS3_lS4_lS0_lPT4_lS4_li
                                        ; -- End function
	.set _ZL32rocblas_gemvt_warp_reduce_kernelILb0ELi256EidddEviiT3_lPKT2_lT1_lS3_lS4_lS0_lPT4_lS4_li.num_vgpr, 14
	.set _ZL32rocblas_gemvt_warp_reduce_kernelILb0ELi256EidddEviiT3_lPKT2_lT1_lS3_lS4_lS0_lPT4_lS4_li.num_agpr, 0
	.set _ZL32rocblas_gemvt_warp_reduce_kernelILb0ELi256EidddEviiT3_lPKT2_lT1_lS3_lS4_lS0_lPT4_lS4_li.numbered_sgpr, 28
	.set _ZL32rocblas_gemvt_warp_reduce_kernelILb0ELi256EidddEviiT3_lPKT2_lT1_lS3_lS4_lS0_lPT4_lS4_li.num_named_barrier, 0
	.set _ZL32rocblas_gemvt_warp_reduce_kernelILb0ELi256EidddEviiT3_lPKT2_lT1_lS3_lS4_lS0_lPT4_lS4_li.private_seg_size, 0
	.set _ZL32rocblas_gemvt_warp_reduce_kernelILb0ELi256EidddEviiT3_lPKT2_lT1_lS3_lS4_lS0_lPT4_lS4_li.uses_vcc, 1
	.set _ZL32rocblas_gemvt_warp_reduce_kernelILb0ELi256EidddEviiT3_lPKT2_lT1_lS3_lS4_lS0_lPT4_lS4_li.uses_flat_scratch, 0
	.set _ZL32rocblas_gemvt_warp_reduce_kernelILb0ELi256EidddEviiT3_lPKT2_lT1_lS3_lS4_lS0_lPT4_lS4_li.has_dyn_sized_stack, 0
	.set _ZL32rocblas_gemvt_warp_reduce_kernelILb0ELi256EidddEviiT3_lPKT2_lT1_lS3_lS4_lS0_lPT4_lS4_li.has_recursion, 0
	.set _ZL32rocblas_gemvt_warp_reduce_kernelILb0ELi256EidddEviiT3_lPKT2_lT1_lS3_lS4_lS0_lPT4_lS4_li.has_indirect_call, 0
	.section	.AMDGPU.csdata,"",@progbits
; Kernel info:
; codeLenInByte = 1404
; TotalNumSgprs: 30
; NumVgprs: 14
; ScratchSize: 0
; MemoryBound: 0
; FloatMode: 240
; IeeeMode: 1
; LDSByteSize: 256 bytes/workgroup (compile time only)
; SGPRBlocks: 0
; VGPRBlocks: 1
; NumSGPRsForWavesPerEU: 30
; NumVGPRsForWavesPerEU: 14
; Occupancy: 16
; WaveLimiterHint : 1
; COMPUTE_PGM_RSRC2:SCRATCH_EN: 0
; COMPUTE_PGM_RSRC2:USER_SGPR: 6
; COMPUTE_PGM_RSRC2:TRAP_HANDLER: 0
; COMPUTE_PGM_RSRC2:TGID_X_EN: 1
; COMPUTE_PGM_RSRC2:TGID_Y_EN: 0
; COMPUTE_PGM_RSRC2:TGID_Z_EN: 1
; COMPUTE_PGM_RSRC2:TIDIG_COMP_CNT: 0
	.section	.text._ZL32rocblas_gemvt_warp_reduce_kernelILb0ELi256EldddEviiT3_lPKT2_lT1_lS3_lS4_lS0_lPT4_lS4_li,"axG",@progbits,_ZL32rocblas_gemvt_warp_reduce_kernelILb0ELi256EldddEviiT3_lPKT2_lT1_lS3_lS4_lS0_lPT4_lS4_li,comdat
	.globl	_ZL32rocblas_gemvt_warp_reduce_kernelILb0ELi256EldddEviiT3_lPKT2_lT1_lS3_lS4_lS0_lPT4_lS4_li ; -- Begin function _ZL32rocblas_gemvt_warp_reduce_kernelILb0ELi256EldddEviiT3_lPKT2_lT1_lS3_lS4_lS0_lPT4_lS4_li
	.p2align	8
	.type	_ZL32rocblas_gemvt_warp_reduce_kernelILb0ELi256EldddEviiT3_lPKT2_lT1_lS3_lS4_lS0_lPT4_lS4_li,@function
_ZL32rocblas_gemvt_warp_reduce_kernelILb0ELi256EldddEviiT3_lPKT2_lT1_lS3_lS4_lS0_lPT4_lS4_li: ; @_ZL32rocblas_gemvt_warp_reduce_kernelILb0ELi256EldddEviiT3_lPKT2_lT1_lS3_lS4_lS0_lPT4_lS4_li
; %bb.0:
	s_clause 0x1
	s_load_dwordx2 s[28:29], s[4:5], 0x8
	s_load_dwordx2 s[2:3], s[4:5], 0x58
	s_waitcnt lgkmcnt(0)
	v_cmp_eq_f64_e64 s0, s[28:29], 0
	v_cmp_eq_f64_e64 s1, s[2:3], 1.0
	s_and_b32 s0, s0, s1
	s_and_b32 vcc_lo, exec_lo, s0
	s_cbranch_vccnz .LBB81_30
; %bb.1:
	s_load_dwordx8 s[20:27], s[4:5], 0x68
	v_cmp_neq_f64_e64 s10, s[28:29], 0
	s_waitcnt lgkmcnt(0)
	s_mul_i32 s1, s27, s7
	s_mul_hi_u32 s8, s26, s7
	s_mul_i32 s0, s26, s7
	s_add_i32 s1, s8, s1
	s_mov_b32 s27, 0
	s_lshl_b64 s[0:1], s[0:1], 3
	s_add_u32 s0, s20, s0
	s_addc_u32 s11, s21, s1
	s_lshl_b64 s[8:9], s[22:23], 3
	s_add_u32 s1, s0, s8
	v_cmp_eq_u32_e64 s0, 0, v0
	s_addc_u32 s26, s11, s9
	s_and_b32 vcc_lo, exec_lo, s10
	s_cbranch_vccnz .LBB81_5
; %bb.2:
	s_mov_b32 s10, 0
                                        ; implicit-def: $vgpr1_vgpr2
                                        ; implicit-def: $sgpr8_sgpr9
	s_and_saveexec_b32 s11, s0
	s_cbranch_execz .LBB81_6
; %bb.3:
	v_cmp_eq_f64_e64 s0, s[2:3], 0
	s_ashr_i32 s8, s6, 31
	s_mul_hi_u32 s9, s24, s6
	s_mul_i32 s8, s24, s8
	s_add_i32 s8, s9, s8
	s_mul_i32 s9, s25, s6
	s_add_i32 s9, s8, s9
	s_mul_i32 s8, s24, s6
	s_and_b32 vcc_lo, exec_lo, s0
	s_cbranch_vccnz .LBB81_7
; %bb.4:
	s_lshl_b64 s[12:13], s[8:9], 3
	s_add_u32 s12, s1, s12
	s_addc_u32 s13, s26, s13
	s_load_dwordx2 s[12:13], s[12:13], 0x0
	s_waitcnt lgkmcnt(0)
	v_mul_f64 v[1:2], s[2:3], s[12:13]
	s_branch .LBB81_8
.LBB81_5:
                                        ; implicit-def: $vgpr1_vgpr2
                                        ; implicit-def: $sgpr8_sgpr9
	s_cbranch_execnz .LBB81_9
	s_branch .LBB81_28
.LBB81_6:
	s_or_b32 exec_lo, exec_lo, s11
	s_and_b32 vcc_lo, exec_lo, s10
	s_cbranch_vccnz .LBB81_9
	s_branch .LBB81_28
.LBB81_7:
	v_mov_b32_e32 v1, 0
	v_mov_b32_e32 v2, 0
.LBB81_8:
	s_mov_b32 s27, exec_lo
	s_or_b32 exec_lo, exec_lo, s11
	s_and_b32 vcc_lo, exec_lo, s10
	s_cbranch_vccz .LBB81_28
.LBB81_9:
	s_clause 0x1
	s_load_dwordx16 s[8:23], s[4:5], 0x18
	s_load_dword s30, s[4:5], 0x0
	v_mov_b32_e32 v1, 0
	v_mov_b32_e32 v2, 0
	s_waitcnt lgkmcnt(0)
	s_mul_i32 s5, s15, s7
	v_cmp_gt_i32_e32 vcc_lo, s30, v0
	s_mul_hi_u32 s15, s14, s7
	s_mul_i32 s4, s14, s7
	s_add_i32 s5, s15, s5
	s_mul_i32 s0, s23, s7
	v_cndmask_b32_e32 v3, 0, v0, vcc_lo
	s_mul_hi_u32 s23, s22, s7
	s_lshl_b64 s[34:35], s[4:5], 3
	s_add_i32 s5, s23, s0
	s_add_u32 s0, s8, s34
	v_lshlrev_b32_e32 v3, 3, v3
	s_addc_u32 s4, s9, s35
	s_lshl_b64 s[8:9], s[10:11], 3
	s_mul_i32 s33, s13, s6
	s_add_u32 s0, s0, s8
	s_addc_u32 s4, s4, s9
	s_ashr_i32 s13, s6, 31
	v_add_co_u32 v3, s0, s0, v3
	s_mul_hi_u32 s31, s12, s6
	v_add_co_ci_u32_e64 v4, null, s4, 0, s0
	s_mul_i32 s0, s12, s13
	s_mul_i32 s14, s12, s6
	s_add_i32 s0, s31, s0
	s_ashr_i32 s8, s30, 31
	s_add_i32 s15, s0, s33
	s_lshr_b32 s4, s8, 24
	s_lshl_b64 s[10:11], s[14:15], 3
	s_add_i32 s4, s30, s4
	v_add_co_u32 v3, vcc_lo, v3, s10
	v_add_co_ci_u32_e64 v4, null, s11, v4, vcc_lo
	s_and_b32 s8, s4, 0xffffff00
	s_mul_i32 s4, s22, s7
	s_mov_b32 s9, 0
	s_mov_b32 s7, exec_lo
	v_cmpx_gt_i32_e64 s8, v0
	s_cbranch_execz .LBB81_13
; %bb.10:
	v_mad_u64_u32 v[7:8], null, s20, v0, 0
	s_lshl_b64 s[14:15], s[18:19], 3
	s_lshl_b64 s[10:11], s[4:5], 3
	s_add_u32 s0, s16, s14
	s_addc_u32 s12, s17, s15
	s_add_u32 s0, s0, s10
	s_addc_u32 s10, s12, s11
	v_mov_b32_e32 v1, v8
	v_mov_b32_e32 v6, v4
	;; [unrolled: 1-line block ×4, first 2 shown]
	v_mad_u64_u32 v[1:2], null, s21, v0, v[1:2]
	v_mov_b32_e32 v8, v1
	v_mov_b32_e32 v1, 0
	;; [unrolled: 1-line block ×3, first 2 shown]
	v_lshlrev_b64 v[7:8], 3, v[7:8]
	v_add_co_u32 v7, vcc_lo, s0, v7
	v_add_co_ci_u32_e64 v8, null, s10, v8, vcc_lo
	s_lshl_b64 s[10:11], s[20:21], 11
	.p2align	6
.LBB81_11:                              ; =>This Inner Loop Header: Depth=1
	global_load_dwordx2 v[10:11], v[5:6], off
	global_load_dwordx2 v[12:13], v[7:8], off
	v_add_nc_u32_e32 v9, 0x100, v9
	v_add_co_u32 v5, vcc_lo, 0x800, v5
	v_add_co_ci_u32_e64 v6, null, 0, v6, vcc_lo
	v_cmp_le_i32_e32 vcc_lo, s8, v9
	v_add_co_u32 v7, s0, v7, s10
	v_add_co_ci_u32_e64 v8, null, s11, v8, s0
	s_or_b32 s9, vcc_lo, s9
	s_waitcnt vmcnt(0)
	v_fma_f64 v[1:2], v[10:11], v[12:13], v[1:2]
	s_andn2_b32 exec_lo, exec_lo, s9
	s_cbranch_execnz .LBB81_11
; %bb.12:
	s_or_b32 exec_lo, exec_lo, s9
.LBB81_13:
	s_or_b32 exec_lo, exec_lo, s7
	v_add_nc_u32_e32 v5, s8, v0
	s_mov_b32 s0, exec_lo
	v_cmpx_gt_i32_e64 s30, v5
	s_cbranch_execz .LBB81_15
; %bb.14:
	v_ashrrev_i32_e32 v7, 31, v5
	v_mul_lo_u32 v8, s21, v5
	v_mad_u64_u32 v[5:6], null, s20, v5, 0
	s_lshl_b64 s[4:5], s[4:5], 3
	v_mul_lo_u32 v7, s20, v7
	s_add_u32 s7, s16, s4
	s_addc_u32 s9, s17, s5
	s_lshl_b64 s[4:5], s[18:19], 3
	s_add_u32 s7, s7, s4
	s_addc_u32 s10, s9, s5
	s_ashr_i32 s9, s8, 31
	v_add3_u32 v6, v6, v7, v8
	s_lshl_b64 s[4:5], s[8:9], 3
	v_add_co_u32 v3, vcc_lo, v3, s4
	v_lshlrev_b64 v[5:6], 3, v[5:6]
	v_add_co_ci_u32_e64 v4, null, s5, v4, vcc_lo
	v_add_co_u32 v5, vcc_lo, s7, v5
	v_add_co_ci_u32_e64 v6, null, s10, v6, vcc_lo
	global_load_dwordx2 v[3:4], v[3:4], off
	global_load_dwordx2 v[5:6], v[5:6], off
	s_waitcnt vmcnt(0)
	v_fma_f64 v[1:2], v[3:4], v[5:6], v[1:2]
.LBB81_15:
	s_or_b32 exec_lo, exec_lo, s0
	v_and_b32_e32 v9, 31, v0
	v_cmp_gt_u32_e32 vcc_lo, 32, v0
	v_lshlrev_b32_e32 v5, 3, v9
	s_and_saveexec_b32 s0, vcc_lo
; %bb.16:
	v_mov_b32_e32 v3, 0
	v_mov_b32_e32 v4, v3
	ds_write_b64 v5, v[3:4]
; %bb.17:
	s_or_b32 exec_lo, exec_lo, s0
	v_mbcnt_lo_u32_b32 v8, -1, 0
	s_mov_b32 s4, exec_lo
	s_waitcnt lgkmcnt(0)
	s_barrier
	buffer_gl0_inv
	v_lshl_or_b32 v4, v8, 2, 64
	v_cmp_gt_u32_e64 s0, 24, v8
	ds_bpermute_b32 v3, v4, v1
	ds_bpermute_b32 v4, v4, v2
	s_waitcnt lgkmcnt(0)
	v_add_f64 v[1:2], v[1:2], v[3:4]
	v_cndmask_b32_e64 v3, 0, 8, s0
	v_cmp_gt_u32_e64 s0, 28, v8
	v_add_lshl_u32 v4, v3, v8, 2
	ds_bpermute_b32 v3, v4, v1
	ds_bpermute_b32 v4, v4, v2
	s_waitcnt lgkmcnt(0)
	v_add_f64 v[1:2], v[1:2], v[3:4]
	v_cndmask_b32_e64 v3, 0, 4, s0
	v_cmp_gt_u32_e64 s0, 30, v8
	v_add_lshl_u32 v6, v3, v8, 2
	ds_bpermute_b32 v3, v6, v1
	ds_bpermute_b32 v4, v6, v2
	s_waitcnt lgkmcnt(0)
	v_add_f64 v[1:2], v[1:2], v[3:4]
	v_cndmask_b32_e64 v3, 0, 2, s0
	v_cmp_ne_u32_e64 s0, 31, v8
	v_add_lshl_u32 v7, v3, v8, 2
	ds_bpermute_b32 v3, v7, v1
	ds_bpermute_b32 v4, v7, v2
	s_waitcnt lgkmcnt(0)
	v_add_f64 v[1:2], v[1:2], v[3:4]
	v_add_co_ci_u32_e64 v3, null, 0, v8, s0
	v_lshlrev_b32_e32 v8, 2, v3
	ds_bpermute_b32 v3, v8, v1
	ds_bpermute_b32 v4, v8, v2
	v_cmpx_eq_u32_e32 0, v9
	s_cbranch_execz .LBB81_19
; %bb.18:
	s_waitcnt lgkmcnt(0)
	v_add_f64 v[1:2], v[1:2], v[3:4]
	v_lshrrev_b32_e32 v3, 2, v0
	v_and_b32_e32 v3, 56, v3
	ds_write_b64 v3, v[1:2]
.LBB81_19:
	s_or_b32 exec_lo, exec_lo, s4
	s_waitcnt lgkmcnt(0)
	v_mov_b32_e32 v3, 0
	v_mov_b32_e32 v4, 0
	s_mov_b32 s4, exec_lo
	s_barrier
	buffer_gl0_inv
	v_cmpx_gt_u32_e32 8, v0
; %bb.20:
	ds_read_b64 v[3:4], v5
; %bb.21:
	s_or_b32 exec_lo, exec_lo, s4
	s_and_saveexec_b32 s0, vcc_lo
	s_cbranch_execz .LBB81_23
; %bb.22:
	s_waitcnt lgkmcnt(0)
	ds_bpermute_b32 v1, v6, v3
	ds_bpermute_b32 v2, v6, v4
	s_waitcnt lgkmcnt(0)
	v_add_f64 v[1:2], v[3:4], v[1:2]
	ds_bpermute_b32 v3, v7, v1
	ds_bpermute_b32 v4, v7, v2
	s_waitcnt lgkmcnt(0)
	v_add_f64 v[1:2], v[1:2], v[3:4]
	;; [unrolled: 4-line block ×3, first 2 shown]
.LBB81_23:
	s_or_b32 exec_lo, exec_lo, s0
	s_mov_b32 s0, exec_lo
                                        ; implicit-def: $vgpr1_vgpr2
                                        ; implicit-def: $sgpr8_sgpr9
	v_cmpx_eq_u32_e32 0, v0
	s_cbranch_execz .LBB81_27
; %bb.24:
	v_cmp_eq_f64_e64 s4, s[2:3], 0
	s_waitcnt lgkmcnt(0)
	v_mul_f64 v[1:2], s[28:29], v[3:4]
	s_mul_i32 s5, s24, s13
	s_mul_hi_u32 s7, s24, s6
	s_mul_i32 s8, s24, s6
	s_add_i32 s5, s7, s5
	s_mul_i32 s7, s25, s6
	s_add_i32 s9, s5, s7
	s_and_b32 vcc_lo, exec_lo, s4
	s_cbranch_vccnz .LBB81_26
; %bb.25:
	s_lshl_b64 s[4:5], s[8:9], 3
	s_add_u32 s4, s1, s4
	s_addc_u32 s5, s26, s5
	s_load_dwordx2 s[4:5], s[4:5], 0x0
	s_waitcnt lgkmcnt(0)
	v_fma_f64 v[1:2], s[2:3], s[4:5], v[1:2]
.LBB81_26:
	s_or_b32 s27, s27, exec_lo
.LBB81_27:
	s_or_b32 exec_lo, exec_lo, s0
.LBB81_28:
	s_and_saveexec_b32 s0, s27
	s_cbranch_execz .LBB81_30
; %bb.29:
	s_lshl_b64 s[2:3], s[8:9], 3
	v_mov_b32_e32 v0, 0
	s_add_u32 s0, s1, s2
	s_addc_u32 s1, s26, s3
	global_store_dwordx2 v0, v[1:2], s[0:1]
.LBB81_30:
	s_endpgm
	.section	.rodata,"a",@progbits
	.p2align	6, 0x0
	.amdhsa_kernel _ZL32rocblas_gemvt_warp_reduce_kernelILb0ELi256EldddEviiT3_lPKT2_lT1_lS3_lS4_lS0_lPT4_lS4_li
		.amdhsa_group_segment_fixed_size 256
		.amdhsa_private_segment_fixed_size 0
		.amdhsa_kernarg_size 140
		.amdhsa_user_sgpr_count 6
		.amdhsa_user_sgpr_private_segment_buffer 1
		.amdhsa_user_sgpr_dispatch_ptr 0
		.amdhsa_user_sgpr_queue_ptr 0
		.amdhsa_user_sgpr_kernarg_segment_ptr 1
		.amdhsa_user_sgpr_dispatch_id 0
		.amdhsa_user_sgpr_flat_scratch_init 0
		.amdhsa_user_sgpr_private_segment_size 0
		.amdhsa_wavefront_size32 1
		.amdhsa_uses_dynamic_stack 0
		.amdhsa_system_sgpr_private_segment_wavefront_offset 0
		.amdhsa_system_sgpr_workgroup_id_x 1
		.amdhsa_system_sgpr_workgroup_id_y 0
		.amdhsa_system_sgpr_workgroup_id_z 1
		.amdhsa_system_sgpr_workgroup_info 0
		.amdhsa_system_vgpr_workitem_id 0
		.amdhsa_next_free_vgpr 14
		.amdhsa_next_free_sgpr 36
		.amdhsa_reserve_vcc 1
		.amdhsa_reserve_flat_scratch 0
		.amdhsa_float_round_mode_32 0
		.amdhsa_float_round_mode_16_64 0
		.amdhsa_float_denorm_mode_32 3
		.amdhsa_float_denorm_mode_16_64 3
		.amdhsa_dx10_clamp 1
		.amdhsa_ieee_mode 1
		.amdhsa_fp16_overflow 0
		.amdhsa_workgroup_processor_mode 1
		.amdhsa_memory_ordered 1
		.amdhsa_forward_progress 1
		.amdhsa_shared_vgpr_count 0
		.amdhsa_exception_fp_ieee_invalid_op 0
		.amdhsa_exception_fp_denorm_src 0
		.amdhsa_exception_fp_ieee_div_zero 0
		.amdhsa_exception_fp_ieee_overflow 0
		.amdhsa_exception_fp_ieee_underflow 0
		.amdhsa_exception_fp_ieee_inexact 0
		.amdhsa_exception_int_div_zero 0
	.end_amdhsa_kernel
	.section	.text._ZL32rocblas_gemvt_warp_reduce_kernelILb0ELi256EldddEviiT3_lPKT2_lT1_lS3_lS4_lS0_lPT4_lS4_li,"axG",@progbits,_ZL32rocblas_gemvt_warp_reduce_kernelILb0ELi256EldddEviiT3_lPKT2_lT1_lS3_lS4_lS0_lPT4_lS4_li,comdat
.Lfunc_end81:
	.size	_ZL32rocblas_gemvt_warp_reduce_kernelILb0ELi256EldddEviiT3_lPKT2_lT1_lS3_lS4_lS0_lPT4_lS4_li, .Lfunc_end81-_ZL32rocblas_gemvt_warp_reduce_kernelILb0ELi256EldddEviiT3_lPKT2_lT1_lS3_lS4_lS0_lPT4_lS4_li
                                        ; -- End function
	.set _ZL32rocblas_gemvt_warp_reduce_kernelILb0ELi256EldddEviiT3_lPKT2_lT1_lS3_lS4_lS0_lPT4_lS4_li.num_vgpr, 14
	.set _ZL32rocblas_gemvt_warp_reduce_kernelILb0ELi256EldddEviiT3_lPKT2_lT1_lS3_lS4_lS0_lPT4_lS4_li.num_agpr, 0
	.set _ZL32rocblas_gemvt_warp_reduce_kernelILb0ELi256EldddEviiT3_lPKT2_lT1_lS3_lS4_lS0_lPT4_lS4_li.numbered_sgpr, 36
	.set _ZL32rocblas_gemvt_warp_reduce_kernelILb0ELi256EldddEviiT3_lPKT2_lT1_lS3_lS4_lS0_lPT4_lS4_li.num_named_barrier, 0
	.set _ZL32rocblas_gemvt_warp_reduce_kernelILb0ELi256EldddEviiT3_lPKT2_lT1_lS3_lS4_lS0_lPT4_lS4_li.private_seg_size, 0
	.set _ZL32rocblas_gemvt_warp_reduce_kernelILb0ELi256EldddEviiT3_lPKT2_lT1_lS3_lS4_lS0_lPT4_lS4_li.uses_vcc, 1
	.set _ZL32rocblas_gemvt_warp_reduce_kernelILb0ELi256EldddEviiT3_lPKT2_lT1_lS3_lS4_lS0_lPT4_lS4_li.uses_flat_scratch, 0
	.set _ZL32rocblas_gemvt_warp_reduce_kernelILb0ELi256EldddEviiT3_lPKT2_lT1_lS3_lS4_lS0_lPT4_lS4_li.has_dyn_sized_stack, 0
	.set _ZL32rocblas_gemvt_warp_reduce_kernelILb0ELi256EldddEviiT3_lPKT2_lT1_lS3_lS4_lS0_lPT4_lS4_li.has_recursion, 0
	.set _ZL32rocblas_gemvt_warp_reduce_kernelILb0ELi256EldddEviiT3_lPKT2_lT1_lS3_lS4_lS0_lPT4_lS4_li.has_indirect_call, 0
	.section	.AMDGPU.csdata,"",@progbits
; Kernel info:
; codeLenInByte = 1448
; TotalNumSgprs: 38
; NumVgprs: 14
; ScratchSize: 0
; MemoryBound: 0
; FloatMode: 240
; IeeeMode: 1
; LDSByteSize: 256 bytes/workgroup (compile time only)
; SGPRBlocks: 0
; VGPRBlocks: 1
; NumSGPRsForWavesPerEU: 38
; NumVGPRsForWavesPerEU: 14
; Occupancy: 16
; WaveLimiterHint : 1
; COMPUTE_PGM_RSRC2:SCRATCH_EN: 0
; COMPUTE_PGM_RSRC2:USER_SGPR: 6
; COMPUTE_PGM_RSRC2:TRAP_HANDLER: 0
; COMPUTE_PGM_RSRC2:TGID_X_EN: 1
; COMPUTE_PGM_RSRC2:TGID_Y_EN: 0
; COMPUTE_PGM_RSRC2:TGID_Z_EN: 1
; COMPUTE_PGM_RSRC2:TIDIG_COMP_CNT: 0
	.section	.text._ZL20rocblas_gemvt_kernelILb0ELi256EdPKddEviiT2_lPKT1_lilS5_lilS2_lPT3_lili,"axG",@progbits,_ZL20rocblas_gemvt_kernelILb0ELi256EdPKddEviiT2_lPKT1_lilS5_lilS2_lPT3_lili,comdat
	.globl	_ZL20rocblas_gemvt_kernelILb0ELi256EdPKddEviiT2_lPKT1_lilS5_lilS2_lPT3_lili ; -- Begin function _ZL20rocblas_gemvt_kernelILb0ELi256EdPKddEviiT2_lPKT1_lilS5_lilS2_lPT3_lili
	.p2align	8
	.type	_ZL20rocblas_gemvt_kernelILb0ELi256EdPKddEviiT2_lPKT1_lilS5_lilS2_lPT3_lili,@function
_ZL20rocblas_gemvt_kernelILb0ELi256EdPKddEviiT2_lPKT1_lilS5_lilS2_lPT3_lili: ; @_ZL20rocblas_gemvt_kernelILb0ELi256EdPKddEviiT2_lPKT1_lilS5_lilS2_lPT3_lili
; %bb.0:
	s_clause 0x1
	s_load_dwordx8 s[8:15], s[4:5], 0x8
	s_load_dwordx8 s[16:23], s[4:5], 0x50
	s_waitcnt lgkmcnt(0)
	s_mul_i32 s1, s11, s7
	s_mul_hi_u32 s2, s10, s7
	s_mul_i32 s0, s10, s7
	s_add_i32 s1, s2, s1
	s_mul_i32 s2, s21, s7
	s_lshl_b64 s[0:1], s[0:1], 3
	s_mul_hi_u32 s3, s20, s7
	s_add_u32 s0, s8, s0
	s_addc_u32 s1, s9, s1
	s_add_i32 s3, s3, s2
	s_mul_i32 s2, s20, s7
	s_lshl_b64 s[2:3], s[2:3], 3
	s_add_u32 s2, s18, s2
	s_addc_u32 s3, s19, s3
	s_load_dwordx2 s[10:11], s[0:1], 0x0
	s_load_dwordx2 s[8:9], s[2:3], 0x0
	s_waitcnt lgkmcnt(0)
	v_cmp_eq_f64_e64 s0, s[10:11], 0
	v_cmp_eq_f64_e64 s1, s[8:9], 1.0
	s_and_b32 s0, s0, s1
	s_and_b32 vcc_lo, exec_lo, s0
	s_cbranch_vccnz .LBB82_37
; %bb.1:
	s_clause 0x1
	s_load_dwordx2 s[0:1], s[4:5], 0x80
	s_load_dwordx2 s[2:3], s[4:5], 0x70
	v_cmp_neq_f64_e64 s18, s[10:11], 0
	s_load_dword s24, s[4:5], 0x78
	s_waitcnt lgkmcnt(0)
	s_mul_i32 s1, s1, s7
	s_mul_hi_u32 s19, s0, s7
	s_mul_i32 s0, s0, s7
	s_add_i32 s1, s19, s1
	s_lshl_b64 s[0:1], s[0:1], 3
	s_add_u32 s19, s22, s0
	s_addc_u32 s21, s23, s1
	s_lshl_b64 s[0:1], s[2:3], 3
	s_mov_b32 s22, 0
	s_add_u32 s20, s19, s0
	v_cmp_eq_u32_e64 s0, 0, v0
	s_addc_u32 s21, s21, s1
	s_and_b32 vcc_lo, exec_lo, s18
	s_cbranch_vccnz .LBB82_5
; %bb.2:
	s_mov_b32 s1, 0
                                        ; implicit-def: $vgpr1_vgpr2
                                        ; implicit-def: $sgpr2_sgpr3
	s_and_saveexec_b32 s18, s0
	s_cbranch_execz .LBB82_6
; %bb.3:
	v_cmp_eq_f64_e64 s0, s[8:9], 0
	s_mul_hi_i32 s3, s24, s6
	s_mul_i32 s2, s24, s6
	s_and_b32 vcc_lo, exec_lo, s0
	s_cbranch_vccnz .LBB82_7
; %bb.4:
	s_lshl_b64 s[22:23], s[2:3], 3
	s_add_u32 s22, s20, s22
	s_addc_u32 s23, s21, s23
	s_load_dwordx2 s[22:23], s[22:23], 0x0
	s_waitcnt lgkmcnt(0)
	v_mul_f64 v[1:2], s[8:9], s[22:23]
	s_branch .LBB82_8
.LBB82_5:
                                        ; implicit-def: $vgpr1_vgpr2
                                        ; implicit-def: $sgpr2_sgpr3
	s_cbranch_execnz .LBB82_9
	s_branch .LBB82_35
.LBB82_6:
	s_or_b32 exec_lo, exec_lo, s18
	s_and_b32 vcc_lo, exec_lo, s1
	s_cbranch_vccnz .LBB82_9
	s_branch .LBB82_35
.LBB82_7:
	v_mov_b32_e32 v1, 0
	v_mov_b32_e32 v2, 0
.LBB82_8:
	s_mov_b32 s22, exec_lo
	s_or_b32 exec_lo, exec_lo, s18
	s_and_b32 vcc_lo, exec_lo, s1
	s_cbranch_vccz .LBB82_35
.LBB82_9:
	s_clause 0x4
	s_load_dwordx4 s[0:3], s[4:5], 0x30
	s_load_dword s23, s[4:5], 0x0
	s_load_dword s25, s[4:5], 0x28
	s_load_dwordx2 s[18:19], s[4:5], 0x40
	s_load_dword s4, s[4:5], 0x48
	s_mul_i32 s17, s17, s7
	s_mul_hi_u32 s26, s16, s7
	s_mul_i32 s16, s16, s7
	s_add_i32 s17, s26, s17
	v_mov_b32_e32 v1, 0
	v_mov_b32_e32 v2, 0
	s_waitcnt lgkmcnt(0)
	s_mul_i32 s1, s1, s7
	v_cmp_gt_i32_e32 vcc_lo, s23, v0
	s_mul_hi_u32 s5, s0, s7
	s_mul_i32 s0, s0, s7
	s_add_i32 s1, s5, s1
	s_mul_hi_i32 s27, s25, s6
	v_cndmask_b32_e32 v3, 0, v0, vcc_lo
	s_lshl_b64 s[0:1], s[0:1], 3
	s_mul_i32 s26, s25, s6
	s_add_u32 s5, s12, s0
	s_addc_u32 s7, s13, s1
	v_lshlrev_b32_e32 v3, 3, v3
	s_lshl_b64 s[0:1], s[14:15], 3
	s_add_u32 s5, s5, s0
	s_addc_u32 s7, s7, s1
	v_add_co_u32 v3, s5, s5, v3
	v_add_co_ci_u32_e64 v4, null, s7, 0, s5
	s_ashr_i32 s12, s23, 31
	s_lshl_b64 s[0:1], s[26:27], 3
	s_lshr_b32 s12, s12, 24
	v_add_co_u32 v3, vcc_lo, v3, s0
	s_add_i32 s5, s23, s12
	v_add_co_ci_u32_e64 v4, null, s1, v4, vcc_lo
	s_and_b32 s0, s5, 0xffffff00
	s_cmpk_lt_i32 s23, 0x100
	s_mov_b32 s1, 0
	s_cbranch_scc1 .LBB82_12
; %bb.10:
	v_mad_i64_i32 v[5:6], null, s4, v0, 0
	s_lshl_b64 s[14:15], s[18:19], 3
	s_ashr_i32 s5, s4, 31
	s_lshl_b64 s[12:13], s[16:17], 3
	s_add_u32 s7, s2, s14
	s_addc_u32 s14, s3, s15
	s_add_u32 s7, s7, s12
	v_lshlrev_b64 v[5:6], 3, v[5:6]
	s_addc_u32 s12, s14, s13
	v_mov_b32_e32 v1, 0
	v_mov_b32_e32 v8, v4
	;; [unrolled: 1-line block ×4, first 2 shown]
	v_add_co_u32 v5, vcc_lo, s7, v5
	v_add_co_ci_u32_e64 v6, null, s12, v6, vcc_lo
	s_lshl_b64 s[12:13], s[4:5], 11
	.p2align	6
.LBB82_11:                              ; =>This Inner Loop Header: Depth=1
	global_load_dwordx2 v[9:10], v[7:8], off
	global_load_dwordx2 v[11:12], v[5:6], off
	v_add_co_u32 v5, vcc_lo, v5, s12
	v_add_co_ci_u32_e64 v6, null, s13, v6, vcc_lo
	v_add_co_u32 v7, vcc_lo, 0x800, v7
	v_add_co_ci_u32_e64 v8, null, 0, v8, vcc_lo
	s_addk_i32 s1, 0x100
	s_cmp_ge_i32 s1, s0
	s_waitcnt vmcnt(0)
	v_fma_f64 v[1:2], v[9:10], v[11:12], v[1:2]
	s_cbranch_scc0 .LBB82_11
.LBB82_12:
	v_add_nc_u32_e32 v5, s0, v0
	s_mov_b32 s5, exec_lo
	v_cmpx_gt_i32_e64 s23, v5
	s_cbranch_execz .LBB82_14
; %bb.13:
	v_mad_i64_i32 v[5:6], null, s4, v5, 0
	s_lshl_b64 s[12:13], s[16:17], 3
	s_add_u32 s1, s2, s12
	s_addc_u32 s7, s3, s13
	s_lshl_b64 s[2:3], s[18:19], 3
	s_add_u32 s2, s1, s2
	s_addc_u32 s3, s7, s3
	s_ashr_i32 s1, s0, 31
	v_lshlrev_b64 v[5:6], 3, v[5:6]
	s_lshl_b64 s[0:1], s[0:1], 3
	v_add_co_u32 v3, vcc_lo, v3, s0
	v_add_co_ci_u32_e64 v4, null, s1, v4, vcc_lo
	v_add_co_u32 v5, vcc_lo, s2, v5
	v_add_co_ci_u32_e64 v6, null, s3, v6, vcc_lo
	global_load_dwordx2 v[3:4], v[3:4], off
	global_load_dwordx2 v[5:6], v[5:6], off
	s_waitcnt vmcnt(0)
	v_fma_f64 v[1:2], v[3:4], v[5:6], v[1:2]
.LBB82_14:
	s_or_b32 exec_lo, exec_lo, s5
	v_lshlrev_b32_e32 v3, 3, v0
	s_mov_b32 s0, exec_lo
	ds_write_b64 v3, v[1:2]
	s_waitcnt lgkmcnt(0)
	s_barrier
	buffer_gl0_inv
	v_cmpx_gt_u32_e32 0x80, v0
	s_cbranch_execz .LBB82_16
; %bb.15:
	ds_read2st64_b64 v[4:7], v3 offset1:2
	s_waitcnt lgkmcnt(0)
	v_add_f64 v[1:2], v[6:7], v[4:5]
	ds_write_b64 v3, v[1:2]
.LBB82_16:
	s_or_b32 exec_lo, exec_lo, s0
	s_mov_b32 s0, exec_lo
	s_waitcnt lgkmcnt(0)
	s_barrier
	buffer_gl0_inv
	v_cmpx_gt_u32_e32 64, v0
	s_cbranch_execz .LBB82_18
; %bb.17:
	ds_read2st64_b64 v[4:7], v3 offset1:1
	s_waitcnt lgkmcnt(0)
	v_add_f64 v[1:2], v[6:7], v[4:5]
	ds_write_b64 v3, v[1:2]
.LBB82_18:
	s_or_b32 exec_lo, exec_lo, s0
	s_mov_b32 s0, exec_lo
	s_waitcnt lgkmcnt(0)
	s_barrier
	buffer_gl0_inv
	v_cmpx_gt_u32_e32 32, v0
	s_cbranch_execz .LBB82_20
; %bb.19:
	ds_read2_b64 v[4:7], v3 offset1:32
	s_waitcnt lgkmcnt(0)
	v_add_f64 v[1:2], v[6:7], v[4:5]
	ds_write_b64 v3, v[1:2]
.LBB82_20:
	s_or_b32 exec_lo, exec_lo, s0
	s_mov_b32 s0, exec_lo
	s_waitcnt lgkmcnt(0)
	s_barrier
	buffer_gl0_inv
	v_cmpx_gt_u32_e32 16, v0
	s_cbranch_execz .LBB82_22
; %bb.21:
	ds_read2_b64 v[4:7], v3 offset1:16
	s_waitcnt lgkmcnt(0)
	v_add_f64 v[1:2], v[6:7], v[4:5]
	ds_write_b64 v3, v[1:2]
.LBB82_22:
	;; [unrolled: 13-line block ×5, first 2 shown]
	s_or_b32 exec_lo, exec_lo, s0
	v_cmp_eq_u32_e32 vcc_lo, 0, v0
	s_waitcnt lgkmcnt(0)
	s_barrier
	buffer_gl0_inv
	s_and_saveexec_b32 s0, vcc_lo
	s_cbranch_execz .LBB82_30
; %bb.29:
	v_mov_b32_e32 v4, 0
	ds_read_b128 v[0:3], v4
	s_waitcnt lgkmcnt(0)
	v_add_f64 v[0:1], v[2:3], v[0:1]
	ds_write_b64 v4, v[0:1]
.LBB82_30:
	s_or_b32 exec_lo, exec_lo, s0
	s_waitcnt lgkmcnt(0)
	s_barrier
	buffer_gl0_inv
                                        ; implicit-def: $vgpr1_vgpr2
                                        ; implicit-def: $sgpr2_sgpr3
	s_and_saveexec_b32 s0, vcc_lo
	s_cbranch_execz .LBB82_34
; %bb.31:
	v_mov_b32_e32 v0, 0
	v_cmp_eq_f64_e64 s1, s[8:9], 0
	s_mul_hi_i32 s3, s24, s6
	s_mul_i32 s2, s24, s6
	ds_read_b64 v[0:1], v0
	s_and_b32 vcc_lo, exec_lo, s1
	s_waitcnt lgkmcnt(0)
	v_mul_f64 v[1:2], s[10:11], v[0:1]
	s_cbranch_vccnz .LBB82_33
; %bb.32:
	s_lshl_b64 s[4:5], s[2:3], 3
	s_add_u32 s4, s20, s4
	s_addc_u32 s5, s21, s5
	s_load_dwordx2 s[4:5], s[4:5], 0x0
	s_waitcnt lgkmcnt(0)
	v_fma_f64 v[1:2], s[8:9], s[4:5], v[1:2]
.LBB82_33:
	s_or_b32 s22, s22, exec_lo
.LBB82_34:
	s_or_b32 exec_lo, exec_lo, s0
.LBB82_35:
	s_and_saveexec_b32 s0, s22
	s_cbranch_execz .LBB82_37
; %bb.36:
	s_lshl_b64 s[0:1], s[2:3], 3
	v_mov_b32_e32 v0, 0
	s_add_u32 s0, s20, s0
	s_addc_u32 s1, s21, s1
	global_store_dwordx2 v0, v[1:2], s[0:1]
.LBB82_37:
	s_endpgm
	.section	.rodata,"a",@progbits
	.p2align	6, 0x0
	.amdhsa_kernel _ZL20rocblas_gemvt_kernelILb0ELi256EdPKddEviiT2_lPKT1_lilS5_lilS2_lPT3_lili
		.amdhsa_group_segment_fixed_size 2048
		.amdhsa_private_segment_fixed_size 0
		.amdhsa_kernarg_size 140
		.amdhsa_user_sgpr_count 6
		.amdhsa_user_sgpr_private_segment_buffer 1
		.amdhsa_user_sgpr_dispatch_ptr 0
		.amdhsa_user_sgpr_queue_ptr 0
		.amdhsa_user_sgpr_kernarg_segment_ptr 1
		.amdhsa_user_sgpr_dispatch_id 0
		.amdhsa_user_sgpr_flat_scratch_init 0
		.amdhsa_user_sgpr_private_segment_size 0
		.amdhsa_wavefront_size32 1
		.amdhsa_uses_dynamic_stack 0
		.amdhsa_system_sgpr_private_segment_wavefront_offset 0
		.amdhsa_system_sgpr_workgroup_id_x 1
		.amdhsa_system_sgpr_workgroup_id_y 0
		.amdhsa_system_sgpr_workgroup_id_z 1
		.amdhsa_system_sgpr_workgroup_info 0
		.amdhsa_system_vgpr_workitem_id 0
		.amdhsa_next_free_vgpr 13
		.amdhsa_next_free_sgpr 28
		.amdhsa_reserve_vcc 1
		.amdhsa_reserve_flat_scratch 0
		.amdhsa_float_round_mode_32 0
		.amdhsa_float_round_mode_16_64 0
		.amdhsa_float_denorm_mode_32 3
		.amdhsa_float_denorm_mode_16_64 3
		.amdhsa_dx10_clamp 1
		.amdhsa_ieee_mode 1
		.amdhsa_fp16_overflow 0
		.amdhsa_workgroup_processor_mode 1
		.amdhsa_memory_ordered 1
		.amdhsa_forward_progress 1
		.amdhsa_shared_vgpr_count 0
		.amdhsa_exception_fp_ieee_invalid_op 0
		.amdhsa_exception_fp_denorm_src 0
		.amdhsa_exception_fp_ieee_div_zero 0
		.amdhsa_exception_fp_ieee_overflow 0
		.amdhsa_exception_fp_ieee_underflow 0
		.amdhsa_exception_fp_ieee_inexact 0
		.amdhsa_exception_int_div_zero 0
	.end_amdhsa_kernel
	.section	.text._ZL20rocblas_gemvt_kernelILb0ELi256EdPKddEviiT2_lPKT1_lilS5_lilS2_lPT3_lili,"axG",@progbits,_ZL20rocblas_gemvt_kernelILb0ELi256EdPKddEviiT2_lPKT1_lilS5_lilS2_lPT3_lili,comdat
.Lfunc_end82:
	.size	_ZL20rocblas_gemvt_kernelILb0ELi256EdPKddEviiT2_lPKT1_lilS5_lilS2_lPT3_lili, .Lfunc_end82-_ZL20rocblas_gemvt_kernelILb0ELi256EdPKddEviiT2_lPKT1_lilS5_lilS2_lPT3_lili
                                        ; -- End function
	.set _ZL20rocblas_gemvt_kernelILb0ELi256EdPKddEviiT2_lPKT1_lilS5_lilS2_lPT3_lili.num_vgpr, 13
	.set _ZL20rocblas_gemvt_kernelILb0ELi256EdPKddEviiT2_lPKT1_lilS5_lilS2_lPT3_lili.num_agpr, 0
	.set _ZL20rocblas_gemvt_kernelILb0ELi256EdPKddEviiT2_lPKT1_lilS5_lilS2_lPT3_lili.numbered_sgpr, 28
	.set _ZL20rocblas_gemvt_kernelILb0ELi256EdPKddEviiT2_lPKT1_lilS5_lilS2_lPT3_lili.num_named_barrier, 0
	.set _ZL20rocblas_gemvt_kernelILb0ELi256EdPKddEviiT2_lPKT1_lilS5_lilS2_lPT3_lili.private_seg_size, 0
	.set _ZL20rocblas_gemvt_kernelILb0ELi256EdPKddEviiT2_lPKT1_lilS5_lilS2_lPT3_lili.uses_vcc, 1
	.set _ZL20rocblas_gemvt_kernelILb0ELi256EdPKddEviiT2_lPKT1_lilS5_lilS2_lPT3_lili.uses_flat_scratch, 0
	.set _ZL20rocblas_gemvt_kernelILb0ELi256EdPKddEviiT2_lPKT1_lilS5_lilS2_lPT3_lili.has_dyn_sized_stack, 0
	.set _ZL20rocblas_gemvt_kernelILb0ELi256EdPKddEviiT2_lPKT1_lilS5_lilS2_lPT3_lili.has_recursion, 0
	.set _ZL20rocblas_gemvt_kernelILb0ELi256EdPKddEviiT2_lPKT1_lilS5_lilS2_lPT3_lili.has_indirect_call, 0
	.section	.AMDGPU.csdata,"",@progbits
; Kernel info:
; codeLenInByte = 1496
; TotalNumSgprs: 30
; NumVgprs: 13
; ScratchSize: 0
; MemoryBound: 0
; FloatMode: 240
; IeeeMode: 1
; LDSByteSize: 2048 bytes/workgroup (compile time only)
; SGPRBlocks: 0
; VGPRBlocks: 1
; NumSGPRsForWavesPerEU: 30
; NumVGPRsForWavesPerEU: 13
; Occupancy: 16
; WaveLimiterHint : 1
; COMPUTE_PGM_RSRC2:SCRATCH_EN: 0
; COMPUTE_PGM_RSRC2:USER_SGPR: 6
; COMPUTE_PGM_RSRC2:TRAP_HANDLER: 0
; COMPUTE_PGM_RSRC2:TGID_X_EN: 1
; COMPUTE_PGM_RSRC2:TGID_Y_EN: 0
; COMPUTE_PGM_RSRC2:TGID_Z_EN: 1
; COMPUTE_PGM_RSRC2:TIDIG_COMP_CNT: 0
	.section	.text._ZL20rocblas_gemvt_kernelILb0ELi256EdddEviiT2_lPKT1_lilS3_lilS0_lPT3_lili,"axG",@progbits,_ZL20rocblas_gemvt_kernelILb0ELi256EdddEviiT2_lPKT1_lilS3_lilS0_lPT3_lili,comdat
	.globl	_ZL20rocblas_gemvt_kernelILb0ELi256EdddEviiT2_lPKT1_lilS3_lilS0_lPT3_lili ; -- Begin function _ZL20rocblas_gemvt_kernelILb0ELi256EdddEviiT2_lPKT1_lilS3_lilS0_lPT3_lili
	.p2align	8
	.type	_ZL20rocblas_gemvt_kernelILb0ELi256EdddEviiT2_lPKT1_lilS3_lilS0_lPT3_lili,@function
_ZL20rocblas_gemvt_kernelILb0ELi256EdddEviiT2_lPKT1_lilS3_lilS0_lPT3_lili: ; @_ZL20rocblas_gemvt_kernelILb0ELi256EdddEviiT2_lPKT1_lilS3_lilS0_lPT3_lili
; %bb.0:
	s_clause 0x1
	s_load_dwordx2 s[16:17], s[4:5], 0x8
	s_load_dwordx4 s[8:11], s[4:5], 0x50
	s_waitcnt lgkmcnt(0)
	v_cmp_eq_f64_e64 s0, s[16:17], 0
	v_cmp_eq_f64_e64 s1, s[10:11], 1.0
	s_and_b32 s0, s0, s1
	s_and_b32 vcc_lo, exec_lo, s0
	s_cbranch_vccnz .LBB83_37
; %bb.1:
	s_clause 0x1
	s_load_dwordx2 s[12:13], s[4:5], 0x80
	s_load_dwordx4 s[0:3], s[4:5], 0x68
	v_cmp_neq_f64_e64 s14, s[16:17], 0
	s_load_dword s22, s[4:5], 0x78
	s_mov_b32 s23, 0
	s_waitcnt lgkmcnt(0)
	s_mul_i32 s13, s13, s7
	s_mul_hi_u32 s15, s12, s7
	s_mul_i32 s12, s12, s7
	s_add_i32 s13, s15, s13
	s_lshl_b64 s[12:13], s[12:13], 3
	s_add_u32 s12, s0, s12
	s_addc_u32 s13, s1, s13
	s_lshl_b64 s[0:1], s[2:3], 3
	s_add_u32 s20, s12, s0
	v_cmp_eq_u32_e64 s0, 0, v0
	s_addc_u32 s21, s13, s1
	s_and_b32 vcc_lo, exec_lo, s14
	s_cbranch_vccnz .LBB83_5
; %bb.2:
	s_mov_b32 s1, 0
                                        ; implicit-def: $vgpr1_vgpr2
                                        ; implicit-def: $sgpr2_sgpr3
	s_and_saveexec_b32 s12, s0
	s_cbranch_execz .LBB83_6
; %bb.3:
	v_cmp_eq_f64_e64 s0, s[10:11], 0
	s_mul_hi_i32 s3, s22, s6
	s_mul_i32 s2, s22, s6
	s_and_b32 vcc_lo, exec_lo, s0
	s_cbranch_vccnz .LBB83_7
; %bb.4:
	s_lshl_b64 s[14:15], s[2:3], 3
	s_add_u32 s14, s20, s14
	s_addc_u32 s15, s21, s15
	s_load_dwordx2 s[14:15], s[14:15], 0x0
	s_waitcnt lgkmcnt(0)
	v_mul_f64 v[1:2], s[10:11], s[14:15]
	s_branch .LBB83_8
.LBB83_5:
                                        ; implicit-def: $vgpr1_vgpr2
                                        ; implicit-def: $sgpr2_sgpr3
	s_cbranch_execnz .LBB83_9
	s_branch .LBB83_35
.LBB83_6:
	s_or_b32 exec_lo, exec_lo, s12
	s_and_b32 vcc_lo, exec_lo, s1
	s_cbranch_vccnz .LBB83_9
	s_branch .LBB83_35
.LBB83_7:
	v_mov_b32_e32 v1, 0
	v_mov_b32_e32 v2, 0
.LBB83_8:
	s_mov_b32 s23, exec_lo
	s_or_b32 exec_lo, exec_lo, s12
	s_and_b32 vcc_lo, exec_lo, s1
	s_cbranch_vccz .LBB83_35
.LBB83_9:
	s_clause 0x5
	s_load_dwordx4 s[0:3], s[4:5], 0x30
	s_load_dword s24, s[4:5], 0x0
	s_load_dword s25, s[4:5], 0x28
	s_load_dwordx4 s[12:15], s[4:5], 0x18
	s_load_dwordx2 s[18:19], s[4:5], 0x40
	s_load_dword s4, s[4:5], 0x48
	s_mul_i32 s9, s9, s7
	s_mul_hi_u32 s26, s8, s7
	s_mul_i32 s8, s8, s7
	s_add_i32 s9, s26, s9
	v_mov_b32_e32 v1, 0
	v_mov_b32_e32 v2, 0
	s_waitcnt lgkmcnt(0)
	s_mul_i32 s1, s1, s7
	v_cmp_gt_i32_e32 vcc_lo, s24, v0
	s_mul_hi_u32 s5, s0, s7
	s_mul_i32 s0, s0, s7
	s_add_i32 s1, s5, s1
	s_mul_hi_i32 s27, s25, s6
	v_cndmask_b32_e32 v3, 0, v0, vcc_lo
	s_lshl_b64 s[0:1], s[0:1], 3
	s_mul_i32 s26, s25, s6
	s_add_u32 s5, s12, s0
	s_addc_u32 s7, s13, s1
	v_lshlrev_b32_e32 v3, 3, v3
	s_lshl_b64 s[0:1], s[14:15], 3
	s_add_u32 s5, s5, s0
	s_addc_u32 s7, s7, s1
	v_add_co_u32 v3, s5, s5, v3
	v_add_co_ci_u32_e64 v4, null, s7, 0, s5
	s_ashr_i32 s12, s24, 31
	s_lshl_b64 s[0:1], s[26:27], 3
	s_lshr_b32 s12, s12, 24
	v_add_co_u32 v3, vcc_lo, v3, s0
	s_add_i32 s5, s24, s12
	v_add_co_ci_u32_e64 v4, null, s1, v4, vcc_lo
	s_and_b32 s0, s5, 0xffffff00
	s_cmpk_lt_i32 s24, 0x100
	s_mov_b32 s1, 0
	s_cbranch_scc1 .LBB83_12
; %bb.10:
	v_mad_i64_i32 v[5:6], null, s4, v0, 0
	s_lshl_b64 s[14:15], s[18:19], 3
	s_ashr_i32 s5, s4, 31
	s_lshl_b64 s[12:13], s[8:9], 3
	s_add_u32 s7, s2, s14
	s_addc_u32 s14, s3, s15
	s_add_u32 s7, s7, s12
	v_lshlrev_b64 v[5:6], 3, v[5:6]
	s_addc_u32 s12, s14, s13
	v_mov_b32_e32 v1, 0
	v_mov_b32_e32 v8, v4
	;; [unrolled: 1-line block ×4, first 2 shown]
	v_add_co_u32 v5, vcc_lo, s7, v5
	v_add_co_ci_u32_e64 v6, null, s12, v6, vcc_lo
	s_lshl_b64 s[12:13], s[4:5], 11
	.p2align	6
.LBB83_11:                              ; =>This Inner Loop Header: Depth=1
	global_load_dwordx2 v[9:10], v[7:8], off
	global_load_dwordx2 v[11:12], v[5:6], off
	v_add_co_u32 v5, vcc_lo, v5, s12
	v_add_co_ci_u32_e64 v6, null, s13, v6, vcc_lo
	v_add_co_u32 v7, vcc_lo, 0x800, v7
	v_add_co_ci_u32_e64 v8, null, 0, v8, vcc_lo
	s_addk_i32 s1, 0x100
	s_cmp_ge_i32 s1, s0
	s_waitcnt vmcnt(0)
	v_fma_f64 v[1:2], v[9:10], v[11:12], v[1:2]
	s_cbranch_scc0 .LBB83_11
.LBB83_12:
	v_add_nc_u32_e32 v5, s0, v0
	s_mov_b32 s5, exec_lo
	v_cmpx_gt_i32_e64 s24, v5
	s_cbranch_execz .LBB83_14
; %bb.13:
	v_mad_i64_i32 v[5:6], null, s4, v5, 0
	s_lshl_b64 s[8:9], s[8:9], 3
	s_add_u32 s1, s2, s8
	s_addc_u32 s7, s3, s9
	s_lshl_b64 s[2:3], s[18:19], 3
	s_add_u32 s2, s1, s2
	s_addc_u32 s3, s7, s3
	s_ashr_i32 s1, s0, 31
	v_lshlrev_b64 v[5:6], 3, v[5:6]
	s_lshl_b64 s[0:1], s[0:1], 3
	v_add_co_u32 v3, vcc_lo, v3, s0
	v_add_co_ci_u32_e64 v4, null, s1, v4, vcc_lo
	v_add_co_u32 v5, vcc_lo, s2, v5
	v_add_co_ci_u32_e64 v6, null, s3, v6, vcc_lo
	global_load_dwordx2 v[3:4], v[3:4], off
	global_load_dwordx2 v[5:6], v[5:6], off
	s_waitcnt vmcnt(0)
	v_fma_f64 v[1:2], v[3:4], v[5:6], v[1:2]
.LBB83_14:
	s_or_b32 exec_lo, exec_lo, s5
	v_lshlrev_b32_e32 v3, 3, v0
	s_mov_b32 s0, exec_lo
	ds_write_b64 v3, v[1:2]
	s_waitcnt lgkmcnt(0)
	s_barrier
	buffer_gl0_inv
	v_cmpx_gt_u32_e32 0x80, v0
	s_cbranch_execz .LBB83_16
; %bb.15:
	ds_read2st64_b64 v[4:7], v3 offset1:2
	s_waitcnt lgkmcnt(0)
	v_add_f64 v[1:2], v[6:7], v[4:5]
	ds_write_b64 v3, v[1:2]
.LBB83_16:
	s_or_b32 exec_lo, exec_lo, s0
	s_mov_b32 s0, exec_lo
	s_waitcnt lgkmcnt(0)
	s_barrier
	buffer_gl0_inv
	v_cmpx_gt_u32_e32 64, v0
	s_cbranch_execz .LBB83_18
; %bb.17:
	ds_read2st64_b64 v[4:7], v3 offset1:1
	s_waitcnt lgkmcnt(0)
	v_add_f64 v[1:2], v[6:7], v[4:5]
	ds_write_b64 v3, v[1:2]
.LBB83_18:
	s_or_b32 exec_lo, exec_lo, s0
	s_mov_b32 s0, exec_lo
	s_waitcnt lgkmcnt(0)
	s_barrier
	buffer_gl0_inv
	v_cmpx_gt_u32_e32 32, v0
	s_cbranch_execz .LBB83_20
; %bb.19:
	ds_read2_b64 v[4:7], v3 offset1:32
	s_waitcnt lgkmcnt(0)
	v_add_f64 v[1:2], v[6:7], v[4:5]
	ds_write_b64 v3, v[1:2]
.LBB83_20:
	s_or_b32 exec_lo, exec_lo, s0
	s_mov_b32 s0, exec_lo
	s_waitcnt lgkmcnt(0)
	s_barrier
	buffer_gl0_inv
	v_cmpx_gt_u32_e32 16, v0
	s_cbranch_execz .LBB83_22
; %bb.21:
	ds_read2_b64 v[4:7], v3 offset1:16
	s_waitcnt lgkmcnt(0)
	v_add_f64 v[1:2], v[6:7], v[4:5]
	ds_write_b64 v3, v[1:2]
.LBB83_22:
	;; [unrolled: 13-line block ×5, first 2 shown]
	s_or_b32 exec_lo, exec_lo, s0
	v_cmp_eq_u32_e32 vcc_lo, 0, v0
	s_waitcnt lgkmcnt(0)
	s_barrier
	buffer_gl0_inv
	s_and_saveexec_b32 s0, vcc_lo
	s_cbranch_execz .LBB83_30
; %bb.29:
	v_mov_b32_e32 v4, 0
	ds_read_b128 v[0:3], v4
	s_waitcnt lgkmcnt(0)
	v_add_f64 v[0:1], v[2:3], v[0:1]
	ds_write_b64 v4, v[0:1]
.LBB83_30:
	s_or_b32 exec_lo, exec_lo, s0
	s_waitcnt lgkmcnt(0)
	s_barrier
	buffer_gl0_inv
                                        ; implicit-def: $vgpr1_vgpr2
                                        ; implicit-def: $sgpr2_sgpr3
	s_and_saveexec_b32 s0, vcc_lo
	s_cbranch_execz .LBB83_34
; %bb.31:
	v_mov_b32_e32 v0, 0
	v_cmp_eq_f64_e64 s1, s[10:11], 0
	s_mul_hi_i32 s3, s22, s6
	s_mul_i32 s2, s22, s6
	ds_read_b64 v[0:1], v0
	s_and_b32 vcc_lo, exec_lo, s1
	s_waitcnt lgkmcnt(0)
	v_mul_f64 v[1:2], s[16:17], v[0:1]
	s_cbranch_vccnz .LBB83_33
; %bb.32:
	s_lshl_b64 s[4:5], s[2:3], 3
	s_add_u32 s4, s20, s4
	s_addc_u32 s5, s21, s5
	s_load_dwordx2 s[4:5], s[4:5], 0x0
	s_waitcnt lgkmcnt(0)
	v_fma_f64 v[1:2], s[10:11], s[4:5], v[1:2]
.LBB83_33:
	s_or_b32 s23, s23, exec_lo
.LBB83_34:
	s_or_b32 exec_lo, exec_lo, s0
.LBB83_35:
	s_and_saveexec_b32 s0, s23
	s_cbranch_execz .LBB83_37
; %bb.36:
	s_lshl_b64 s[0:1], s[2:3], 3
	v_mov_b32_e32 v0, 0
	s_add_u32 s0, s20, s0
	s_addc_u32 s1, s21, s1
	global_store_dwordx2 v0, v[1:2], s[0:1]
.LBB83_37:
	s_endpgm
	.section	.rodata,"a",@progbits
	.p2align	6, 0x0
	.amdhsa_kernel _ZL20rocblas_gemvt_kernelILb0ELi256EdddEviiT2_lPKT1_lilS3_lilS0_lPT3_lili
		.amdhsa_group_segment_fixed_size 2048
		.amdhsa_private_segment_fixed_size 0
		.amdhsa_kernarg_size 140
		.amdhsa_user_sgpr_count 6
		.amdhsa_user_sgpr_private_segment_buffer 1
		.amdhsa_user_sgpr_dispatch_ptr 0
		.amdhsa_user_sgpr_queue_ptr 0
		.amdhsa_user_sgpr_kernarg_segment_ptr 1
		.amdhsa_user_sgpr_dispatch_id 0
		.amdhsa_user_sgpr_flat_scratch_init 0
		.amdhsa_user_sgpr_private_segment_size 0
		.amdhsa_wavefront_size32 1
		.amdhsa_uses_dynamic_stack 0
		.amdhsa_system_sgpr_private_segment_wavefront_offset 0
		.amdhsa_system_sgpr_workgroup_id_x 1
		.amdhsa_system_sgpr_workgroup_id_y 0
		.amdhsa_system_sgpr_workgroup_id_z 1
		.amdhsa_system_sgpr_workgroup_info 0
		.amdhsa_system_vgpr_workitem_id 0
		.amdhsa_next_free_vgpr 13
		.amdhsa_next_free_sgpr 28
		.amdhsa_reserve_vcc 1
		.amdhsa_reserve_flat_scratch 0
		.amdhsa_float_round_mode_32 0
		.amdhsa_float_round_mode_16_64 0
		.amdhsa_float_denorm_mode_32 3
		.amdhsa_float_denorm_mode_16_64 3
		.amdhsa_dx10_clamp 1
		.amdhsa_ieee_mode 1
		.amdhsa_fp16_overflow 0
		.amdhsa_workgroup_processor_mode 1
		.amdhsa_memory_ordered 1
		.amdhsa_forward_progress 1
		.amdhsa_shared_vgpr_count 0
		.amdhsa_exception_fp_ieee_invalid_op 0
		.amdhsa_exception_fp_denorm_src 0
		.amdhsa_exception_fp_ieee_div_zero 0
		.amdhsa_exception_fp_ieee_overflow 0
		.amdhsa_exception_fp_ieee_underflow 0
		.amdhsa_exception_fp_ieee_inexact 0
		.amdhsa_exception_int_div_zero 0
	.end_amdhsa_kernel
	.section	.text._ZL20rocblas_gemvt_kernelILb0ELi256EdddEviiT2_lPKT1_lilS3_lilS0_lPT3_lili,"axG",@progbits,_ZL20rocblas_gemvt_kernelILb0ELi256EdddEviiT2_lPKT1_lilS3_lilS0_lPT3_lili,comdat
.Lfunc_end83:
	.size	_ZL20rocblas_gemvt_kernelILb0ELi256EdddEviiT2_lPKT1_lilS3_lilS0_lPT3_lili, .Lfunc_end83-_ZL20rocblas_gemvt_kernelILb0ELi256EdddEviiT2_lPKT1_lilS3_lilS0_lPT3_lili
                                        ; -- End function
	.set _ZL20rocblas_gemvt_kernelILb0ELi256EdddEviiT2_lPKT1_lilS3_lilS0_lPT3_lili.num_vgpr, 13
	.set _ZL20rocblas_gemvt_kernelILb0ELi256EdddEviiT2_lPKT1_lilS3_lilS0_lPT3_lili.num_agpr, 0
	.set _ZL20rocblas_gemvt_kernelILb0ELi256EdddEviiT2_lPKT1_lilS3_lilS0_lPT3_lili.numbered_sgpr, 28
	.set _ZL20rocblas_gemvt_kernelILb0ELi256EdddEviiT2_lPKT1_lilS3_lilS0_lPT3_lili.num_named_barrier, 0
	.set _ZL20rocblas_gemvt_kernelILb0ELi256EdddEviiT2_lPKT1_lilS3_lilS0_lPT3_lili.private_seg_size, 0
	.set _ZL20rocblas_gemvt_kernelILb0ELi256EdddEviiT2_lPKT1_lilS3_lilS0_lPT3_lili.uses_vcc, 1
	.set _ZL20rocblas_gemvt_kernelILb0ELi256EdddEviiT2_lPKT1_lilS3_lilS0_lPT3_lili.uses_flat_scratch, 0
	.set _ZL20rocblas_gemvt_kernelILb0ELi256EdddEviiT2_lPKT1_lilS3_lilS0_lPT3_lili.has_dyn_sized_stack, 0
	.set _ZL20rocblas_gemvt_kernelILb0ELi256EdddEviiT2_lPKT1_lilS3_lilS0_lPT3_lili.has_recursion, 0
	.set _ZL20rocblas_gemvt_kernelILb0ELi256EdddEviiT2_lPKT1_lilS3_lilS0_lPT3_lili.has_indirect_call, 0
	.section	.AMDGPU.csdata,"",@progbits
; Kernel info:
; codeLenInByte = 1432
; TotalNumSgprs: 30
; NumVgprs: 13
; ScratchSize: 0
; MemoryBound: 0
; FloatMode: 240
; IeeeMode: 1
; LDSByteSize: 2048 bytes/workgroup (compile time only)
; SGPRBlocks: 0
; VGPRBlocks: 1
; NumSGPRsForWavesPerEU: 30
; NumVGPRsForWavesPerEU: 13
; Occupancy: 16
; WaveLimiterHint : 1
; COMPUTE_PGM_RSRC2:SCRATCH_EN: 0
; COMPUTE_PGM_RSRC2:USER_SGPR: 6
; COMPUTE_PGM_RSRC2:TRAP_HANDLER: 0
; COMPUTE_PGM_RSRC2:TGID_X_EN: 1
; COMPUTE_PGM_RSRC2:TGID_Y_EN: 0
; COMPUTE_PGM_RSRC2:TGID_Z_EN: 1
; COMPUTE_PGM_RSRC2:TIDIG_COMP_CNT: 0
	.section	.text._ZL32rocblas_gemvt_warp_reduce_kernelILb0ELi1024EidPKddEviiT3_lPKT2_lT1_lS5_lS6_lS2_lPT4_lS6_li,"axG",@progbits,_ZL32rocblas_gemvt_warp_reduce_kernelILb0ELi1024EidPKddEviiT3_lPKT2_lT1_lS5_lS6_lS2_lPT4_lS6_li,comdat
	.globl	_ZL32rocblas_gemvt_warp_reduce_kernelILb0ELi1024EidPKddEviiT3_lPKT2_lT1_lS5_lS6_lS2_lPT4_lS6_li ; -- Begin function _ZL32rocblas_gemvt_warp_reduce_kernelILb0ELi1024EidPKddEviiT3_lPKT2_lT1_lS5_lS6_lS2_lPT4_lS6_li
	.p2align	8
	.type	_ZL32rocblas_gemvt_warp_reduce_kernelILb0ELi1024EidPKddEviiT3_lPKT2_lT1_lS5_lS6_lS2_lPT4_lS6_li,@function
_ZL32rocblas_gemvt_warp_reduce_kernelILb0ELi1024EidPKddEviiT3_lPKT2_lT1_lS5_lS6_lS2_lPT4_lS6_li: ; @_ZL32rocblas_gemvt_warp_reduce_kernelILb0ELi1024EidPKddEviiT3_lPKT2_lT1_lS5_lS6_lS2_lPT4_lS6_li
; %bb.0:
	s_clause 0x1
	s_load_dwordx8 s[8:15], s[4:5], 0x8
	s_load_dwordx8 s[16:23], s[4:5], 0x50
	s_waitcnt lgkmcnt(0)
	s_mul_i32 s1, s11, s7
	s_mul_hi_u32 s2, s10, s7
	s_mul_i32 s0, s10, s7
	s_add_i32 s1, s2, s1
	s_mul_i32 s2, s21, s7
	s_lshl_b64 s[0:1], s[0:1], 3
	s_mul_hi_u32 s3, s20, s7
	s_add_u32 s0, s8, s0
	s_addc_u32 s1, s9, s1
	s_add_i32 s3, s3, s2
	s_mul_i32 s2, s20, s7
	s_lshl_b64 s[2:3], s[2:3], 3
	s_add_u32 s2, s18, s2
	s_addc_u32 s3, s19, s3
	s_load_dwordx2 s[8:9], s[0:1], 0x0
	s_load_dwordx2 s[2:3], s[2:3], 0x0
	s_waitcnt lgkmcnt(0)
	v_cmp_eq_f64_e64 s0, s[8:9], 0
	v_cmp_eq_f64_e64 s1, s[2:3], 1.0
	s_and_b32 s0, s0, s1
	s_and_b32 vcc_lo, exec_lo, s0
	s_cbranch_vccnz .LBB84_30
; %bb.1:
	s_clause 0x1
	s_load_dwordx2 s[0:1], s[4:5], 0x80
	s_load_dwordx2 s[10:11], s[4:5], 0x70
	v_cmp_neq_f64_e64 s19, s[8:9], 0
	s_load_dword s20, s[4:5], 0x78
	s_waitcnt lgkmcnt(0)
	s_mul_i32 s1, s1, s7
	s_mul_hi_u32 s18, s0, s7
	s_mul_i32 s0, s0, s7
	s_add_i32 s1, s18, s1
	s_lshl_b64 s[0:1], s[0:1], 3
	s_add_u32 s0, s22, s0
	s_addc_u32 s18, s23, s1
	s_lshl_b64 s[10:11], s[10:11], 3
	s_add_u32 s1, s0, s10
	v_cmp_eq_u32_e64 s0, 0, v0
	s_addc_u32 s18, s18, s11
	s_and_b32 vcc_lo, exec_lo, s19
	s_mov_b32 s19, 0
	s_cbranch_vccnz .LBB84_5
; %bb.2:
	s_mov_b32 s21, 0
                                        ; implicit-def: $vgpr1_vgpr2
                                        ; implicit-def: $sgpr10_sgpr11
	s_and_saveexec_b32 s22, s0
	s_cbranch_execz .LBB84_6
; %bb.3:
	v_cmp_eq_f64_e64 s0, s[2:3], 0
	s_mul_i32 s10, s20, s6
	s_ashr_i32 s11, s10, 31
	s_and_b32 vcc_lo, exec_lo, s0
	s_cbranch_vccnz .LBB84_7
; %bb.4:
	s_lshl_b64 s[24:25], s[10:11], 3
	s_add_u32 s24, s1, s24
	s_addc_u32 s25, s18, s25
	s_load_dwordx2 s[24:25], s[24:25], 0x0
	s_waitcnt lgkmcnt(0)
	v_mul_f64 v[1:2], s[2:3], s[24:25]
	s_branch .LBB84_8
.LBB84_5:
                                        ; implicit-def: $vgpr1_vgpr2
                                        ; implicit-def: $sgpr10_sgpr11
	s_cbranch_execnz .LBB84_9
	s_branch .LBB84_28
.LBB84_6:
	s_or_b32 exec_lo, exec_lo, s22
	s_and_b32 vcc_lo, exec_lo, s21
	s_cbranch_vccnz .LBB84_9
	s_branch .LBB84_28
.LBB84_7:
	v_mov_b32_e32 v1, 0
	v_mov_b32_e32 v2, 0
.LBB84_8:
	s_mov_b32 s19, exec_lo
	s_or_b32 exec_lo, exec_lo, s22
	s_and_b32 vcc_lo, exec_lo, s21
	s_cbranch_vccz .LBB84_28
.LBB84_9:
	s_clause 0x3
	s_load_dwordx4 s[24:27], s[4:5], 0x30
	s_load_dwordx2 s[22:23], s[4:5], 0x40
	s_load_dword s10, s[4:5], 0x0
	s_load_dword s0, s[4:5], 0x28
	s_mul_i32 s11, s17, s7
	s_mul_hi_u32 s17, s16, s7
	s_mul_i32 s16, s16, s7
	s_add_i32 s17, s17, s11
	s_load_dword s5, s[4:5], 0x48
	s_lshl_b64 s[16:17], s[16:17], 3
	s_waitcnt lgkmcnt(0)
	s_add_u32 s4, s26, s16
	s_addc_u32 s11, s27, s17
	v_cmp_gt_i32_e32 vcc_lo, s10, v0
	s_lshl_b64 s[16:17], s[22:23], 3
	s_mul_i32 s21, s25, s7
	s_mul_hi_u32 s25, s24, s7
	s_mul_i32 s22, s24, s7
	s_add_u32 s7, s4, s16
	v_cndmask_b32_e32 v1, 0, v0, vcc_lo
	s_addc_u32 s11, s11, s17
	s_add_i32 s23, s25, s21
	s_lshl_b64 s[16:17], s[22:23], 3
	s_mul_i32 s22, s0, s6
	s_add_u32 s0, s12, s16
	v_lshlrev_b32_e32 v1, 3, v1
	s_addc_u32 s4, s13, s17
	s_lshl_b64 s[12:13], s[14:15], 3
	s_add_u32 s0, s0, s12
	s_addc_u32 s4, s4, s13
	v_add_co_u32 v1, s0, s0, v1
	s_ashr_i32 s23, s22, 31
	s_ashr_i32 s12, s10, 31
	v_add_co_ci_u32_e64 v2, null, s4, 0, s0
	s_lshr_b32 s0, s12, 22
	s_lshl_b64 s[12:13], s[22:23], 3
	s_add_i32 s0, s10, s0
	v_add_co_u32 v3, vcc_lo, v1, s12
	v_add_co_ci_u32_e64 v4, null, s13, v2, vcc_lo
	v_mov_b32_e32 v1, 0
	v_mov_b32_e32 v2, 0
	s_and_b32 s4, s0, 0xfffffc00
	s_mov_b32 s13, 0
	s_mov_b32 s12, exec_lo
	v_cmpx_gt_i32_e64 s4, v0
	s_cbranch_execz .LBB84_13
; %bb.10:
	v_mul_lo_u32 v5, v0, s5
	v_mov_b32_e32 v1, 0
	v_mov_b32_e32 v8, v4
	;; [unrolled: 1-line block ×5, first 2 shown]
	s_lshl_b32 s14, s5, 10
	.p2align	6
.LBB84_11:                              ; =>This Inner Loop Header: Depth=1
	v_ashrrev_i32_e32 v6, 31, v5
	v_add_nc_u32_e32 v9, 0x400, v9
	v_lshlrev_b64 v[10:11], 3, v[5:6]
	v_cmp_le_i32_e64 s0, s4, v9
	v_add_nc_u32_e32 v5, s14, v5
	s_or_b32 s13, s0, s13
	v_add_co_u32 v10, vcc_lo, s7, v10
	v_add_co_ci_u32_e64 v11, null, s11, v11, vcc_lo
	global_load_dwordx2 v[12:13], v[7:8], off
	global_load_dwordx2 v[10:11], v[10:11], off
	v_add_co_u32 v7, vcc_lo, 0x2000, v7
	v_add_co_ci_u32_e64 v8, null, 0, v8, vcc_lo
	s_waitcnt vmcnt(0)
	v_fma_f64 v[1:2], v[12:13], v[10:11], v[1:2]
	s_andn2_b32 exec_lo, exec_lo, s13
	s_cbranch_execnz .LBB84_11
; %bb.12:
	s_or_b32 exec_lo, exec_lo, s13
.LBB84_13:
	s_or_b32 exec_lo, exec_lo, s12
	v_or_b32_e32 v5, s4, v0
	s_mov_b32 s0, exec_lo
	v_cmpx_gt_i32_e64 s10, v5
	s_cbranch_execz .LBB84_15
; %bb.14:
	v_mul_lo_u32 v5, s5, v5
	s_ashr_i32 s5, s4, 31
	s_lshl_b64 s[4:5], s[4:5], 3
	v_add_co_u32 v3, vcc_lo, v3, s4
	v_add_co_ci_u32_e64 v4, null, s5, v4, vcc_lo
	v_ashrrev_i32_e32 v6, 31, v5
	v_lshlrev_b64 v[5:6], 3, v[5:6]
	v_add_co_u32 v5, vcc_lo, s7, v5
	v_add_co_ci_u32_e64 v6, null, s11, v6, vcc_lo
	global_load_dwordx2 v[3:4], v[3:4], off
	global_load_dwordx2 v[5:6], v[5:6], off
	s_waitcnt vmcnt(0)
	v_fma_f64 v[1:2], v[3:4], v[5:6], v[1:2]
.LBB84_15:
	s_or_b32 exec_lo, exec_lo, s0
	v_and_b32_e32 v11, 31, v0
	v_cmp_gt_u32_e32 vcc_lo, 32, v0
	v_lshlrev_b32_e32 v5, 3, v11
	s_and_saveexec_b32 s0, vcc_lo
; %bb.16:
	v_mov_b32_e32 v3, 0
	v_mov_b32_e32 v4, v3
	ds_write_b64 v5, v[3:4]
; %bb.17:
	s_or_b32 exec_lo, exec_lo, s0
	v_mbcnt_lo_u32_b32 v10, -1, 0
	s_mov_b32 s4, exec_lo
	s_waitcnt lgkmcnt(0)
	s_barrier
	buffer_gl0_inv
	v_lshl_or_b32 v6, v10, 2, 64
	v_cmp_gt_u32_e64 s0, 24, v10
	ds_bpermute_b32 v3, v6, v1
	ds_bpermute_b32 v4, v6, v2
	s_waitcnt lgkmcnt(0)
	v_add_f64 v[1:2], v[1:2], v[3:4]
	v_cndmask_b32_e64 v3, 0, 8, s0
	v_cmp_gt_u32_e64 s0, 28, v10
	v_add_lshl_u32 v7, v3, v10, 2
	ds_bpermute_b32 v3, v7, v1
	ds_bpermute_b32 v4, v7, v2
	s_waitcnt lgkmcnt(0)
	v_add_f64 v[1:2], v[1:2], v[3:4]
	v_cndmask_b32_e64 v3, 0, 4, s0
	v_cmp_gt_u32_e64 s0, 30, v10
	v_add_lshl_u32 v8, v3, v10, 2
	ds_bpermute_b32 v3, v8, v1
	ds_bpermute_b32 v4, v8, v2
	s_waitcnt lgkmcnt(0)
	v_add_f64 v[1:2], v[1:2], v[3:4]
	v_cndmask_b32_e64 v3, 0, 2, s0
	v_cmp_ne_u32_e64 s0, 31, v10
	v_add_lshl_u32 v9, v3, v10, 2
	ds_bpermute_b32 v3, v9, v1
	ds_bpermute_b32 v4, v9, v2
	s_waitcnt lgkmcnt(0)
	v_add_f64 v[1:2], v[1:2], v[3:4]
	v_add_co_ci_u32_e64 v3, null, 0, v10, s0
	v_lshlrev_b32_e32 v10, 2, v3
	ds_bpermute_b32 v3, v10, v1
	ds_bpermute_b32 v4, v10, v2
	v_cmpx_eq_u32_e32 0, v11
	s_cbranch_execz .LBB84_19
; %bb.18:
	s_waitcnt lgkmcnt(0)
	v_add_f64 v[1:2], v[1:2], v[3:4]
	v_lshrrev_b32_e32 v3, 2, v0
	v_and_b32_e32 v3, 0xf8, v3
	ds_write_b64 v3, v[1:2]
.LBB84_19:
	s_or_b32 exec_lo, exec_lo, s4
	s_waitcnt lgkmcnt(0)
	v_mov_b32_e32 v3, 0
	v_mov_b32_e32 v4, 0
	s_barrier
	buffer_gl0_inv
	s_and_saveexec_b32 s0, vcc_lo
; %bb.20:
	ds_read_b64 v[3:4], v5
; %bb.21:
	s_or_b32 exec_lo, exec_lo, s0
	s_and_saveexec_b32 s0, vcc_lo
	s_cbranch_execz .LBB84_23
; %bb.22:
	s_waitcnt lgkmcnt(0)
	ds_bpermute_b32 v1, v6, v3
	ds_bpermute_b32 v2, v6, v4
	s_waitcnt lgkmcnt(0)
	v_add_f64 v[1:2], v[3:4], v[1:2]
	ds_bpermute_b32 v3, v7, v1
	ds_bpermute_b32 v4, v7, v2
	s_waitcnt lgkmcnt(0)
	v_add_f64 v[1:2], v[1:2], v[3:4]
	;; [unrolled: 4-line block ×5, first 2 shown]
.LBB84_23:
	s_or_b32 exec_lo, exec_lo, s0
	s_mov_b32 s0, exec_lo
                                        ; implicit-def: $vgpr1_vgpr2
                                        ; implicit-def: $sgpr10_sgpr11
	v_cmpx_eq_u32_e32 0, v0
	s_cbranch_execz .LBB84_27
; %bb.24:
	v_cmp_eq_f64_e64 s4, s[2:3], 0
	s_waitcnt lgkmcnt(0)
	v_mul_f64 v[1:2], s[8:9], v[3:4]
	s_mul_i32 s10, s20, s6
	s_ashr_i32 s11, s10, 31
	s_and_b32 vcc_lo, exec_lo, s4
	s_cbranch_vccnz .LBB84_26
; %bb.25:
	s_lshl_b64 s[4:5], s[10:11], 3
	s_add_u32 s4, s1, s4
	s_addc_u32 s5, s18, s5
	s_load_dwordx2 s[4:5], s[4:5], 0x0
	s_waitcnt lgkmcnt(0)
	v_fma_f64 v[1:2], s[2:3], s[4:5], v[1:2]
.LBB84_26:
	s_or_b32 s19, s19, exec_lo
.LBB84_27:
	s_or_b32 exec_lo, exec_lo, s0
.LBB84_28:
	s_and_saveexec_b32 s0, s19
	s_cbranch_execz .LBB84_30
; %bb.29:
	s_lshl_b64 s[2:3], s[10:11], 3
	v_mov_b32_e32 v0, 0
	s_add_u32 s0, s1, s2
	s_addc_u32 s1, s18, s3
	global_store_dwordx2 v0, v[1:2], s[0:1]
.LBB84_30:
	s_endpgm
	.section	.rodata,"a",@progbits
	.p2align	6, 0x0
	.amdhsa_kernel _ZL32rocblas_gemvt_warp_reduce_kernelILb0ELi1024EidPKddEviiT3_lPKT2_lT1_lS5_lS6_lS2_lPT4_lS6_li
		.amdhsa_group_segment_fixed_size 256
		.amdhsa_private_segment_fixed_size 0
		.amdhsa_kernarg_size 140
		.amdhsa_user_sgpr_count 6
		.amdhsa_user_sgpr_private_segment_buffer 1
		.amdhsa_user_sgpr_dispatch_ptr 0
		.amdhsa_user_sgpr_queue_ptr 0
		.amdhsa_user_sgpr_kernarg_segment_ptr 1
		.amdhsa_user_sgpr_dispatch_id 0
		.amdhsa_user_sgpr_flat_scratch_init 0
		.amdhsa_user_sgpr_private_segment_size 0
		.amdhsa_wavefront_size32 1
		.amdhsa_uses_dynamic_stack 0
		.amdhsa_system_sgpr_private_segment_wavefront_offset 0
		.amdhsa_system_sgpr_workgroup_id_x 1
		.amdhsa_system_sgpr_workgroup_id_y 0
		.amdhsa_system_sgpr_workgroup_id_z 1
		.amdhsa_system_sgpr_workgroup_info 0
		.amdhsa_system_vgpr_workitem_id 0
		.amdhsa_next_free_vgpr 14
		.amdhsa_next_free_sgpr 28
		.amdhsa_reserve_vcc 1
		.amdhsa_reserve_flat_scratch 0
		.amdhsa_float_round_mode_32 0
		.amdhsa_float_round_mode_16_64 0
		.amdhsa_float_denorm_mode_32 3
		.amdhsa_float_denorm_mode_16_64 3
		.amdhsa_dx10_clamp 1
		.amdhsa_ieee_mode 1
		.amdhsa_fp16_overflow 0
		.amdhsa_workgroup_processor_mode 1
		.amdhsa_memory_ordered 1
		.amdhsa_forward_progress 1
		.amdhsa_shared_vgpr_count 0
		.amdhsa_exception_fp_ieee_invalid_op 0
		.amdhsa_exception_fp_denorm_src 0
		.amdhsa_exception_fp_ieee_div_zero 0
		.amdhsa_exception_fp_ieee_overflow 0
		.amdhsa_exception_fp_ieee_underflow 0
		.amdhsa_exception_fp_ieee_inexact 0
		.amdhsa_exception_int_div_zero 0
	.end_amdhsa_kernel
	.section	.text._ZL32rocblas_gemvt_warp_reduce_kernelILb0ELi1024EidPKddEviiT3_lPKT2_lT1_lS5_lS6_lS2_lPT4_lS6_li,"axG",@progbits,_ZL32rocblas_gemvt_warp_reduce_kernelILb0ELi1024EidPKddEviiT3_lPKT2_lT1_lS5_lS6_lS2_lPT4_lS6_li,comdat
.Lfunc_end84:
	.size	_ZL32rocblas_gemvt_warp_reduce_kernelILb0ELi1024EidPKddEviiT3_lPKT2_lT1_lS5_lS6_lS2_lPT4_lS6_li, .Lfunc_end84-_ZL32rocblas_gemvt_warp_reduce_kernelILb0ELi1024EidPKddEviiT3_lPKT2_lT1_lS5_lS6_lS2_lPT4_lS6_li
                                        ; -- End function
	.set _ZL32rocblas_gemvt_warp_reduce_kernelILb0ELi1024EidPKddEviiT3_lPKT2_lT1_lS5_lS6_lS2_lPT4_lS6_li.num_vgpr, 14
	.set _ZL32rocblas_gemvt_warp_reduce_kernelILb0ELi1024EidPKddEviiT3_lPKT2_lT1_lS5_lS6_lS2_lPT4_lS6_li.num_agpr, 0
	.set _ZL32rocblas_gemvt_warp_reduce_kernelILb0ELi1024EidPKddEviiT3_lPKT2_lT1_lS5_lS6_lS2_lPT4_lS6_li.numbered_sgpr, 28
	.set _ZL32rocblas_gemvt_warp_reduce_kernelILb0ELi1024EidPKddEviiT3_lPKT2_lT1_lS5_lS6_lS2_lPT4_lS6_li.num_named_barrier, 0
	.set _ZL32rocblas_gemvt_warp_reduce_kernelILb0ELi1024EidPKddEviiT3_lPKT2_lT1_lS5_lS6_lS2_lPT4_lS6_li.private_seg_size, 0
	.set _ZL32rocblas_gemvt_warp_reduce_kernelILb0ELi1024EidPKddEviiT3_lPKT2_lT1_lS5_lS6_lS2_lPT4_lS6_li.uses_vcc, 1
	.set _ZL32rocblas_gemvt_warp_reduce_kernelILb0ELi1024EidPKddEviiT3_lPKT2_lT1_lS5_lS6_lS2_lPT4_lS6_li.uses_flat_scratch, 0
	.set _ZL32rocblas_gemvt_warp_reduce_kernelILb0ELi1024EidPKddEviiT3_lPKT2_lT1_lS5_lS6_lS2_lPT4_lS6_li.has_dyn_sized_stack, 0
	.set _ZL32rocblas_gemvt_warp_reduce_kernelILb0ELi1024EidPKddEviiT3_lPKT2_lT1_lS5_lS6_lS2_lPT4_lS6_li.has_recursion, 0
	.set _ZL32rocblas_gemvt_warp_reduce_kernelILb0ELi1024EidPKddEviiT3_lPKT2_lT1_lS5_lS6_lS2_lPT4_lS6_li.has_indirect_call, 0
	.section	.AMDGPU.csdata,"",@progbits
; Kernel info:
; codeLenInByte = 1524
; TotalNumSgprs: 30
; NumVgprs: 14
; ScratchSize: 0
; MemoryBound: 0
; FloatMode: 240
; IeeeMode: 1
; LDSByteSize: 256 bytes/workgroup (compile time only)
; SGPRBlocks: 0
; VGPRBlocks: 1
; NumSGPRsForWavesPerEU: 30
; NumVGPRsForWavesPerEU: 14
; Occupancy: 16
; WaveLimiterHint : 1
; COMPUTE_PGM_RSRC2:SCRATCH_EN: 0
; COMPUTE_PGM_RSRC2:USER_SGPR: 6
; COMPUTE_PGM_RSRC2:TRAP_HANDLER: 0
; COMPUTE_PGM_RSRC2:TGID_X_EN: 1
; COMPUTE_PGM_RSRC2:TGID_Y_EN: 0
; COMPUTE_PGM_RSRC2:TGID_Z_EN: 1
; COMPUTE_PGM_RSRC2:TIDIG_COMP_CNT: 0
	.section	.text._ZL32rocblas_gemvt_warp_reduce_kernelILb0ELi1024EldPKddEviiT3_lPKT2_lT1_lS5_lS6_lS2_lPT4_lS6_li,"axG",@progbits,_ZL32rocblas_gemvt_warp_reduce_kernelILb0ELi1024EldPKddEviiT3_lPKT2_lT1_lS5_lS6_lS2_lPT4_lS6_li,comdat
	.globl	_ZL32rocblas_gemvt_warp_reduce_kernelILb0ELi1024EldPKddEviiT3_lPKT2_lT1_lS5_lS6_lS2_lPT4_lS6_li ; -- Begin function _ZL32rocblas_gemvt_warp_reduce_kernelILb0ELi1024EldPKddEviiT3_lPKT2_lT1_lS5_lS6_lS2_lPT4_lS6_li
	.p2align	8
	.type	_ZL32rocblas_gemvt_warp_reduce_kernelILb0ELi1024EldPKddEviiT3_lPKT2_lT1_lS5_lS6_lS2_lPT4_lS6_li,@function
_ZL32rocblas_gemvt_warp_reduce_kernelILb0ELi1024EldPKddEviiT3_lPKT2_lT1_lS5_lS6_lS2_lPT4_lS6_li: ; @_ZL32rocblas_gemvt_warp_reduce_kernelILb0ELi1024EldPKddEviiT3_lPKT2_lT1_lS5_lS6_lS2_lPT4_lS6_li
; %bb.0:
	s_clause 0x1
	s_load_dwordx16 s[36:51], s[4:5], 0x8
	s_load_dwordx16 s[8:23], s[4:5], 0x48
	s_waitcnt lgkmcnt(0)
	s_mul_i32 s1, s39, s7
	s_mul_hi_u32 s2, s38, s7
	s_mul_i32 s0, s38, s7
	s_add_i32 s1, s2, s1
	s_mul_i32 s2, s15, s7
	s_lshl_b64 s[0:1], s[0:1], 3
	s_mul_hi_u32 s3, s14, s7
	s_add_u32 s0, s36, s0
	s_addc_u32 s1, s37, s1
	s_add_i32 s3, s3, s2
	s_mul_i32 s2, s14, s7
	s_lshl_b64 s[2:3], s[2:3], 3
	s_add_u32 s2, s12, s2
	s_addc_u32 s3, s13, s3
	s_load_dwordx2 s[12:13], s[0:1], 0x0
	s_load_dwordx2 s[2:3], s[2:3], 0x0
	s_waitcnt lgkmcnt(0)
	v_cmp_eq_f64_e64 s0, s[12:13], 0
	v_cmp_eq_f64_e64 s1, s[2:3], 1.0
	s_and_b32 s0, s0, s1
	s_and_b32 vcc_lo, exec_lo, s0
	s_cbranch_vccnz .LBB85_30
; %bb.1:
	v_cmp_neq_f64_e64 s24, s[12:13], 0
	s_mul_i32 s1, s23, s7
	s_mul_hi_u32 s14, s22, s7
	s_mul_i32 s0, s22, s7
	s_add_i32 s1, s14, s1
	s_lshl_b64 s[0:1], s[0:1], 3
	s_add_u32 s0, s16, s0
	s_addc_u32 s16, s17, s1
	s_lshl_b64 s[14:15], s[18:19], 3
	s_mov_b32 s17, 0
	s_add_u32 s1, s0, s14
	v_cmp_eq_u32_e64 s0, 0, v0
	s_addc_u32 s16, s16, s15
	s_and_b32 vcc_lo, exec_lo, s24
	s_cbranch_vccnz .LBB85_5
; %bb.2:
	s_mov_b32 s18, 0
                                        ; implicit-def: $vgpr1_vgpr2
                                        ; implicit-def: $sgpr14_sgpr15
	s_and_saveexec_b32 s19, s0
	s_cbranch_execz .LBB85_6
; %bb.3:
	v_cmp_eq_f64_e64 s0, s[2:3], 0
	s_ashr_i32 s14, s6, 31
	s_mul_hi_u32 s15, s20, s6
	s_mul_i32 s14, s20, s14
	s_add_i32 s14, s15, s14
	s_mul_i32 s15, s21, s6
	s_add_i32 s15, s14, s15
	s_mul_i32 s14, s20, s6
	s_and_b32 vcc_lo, exec_lo, s0
	s_cbranch_vccnz .LBB85_7
; %bb.4:
	s_lshl_b64 s[22:23], s[14:15], 3
	s_add_u32 s22, s1, s22
	s_addc_u32 s23, s16, s23
	s_load_dwordx2 s[22:23], s[22:23], 0x0
	s_waitcnt lgkmcnt(0)
	v_mul_f64 v[1:2], s[2:3], s[22:23]
	s_branch .LBB85_8
.LBB85_5:
                                        ; implicit-def: $vgpr1_vgpr2
                                        ; implicit-def: $sgpr14_sgpr15
	s_cbranch_execnz .LBB85_9
	s_branch .LBB85_28
.LBB85_6:
	s_or_b32 exec_lo, exec_lo, s19
	s_and_b32 vcc_lo, exec_lo, s18
	s_cbranch_vccnz .LBB85_9
	s_branch .LBB85_28
.LBB85_7:
	v_mov_b32_e32 v1, 0
	v_mov_b32_e32 v2, 0
.LBB85_8:
	s_mov_b32 s17, exec_lo
	s_or_b32 exec_lo, exec_lo, s19
	s_and_b32 vcc_lo, exec_lo, s18
	s_cbranch_vccz .LBB85_28
.LBB85_9:
	s_load_dword s15, s[4:5], 0x0
	s_mul_i32 s0, s11, s7
	s_mul_i32 s5, s47, s7
	s_mul_hi_u32 s11, s46, s7
	s_mul_i32 s4, s46, s7
	s_add_i32 s5, s11, s5
	s_mul_hi_u32 s11, s10, s7
	s_lshl_b64 s[18:19], s[4:5], 3
	s_add_i32 s5, s11, s0
	s_add_u32 s0, s40, s18
	s_addc_u32 s4, s41, s19
	s_lshl_b64 s[18:19], s[42:43], 3
	s_mul_hi_u32 s11, s44, s6
	s_add_u32 s0, s0, s18
	s_addc_u32 s4, s4, s19
	s_ashr_i32 s18, s6, 31
	s_mul_i32 s19, s45, s6
	s_mul_i32 s14, s44, s18
	;; [unrolled: 1-line block ×3, first 2 shown]
	s_add_i32 s11, s11, s14
	s_waitcnt lgkmcnt(0)
	v_cmp_gt_i32_e32 vcc_lo, s15, v0
	s_add_i32 s23, s11, s19
	s_ashr_i32 s11, s15, 31
	s_lshl_b64 s[22:23], s[22:23], 3
	s_lshr_b32 s11, s11, 22
	v_cndmask_b32_e32 v1, 0, v0, vcc_lo
	s_mov_b32 s19, 0
	v_lshlrev_b32_e32 v1, 3, v1
	v_add_co_u32 v1, s0, s0, v1
	v_add_co_ci_u32_e64 v2, null, s4, 0, s0
	s_add_i32 s0, s15, s11
	v_add_co_u32 v3, vcc_lo, v1, s22
	v_add_co_ci_u32_e64 v4, null, s23, v2, vcc_lo
	v_mov_b32_e32 v1, 0
	v_mov_b32_e32 v2, 0
	s_and_b32 s14, s0, 0xfffffc00
	s_mul_i32 s4, s10, s7
	s_mov_b32 s7, exec_lo
	v_cmpx_gt_i32_e64 s14, v0
	s_cbranch_execz .LBB85_13
; %bb.10:
	v_mad_u64_u32 v[7:8], null, s8, v0, 0
	s_lshl_b64 s[22:23], s[50:51], 3
	s_lshl_b64 s[10:11], s[4:5], 3
	s_add_u32 s0, s48, s22
	s_addc_u32 s22, s49, s23
	s_add_u32 s0, s0, s10
	s_addc_u32 s10, s22, s11
	v_mov_b32_e32 v1, v8
	v_mov_b32_e32 v6, v4
	;; [unrolled: 1-line block ×4, first 2 shown]
	v_mad_u64_u32 v[1:2], null, s9, v0, v[1:2]
	v_mov_b32_e32 v8, v1
	v_mov_b32_e32 v1, 0
	;; [unrolled: 1-line block ×3, first 2 shown]
	v_lshlrev_b64 v[7:8], 3, v[7:8]
	v_add_co_u32 v7, vcc_lo, s0, v7
	v_add_co_ci_u32_e64 v8, null, s10, v8, vcc_lo
	s_lshl_b64 s[10:11], s[8:9], 13
	.p2align	6
.LBB85_11:                              ; =>This Inner Loop Header: Depth=1
	global_load_dwordx2 v[10:11], v[5:6], off
	global_load_dwordx2 v[12:13], v[7:8], off
	v_add_nc_u32_e32 v9, 0x400, v9
	v_add_co_u32 v5, vcc_lo, 0x2000, v5
	v_add_co_ci_u32_e64 v6, null, 0, v6, vcc_lo
	v_cmp_le_i32_e32 vcc_lo, s14, v9
	v_add_co_u32 v7, s0, v7, s10
	v_add_co_ci_u32_e64 v8, null, s11, v8, s0
	s_or_b32 s19, vcc_lo, s19
	s_waitcnt vmcnt(0)
	v_fma_f64 v[1:2], v[10:11], v[12:13], v[1:2]
	s_andn2_b32 exec_lo, exec_lo, s19
	s_cbranch_execnz .LBB85_11
; %bb.12:
	s_or_b32 exec_lo, exec_lo, s19
.LBB85_13:
	s_or_b32 exec_lo, exec_lo, s7
	v_or_b32_e32 v5, s14, v0
	s_mov_b32 s0, exec_lo
	v_cmpx_gt_i32_e64 s15, v5
	s_cbranch_execz .LBB85_15
; %bb.14:
	v_ashrrev_i32_e32 v7, 31, v5
	v_mul_lo_u32 v8, s9, v5
	v_mad_u64_u32 v[5:6], null, s8, v5, 0
	s_lshl_b64 s[4:5], s[4:5], 3
	v_mul_lo_u32 v7, s8, v7
	s_add_u32 s7, s48, s4
	s_addc_u32 s8, s49, s5
	s_lshl_b64 s[4:5], s[50:51], 3
	s_add_u32 s7, s7, s4
	s_addc_u32 s8, s8, s5
	s_ashr_i32 s15, s14, 31
	v_add3_u32 v6, v6, v7, v8
	s_lshl_b64 s[4:5], s[14:15], 3
	v_add_co_u32 v3, vcc_lo, v3, s4
	v_lshlrev_b64 v[5:6], 3, v[5:6]
	v_add_co_ci_u32_e64 v4, null, s5, v4, vcc_lo
	v_add_co_u32 v5, vcc_lo, s7, v5
	v_add_co_ci_u32_e64 v6, null, s8, v6, vcc_lo
	global_load_dwordx2 v[3:4], v[3:4], off
	global_load_dwordx2 v[5:6], v[5:6], off
	s_waitcnt vmcnt(0)
	v_fma_f64 v[1:2], v[3:4], v[5:6], v[1:2]
.LBB85_15:
	s_or_b32 exec_lo, exec_lo, s0
	v_and_b32_e32 v11, 31, v0
	v_cmp_gt_u32_e32 vcc_lo, 32, v0
	v_lshlrev_b32_e32 v5, 3, v11
	s_and_saveexec_b32 s0, vcc_lo
; %bb.16:
	v_mov_b32_e32 v3, 0
	v_mov_b32_e32 v4, v3
	ds_write_b64 v5, v[3:4]
; %bb.17:
	s_or_b32 exec_lo, exec_lo, s0
	v_mbcnt_lo_u32_b32 v10, -1, 0
	s_mov_b32 s4, exec_lo
	s_waitcnt lgkmcnt(0)
	s_barrier
	buffer_gl0_inv
	v_lshl_or_b32 v6, v10, 2, 64
	v_cmp_gt_u32_e64 s0, 24, v10
	ds_bpermute_b32 v3, v6, v1
	ds_bpermute_b32 v4, v6, v2
	s_waitcnt lgkmcnt(0)
	v_add_f64 v[1:2], v[1:2], v[3:4]
	v_cndmask_b32_e64 v3, 0, 8, s0
	v_cmp_gt_u32_e64 s0, 28, v10
	v_add_lshl_u32 v7, v3, v10, 2
	ds_bpermute_b32 v3, v7, v1
	ds_bpermute_b32 v4, v7, v2
	s_waitcnt lgkmcnt(0)
	v_add_f64 v[1:2], v[1:2], v[3:4]
	v_cndmask_b32_e64 v3, 0, 4, s0
	v_cmp_gt_u32_e64 s0, 30, v10
	v_add_lshl_u32 v8, v3, v10, 2
	ds_bpermute_b32 v3, v8, v1
	ds_bpermute_b32 v4, v8, v2
	s_waitcnt lgkmcnt(0)
	v_add_f64 v[1:2], v[1:2], v[3:4]
	v_cndmask_b32_e64 v3, 0, 2, s0
	v_cmp_ne_u32_e64 s0, 31, v10
	v_add_lshl_u32 v9, v3, v10, 2
	ds_bpermute_b32 v3, v9, v1
	ds_bpermute_b32 v4, v9, v2
	s_waitcnt lgkmcnt(0)
	v_add_f64 v[1:2], v[1:2], v[3:4]
	v_add_co_ci_u32_e64 v3, null, 0, v10, s0
	v_lshlrev_b32_e32 v10, 2, v3
	ds_bpermute_b32 v3, v10, v1
	ds_bpermute_b32 v4, v10, v2
	v_cmpx_eq_u32_e32 0, v11
	s_cbranch_execz .LBB85_19
; %bb.18:
	s_waitcnt lgkmcnt(0)
	v_add_f64 v[1:2], v[1:2], v[3:4]
	v_lshrrev_b32_e32 v3, 2, v0
	v_and_b32_e32 v3, 0xf8, v3
	ds_write_b64 v3, v[1:2]
.LBB85_19:
	s_or_b32 exec_lo, exec_lo, s4
	s_waitcnt lgkmcnt(0)
	v_mov_b32_e32 v3, 0
	v_mov_b32_e32 v4, 0
	s_barrier
	buffer_gl0_inv
	s_and_saveexec_b32 s0, vcc_lo
; %bb.20:
	ds_read_b64 v[3:4], v5
; %bb.21:
	s_or_b32 exec_lo, exec_lo, s0
	s_and_saveexec_b32 s0, vcc_lo
	s_cbranch_execz .LBB85_23
; %bb.22:
	s_waitcnt lgkmcnt(0)
	ds_bpermute_b32 v1, v6, v3
	ds_bpermute_b32 v2, v6, v4
	s_waitcnt lgkmcnt(0)
	v_add_f64 v[1:2], v[3:4], v[1:2]
	ds_bpermute_b32 v3, v7, v1
	ds_bpermute_b32 v4, v7, v2
	s_waitcnt lgkmcnt(0)
	v_add_f64 v[1:2], v[1:2], v[3:4]
	;; [unrolled: 4-line block ×5, first 2 shown]
.LBB85_23:
	s_or_b32 exec_lo, exec_lo, s0
	s_mov_b32 s0, exec_lo
                                        ; implicit-def: $vgpr1_vgpr2
                                        ; implicit-def: $sgpr14_sgpr15
	v_cmpx_eq_u32_e32 0, v0
	s_cbranch_execz .LBB85_27
; %bb.24:
	v_cmp_eq_f64_e64 s4, s[2:3], 0
	s_waitcnt lgkmcnt(0)
	v_mul_f64 v[1:2], s[12:13], v[3:4]
	s_mul_i32 s5, s20, s18
	s_mul_hi_u32 s7, s20, s6
	s_mul_i32 s14, s20, s6
	s_add_i32 s5, s7, s5
	s_mul_i32 s7, s21, s6
	s_add_i32 s15, s5, s7
	s_and_b32 vcc_lo, exec_lo, s4
	s_cbranch_vccnz .LBB85_26
; %bb.25:
	s_lshl_b64 s[4:5], s[14:15], 3
	s_add_u32 s4, s1, s4
	s_addc_u32 s5, s16, s5
	s_load_dwordx2 s[4:5], s[4:5], 0x0
	s_waitcnt lgkmcnt(0)
	v_fma_f64 v[1:2], s[2:3], s[4:5], v[1:2]
.LBB85_26:
	s_or_b32 s17, s17, exec_lo
.LBB85_27:
	s_or_b32 exec_lo, exec_lo, s0
.LBB85_28:
	s_and_saveexec_b32 s0, s17
	s_cbranch_execz .LBB85_30
; %bb.29:
	s_lshl_b64 s[2:3], s[14:15], 3
	v_mov_b32_e32 v0, 0
	s_add_u32 s0, s1, s2
	s_addc_u32 s1, s16, s3
	global_store_dwordx2 v0, v[1:2], s[0:1]
.LBB85_30:
	s_endpgm
	.section	.rodata,"a",@progbits
	.p2align	6, 0x0
	.amdhsa_kernel _ZL32rocblas_gemvt_warp_reduce_kernelILb0ELi1024EldPKddEviiT3_lPKT2_lT1_lS5_lS6_lS2_lPT4_lS6_li
		.amdhsa_group_segment_fixed_size 256
		.amdhsa_private_segment_fixed_size 0
		.amdhsa_kernarg_size 140
		.amdhsa_user_sgpr_count 6
		.amdhsa_user_sgpr_private_segment_buffer 1
		.amdhsa_user_sgpr_dispatch_ptr 0
		.amdhsa_user_sgpr_queue_ptr 0
		.amdhsa_user_sgpr_kernarg_segment_ptr 1
		.amdhsa_user_sgpr_dispatch_id 0
		.amdhsa_user_sgpr_flat_scratch_init 0
		.amdhsa_user_sgpr_private_segment_size 0
		.amdhsa_wavefront_size32 1
		.amdhsa_uses_dynamic_stack 0
		.amdhsa_system_sgpr_private_segment_wavefront_offset 0
		.amdhsa_system_sgpr_workgroup_id_x 1
		.amdhsa_system_sgpr_workgroup_id_y 0
		.amdhsa_system_sgpr_workgroup_id_z 1
		.amdhsa_system_sgpr_workgroup_info 0
		.amdhsa_system_vgpr_workitem_id 0
		.amdhsa_next_free_vgpr 14
		.amdhsa_next_free_sgpr 52
		.amdhsa_reserve_vcc 1
		.amdhsa_reserve_flat_scratch 0
		.amdhsa_float_round_mode_32 0
		.amdhsa_float_round_mode_16_64 0
		.amdhsa_float_denorm_mode_32 3
		.amdhsa_float_denorm_mode_16_64 3
		.amdhsa_dx10_clamp 1
		.amdhsa_ieee_mode 1
		.amdhsa_fp16_overflow 0
		.amdhsa_workgroup_processor_mode 1
		.amdhsa_memory_ordered 1
		.amdhsa_forward_progress 1
		.amdhsa_shared_vgpr_count 0
		.amdhsa_exception_fp_ieee_invalid_op 0
		.amdhsa_exception_fp_denorm_src 0
		.amdhsa_exception_fp_ieee_div_zero 0
		.amdhsa_exception_fp_ieee_overflow 0
		.amdhsa_exception_fp_ieee_underflow 0
		.amdhsa_exception_fp_ieee_inexact 0
		.amdhsa_exception_int_div_zero 0
	.end_amdhsa_kernel
	.section	.text._ZL32rocblas_gemvt_warp_reduce_kernelILb0ELi1024EldPKddEviiT3_lPKT2_lT1_lS5_lS6_lS2_lPT4_lS6_li,"axG",@progbits,_ZL32rocblas_gemvt_warp_reduce_kernelILb0ELi1024EldPKddEviiT3_lPKT2_lT1_lS5_lS6_lS2_lPT4_lS6_li,comdat
.Lfunc_end85:
	.size	_ZL32rocblas_gemvt_warp_reduce_kernelILb0ELi1024EldPKddEviiT3_lPKT2_lT1_lS5_lS6_lS2_lPT4_lS6_li, .Lfunc_end85-_ZL32rocblas_gemvt_warp_reduce_kernelILb0ELi1024EldPKddEviiT3_lPKT2_lT1_lS5_lS6_lS2_lPT4_lS6_li
                                        ; -- End function
	.set _ZL32rocblas_gemvt_warp_reduce_kernelILb0ELi1024EldPKddEviiT3_lPKT2_lT1_lS5_lS6_lS2_lPT4_lS6_li.num_vgpr, 14
	.set _ZL32rocblas_gemvt_warp_reduce_kernelILb0ELi1024EldPKddEviiT3_lPKT2_lT1_lS5_lS6_lS2_lPT4_lS6_li.num_agpr, 0
	.set _ZL32rocblas_gemvt_warp_reduce_kernelILb0ELi1024EldPKddEviiT3_lPKT2_lT1_lS5_lS6_lS2_lPT4_lS6_li.numbered_sgpr, 52
	.set _ZL32rocblas_gemvt_warp_reduce_kernelILb0ELi1024EldPKddEviiT3_lPKT2_lT1_lS5_lS6_lS2_lPT4_lS6_li.num_named_barrier, 0
	.set _ZL32rocblas_gemvt_warp_reduce_kernelILb0ELi1024EldPKddEviiT3_lPKT2_lT1_lS5_lS6_lS2_lPT4_lS6_li.private_seg_size, 0
	.set _ZL32rocblas_gemvt_warp_reduce_kernelILb0ELi1024EldPKddEviiT3_lPKT2_lT1_lS5_lS6_lS2_lPT4_lS6_li.uses_vcc, 1
	.set _ZL32rocblas_gemvt_warp_reduce_kernelILb0ELi1024EldPKddEviiT3_lPKT2_lT1_lS5_lS6_lS2_lPT4_lS6_li.uses_flat_scratch, 0
	.set _ZL32rocblas_gemvt_warp_reduce_kernelILb0ELi1024EldPKddEviiT3_lPKT2_lT1_lS5_lS6_lS2_lPT4_lS6_li.has_dyn_sized_stack, 0
	.set _ZL32rocblas_gemvt_warp_reduce_kernelILb0ELi1024EldPKddEviiT3_lPKT2_lT1_lS5_lS6_lS2_lPT4_lS6_li.has_recursion, 0
	.set _ZL32rocblas_gemvt_warp_reduce_kernelILb0ELi1024EldPKddEviiT3_lPKT2_lT1_lS5_lS6_lS2_lPT4_lS6_li.has_indirect_call, 0
	.section	.AMDGPU.csdata,"",@progbits
; Kernel info:
; codeLenInByte = 1568
; TotalNumSgprs: 54
; NumVgprs: 14
; ScratchSize: 0
; MemoryBound: 0
; FloatMode: 240
; IeeeMode: 1
; LDSByteSize: 256 bytes/workgroup (compile time only)
; SGPRBlocks: 0
; VGPRBlocks: 1
; NumSGPRsForWavesPerEU: 54
; NumVGPRsForWavesPerEU: 14
; Occupancy: 16
; WaveLimiterHint : 0
; COMPUTE_PGM_RSRC2:SCRATCH_EN: 0
; COMPUTE_PGM_RSRC2:USER_SGPR: 6
; COMPUTE_PGM_RSRC2:TRAP_HANDLER: 0
; COMPUTE_PGM_RSRC2:TGID_X_EN: 1
; COMPUTE_PGM_RSRC2:TGID_Y_EN: 0
; COMPUTE_PGM_RSRC2:TGID_Z_EN: 1
; COMPUTE_PGM_RSRC2:TIDIG_COMP_CNT: 0
	.section	.text._ZL32rocblas_gemvt_warp_reduce_kernelILb0ELi1024EidddEviiT3_lPKT2_lT1_lS3_lS4_lS0_lPT4_lS4_li,"axG",@progbits,_ZL32rocblas_gemvt_warp_reduce_kernelILb0ELi1024EidddEviiT3_lPKT2_lT1_lS3_lS4_lS0_lPT4_lS4_li,comdat
	.globl	_ZL32rocblas_gemvt_warp_reduce_kernelILb0ELi1024EidddEviiT3_lPKT2_lT1_lS3_lS4_lS0_lPT4_lS4_li ; -- Begin function _ZL32rocblas_gemvt_warp_reduce_kernelILb0ELi1024EidddEviiT3_lPKT2_lT1_lS3_lS4_lS0_lPT4_lS4_li
	.p2align	8
	.type	_ZL32rocblas_gemvt_warp_reduce_kernelILb0ELi1024EidddEviiT3_lPKT2_lT1_lS3_lS4_lS0_lPT4_lS4_li,@function
_ZL32rocblas_gemvt_warp_reduce_kernelILb0ELi1024EidddEviiT3_lPKT2_lT1_lS3_lS4_lS0_lPT4_lS4_li: ; @_ZL32rocblas_gemvt_warp_reduce_kernelILb0ELi1024EidddEviiT3_lPKT2_lT1_lS3_lS4_lS0_lPT4_lS4_li
; %bb.0:
	s_clause 0x1
	s_load_dwordx2 s[2:3], s[4:5], 0x8
	s_load_dwordx4 s[8:11], s[4:5], 0x50
	s_waitcnt lgkmcnt(0)
	v_cmp_eq_f64_e64 s0, s[2:3], 0
	v_cmp_eq_f64_e64 s1, s[10:11], 1.0
	s_and_b32 s0, s0, s1
	s_and_b32 vcc_lo, exec_lo, s0
	s_cbranch_vccnz .LBB86_30
; %bb.1:
	s_clause 0x1
	s_load_dwordx2 s[0:1], s[4:5], 0x80
	s_load_dwordx4 s[12:15], s[4:5], 0x68
	v_cmp_neq_f64_e64 s17, s[2:3], 0
	s_load_dword s16, s[4:5], 0x78
	s_waitcnt lgkmcnt(0)
	s_mul_i32 s1, s1, s7
	s_mul_hi_u32 s18, s0, s7
	s_mul_i32 s0, s0, s7
	s_add_i32 s1, s18, s1
	s_lshl_b64 s[0:1], s[0:1], 3
	s_add_u32 s0, s12, s0
	s_addc_u32 s18, s13, s1
	s_lshl_b64 s[12:13], s[14:15], 3
	s_mov_b32 s15, 0
	s_add_u32 s1, s0, s12
	v_cmp_eq_u32_e64 s0, 0, v0
	s_addc_u32 s14, s18, s13
	s_and_b32 vcc_lo, exec_lo, s17
	s_cbranch_vccnz .LBB86_5
; %bb.2:
	s_mov_b32 s17, 0
                                        ; implicit-def: $vgpr1_vgpr2
                                        ; implicit-def: $sgpr12_sgpr13
	s_and_saveexec_b32 s18, s0
	s_cbranch_execz .LBB86_6
; %bb.3:
	v_cmp_eq_f64_e64 s0, s[10:11], 0
	s_mul_i32 s12, s16, s6
	s_ashr_i32 s13, s12, 31
	s_and_b32 vcc_lo, exec_lo, s0
	s_cbranch_vccnz .LBB86_7
; %bb.4:
	s_lshl_b64 s[20:21], s[12:13], 3
	s_add_u32 s20, s1, s20
	s_addc_u32 s21, s14, s21
	s_load_dwordx2 s[20:21], s[20:21], 0x0
	s_waitcnt lgkmcnt(0)
	v_mul_f64 v[1:2], s[10:11], s[20:21]
	s_branch .LBB86_8
.LBB86_5:
                                        ; implicit-def: $vgpr1_vgpr2
                                        ; implicit-def: $sgpr12_sgpr13
	s_cbranch_execnz .LBB86_9
	s_branch .LBB86_28
.LBB86_6:
	s_or_b32 exec_lo, exec_lo, s18
	s_and_b32 vcc_lo, exec_lo, s17
	s_cbranch_vccnz .LBB86_9
	s_branch .LBB86_28
.LBB86_7:
	v_mov_b32_e32 v1, 0
	v_mov_b32_e32 v2, 0
.LBB86_8:
	s_mov_b32 s15, exec_lo
	s_or_b32 exec_lo, exec_lo, s18
	s_and_b32 vcc_lo, exec_lo, s17
	s_cbranch_vccz .LBB86_28
.LBB86_9:
	s_clause 0x4
	s_load_dwordx4 s[20:23], s[4:5], 0x30
	s_load_dwordx2 s[18:19], s[4:5], 0x40
	s_load_dword s12, s[4:5], 0x0
	s_load_dwordx4 s[24:27], s[4:5], 0x18
	s_load_dword s0, s[4:5], 0x28
	s_mul_i32 s9, s9, s7
	s_mul_hi_u32 s13, s8, s7
	s_mul_i32 s8, s8, s7
	s_add_i32 s9, s13, s9
	s_load_dword s5, s[4:5], 0x48
	s_lshl_b64 s[8:9], s[8:9], 3
	s_waitcnt lgkmcnt(0)
	s_add_u32 s4, s22, s8
	s_mul_i32 s13, s21, s7
	v_cmp_gt_i32_e32 vcc_lo, s12, v0
	s_addc_u32 s21, s23, s9
	s_lshl_b64 s[8:9], s[18:19], 3
	s_mul_hi_u32 s17, s20, s7
	s_mul_i32 s18, s20, s7
	s_add_u32 s7, s4, s8
	v_cndmask_b32_e32 v1, 0, v0, vcc_lo
	s_addc_u32 s8, s21, s9
	s_add_i32 s19, s17, s13
	s_mul_i32 s20, s0, s6
	s_lshl_b64 s[18:19], s[18:19], 3
	v_lshlrev_b32_e32 v1, 3, v1
	s_add_u32 s0, s24, s18
	s_addc_u32 s4, s25, s19
	s_lshl_b64 s[18:19], s[26:27], 3
	s_mov_b32 s13, 0
	s_add_u32 s0, s0, s18
	s_addc_u32 s4, s4, s19
	v_add_co_u32 v1, s0, s0, v1
	s_ashr_i32 s21, s20, 31
	v_add_co_ci_u32_e64 v2, null, s4, 0, s0
	s_lshl_b64 s[18:19], s[20:21], 3
	s_ashr_i32 s9, s12, 31
	v_add_co_u32 v3, vcc_lo, v1, s18
	s_lshr_b32 s0, s9, 22
	v_add_co_ci_u32_e64 v4, null, s19, v2, vcc_lo
	v_mov_b32_e32 v1, 0
	v_mov_b32_e32 v2, 0
	s_add_i32 s0, s12, s0
	s_mov_b32 s9, exec_lo
	s_and_b32 s4, s0, 0xfffffc00
	v_cmpx_gt_i32_e64 s4, v0
	s_cbranch_execz .LBB86_13
; %bb.10:
	v_mul_lo_u32 v5, v0, s5
	v_mov_b32_e32 v1, 0
	v_mov_b32_e32 v8, v4
	;; [unrolled: 1-line block ×5, first 2 shown]
	s_lshl_b32 s17, s5, 10
	.p2align	6
.LBB86_11:                              ; =>This Inner Loop Header: Depth=1
	v_ashrrev_i32_e32 v6, 31, v5
	v_add_nc_u32_e32 v9, 0x400, v9
	v_lshlrev_b64 v[10:11], 3, v[5:6]
	v_cmp_le_i32_e64 s0, s4, v9
	v_add_nc_u32_e32 v5, s17, v5
	s_or_b32 s13, s0, s13
	v_add_co_u32 v10, vcc_lo, s7, v10
	v_add_co_ci_u32_e64 v11, null, s8, v11, vcc_lo
	global_load_dwordx2 v[12:13], v[7:8], off
	global_load_dwordx2 v[10:11], v[10:11], off
	v_add_co_u32 v7, vcc_lo, 0x2000, v7
	v_add_co_ci_u32_e64 v8, null, 0, v8, vcc_lo
	s_waitcnt vmcnt(0)
	v_fma_f64 v[1:2], v[12:13], v[10:11], v[1:2]
	s_andn2_b32 exec_lo, exec_lo, s13
	s_cbranch_execnz .LBB86_11
; %bb.12:
	s_or_b32 exec_lo, exec_lo, s13
.LBB86_13:
	s_or_b32 exec_lo, exec_lo, s9
	v_or_b32_e32 v5, s4, v0
	s_mov_b32 s0, exec_lo
	v_cmpx_gt_i32_e64 s12, v5
	s_cbranch_execz .LBB86_15
; %bb.14:
	v_mul_lo_u32 v5, s5, v5
	s_ashr_i32 s5, s4, 31
	s_lshl_b64 s[4:5], s[4:5], 3
	v_add_co_u32 v3, vcc_lo, v3, s4
	v_add_co_ci_u32_e64 v4, null, s5, v4, vcc_lo
	v_ashrrev_i32_e32 v6, 31, v5
	v_lshlrev_b64 v[5:6], 3, v[5:6]
	v_add_co_u32 v5, vcc_lo, s7, v5
	v_add_co_ci_u32_e64 v6, null, s8, v6, vcc_lo
	global_load_dwordx2 v[3:4], v[3:4], off
	global_load_dwordx2 v[5:6], v[5:6], off
	s_waitcnt vmcnt(0)
	v_fma_f64 v[1:2], v[3:4], v[5:6], v[1:2]
.LBB86_15:
	s_or_b32 exec_lo, exec_lo, s0
	v_and_b32_e32 v11, 31, v0
	v_cmp_gt_u32_e32 vcc_lo, 32, v0
	v_lshlrev_b32_e32 v5, 3, v11
	s_and_saveexec_b32 s0, vcc_lo
; %bb.16:
	v_mov_b32_e32 v3, 0
	v_mov_b32_e32 v4, v3
	ds_write_b64 v5, v[3:4]
; %bb.17:
	s_or_b32 exec_lo, exec_lo, s0
	v_mbcnt_lo_u32_b32 v10, -1, 0
	s_mov_b32 s4, exec_lo
	s_waitcnt lgkmcnt(0)
	s_barrier
	buffer_gl0_inv
	v_lshl_or_b32 v6, v10, 2, 64
	v_cmp_gt_u32_e64 s0, 24, v10
	ds_bpermute_b32 v3, v6, v1
	ds_bpermute_b32 v4, v6, v2
	s_waitcnt lgkmcnt(0)
	v_add_f64 v[1:2], v[1:2], v[3:4]
	v_cndmask_b32_e64 v3, 0, 8, s0
	v_cmp_gt_u32_e64 s0, 28, v10
	v_add_lshl_u32 v7, v3, v10, 2
	ds_bpermute_b32 v3, v7, v1
	ds_bpermute_b32 v4, v7, v2
	s_waitcnt lgkmcnt(0)
	v_add_f64 v[1:2], v[1:2], v[3:4]
	v_cndmask_b32_e64 v3, 0, 4, s0
	v_cmp_gt_u32_e64 s0, 30, v10
	v_add_lshl_u32 v8, v3, v10, 2
	ds_bpermute_b32 v3, v8, v1
	ds_bpermute_b32 v4, v8, v2
	s_waitcnt lgkmcnt(0)
	v_add_f64 v[1:2], v[1:2], v[3:4]
	v_cndmask_b32_e64 v3, 0, 2, s0
	v_cmp_ne_u32_e64 s0, 31, v10
	v_add_lshl_u32 v9, v3, v10, 2
	ds_bpermute_b32 v3, v9, v1
	ds_bpermute_b32 v4, v9, v2
	s_waitcnt lgkmcnt(0)
	v_add_f64 v[1:2], v[1:2], v[3:4]
	v_add_co_ci_u32_e64 v3, null, 0, v10, s0
	v_lshlrev_b32_e32 v10, 2, v3
	ds_bpermute_b32 v3, v10, v1
	ds_bpermute_b32 v4, v10, v2
	v_cmpx_eq_u32_e32 0, v11
	s_cbranch_execz .LBB86_19
; %bb.18:
	s_waitcnt lgkmcnt(0)
	v_add_f64 v[1:2], v[1:2], v[3:4]
	v_lshrrev_b32_e32 v3, 2, v0
	v_and_b32_e32 v3, 0xf8, v3
	ds_write_b64 v3, v[1:2]
.LBB86_19:
	s_or_b32 exec_lo, exec_lo, s4
	s_waitcnt lgkmcnt(0)
	v_mov_b32_e32 v3, 0
	v_mov_b32_e32 v4, 0
	s_barrier
	buffer_gl0_inv
	s_and_saveexec_b32 s0, vcc_lo
; %bb.20:
	ds_read_b64 v[3:4], v5
; %bb.21:
	s_or_b32 exec_lo, exec_lo, s0
	s_and_saveexec_b32 s0, vcc_lo
	s_cbranch_execz .LBB86_23
; %bb.22:
	s_waitcnt lgkmcnt(0)
	ds_bpermute_b32 v1, v6, v3
	ds_bpermute_b32 v2, v6, v4
	s_waitcnt lgkmcnt(0)
	v_add_f64 v[1:2], v[3:4], v[1:2]
	ds_bpermute_b32 v3, v7, v1
	ds_bpermute_b32 v4, v7, v2
	s_waitcnt lgkmcnt(0)
	v_add_f64 v[1:2], v[1:2], v[3:4]
	;; [unrolled: 4-line block ×5, first 2 shown]
.LBB86_23:
	s_or_b32 exec_lo, exec_lo, s0
	s_mov_b32 s0, exec_lo
                                        ; implicit-def: $vgpr1_vgpr2
                                        ; implicit-def: $sgpr12_sgpr13
	v_cmpx_eq_u32_e32 0, v0
	s_cbranch_execz .LBB86_27
; %bb.24:
	v_cmp_eq_f64_e64 s4, s[10:11], 0
	s_waitcnt lgkmcnt(0)
	v_mul_f64 v[1:2], s[2:3], v[3:4]
	s_mul_i32 s12, s16, s6
	s_ashr_i32 s13, s12, 31
	s_and_b32 vcc_lo, exec_lo, s4
	s_cbranch_vccnz .LBB86_26
; %bb.25:
	s_lshl_b64 s[2:3], s[12:13], 3
	s_add_u32 s2, s1, s2
	s_addc_u32 s3, s14, s3
	s_load_dwordx2 s[2:3], s[2:3], 0x0
	s_waitcnt lgkmcnt(0)
	v_fma_f64 v[1:2], s[10:11], s[2:3], v[1:2]
.LBB86_26:
	s_or_b32 s15, s15, exec_lo
.LBB86_27:
	s_or_b32 exec_lo, exec_lo, s0
.LBB86_28:
	s_and_saveexec_b32 s0, s15
	s_cbranch_execz .LBB86_30
; %bb.29:
	s_lshl_b64 s[2:3], s[12:13], 3
	v_mov_b32_e32 v0, 0
	s_add_u32 s0, s1, s2
	s_addc_u32 s1, s14, s3
	global_store_dwordx2 v0, v[1:2], s[0:1]
.LBB86_30:
	s_endpgm
	.section	.rodata,"a",@progbits
	.p2align	6, 0x0
	.amdhsa_kernel _ZL32rocblas_gemvt_warp_reduce_kernelILb0ELi1024EidddEviiT3_lPKT2_lT1_lS3_lS4_lS0_lPT4_lS4_li
		.amdhsa_group_segment_fixed_size 256
		.amdhsa_private_segment_fixed_size 0
		.amdhsa_kernarg_size 140
		.amdhsa_user_sgpr_count 6
		.amdhsa_user_sgpr_private_segment_buffer 1
		.amdhsa_user_sgpr_dispatch_ptr 0
		.amdhsa_user_sgpr_queue_ptr 0
		.amdhsa_user_sgpr_kernarg_segment_ptr 1
		.amdhsa_user_sgpr_dispatch_id 0
		.amdhsa_user_sgpr_flat_scratch_init 0
		.amdhsa_user_sgpr_private_segment_size 0
		.amdhsa_wavefront_size32 1
		.amdhsa_uses_dynamic_stack 0
		.amdhsa_system_sgpr_private_segment_wavefront_offset 0
		.amdhsa_system_sgpr_workgroup_id_x 1
		.amdhsa_system_sgpr_workgroup_id_y 0
		.amdhsa_system_sgpr_workgroup_id_z 1
		.amdhsa_system_sgpr_workgroup_info 0
		.amdhsa_system_vgpr_workitem_id 0
		.amdhsa_next_free_vgpr 14
		.amdhsa_next_free_sgpr 28
		.amdhsa_reserve_vcc 1
		.amdhsa_reserve_flat_scratch 0
		.amdhsa_float_round_mode_32 0
		.amdhsa_float_round_mode_16_64 0
		.amdhsa_float_denorm_mode_32 3
		.amdhsa_float_denorm_mode_16_64 3
		.amdhsa_dx10_clamp 1
		.amdhsa_ieee_mode 1
		.amdhsa_fp16_overflow 0
		.amdhsa_workgroup_processor_mode 1
		.amdhsa_memory_ordered 1
		.amdhsa_forward_progress 1
		.amdhsa_shared_vgpr_count 0
		.amdhsa_exception_fp_ieee_invalid_op 0
		.amdhsa_exception_fp_denorm_src 0
		.amdhsa_exception_fp_ieee_div_zero 0
		.amdhsa_exception_fp_ieee_overflow 0
		.amdhsa_exception_fp_ieee_underflow 0
		.amdhsa_exception_fp_ieee_inexact 0
		.amdhsa_exception_int_div_zero 0
	.end_amdhsa_kernel
	.section	.text._ZL32rocblas_gemvt_warp_reduce_kernelILb0ELi1024EidddEviiT3_lPKT2_lT1_lS3_lS4_lS0_lPT4_lS4_li,"axG",@progbits,_ZL32rocblas_gemvt_warp_reduce_kernelILb0ELi1024EidddEviiT3_lPKT2_lT1_lS3_lS4_lS0_lPT4_lS4_li,comdat
.Lfunc_end86:
	.size	_ZL32rocblas_gemvt_warp_reduce_kernelILb0ELi1024EidddEviiT3_lPKT2_lT1_lS3_lS4_lS0_lPT4_lS4_li, .Lfunc_end86-_ZL32rocblas_gemvt_warp_reduce_kernelILb0ELi1024EidddEviiT3_lPKT2_lT1_lS3_lS4_lS0_lPT4_lS4_li
                                        ; -- End function
	.set _ZL32rocblas_gemvt_warp_reduce_kernelILb0ELi1024EidddEviiT3_lPKT2_lT1_lS3_lS4_lS0_lPT4_lS4_li.num_vgpr, 14
	.set _ZL32rocblas_gemvt_warp_reduce_kernelILb0ELi1024EidddEviiT3_lPKT2_lT1_lS3_lS4_lS0_lPT4_lS4_li.num_agpr, 0
	.set _ZL32rocblas_gemvt_warp_reduce_kernelILb0ELi1024EidddEviiT3_lPKT2_lT1_lS3_lS4_lS0_lPT4_lS4_li.numbered_sgpr, 28
	.set _ZL32rocblas_gemvt_warp_reduce_kernelILb0ELi1024EidddEviiT3_lPKT2_lT1_lS3_lS4_lS0_lPT4_lS4_li.num_named_barrier, 0
	.set _ZL32rocblas_gemvt_warp_reduce_kernelILb0ELi1024EidddEviiT3_lPKT2_lT1_lS3_lS4_lS0_lPT4_lS4_li.private_seg_size, 0
	.set _ZL32rocblas_gemvt_warp_reduce_kernelILb0ELi1024EidddEviiT3_lPKT2_lT1_lS3_lS4_lS0_lPT4_lS4_li.uses_vcc, 1
	.set _ZL32rocblas_gemvt_warp_reduce_kernelILb0ELi1024EidddEviiT3_lPKT2_lT1_lS3_lS4_lS0_lPT4_lS4_li.uses_flat_scratch, 0
	.set _ZL32rocblas_gemvt_warp_reduce_kernelILb0ELi1024EidddEviiT3_lPKT2_lT1_lS3_lS4_lS0_lPT4_lS4_li.has_dyn_sized_stack, 0
	.set _ZL32rocblas_gemvt_warp_reduce_kernelILb0ELi1024EidddEviiT3_lPKT2_lT1_lS3_lS4_lS0_lPT4_lS4_li.has_recursion, 0
	.set _ZL32rocblas_gemvt_warp_reduce_kernelILb0ELi1024EidddEviiT3_lPKT2_lT1_lS3_lS4_lS0_lPT4_lS4_li.has_indirect_call, 0
	.section	.AMDGPU.csdata,"",@progbits
; Kernel info:
; codeLenInByte = 1460
; TotalNumSgprs: 30
; NumVgprs: 14
; ScratchSize: 0
; MemoryBound: 0
; FloatMode: 240
; IeeeMode: 1
; LDSByteSize: 256 bytes/workgroup (compile time only)
; SGPRBlocks: 0
; VGPRBlocks: 1
; NumSGPRsForWavesPerEU: 30
; NumVGPRsForWavesPerEU: 14
; Occupancy: 16
; WaveLimiterHint : 1
; COMPUTE_PGM_RSRC2:SCRATCH_EN: 0
; COMPUTE_PGM_RSRC2:USER_SGPR: 6
; COMPUTE_PGM_RSRC2:TRAP_HANDLER: 0
; COMPUTE_PGM_RSRC2:TGID_X_EN: 1
; COMPUTE_PGM_RSRC2:TGID_Y_EN: 0
; COMPUTE_PGM_RSRC2:TGID_Z_EN: 1
; COMPUTE_PGM_RSRC2:TIDIG_COMP_CNT: 0
	.section	.text._ZL32rocblas_gemvt_warp_reduce_kernelILb0ELi1024EldddEviiT3_lPKT2_lT1_lS3_lS4_lS0_lPT4_lS4_li,"axG",@progbits,_ZL32rocblas_gemvt_warp_reduce_kernelILb0ELi1024EldddEviiT3_lPKT2_lT1_lS3_lS4_lS0_lPT4_lS4_li,comdat
	.globl	_ZL32rocblas_gemvt_warp_reduce_kernelILb0ELi1024EldddEviiT3_lPKT2_lT1_lS3_lS4_lS0_lPT4_lS4_li ; -- Begin function _ZL32rocblas_gemvt_warp_reduce_kernelILb0ELi1024EldddEviiT3_lPKT2_lT1_lS3_lS4_lS0_lPT4_lS4_li
	.p2align	8
	.type	_ZL32rocblas_gemvt_warp_reduce_kernelILb0ELi1024EldddEviiT3_lPKT2_lT1_lS3_lS4_lS0_lPT4_lS4_li,@function
_ZL32rocblas_gemvt_warp_reduce_kernelILb0ELi1024EldddEviiT3_lPKT2_lT1_lS3_lS4_lS0_lPT4_lS4_li: ; @_ZL32rocblas_gemvt_warp_reduce_kernelILb0ELi1024EldddEviiT3_lPKT2_lT1_lS3_lS4_lS0_lPT4_lS4_li
; %bb.0:
	s_clause 0x1
	s_load_dwordx2 s[28:29], s[4:5], 0x8
	s_load_dwordx2 s[2:3], s[4:5], 0x58
	s_waitcnt lgkmcnt(0)
	v_cmp_eq_f64_e64 s0, s[28:29], 0
	v_cmp_eq_f64_e64 s1, s[2:3], 1.0
	s_and_b32 s0, s0, s1
	s_and_b32 vcc_lo, exec_lo, s0
	s_cbranch_vccnz .LBB87_30
; %bb.1:
	s_load_dwordx8 s[20:27], s[4:5], 0x68
	v_cmp_neq_f64_e64 s10, s[28:29], 0
	s_waitcnt lgkmcnt(0)
	s_mul_i32 s1, s27, s7
	s_mul_hi_u32 s8, s26, s7
	s_mul_i32 s0, s26, s7
	s_add_i32 s1, s8, s1
	s_mov_b32 s27, 0
	s_lshl_b64 s[0:1], s[0:1], 3
	s_add_u32 s0, s20, s0
	s_addc_u32 s11, s21, s1
	s_lshl_b64 s[8:9], s[22:23], 3
	s_add_u32 s1, s0, s8
	v_cmp_eq_u32_e64 s0, 0, v0
	s_addc_u32 s26, s11, s9
	s_and_b32 vcc_lo, exec_lo, s10
	s_cbranch_vccnz .LBB87_5
; %bb.2:
	s_mov_b32 s10, 0
                                        ; implicit-def: $vgpr1_vgpr2
                                        ; implicit-def: $sgpr8_sgpr9
	s_and_saveexec_b32 s11, s0
	s_cbranch_execz .LBB87_6
; %bb.3:
	v_cmp_eq_f64_e64 s0, s[2:3], 0
	s_ashr_i32 s8, s6, 31
	s_mul_hi_u32 s9, s24, s6
	s_mul_i32 s8, s24, s8
	s_add_i32 s8, s9, s8
	s_mul_i32 s9, s25, s6
	s_add_i32 s9, s8, s9
	s_mul_i32 s8, s24, s6
	s_and_b32 vcc_lo, exec_lo, s0
	s_cbranch_vccnz .LBB87_7
; %bb.4:
	s_lshl_b64 s[12:13], s[8:9], 3
	s_add_u32 s12, s1, s12
	s_addc_u32 s13, s26, s13
	s_load_dwordx2 s[12:13], s[12:13], 0x0
	s_waitcnt lgkmcnt(0)
	v_mul_f64 v[1:2], s[2:3], s[12:13]
	s_branch .LBB87_8
.LBB87_5:
                                        ; implicit-def: $vgpr1_vgpr2
                                        ; implicit-def: $sgpr8_sgpr9
	s_cbranch_execnz .LBB87_9
	s_branch .LBB87_28
.LBB87_6:
	s_or_b32 exec_lo, exec_lo, s11
	s_and_b32 vcc_lo, exec_lo, s10
	s_cbranch_vccnz .LBB87_9
	s_branch .LBB87_28
.LBB87_7:
	v_mov_b32_e32 v1, 0
	v_mov_b32_e32 v2, 0
.LBB87_8:
	s_mov_b32 s27, exec_lo
	s_or_b32 exec_lo, exec_lo, s11
	s_and_b32 vcc_lo, exec_lo, s10
	s_cbranch_vccz .LBB87_28
.LBB87_9:
	s_clause 0x1
	s_load_dwordx16 s[8:23], s[4:5], 0x18
	s_load_dword s30, s[4:5], 0x0
	v_mov_b32_e32 v1, 0
	v_mov_b32_e32 v2, 0
	s_waitcnt lgkmcnt(0)
	s_mul_i32 s5, s15, s7
	v_cmp_gt_i32_e32 vcc_lo, s30, v0
	s_mul_hi_u32 s15, s14, s7
	s_mul_i32 s4, s14, s7
	s_add_i32 s5, s15, s5
	s_mul_i32 s0, s23, s7
	v_cndmask_b32_e32 v3, 0, v0, vcc_lo
	s_mul_hi_u32 s23, s22, s7
	s_lshl_b64 s[34:35], s[4:5], 3
	s_add_i32 s5, s23, s0
	s_add_u32 s0, s8, s34
	v_lshlrev_b32_e32 v3, 3, v3
	s_addc_u32 s4, s9, s35
	s_lshl_b64 s[8:9], s[10:11], 3
	s_mul_i32 s33, s13, s6
	s_add_u32 s0, s0, s8
	s_addc_u32 s4, s4, s9
	s_ashr_i32 s13, s6, 31
	v_add_co_u32 v3, s0, s0, v3
	s_mul_hi_u32 s31, s12, s6
	v_add_co_ci_u32_e64 v4, null, s4, 0, s0
	s_mul_i32 s0, s12, s13
	s_mul_i32 s14, s12, s6
	s_add_i32 s0, s31, s0
	s_ashr_i32 s8, s30, 31
	s_add_i32 s15, s0, s33
	s_lshr_b32 s4, s8, 22
	s_lshl_b64 s[10:11], s[14:15], 3
	s_add_i32 s4, s30, s4
	v_add_co_u32 v3, vcc_lo, v3, s10
	v_add_co_ci_u32_e64 v4, null, s11, v4, vcc_lo
	s_and_b32 s8, s4, 0xfffffc00
	s_mul_i32 s4, s22, s7
	s_mov_b32 s9, 0
	s_mov_b32 s7, exec_lo
	v_cmpx_gt_i32_e64 s8, v0
	s_cbranch_execz .LBB87_13
; %bb.10:
	v_mad_u64_u32 v[7:8], null, s20, v0, 0
	s_lshl_b64 s[14:15], s[18:19], 3
	s_lshl_b64 s[10:11], s[4:5], 3
	s_add_u32 s0, s16, s14
	s_addc_u32 s12, s17, s15
	s_add_u32 s0, s0, s10
	s_addc_u32 s10, s12, s11
	v_mov_b32_e32 v1, v8
	v_mov_b32_e32 v6, v4
	;; [unrolled: 1-line block ×4, first 2 shown]
	v_mad_u64_u32 v[1:2], null, s21, v0, v[1:2]
	v_mov_b32_e32 v8, v1
	v_mov_b32_e32 v1, 0
	;; [unrolled: 1-line block ×3, first 2 shown]
	v_lshlrev_b64 v[7:8], 3, v[7:8]
	v_add_co_u32 v7, vcc_lo, s0, v7
	v_add_co_ci_u32_e64 v8, null, s10, v8, vcc_lo
	s_lshl_b64 s[10:11], s[20:21], 13
	.p2align	6
.LBB87_11:                              ; =>This Inner Loop Header: Depth=1
	global_load_dwordx2 v[10:11], v[5:6], off
	global_load_dwordx2 v[12:13], v[7:8], off
	v_add_nc_u32_e32 v9, 0x400, v9
	v_add_co_u32 v5, vcc_lo, 0x2000, v5
	v_add_co_ci_u32_e64 v6, null, 0, v6, vcc_lo
	v_cmp_le_i32_e32 vcc_lo, s8, v9
	v_add_co_u32 v7, s0, v7, s10
	v_add_co_ci_u32_e64 v8, null, s11, v8, s0
	s_or_b32 s9, vcc_lo, s9
	s_waitcnt vmcnt(0)
	v_fma_f64 v[1:2], v[10:11], v[12:13], v[1:2]
	s_andn2_b32 exec_lo, exec_lo, s9
	s_cbranch_execnz .LBB87_11
; %bb.12:
	s_or_b32 exec_lo, exec_lo, s9
.LBB87_13:
	s_or_b32 exec_lo, exec_lo, s7
	v_or_b32_e32 v5, s8, v0
	s_mov_b32 s0, exec_lo
	v_cmpx_gt_i32_e64 s30, v5
	s_cbranch_execz .LBB87_15
; %bb.14:
	v_ashrrev_i32_e32 v7, 31, v5
	v_mul_lo_u32 v8, s21, v5
	v_mad_u64_u32 v[5:6], null, s20, v5, 0
	s_lshl_b64 s[4:5], s[4:5], 3
	v_mul_lo_u32 v7, s20, v7
	s_add_u32 s7, s16, s4
	s_addc_u32 s9, s17, s5
	s_lshl_b64 s[4:5], s[18:19], 3
	s_add_u32 s7, s7, s4
	s_addc_u32 s10, s9, s5
	s_ashr_i32 s9, s8, 31
	v_add3_u32 v6, v6, v7, v8
	s_lshl_b64 s[4:5], s[8:9], 3
	v_add_co_u32 v3, vcc_lo, v3, s4
	v_lshlrev_b64 v[5:6], 3, v[5:6]
	v_add_co_ci_u32_e64 v4, null, s5, v4, vcc_lo
	v_add_co_u32 v5, vcc_lo, s7, v5
	v_add_co_ci_u32_e64 v6, null, s10, v6, vcc_lo
	global_load_dwordx2 v[3:4], v[3:4], off
	global_load_dwordx2 v[5:6], v[5:6], off
	s_waitcnt vmcnt(0)
	v_fma_f64 v[1:2], v[3:4], v[5:6], v[1:2]
.LBB87_15:
	s_or_b32 exec_lo, exec_lo, s0
	v_and_b32_e32 v11, 31, v0
	v_cmp_gt_u32_e32 vcc_lo, 32, v0
	v_lshlrev_b32_e32 v5, 3, v11
	s_and_saveexec_b32 s0, vcc_lo
; %bb.16:
	v_mov_b32_e32 v3, 0
	v_mov_b32_e32 v4, v3
	ds_write_b64 v5, v[3:4]
; %bb.17:
	s_or_b32 exec_lo, exec_lo, s0
	v_mbcnt_lo_u32_b32 v10, -1, 0
	s_mov_b32 s4, exec_lo
	s_waitcnt lgkmcnt(0)
	s_barrier
	buffer_gl0_inv
	v_lshl_or_b32 v6, v10, 2, 64
	v_cmp_gt_u32_e64 s0, 24, v10
	ds_bpermute_b32 v3, v6, v1
	ds_bpermute_b32 v4, v6, v2
	s_waitcnt lgkmcnt(0)
	v_add_f64 v[1:2], v[1:2], v[3:4]
	v_cndmask_b32_e64 v3, 0, 8, s0
	v_cmp_gt_u32_e64 s0, 28, v10
	v_add_lshl_u32 v7, v3, v10, 2
	ds_bpermute_b32 v3, v7, v1
	ds_bpermute_b32 v4, v7, v2
	s_waitcnt lgkmcnt(0)
	v_add_f64 v[1:2], v[1:2], v[3:4]
	v_cndmask_b32_e64 v3, 0, 4, s0
	v_cmp_gt_u32_e64 s0, 30, v10
	v_add_lshl_u32 v8, v3, v10, 2
	ds_bpermute_b32 v3, v8, v1
	ds_bpermute_b32 v4, v8, v2
	s_waitcnt lgkmcnt(0)
	v_add_f64 v[1:2], v[1:2], v[3:4]
	v_cndmask_b32_e64 v3, 0, 2, s0
	v_cmp_ne_u32_e64 s0, 31, v10
	v_add_lshl_u32 v9, v3, v10, 2
	ds_bpermute_b32 v3, v9, v1
	ds_bpermute_b32 v4, v9, v2
	s_waitcnt lgkmcnt(0)
	v_add_f64 v[1:2], v[1:2], v[3:4]
	v_add_co_ci_u32_e64 v3, null, 0, v10, s0
	v_lshlrev_b32_e32 v10, 2, v3
	ds_bpermute_b32 v3, v10, v1
	ds_bpermute_b32 v4, v10, v2
	v_cmpx_eq_u32_e32 0, v11
	s_cbranch_execz .LBB87_19
; %bb.18:
	s_waitcnt lgkmcnt(0)
	v_add_f64 v[1:2], v[1:2], v[3:4]
	v_lshrrev_b32_e32 v3, 2, v0
	v_and_b32_e32 v3, 0xf8, v3
	ds_write_b64 v3, v[1:2]
.LBB87_19:
	s_or_b32 exec_lo, exec_lo, s4
	s_waitcnt lgkmcnt(0)
	v_mov_b32_e32 v3, 0
	v_mov_b32_e32 v4, 0
	s_barrier
	buffer_gl0_inv
	s_and_saveexec_b32 s0, vcc_lo
; %bb.20:
	ds_read_b64 v[3:4], v5
; %bb.21:
	s_or_b32 exec_lo, exec_lo, s0
	s_and_saveexec_b32 s0, vcc_lo
	s_cbranch_execz .LBB87_23
; %bb.22:
	s_waitcnt lgkmcnt(0)
	ds_bpermute_b32 v1, v6, v3
	ds_bpermute_b32 v2, v6, v4
	s_waitcnt lgkmcnt(0)
	v_add_f64 v[1:2], v[3:4], v[1:2]
	ds_bpermute_b32 v3, v7, v1
	ds_bpermute_b32 v4, v7, v2
	s_waitcnt lgkmcnt(0)
	v_add_f64 v[1:2], v[1:2], v[3:4]
	;; [unrolled: 4-line block ×5, first 2 shown]
.LBB87_23:
	s_or_b32 exec_lo, exec_lo, s0
	s_mov_b32 s0, exec_lo
                                        ; implicit-def: $vgpr1_vgpr2
                                        ; implicit-def: $sgpr8_sgpr9
	v_cmpx_eq_u32_e32 0, v0
	s_cbranch_execz .LBB87_27
; %bb.24:
	v_cmp_eq_f64_e64 s4, s[2:3], 0
	s_waitcnt lgkmcnt(0)
	v_mul_f64 v[1:2], s[28:29], v[3:4]
	s_mul_i32 s5, s24, s13
	s_mul_hi_u32 s7, s24, s6
	s_mul_i32 s8, s24, s6
	s_add_i32 s5, s7, s5
	s_mul_i32 s7, s25, s6
	s_add_i32 s9, s5, s7
	s_and_b32 vcc_lo, exec_lo, s4
	s_cbranch_vccnz .LBB87_26
; %bb.25:
	s_lshl_b64 s[4:5], s[8:9], 3
	s_add_u32 s4, s1, s4
	s_addc_u32 s5, s26, s5
	s_load_dwordx2 s[4:5], s[4:5], 0x0
	s_waitcnt lgkmcnt(0)
	v_fma_f64 v[1:2], s[2:3], s[4:5], v[1:2]
.LBB87_26:
	s_or_b32 s27, s27, exec_lo
.LBB87_27:
	s_or_b32 exec_lo, exec_lo, s0
.LBB87_28:
	s_and_saveexec_b32 s0, s27
	s_cbranch_execz .LBB87_30
; %bb.29:
	s_lshl_b64 s[2:3], s[8:9], 3
	v_mov_b32_e32 v0, 0
	s_add_u32 s0, s1, s2
	s_addc_u32 s1, s26, s3
	global_store_dwordx2 v0, v[1:2], s[0:1]
.LBB87_30:
	s_endpgm
	.section	.rodata,"a",@progbits
	.p2align	6, 0x0
	.amdhsa_kernel _ZL32rocblas_gemvt_warp_reduce_kernelILb0ELi1024EldddEviiT3_lPKT2_lT1_lS3_lS4_lS0_lPT4_lS4_li
		.amdhsa_group_segment_fixed_size 256
		.amdhsa_private_segment_fixed_size 0
		.amdhsa_kernarg_size 140
		.amdhsa_user_sgpr_count 6
		.amdhsa_user_sgpr_private_segment_buffer 1
		.amdhsa_user_sgpr_dispatch_ptr 0
		.amdhsa_user_sgpr_queue_ptr 0
		.amdhsa_user_sgpr_kernarg_segment_ptr 1
		.amdhsa_user_sgpr_dispatch_id 0
		.amdhsa_user_sgpr_flat_scratch_init 0
		.amdhsa_user_sgpr_private_segment_size 0
		.amdhsa_wavefront_size32 1
		.amdhsa_uses_dynamic_stack 0
		.amdhsa_system_sgpr_private_segment_wavefront_offset 0
		.amdhsa_system_sgpr_workgroup_id_x 1
		.amdhsa_system_sgpr_workgroup_id_y 0
		.amdhsa_system_sgpr_workgroup_id_z 1
		.amdhsa_system_sgpr_workgroup_info 0
		.amdhsa_system_vgpr_workitem_id 0
		.amdhsa_next_free_vgpr 14
		.amdhsa_next_free_sgpr 36
		.amdhsa_reserve_vcc 1
		.amdhsa_reserve_flat_scratch 0
		.amdhsa_float_round_mode_32 0
		.amdhsa_float_round_mode_16_64 0
		.amdhsa_float_denorm_mode_32 3
		.amdhsa_float_denorm_mode_16_64 3
		.amdhsa_dx10_clamp 1
		.amdhsa_ieee_mode 1
		.amdhsa_fp16_overflow 0
		.amdhsa_workgroup_processor_mode 1
		.amdhsa_memory_ordered 1
		.amdhsa_forward_progress 1
		.amdhsa_shared_vgpr_count 0
		.amdhsa_exception_fp_ieee_invalid_op 0
		.amdhsa_exception_fp_denorm_src 0
		.amdhsa_exception_fp_ieee_div_zero 0
		.amdhsa_exception_fp_ieee_overflow 0
		.amdhsa_exception_fp_ieee_underflow 0
		.amdhsa_exception_fp_ieee_inexact 0
		.amdhsa_exception_int_div_zero 0
	.end_amdhsa_kernel
	.section	.text._ZL32rocblas_gemvt_warp_reduce_kernelILb0ELi1024EldddEviiT3_lPKT2_lT1_lS3_lS4_lS0_lPT4_lS4_li,"axG",@progbits,_ZL32rocblas_gemvt_warp_reduce_kernelILb0ELi1024EldddEviiT3_lPKT2_lT1_lS3_lS4_lS0_lPT4_lS4_li,comdat
.Lfunc_end87:
	.size	_ZL32rocblas_gemvt_warp_reduce_kernelILb0ELi1024EldddEviiT3_lPKT2_lT1_lS3_lS4_lS0_lPT4_lS4_li, .Lfunc_end87-_ZL32rocblas_gemvt_warp_reduce_kernelILb0ELi1024EldddEviiT3_lPKT2_lT1_lS3_lS4_lS0_lPT4_lS4_li
                                        ; -- End function
	.set _ZL32rocblas_gemvt_warp_reduce_kernelILb0ELi1024EldddEviiT3_lPKT2_lT1_lS3_lS4_lS0_lPT4_lS4_li.num_vgpr, 14
	.set _ZL32rocblas_gemvt_warp_reduce_kernelILb0ELi1024EldddEviiT3_lPKT2_lT1_lS3_lS4_lS0_lPT4_lS4_li.num_agpr, 0
	.set _ZL32rocblas_gemvt_warp_reduce_kernelILb0ELi1024EldddEviiT3_lPKT2_lT1_lS3_lS4_lS0_lPT4_lS4_li.numbered_sgpr, 36
	.set _ZL32rocblas_gemvt_warp_reduce_kernelILb0ELi1024EldddEviiT3_lPKT2_lT1_lS3_lS4_lS0_lPT4_lS4_li.num_named_barrier, 0
	.set _ZL32rocblas_gemvt_warp_reduce_kernelILb0ELi1024EldddEviiT3_lPKT2_lT1_lS3_lS4_lS0_lPT4_lS4_li.private_seg_size, 0
	.set _ZL32rocblas_gemvt_warp_reduce_kernelILb0ELi1024EldddEviiT3_lPKT2_lT1_lS3_lS4_lS0_lPT4_lS4_li.uses_vcc, 1
	.set _ZL32rocblas_gemvt_warp_reduce_kernelILb0ELi1024EldddEviiT3_lPKT2_lT1_lS3_lS4_lS0_lPT4_lS4_li.uses_flat_scratch, 0
	.set _ZL32rocblas_gemvt_warp_reduce_kernelILb0ELi1024EldddEviiT3_lPKT2_lT1_lS3_lS4_lS0_lPT4_lS4_li.has_dyn_sized_stack, 0
	.set _ZL32rocblas_gemvt_warp_reduce_kernelILb0ELi1024EldddEviiT3_lPKT2_lT1_lS3_lS4_lS0_lPT4_lS4_li.has_recursion, 0
	.set _ZL32rocblas_gemvt_warp_reduce_kernelILb0ELi1024EldddEviiT3_lPKT2_lT1_lS3_lS4_lS0_lPT4_lS4_li.has_indirect_call, 0
	.section	.AMDGPU.csdata,"",@progbits
; Kernel info:
; codeLenInByte = 1504
; TotalNumSgprs: 38
; NumVgprs: 14
; ScratchSize: 0
; MemoryBound: 0
; FloatMode: 240
; IeeeMode: 1
; LDSByteSize: 256 bytes/workgroup (compile time only)
; SGPRBlocks: 0
; VGPRBlocks: 1
; NumSGPRsForWavesPerEU: 38
; NumVGPRsForWavesPerEU: 14
; Occupancy: 16
; WaveLimiterHint : 1
; COMPUTE_PGM_RSRC2:SCRATCH_EN: 0
; COMPUTE_PGM_RSRC2:USER_SGPR: 6
; COMPUTE_PGM_RSRC2:TRAP_HANDLER: 0
; COMPUTE_PGM_RSRC2:TGID_X_EN: 1
; COMPUTE_PGM_RSRC2:TGID_Y_EN: 0
; COMPUTE_PGM_RSRC2:TGID_Z_EN: 1
; COMPUTE_PGM_RSRC2:TIDIG_COMP_CNT: 0
	.section	.text._ZL22rocblas_gemvtsm_kernelILb1ELi256EdPKddEviiT2_lPKT1_lilS5_lilS2_lPT3_lil,"axG",@progbits,_ZL22rocblas_gemvtsm_kernelILb1ELi256EdPKddEviiT2_lPKT1_lilS5_lilS2_lPT3_lil,comdat
	.globl	_ZL22rocblas_gemvtsm_kernelILb1ELi256EdPKddEviiT2_lPKT1_lilS5_lilS2_lPT3_lil ; -- Begin function _ZL22rocblas_gemvtsm_kernelILb1ELi256EdPKddEviiT2_lPKT1_lilS5_lilS2_lPT3_lil
	.p2align	8
	.type	_ZL22rocblas_gemvtsm_kernelILb1ELi256EdPKddEviiT2_lPKT1_lilS5_lilS2_lPT3_lil,@function
_ZL22rocblas_gemvtsm_kernelILb1ELi256EdPKddEviiT2_lPKT1_lilS5_lilS2_lPT3_lil: ; @_ZL22rocblas_gemvtsm_kernelILb1ELi256EdPKddEviiT2_lPKT1_lilS5_lilS2_lPT3_lil
; %bb.0:
	s_clause 0x1
	s_load_dwordx8 s[8:15], s[4:5], 0x8
	s_load_dwordx8 s[16:23], s[4:5], 0x50
	s_waitcnt lgkmcnt(0)
	s_mul_i32 s1, s11, s6
	s_mul_hi_u32 s2, s10, s6
	s_mul_i32 s0, s10, s6
	s_add_i32 s1, s2, s1
	s_mul_i32 s2, s21, s6
	s_lshl_b64 s[0:1], s[0:1], 3
	s_mul_hi_u32 s3, s20, s6
	s_add_u32 s0, s8, s0
	s_addc_u32 s1, s9, s1
	s_add_i32 s3, s3, s2
	s_mul_i32 s2, s20, s6
	s_lshl_b64 s[2:3], s[2:3], 3
	s_add_u32 s2, s18, s2
	s_addc_u32 s3, s19, s3
	s_load_dwordx2 s[24:25], s[0:1], 0x0
	s_load_dwordx2 s[8:9], s[2:3], 0x0
	s_waitcnt lgkmcnt(0)
	v_cmp_eq_f64_e64 s0, s[24:25], 0
	v_cmp_eq_f64_e64 s1, s[8:9], 1.0
	s_and_b32 s0, s0, s1
	s_and_b32 vcc_lo, exec_lo, s0
	s_cbranch_vccnz .LBB88_34
; %bb.1:
	s_load_dwordx2 s[0:1], s[4:5], 0x80
	v_cmp_neq_f64_e64 s2, s[24:25], 0
	s_clause 0x2
	s_load_dwordx2 s[20:21], s[4:5], 0x70
	s_load_dword s10, s[4:5], 0x78
	s_load_dwordx2 s[18:19], s[4:5], 0x0
	s_waitcnt lgkmcnt(0)
	s_mul_i32 s1, s1, s6
	s_mul_hi_u32 s3, s0, s6
	s_mul_i32 s26, s0, s6
	s_add_i32 s27, s3, s1
	s_and_b32 vcc_lo, exec_lo, s2
	s_cbranch_vccnz .LBB88_9
; %bb.2:
	v_cmp_neq_f64_e64 s0, s[8:9], 0
	s_cmp_gt_i32 s19, 0
	s_cselect_b32 s2, -1, 0
	v_cndmask_b32_e64 v1, 0, 1, s2
	s_and_b32 vcc_lo, exec_lo, s0
	v_cmp_ne_u32_e64 s0, 1, v1
	s_cbranch_vccnz .LBB88_10
; %bb.3:
	s_and_b32 vcc_lo, exec_lo, s0
	s_cbranch_vccnz .LBB88_8
; %bb.4:
	v_mad_i64_i32 v[1:2], null, s10, v0, 0
	s_lshl_b64 s[28:29], s[20:21], 3
	s_ashr_i32 s11, s10, 31
	s_lshl_b64 s[0:1], s[26:27], 3
	s_add_u32 s3, s22, s28
	s_addc_u32 s7, s23, s29
	s_add_u32 s0, s3, s0
	v_lshlrev_b64 v[1:2], 3, v[1:2]
	s_addc_u32 s1, s7, s1
	v_mov_b32_e32 v3, 0
	s_mov_b32 s3, 0
	v_add_co_u32 v1, vcc_lo, s0, v1
	v_add_co_ci_u32_e64 v2, null, s1, v2, vcc_lo
	s_lshl_b64 s[0:1], s[10:11], 11
	s_branch .LBB88_6
	.p2align	6
.LBB88_5:                               ;   in Loop: Header=BB88_6 Depth=1
	s_or_b32 exec_lo, exec_lo, s7
	v_add_co_u32 v1, vcc_lo, v1, s0
	v_add_co_ci_u32_e64 v2, null, s1, v2, vcc_lo
	s_addk_i32 s3, 0x100
	s_cmp_ge_i32 s3, s19
	s_cbranch_scc1 .LBB88_8
.LBB88_6:                               ; =>This Inner Loop Header: Depth=1
	v_add_nc_u32_e32 v4, s3, v0
	s_mov_b32 s7, exec_lo
	v_cmpx_gt_i32_e64 s19, v4
	s_cbranch_execz .LBB88_5
; %bb.7:                                ;   in Loop: Header=BB88_6 Depth=1
	v_mov_b32_e32 v4, v3
	global_store_dwordx2 v[1:2], v[3:4], off
	s_branch .LBB88_5
.LBB88_8:
	s_cbranch_execz .LBB88_11
	s_branch .LBB88_16
.LBB88_9:
	s_branch .LBB88_17
.LBB88_10:
.LBB88_11:
	s_andn2_b32 vcc_lo, exec_lo, s2
	s_cbranch_vccnz .LBB88_16
; %bb.12:
	v_mad_i64_i32 v[1:2], null, s10, v0, 0
	s_lshl_b64 s[2:3], s[20:21], 3
	s_ashr_i32 s11, s10, 31
	s_lshl_b64 s[0:1], s[26:27], 3
	s_add_u32 s2, s22, s2
	s_addc_u32 s3, s23, s3
	s_add_u32 s0, s2, s0
	v_lshlrev_b64 v[1:2], 3, v[1:2]
	s_addc_u32 s1, s3, s1
	s_mov_b32 s2, 0
	v_add_co_u32 v1, vcc_lo, s0, v1
	v_add_co_ci_u32_e64 v2, null, s1, v2, vcc_lo
	s_lshl_b64 s[0:1], s[10:11], 11
	s_branch .LBB88_14
	.p2align	6
.LBB88_13:                              ;   in Loop: Header=BB88_14 Depth=1
	s_or_b32 exec_lo, exec_lo, s3
	v_add_co_u32 v1, vcc_lo, v1, s0
	v_add_co_ci_u32_e64 v2, null, s1, v2, vcc_lo
	s_addk_i32 s2, 0x100
	s_cmp_ge_i32 s2, s19
	s_cbranch_scc1 .LBB88_16
.LBB88_14:                              ; =>This Inner Loop Header: Depth=1
	v_add_nc_u32_e32 v3, s2, v0
	s_mov_b32 s3, exec_lo
	v_cmpx_gt_i32_e64 s19, v3
	s_cbranch_execz .LBB88_13
; %bb.15:                               ;   in Loop: Header=BB88_14 Depth=1
	global_load_dwordx2 v[3:4], v[1:2], off
	s_waitcnt vmcnt(0)
	v_mul_f64 v[3:4], s[8:9], v[3:4]
	global_store_dwordx2 v[1:2], v[3:4], off
	s_branch .LBB88_13
.LBB88_16:
	s_cbranch_execnz .LBB88_34
.LBB88_17:
	s_clause 0x1
	s_load_dwordx4 s[0:3], s[4:5], 0x30
	s_load_dwordx2 s[28:29], s[4:5], 0x40
	s_mov_b32 s7, exec_lo
	v_cmpx_gt_i32_e64 s18, v0
	s_cbranch_execz .LBB88_19
; %bb.18:
	s_load_dword s11, s[4:5], 0x48
	s_mul_i32 s17, s17, s6
	s_mul_hi_u32 s30, s16, s6
	s_mul_i32 s16, s16, s6
	s_add_i32 s17, s30, s17
	v_lshlrev_b32_e32 v3, 3, v0
	s_lshl_b64 s[16:17], s[16:17], 3
	s_waitcnt lgkmcnt(0)
	v_mad_i64_i32 v[1:2], null, s11, v0, 0
	s_add_u32 s11, s2, s16
	s_addc_u32 s16, s3, s17
	s_lshl_b64 s[2:3], s[28:29], 3
	s_add_u32 s2, s11, s2
	s_addc_u32 s3, s16, s3
	v_lshlrev_b64 v[1:2], 3, v[1:2]
	v_add_co_u32 v1, vcc_lo, s2, v1
	v_add_co_ci_u32_e64 v2, null, s3, v2, vcc_lo
	global_load_dwordx2 v[1:2], v[1:2], off
	s_waitcnt vmcnt(0)
	v_mul_f64 v[1:2], s[24:25], v[1:2]
	ds_write_b64 v3, v[1:2]
.LBB88_19:
	s_or_b32 exec_lo, exec_lo, s7
	s_cmp_lt_i32 s19, 1
	s_waitcnt lgkmcnt(0)
	s_waitcnt_vscnt null, 0x0
	s_barrier
	buffer_gl0_inv
	s_cbranch_scc1 .LBB88_34
; %bb.20:
	s_load_dword s2, s[4:5], 0x28
	s_lshl_b64 s[4:5], s[26:27], 3
	s_mul_i32 s1, s1, s6
	s_add_u32 s3, s22, s4
	s_addc_u32 s7, s23, s5
	s_lshl_b64 s[4:5], s[20:21], 3
	s_mul_hi_u32 s24, s0, s6
	s_add_u32 s4, s3, s4
	s_mul_i32 s0, s0, s6
	s_addc_u32 s5, s7, s5
	s_ashr_i32 s6, s10, 31
	v_cmp_neq_f64_e64 s16, s[8:9], 0
	s_waitcnt lgkmcnt(0)
	s_ashr_i32 s3, s2, 31
	s_cmp_gt_i32 s18, 0
	v_mad_i64_i32 v[1:2], null, s2, v0, 0
	s_cselect_b32 s7, -1, 0
	s_and_b32 s11, s18, 7
	s_cmp_gt_u32 s18, 7
	s_cselect_b32 s17, -1, 0
	s_and_b32 s18, s18, 0x7ffffff8
	s_cmp_lg_u32 s11, 0
	v_lshlrev_b64 v[1:2], 3, v[1:2]
	s_cselect_b32 s20, -1, 0
	s_add_i32 s1, s24, s1
	s_lshl_b64 s[14:15], s[14:15], 3
	s_lshl_b64 s[0:1], s[0:1], 3
	s_add_u32 s12, s12, s14
	s_addc_u32 s13, s13, s15
	s_add_u32 s0, s12, s0
	s_addc_u32 s1, s13, s1
	v_add_co_u32 v9, vcc_lo, s0, v1
	v_add_co_ci_u32_e64 v10, null, s1, v2, vcc_lo
	s_mov_b32 s1, 0
	v_add_co_u32 v1, vcc_lo, v9, 56
	v_add_co_ci_u32_e64 v2, null, 0, v10, vcc_lo
	s_lshl_b64 s[2:3], s[2:3], 11
	s_mov_b32 s12, 0
	s_branch .LBB88_23
.LBB88_21:                              ;   in Loop: Header=BB88_23 Depth=1
	v_add_co_u32 v3, vcc_lo, s4, v3
	v_add_co_ci_u32_e64 v4, null, s5, v4, vcc_lo
	global_store_dwordx2 v[3:4], v[5:6], off
.LBB88_22:                              ;   in Loop: Header=BB88_23 Depth=1
	s_or_b32 exec_lo, exec_lo, s13
	v_add_co_u32 v1, vcc_lo, v1, s2
	v_add_co_ci_u32_e64 v2, null, s3, v2, vcc_lo
	v_add_co_u32 v9, vcc_lo, v9, s2
	v_add_co_ci_u32_e64 v10, null, s3, v10, vcc_lo
	s_addk_i32 s12, 0x100
	s_cmp_ge_i32 s12, s19
	s_cbranch_scc1 .LBB88_34
.LBB88_23:                              ; =>This Loop Header: Depth=1
                                        ;     Child Loop BB88_29 Depth 2
                                        ;     Child Loop BB88_33 Depth 2
	v_add_nc_u32_e32 v3, s12, v0
	s_mov_b32 s13, exec_lo
	v_cmpx_gt_i32_e64 s19, v3
	s_cbranch_execz .LBB88_22
; %bb.24:                               ;   in Loop: Header=BB88_23 Depth=1
	v_mad_u64_u32 v[4:5], null, v3, s10, 0
	s_andn2_b32 vcc_lo, exec_lo, s16
	v_mad_u64_u32 v[5:6], null, v3, s6, v[5:6]
	v_lshlrev_b64 v[3:4], 3, v[4:5]
	s_cbranch_vccnz .LBB88_26
; %bb.25:                               ;   in Loop: Header=BB88_23 Depth=1
	v_add_co_u32 v5, vcc_lo, s4, v3
	v_add_co_ci_u32_e64 v6, null, s5, v4, vcc_lo
	global_load_dwordx2 v[5:6], v[5:6], off
	s_waitcnt vmcnt(0)
	v_mul_f64 v[5:6], s[8:9], v[5:6]
	s_andn2_b32 vcc_lo, exec_lo, s7
	s_cbranch_vccz .LBB88_27
	s_branch .LBB88_21
.LBB88_26:                              ;   in Loop: Header=BB88_23 Depth=1
	v_mov_b32_e32 v5, 0
	v_mov_b32_e32 v6, 0
	s_andn2_b32 vcc_lo, exec_lo, s7
	s_cbranch_vccnz .LBB88_21
.LBB88_27:                              ;   in Loop: Header=BB88_23 Depth=1
	s_andn2_b32 vcc_lo, exec_lo, s17
	s_mov_b32 s0, 0
	s_cbranch_vccnz .LBB88_31
; %bb.28:                               ;   in Loop: Header=BB88_23 Depth=1
	v_mov_b32_e32 v8, v2
	v_mov_b32_e32 v7, v1
	s_mov_b32 s14, 0
	s_inst_prefetch 0x1
	.p2align	6
.LBB88_29:                              ;   Parent Loop BB88_23 Depth=1
                                        ; =>  This Inner Loop Header: Depth=2
	s_clause 0x3
	global_load_dwordx4 v[11:14], v[7:8], off offset:-56
	global_load_dwordx4 v[15:18], v[7:8], off offset:-40
	;; [unrolled: 1-line block ×4, first 2 shown]
	v_mov_b32_e32 v35, s0
	v_add_co_u32 v7, vcc_lo, v7, 64
	v_add_co_ci_u32_e64 v8, null, 0, v8, vcc_lo
	ds_read_b128 v[27:30], v35
	ds_read_b128 v[31:34], v35 offset:16
	s_add_i32 s14, s14, 8
	s_add_i32 s0, s0, 64
	s_cmp_eq_u32 s18, s14
	s_waitcnt vmcnt(3) lgkmcnt(1)
	v_fma_f64 v[5:6], v[27:28], v[11:12], v[5:6]
	v_fma_f64 v[5:6], v[29:30], v[13:14], v[5:6]
	s_waitcnt vmcnt(2) lgkmcnt(0)
	v_fma_f64 v[5:6], v[31:32], v[15:16], v[5:6]
	v_fma_f64 v[5:6], v[33:34], v[17:18], v[5:6]
	ds_read_b128 v[11:14], v35 offset:32
	ds_read_b128 v[15:18], v35 offset:48
	s_waitcnt vmcnt(1) lgkmcnt(1)
	v_fma_f64 v[5:6], v[11:12], v[19:20], v[5:6]
	v_fma_f64 v[5:6], v[13:14], v[21:22], v[5:6]
	s_waitcnt vmcnt(0) lgkmcnt(0)
	v_fma_f64 v[5:6], v[15:16], v[23:24], v[5:6]
	v_fma_f64 v[5:6], v[17:18], v[25:26], v[5:6]
	s_cbranch_scc0 .LBB88_29
; %bb.30:                               ;   in Loop: Header=BB88_23 Depth=1
	s_inst_prefetch 0x2
	s_mov_b32 s0, s18
.LBB88_31:                              ;   in Loop: Header=BB88_23 Depth=1
	s_andn2_b32 vcc_lo, exec_lo, s20
	s_cbranch_vccnz .LBB88_21
; %bb.32:                               ;   in Loop: Header=BB88_23 Depth=1
	s_lshl_b64 s[14:15], s[0:1], 3
	s_lshl_b32 s0, s0, 3
	v_add_co_u32 v7, vcc_lo, v9, s14
	v_add_co_ci_u32_e64 v8, null, s15, v10, vcc_lo
	s_mov_b32 s14, s11
.LBB88_33:                              ;   Parent Loop BB88_23 Depth=1
                                        ; =>  This Inner Loop Header: Depth=2
	global_load_dwordx2 v[11:12], v[7:8], off
	v_mov_b32_e32 v13, s0
	v_add_co_u32 v7, vcc_lo, v7, 8
	v_add_co_ci_u32_e64 v8, null, 0, v8, vcc_lo
	ds_read_b64 v[13:14], v13
	s_add_i32 s14, s14, -1
	s_add_i32 s0, s0, 8
	s_cmp_lg_u32 s14, 0
	s_waitcnt vmcnt(0) lgkmcnt(0)
	v_fma_f64 v[5:6], v[13:14], v[11:12], v[5:6]
	s_cbranch_scc1 .LBB88_33
	s_branch .LBB88_21
.LBB88_34:
	s_endpgm
	.section	.rodata,"a",@progbits
	.p2align	6, 0x0
	.amdhsa_kernel _ZL22rocblas_gemvtsm_kernelILb1ELi256EdPKddEviiT2_lPKT1_lilS5_lilS2_lPT3_lil
		.amdhsa_group_segment_fixed_size 512
		.amdhsa_private_segment_fixed_size 0
		.amdhsa_kernarg_size 136
		.amdhsa_user_sgpr_count 6
		.amdhsa_user_sgpr_private_segment_buffer 1
		.amdhsa_user_sgpr_dispatch_ptr 0
		.amdhsa_user_sgpr_queue_ptr 0
		.amdhsa_user_sgpr_kernarg_segment_ptr 1
		.amdhsa_user_sgpr_dispatch_id 0
		.amdhsa_user_sgpr_flat_scratch_init 0
		.amdhsa_user_sgpr_private_segment_size 0
		.amdhsa_wavefront_size32 1
		.amdhsa_uses_dynamic_stack 0
		.amdhsa_system_sgpr_private_segment_wavefront_offset 0
		.amdhsa_system_sgpr_workgroup_id_x 1
		.amdhsa_system_sgpr_workgroup_id_y 0
		.amdhsa_system_sgpr_workgroup_id_z 0
		.amdhsa_system_sgpr_workgroup_info 0
		.amdhsa_system_vgpr_workitem_id 0
		.amdhsa_next_free_vgpr 36
		.amdhsa_next_free_sgpr 31
		.amdhsa_reserve_vcc 1
		.amdhsa_reserve_flat_scratch 0
		.amdhsa_float_round_mode_32 0
		.amdhsa_float_round_mode_16_64 0
		.amdhsa_float_denorm_mode_32 3
		.amdhsa_float_denorm_mode_16_64 3
		.amdhsa_dx10_clamp 1
		.amdhsa_ieee_mode 1
		.amdhsa_fp16_overflow 0
		.amdhsa_workgroup_processor_mode 1
		.amdhsa_memory_ordered 1
		.amdhsa_forward_progress 1
		.amdhsa_shared_vgpr_count 0
		.amdhsa_exception_fp_ieee_invalid_op 0
		.amdhsa_exception_fp_denorm_src 0
		.amdhsa_exception_fp_ieee_div_zero 0
		.amdhsa_exception_fp_ieee_overflow 0
		.amdhsa_exception_fp_ieee_underflow 0
		.amdhsa_exception_fp_ieee_inexact 0
		.amdhsa_exception_int_div_zero 0
	.end_amdhsa_kernel
	.section	.text._ZL22rocblas_gemvtsm_kernelILb1ELi256EdPKddEviiT2_lPKT1_lilS5_lilS2_lPT3_lil,"axG",@progbits,_ZL22rocblas_gemvtsm_kernelILb1ELi256EdPKddEviiT2_lPKT1_lilS5_lilS2_lPT3_lil,comdat
.Lfunc_end88:
	.size	_ZL22rocblas_gemvtsm_kernelILb1ELi256EdPKddEviiT2_lPKT1_lilS5_lilS2_lPT3_lil, .Lfunc_end88-_ZL22rocblas_gemvtsm_kernelILb1ELi256EdPKddEviiT2_lPKT1_lilS5_lilS2_lPT3_lil
                                        ; -- End function
	.set _ZL22rocblas_gemvtsm_kernelILb1ELi256EdPKddEviiT2_lPKT1_lilS5_lilS2_lPT3_lil.num_vgpr, 36
	.set _ZL22rocblas_gemvtsm_kernelILb1ELi256EdPKddEviiT2_lPKT1_lilS5_lilS2_lPT3_lil.num_agpr, 0
	.set _ZL22rocblas_gemvtsm_kernelILb1ELi256EdPKddEviiT2_lPKT1_lilS5_lilS2_lPT3_lil.numbered_sgpr, 31
	.set _ZL22rocblas_gemvtsm_kernelILb1ELi256EdPKddEviiT2_lPKT1_lilS5_lilS2_lPT3_lil.num_named_barrier, 0
	.set _ZL22rocblas_gemvtsm_kernelILb1ELi256EdPKddEviiT2_lPKT1_lilS5_lilS2_lPT3_lil.private_seg_size, 0
	.set _ZL22rocblas_gemvtsm_kernelILb1ELi256EdPKddEviiT2_lPKT1_lilS5_lilS2_lPT3_lil.uses_vcc, 1
	.set _ZL22rocblas_gemvtsm_kernelILb1ELi256EdPKddEviiT2_lPKT1_lilS5_lilS2_lPT3_lil.uses_flat_scratch, 0
	.set _ZL22rocblas_gemvtsm_kernelILb1ELi256EdPKddEviiT2_lPKT1_lilS5_lilS2_lPT3_lil.has_dyn_sized_stack, 0
	.set _ZL22rocblas_gemvtsm_kernelILb1ELi256EdPKddEviiT2_lPKT1_lilS5_lilS2_lPT3_lil.has_recursion, 0
	.set _ZL22rocblas_gemvtsm_kernelILb1ELi256EdPKddEviiT2_lPKT1_lilS5_lilS2_lPT3_lil.has_indirect_call, 0
	.section	.AMDGPU.csdata,"",@progbits
; Kernel info:
; codeLenInByte = 1580
; TotalNumSgprs: 33
; NumVgprs: 36
; ScratchSize: 0
; MemoryBound: 0
; FloatMode: 240
; IeeeMode: 1
; LDSByteSize: 512 bytes/workgroup (compile time only)
; SGPRBlocks: 0
; VGPRBlocks: 4
; NumSGPRsForWavesPerEU: 33
; NumVGPRsForWavesPerEU: 36
; Occupancy: 16
; WaveLimiterHint : 1
; COMPUTE_PGM_RSRC2:SCRATCH_EN: 0
; COMPUTE_PGM_RSRC2:USER_SGPR: 6
; COMPUTE_PGM_RSRC2:TRAP_HANDLER: 0
; COMPUTE_PGM_RSRC2:TGID_X_EN: 1
; COMPUTE_PGM_RSRC2:TGID_Y_EN: 0
; COMPUTE_PGM_RSRC2:TGID_Z_EN: 0
; COMPUTE_PGM_RSRC2:TIDIG_COMP_CNT: 0
	.section	.text._ZL22rocblas_gemvtsm_kernelILb1ELi256EdddEviiT2_lPKT1_lilS3_lilS0_lPT3_lil,"axG",@progbits,_ZL22rocblas_gemvtsm_kernelILb1ELi256EdddEviiT2_lPKT1_lilS3_lilS0_lPT3_lil,comdat
	.globl	_ZL22rocblas_gemvtsm_kernelILb1ELi256EdddEviiT2_lPKT1_lilS3_lilS0_lPT3_lil ; -- Begin function _ZL22rocblas_gemvtsm_kernelILb1ELi256EdddEviiT2_lPKT1_lilS3_lilS0_lPT3_lil
	.p2align	8
	.type	_ZL22rocblas_gemvtsm_kernelILb1ELi256EdddEviiT2_lPKT1_lilS3_lilS0_lPT3_lil,@function
_ZL22rocblas_gemvtsm_kernelILb1ELi256EdddEviiT2_lPKT1_lilS3_lilS0_lPT3_lil: ; @_ZL22rocblas_gemvtsm_kernelILb1ELi256EdddEviiT2_lPKT1_lilS3_lilS0_lPT3_lil
; %bb.0:
	s_clause 0x1
	s_load_dwordx2 s[16:17], s[4:5], 0x8
	s_load_dwordx4 s[8:11], s[4:5], 0x50
	s_waitcnt lgkmcnt(0)
	v_cmp_eq_f64_e64 s0, s[16:17], 0
	v_cmp_eq_f64_e64 s1, s[10:11], 1.0
	s_and_b32 s0, s0, s1
	s_and_b32 vcc_lo, exec_lo, s0
	s_cbranch_vccnz .LBB89_34
; %bb.1:
	s_load_dwordx2 s[0:1], s[4:5], 0x80
	v_cmp_neq_f64_e64 s2, s[16:17], 0
	s_clause 0x2
	s_load_dword s20, s[4:5], 0x78
	s_load_dwordx2 s[22:23], s[4:5], 0x0
	s_load_dwordx4 s[12:15], s[4:5], 0x68
	s_waitcnt lgkmcnt(0)
	s_mul_i32 s1, s1, s6
	s_mul_hi_u32 s3, s0, s6
	s_mul_i32 s24, s0, s6
	s_add_i32 s25, s3, s1
	s_and_b32 vcc_lo, exec_lo, s2
	s_cbranch_vccnz .LBB89_9
; %bb.2:
	v_cmp_neq_f64_e64 s0, s[10:11], 0
	s_cmp_gt_i32 s23, 0
	s_cselect_b32 s2, -1, 0
	v_cndmask_b32_e64 v1, 0, 1, s2
	s_and_b32 vcc_lo, exec_lo, s0
	v_cmp_ne_u32_e64 s0, 1, v1
	s_cbranch_vccnz .LBB89_10
; %bb.3:
	s_and_b32 vcc_lo, exec_lo, s0
	s_cbranch_vccnz .LBB89_8
; %bb.4:
	v_mad_i64_i32 v[1:2], null, s20, v0, 0
	s_lshl_b64 s[18:19], s[14:15], 3
	s_ashr_i32 s21, s20, 31
	s_lshl_b64 s[0:1], s[24:25], 3
	s_add_u32 s3, s12, s18
	s_addc_u32 s7, s13, s19
	s_add_u32 s0, s3, s0
	v_lshlrev_b64 v[1:2], 3, v[1:2]
	s_addc_u32 s1, s7, s1
	v_mov_b32_e32 v3, 0
	s_mov_b32 s3, 0
	v_add_co_u32 v1, vcc_lo, s0, v1
	v_add_co_ci_u32_e64 v2, null, s1, v2, vcc_lo
	s_lshl_b64 s[0:1], s[20:21], 11
	s_branch .LBB89_6
	.p2align	6
.LBB89_5:                               ;   in Loop: Header=BB89_6 Depth=1
	s_or_b32 exec_lo, exec_lo, s7
	v_add_co_u32 v1, vcc_lo, v1, s0
	v_add_co_ci_u32_e64 v2, null, s1, v2, vcc_lo
	s_addk_i32 s3, 0x100
	s_cmp_ge_i32 s3, s23
	s_cbranch_scc1 .LBB89_8
.LBB89_6:                               ; =>This Inner Loop Header: Depth=1
	v_add_nc_u32_e32 v4, s3, v0
	s_mov_b32 s7, exec_lo
	v_cmpx_gt_i32_e64 s23, v4
	s_cbranch_execz .LBB89_5
; %bb.7:                                ;   in Loop: Header=BB89_6 Depth=1
	v_mov_b32_e32 v4, v3
	global_store_dwordx2 v[1:2], v[3:4], off
	s_branch .LBB89_5
.LBB89_8:
	s_cbranch_execz .LBB89_11
	s_branch .LBB89_16
.LBB89_9:
	s_branch .LBB89_17
.LBB89_10:
.LBB89_11:
	s_andn2_b32 vcc_lo, exec_lo, s2
	s_cbranch_vccnz .LBB89_16
; %bb.12:
	v_mad_i64_i32 v[1:2], null, s20, v0, 0
	s_lshl_b64 s[2:3], s[14:15], 3
	s_ashr_i32 s21, s20, 31
	s_lshl_b64 s[0:1], s[24:25], 3
	s_add_u32 s2, s12, s2
	s_addc_u32 s3, s13, s3
	s_add_u32 s0, s2, s0
	v_lshlrev_b64 v[1:2], 3, v[1:2]
	s_addc_u32 s1, s3, s1
	s_mov_b32 s2, 0
	v_add_co_u32 v1, vcc_lo, s0, v1
	v_add_co_ci_u32_e64 v2, null, s1, v2, vcc_lo
	s_lshl_b64 s[0:1], s[20:21], 11
	s_branch .LBB89_14
	.p2align	6
.LBB89_13:                              ;   in Loop: Header=BB89_14 Depth=1
	s_or_b32 exec_lo, exec_lo, s3
	v_add_co_u32 v1, vcc_lo, v1, s0
	v_add_co_ci_u32_e64 v2, null, s1, v2, vcc_lo
	s_addk_i32 s2, 0x100
	s_cmp_ge_i32 s2, s23
	s_cbranch_scc1 .LBB89_16
.LBB89_14:                              ; =>This Inner Loop Header: Depth=1
	v_add_nc_u32_e32 v3, s2, v0
	s_mov_b32 s3, exec_lo
	v_cmpx_gt_i32_e64 s23, v3
	s_cbranch_execz .LBB89_13
; %bb.15:                               ;   in Loop: Header=BB89_14 Depth=1
	global_load_dwordx2 v[3:4], v[1:2], off
	s_waitcnt vmcnt(0)
	v_mul_f64 v[3:4], s[10:11], v[3:4]
	global_store_dwordx2 v[1:2], v[3:4], off
	s_branch .LBB89_13
.LBB89_16:
	s_cbranch_execnz .LBB89_34
.LBB89_17:
	s_clause 0x1
	s_load_dwordx4 s[0:3], s[4:5], 0x30
	s_load_dwordx2 s[18:19], s[4:5], 0x40
	s_mov_b32 s7, exec_lo
	v_cmpx_gt_i32_e64 s22, v0
	s_cbranch_execz .LBB89_19
; %bb.18:
	s_load_dword s21, s[4:5], 0x48
	s_mul_i32 s9, s9, s6
	s_mul_hi_u32 s26, s8, s6
	s_mul_i32 s8, s8, s6
	s_add_i32 s9, s26, s9
	v_lshlrev_b32_e32 v3, 3, v0
	s_lshl_b64 s[8:9], s[8:9], 3
	s_waitcnt lgkmcnt(0)
	s_add_u32 s8, s2, s8
	s_addc_u32 s9, s3, s9
	s_lshl_b64 s[2:3], s[18:19], 3
	s_add_u32 s2, s8, s2
	s_addc_u32 s3, s9, s3
	v_mad_i64_i32 v[1:2], null, s21, v0, 0
	v_lshlrev_b64 v[1:2], 3, v[1:2]
	v_add_co_u32 v1, vcc_lo, s2, v1
	v_add_co_ci_u32_e64 v2, null, s3, v2, vcc_lo
	global_load_dwordx2 v[1:2], v[1:2], off
	s_waitcnt vmcnt(0)
	v_mul_f64 v[1:2], s[16:17], v[1:2]
	ds_write_b64 v3, v[1:2]
.LBB89_19:
	s_or_b32 exec_lo, exec_lo, s7
	s_cmp_lt_i32 s23, 1
	s_waitcnt lgkmcnt(0)
	s_waitcnt_vscnt null, 0x0
	s_barrier
	buffer_gl0_inv
	s_cbranch_scc1 .LBB89_34
; %bb.20:
	s_clause 0x1
	s_load_dword s2, s[4:5], 0x28
	s_load_dwordx4 s[16:19], s[4:5], 0x18
	s_lshl_b64 s[4:5], s[24:25], 3
	s_mul_i32 s1, s1, s6
	s_add_u32 s3, s12, s4
	s_addc_u32 s7, s13, s5
	s_lshl_b64 s[4:5], s[14:15], 3
	s_mul_hi_u32 s21, s0, s6
	s_add_u32 s4, s3, s4
	s_mul_i32 s0, s0, s6
	s_addc_u32 s5, s7, s5
	s_ashr_i32 s6, s20, 31
	v_cmp_neq_f64_e64 s9, s[10:11], 0
	s_waitcnt lgkmcnt(0)
	s_ashr_i32 s3, s2, 31
	s_cmp_gt_i32 s22, 0
	v_mad_i64_i32 v[1:2], null, s2, v0, 0
	s_cselect_b32 s7, -1, 0
	s_and_b32 s8, s22, 7
	s_cmp_gt_u32 s22, 7
	s_cselect_b32 s12, -1, 0
	s_and_b32 s13, s22, 0x7ffffff8
	s_cmp_lg_u32 s8, 0
	v_lshlrev_b64 v[1:2], 3, v[1:2]
	s_cselect_b32 s14, -1, 0
	s_add_i32 s1, s21, s1
	s_lshl_b64 s[18:19], s[18:19], 3
	s_lshl_b64 s[0:1], s[0:1], 3
	s_add_u32 s15, s16, s18
	s_addc_u32 s16, s17, s19
	s_add_u32 s0, s15, s0
	s_addc_u32 s1, s16, s1
	v_add_co_u32 v9, vcc_lo, s0, v1
	v_add_co_ci_u32_e64 v10, null, s1, v2, vcc_lo
	s_mov_b32 s1, 0
	v_add_co_u32 v1, vcc_lo, v9, 56
	v_add_co_ci_u32_e64 v2, null, 0, v10, vcc_lo
	s_lshl_b64 s[2:3], s[2:3], 11
	s_mov_b32 s15, 0
	s_branch .LBB89_23
.LBB89_21:                              ;   in Loop: Header=BB89_23 Depth=1
	v_add_co_u32 v3, vcc_lo, s4, v3
	v_add_co_ci_u32_e64 v4, null, s5, v4, vcc_lo
	global_store_dwordx2 v[3:4], v[5:6], off
.LBB89_22:                              ;   in Loop: Header=BB89_23 Depth=1
	s_or_b32 exec_lo, exec_lo, s16
	v_add_co_u32 v1, vcc_lo, v1, s2
	v_add_co_ci_u32_e64 v2, null, s3, v2, vcc_lo
	v_add_co_u32 v9, vcc_lo, v9, s2
	v_add_co_ci_u32_e64 v10, null, s3, v10, vcc_lo
	s_addk_i32 s15, 0x100
	s_cmp_ge_i32 s15, s23
	s_cbranch_scc1 .LBB89_34
.LBB89_23:                              ; =>This Loop Header: Depth=1
                                        ;     Child Loop BB89_29 Depth 2
                                        ;     Child Loop BB89_33 Depth 2
	v_add_nc_u32_e32 v3, s15, v0
	s_mov_b32 s16, exec_lo
	v_cmpx_gt_i32_e64 s23, v3
	s_cbranch_execz .LBB89_22
; %bb.24:                               ;   in Loop: Header=BB89_23 Depth=1
	v_mad_u64_u32 v[4:5], null, v3, s20, 0
	s_andn2_b32 vcc_lo, exec_lo, s9
	v_mad_u64_u32 v[5:6], null, v3, s6, v[5:6]
	v_lshlrev_b64 v[3:4], 3, v[4:5]
	s_cbranch_vccnz .LBB89_26
; %bb.25:                               ;   in Loop: Header=BB89_23 Depth=1
	v_add_co_u32 v5, vcc_lo, s4, v3
	v_add_co_ci_u32_e64 v6, null, s5, v4, vcc_lo
	global_load_dwordx2 v[5:6], v[5:6], off
	s_waitcnt vmcnt(0)
	v_mul_f64 v[5:6], s[10:11], v[5:6]
	s_andn2_b32 vcc_lo, exec_lo, s7
	s_cbranch_vccz .LBB89_27
	s_branch .LBB89_21
.LBB89_26:                              ;   in Loop: Header=BB89_23 Depth=1
	v_mov_b32_e32 v5, 0
	v_mov_b32_e32 v6, 0
	s_andn2_b32 vcc_lo, exec_lo, s7
	s_cbranch_vccnz .LBB89_21
.LBB89_27:                              ;   in Loop: Header=BB89_23 Depth=1
	s_andn2_b32 vcc_lo, exec_lo, s12
	s_mov_b32 s0, 0
	s_cbranch_vccnz .LBB89_31
; %bb.28:                               ;   in Loop: Header=BB89_23 Depth=1
	v_mov_b32_e32 v8, v2
	v_mov_b32_e32 v7, v1
	s_mov_b32 s17, 0
	s_inst_prefetch 0x1
	.p2align	6
.LBB89_29:                              ;   Parent Loop BB89_23 Depth=1
                                        ; =>  This Inner Loop Header: Depth=2
	s_clause 0x3
	global_load_dwordx4 v[11:14], v[7:8], off offset:-56
	global_load_dwordx4 v[15:18], v[7:8], off offset:-40
	;; [unrolled: 1-line block ×4, first 2 shown]
	v_mov_b32_e32 v35, s0
	v_add_co_u32 v7, vcc_lo, v7, 64
	v_add_co_ci_u32_e64 v8, null, 0, v8, vcc_lo
	ds_read_b128 v[27:30], v35
	ds_read_b128 v[31:34], v35 offset:16
	s_add_i32 s17, s17, 8
	s_add_i32 s0, s0, 64
	s_cmp_eq_u32 s13, s17
	s_waitcnt vmcnt(3) lgkmcnt(1)
	v_fma_f64 v[5:6], v[27:28], v[11:12], v[5:6]
	v_fma_f64 v[5:6], v[29:30], v[13:14], v[5:6]
	s_waitcnt vmcnt(2) lgkmcnt(0)
	v_fma_f64 v[5:6], v[31:32], v[15:16], v[5:6]
	v_fma_f64 v[5:6], v[33:34], v[17:18], v[5:6]
	ds_read_b128 v[11:14], v35 offset:32
	ds_read_b128 v[15:18], v35 offset:48
	s_waitcnt vmcnt(1) lgkmcnt(1)
	v_fma_f64 v[5:6], v[11:12], v[19:20], v[5:6]
	v_fma_f64 v[5:6], v[13:14], v[21:22], v[5:6]
	s_waitcnt vmcnt(0) lgkmcnt(0)
	v_fma_f64 v[5:6], v[15:16], v[23:24], v[5:6]
	v_fma_f64 v[5:6], v[17:18], v[25:26], v[5:6]
	s_cbranch_scc0 .LBB89_29
; %bb.30:                               ;   in Loop: Header=BB89_23 Depth=1
	s_inst_prefetch 0x2
	s_mov_b32 s0, s13
.LBB89_31:                              ;   in Loop: Header=BB89_23 Depth=1
	s_andn2_b32 vcc_lo, exec_lo, s14
	s_cbranch_vccnz .LBB89_21
; %bb.32:                               ;   in Loop: Header=BB89_23 Depth=1
	s_lshl_b64 s[18:19], s[0:1], 3
	s_lshl_b32 s0, s0, 3
	v_add_co_u32 v7, vcc_lo, v9, s18
	v_add_co_ci_u32_e64 v8, null, s19, v10, vcc_lo
	s_mov_b32 s17, s8
.LBB89_33:                              ;   Parent Loop BB89_23 Depth=1
                                        ; =>  This Inner Loop Header: Depth=2
	global_load_dwordx2 v[11:12], v[7:8], off
	v_mov_b32_e32 v13, s0
	v_add_co_u32 v7, vcc_lo, v7, 8
	v_add_co_ci_u32_e64 v8, null, 0, v8, vcc_lo
	ds_read_b64 v[13:14], v13
	s_add_i32 s17, s17, -1
	s_add_i32 s0, s0, 8
	s_cmp_lg_u32 s17, 0
	s_waitcnt vmcnt(0) lgkmcnt(0)
	v_fma_f64 v[5:6], v[13:14], v[11:12], v[5:6]
	s_cbranch_scc1 .LBB89_33
	s_branch .LBB89_21
.LBB89_34:
	s_endpgm
	.section	.rodata,"a",@progbits
	.p2align	6, 0x0
	.amdhsa_kernel _ZL22rocblas_gemvtsm_kernelILb1ELi256EdddEviiT2_lPKT1_lilS3_lilS0_lPT3_lil
		.amdhsa_group_segment_fixed_size 512
		.amdhsa_private_segment_fixed_size 0
		.amdhsa_kernarg_size 136
		.amdhsa_user_sgpr_count 6
		.amdhsa_user_sgpr_private_segment_buffer 1
		.amdhsa_user_sgpr_dispatch_ptr 0
		.amdhsa_user_sgpr_queue_ptr 0
		.amdhsa_user_sgpr_kernarg_segment_ptr 1
		.amdhsa_user_sgpr_dispatch_id 0
		.amdhsa_user_sgpr_flat_scratch_init 0
		.amdhsa_user_sgpr_private_segment_size 0
		.amdhsa_wavefront_size32 1
		.amdhsa_uses_dynamic_stack 0
		.amdhsa_system_sgpr_private_segment_wavefront_offset 0
		.amdhsa_system_sgpr_workgroup_id_x 1
		.amdhsa_system_sgpr_workgroup_id_y 0
		.amdhsa_system_sgpr_workgroup_id_z 0
		.amdhsa_system_sgpr_workgroup_info 0
		.amdhsa_system_vgpr_workitem_id 0
		.amdhsa_next_free_vgpr 36
		.amdhsa_next_free_sgpr 27
		.amdhsa_reserve_vcc 1
		.amdhsa_reserve_flat_scratch 0
		.amdhsa_float_round_mode_32 0
		.amdhsa_float_round_mode_16_64 0
		.amdhsa_float_denorm_mode_32 3
		.amdhsa_float_denorm_mode_16_64 3
		.amdhsa_dx10_clamp 1
		.amdhsa_ieee_mode 1
		.amdhsa_fp16_overflow 0
		.amdhsa_workgroup_processor_mode 1
		.amdhsa_memory_ordered 1
		.amdhsa_forward_progress 1
		.amdhsa_shared_vgpr_count 0
		.amdhsa_exception_fp_ieee_invalid_op 0
		.amdhsa_exception_fp_denorm_src 0
		.amdhsa_exception_fp_ieee_div_zero 0
		.amdhsa_exception_fp_ieee_overflow 0
		.amdhsa_exception_fp_ieee_underflow 0
		.amdhsa_exception_fp_ieee_inexact 0
		.amdhsa_exception_int_div_zero 0
	.end_amdhsa_kernel
	.section	.text._ZL22rocblas_gemvtsm_kernelILb1ELi256EdddEviiT2_lPKT1_lilS3_lilS0_lPT3_lil,"axG",@progbits,_ZL22rocblas_gemvtsm_kernelILb1ELi256EdddEviiT2_lPKT1_lilS3_lilS0_lPT3_lil,comdat
.Lfunc_end89:
	.size	_ZL22rocblas_gemvtsm_kernelILb1ELi256EdddEviiT2_lPKT1_lilS3_lilS0_lPT3_lil, .Lfunc_end89-_ZL22rocblas_gemvtsm_kernelILb1ELi256EdddEviiT2_lPKT1_lilS3_lilS0_lPT3_lil
                                        ; -- End function
	.set _ZL22rocblas_gemvtsm_kernelILb1ELi256EdddEviiT2_lPKT1_lilS3_lilS0_lPT3_lil.num_vgpr, 36
	.set _ZL22rocblas_gemvtsm_kernelILb1ELi256EdddEviiT2_lPKT1_lilS3_lilS0_lPT3_lil.num_agpr, 0
	.set _ZL22rocblas_gemvtsm_kernelILb1ELi256EdddEviiT2_lPKT1_lilS3_lilS0_lPT3_lil.numbered_sgpr, 27
	.set _ZL22rocblas_gemvtsm_kernelILb1ELi256EdddEviiT2_lPKT1_lilS3_lilS0_lPT3_lil.num_named_barrier, 0
	.set _ZL22rocblas_gemvtsm_kernelILb1ELi256EdddEviiT2_lPKT1_lilS3_lilS0_lPT3_lil.private_seg_size, 0
	.set _ZL22rocblas_gemvtsm_kernelILb1ELi256EdddEviiT2_lPKT1_lilS3_lilS0_lPT3_lil.uses_vcc, 1
	.set _ZL22rocblas_gemvtsm_kernelILb1ELi256EdddEviiT2_lPKT1_lilS3_lilS0_lPT3_lil.uses_flat_scratch, 0
	.set _ZL22rocblas_gemvtsm_kernelILb1ELi256EdddEviiT2_lPKT1_lilS3_lilS0_lPT3_lil.has_dyn_sized_stack, 0
	.set _ZL22rocblas_gemvtsm_kernelILb1ELi256EdddEviiT2_lPKT1_lilS3_lilS0_lPT3_lil.has_recursion, 0
	.set _ZL22rocblas_gemvtsm_kernelILb1ELi256EdddEviiT2_lPKT1_lilS3_lilS0_lPT3_lil.has_indirect_call, 0
	.section	.AMDGPU.csdata,"",@progbits
; Kernel info:
; codeLenInByte = 1452
; TotalNumSgprs: 29
; NumVgprs: 36
; ScratchSize: 0
; MemoryBound: 0
; FloatMode: 240
; IeeeMode: 1
; LDSByteSize: 512 bytes/workgroup (compile time only)
; SGPRBlocks: 0
; VGPRBlocks: 4
; NumSGPRsForWavesPerEU: 29
; NumVGPRsForWavesPerEU: 36
; Occupancy: 16
; WaveLimiterHint : 1
; COMPUTE_PGM_RSRC2:SCRATCH_EN: 0
; COMPUTE_PGM_RSRC2:USER_SGPR: 6
; COMPUTE_PGM_RSRC2:TRAP_HANDLER: 0
; COMPUTE_PGM_RSRC2:TGID_X_EN: 1
; COMPUTE_PGM_RSRC2:TGID_Y_EN: 0
; COMPUTE_PGM_RSRC2:TGID_Z_EN: 0
; COMPUTE_PGM_RSRC2:TIDIG_COMP_CNT: 0
	.section	.text._ZL23rocblas_gemvt_sn_kernelILb1ELi256ELi4EidPKddEviiT4_lPKT3_lilS5_lilPT5_i,"axG",@progbits,_ZL23rocblas_gemvt_sn_kernelILb1ELi256ELi4EidPKddEviiT4_lPKT3_lilS5_lilPT5_i,comdat
	.globl	_ZL23rocblas_gemvt_sn_kernelILb1ELi256ELi4EidPKddEviiT4_lPKT3_lilS5_lilPT5_i ; -- Begin function _ZL23rocblas_gemvt_sn_kernelILb1ELi256ELi4EidPKddEviiT4_lPKT3_lilS5_lilPT5_i
	.p2align	8
	.type	_ZL23rocblas_gemvt_sn_kernelILb1ELi256ELi4EidPKddEviiT4_lPKT3_lilS5_lilPT5_i,@function
_ZL23rocblas_gemvt_sn_kernelILb1ELi256ELi4EidPKddEviiT4_lPKT3_lilS5_lilPT5_i: ; @_ZL23rocblas_gemvt_sn_kernelILb1ELi256ELi4EidPKddEviiT4_lPKT3_lilS5_lilPT5_i
; %bb.0:
	s_load_dwordx8 s[8:15], s[4:5], 0x8
	s_waitcnt lgkmcnt(0)
	s_mul_i32 s1, s11, s7
	s_mul_hi_u32 s2, s10, s7
	s_mul_i32 s0, s10, s7
	s_add_i32 s1, s2, s1
	s_lshl_b64 s[0:1], s[0:1], 3
	s_add_u32 s0, s8, s0
	s_addc_u32 s1, s9, s1
	s_load_dwordx2 s[16:17], s[0:1], 0x0
	s_clause 0x2
	s_load_dwordx2 s[18:19], s[4:5], 0x0
	s_load_dword s20, s[4:5], 0x68
	s_load_dwordx4 s[8:11], s[4:5], 0x50
	s_waitcnt lgkmcnt(0)
	v_cmp_neq_f64_e64 s2, s[16:17], 0
	s_ashr_i32 s24, s19, 31
	s_mul_hi_u32 s0, s19, s7
	s_mul_i32 s1, s24, s7
	s_mul_i32 s3, s19, s7
	s_add_i32 s0, s0, s1
	s_mul_hi_u32 s1, s3, s20
	s_mul_i32 s21, s0, s20
	s_mul_i32 s0, s3, s20
	s_add_i32 s1, s1, s21
	s_mov_b32 s21, 0
	s_lshl_b64 s[0:1], s[0:1], 3
	s_add_u32 s39, s10, s0
	v_cmp_eq_u32_e64 s0, 0, v0
	s_addc_u32 s38, s11, s1
	s_and_b32 vcc_lo, exec_lo, s2
	s_cbranch_vccnz .LBB90_5
; %bb.1:
	s_cmp_gt_i32 s19, 0
	s_cselect_b32 s1, -1, 0
	s_and_b32 s0, s0, s1
	s_and_saveexec_b32 s10, s0
	s_cbranch_execz .LBB90_4
; %bb.2:
	v_mov_b32_e32 v1, 0
	s_mov_b32 s0, s7
	s_mov_b32 s7, 0
	s_mov_b32 s11, s19
	s_lshl_b64 s[2:3], s[6:7], 3
	v_mov_b32_e32 v2, v1
	s_mov_b32 s7, s0
	s_add_u32 s0, s39, s2
	s_addc_u32 s1, s38, s3
	s_lshl_b64 s[2:3], s[20:21], 3
.LBB90_3:                               ; =>This Inner Loop Header: Depth=1
	s_add_i32 s11, s11, -1
	global_store_dwordx2 v1, v[1:2], s[0:1]
	s_add_u32 s0, s0, s2
	s_addc_u32 s1, s1, s3
	s_cmp_eq_u32 s11, 0
	s_cbranch_scc0 .LBB90_3
.LBB90_4:
	s_or_b32 exec_lo, exec_lo, s10
	s_cbranch_execz .LBB90_6
	s_branch .LBB90_58
.LBB90_5:
.LBB90_6:
	s_clause 0x1
	s_load_dwordx4 s[0:3], s[4:5], 0x30
	s_load_dwordx2 s[10:11], s[4:5], 0x40
	s_mul_i32 s9, s9, s7
	s_mul_hi_u32 s21, s8, s7
	s_mul_i32 s8, s8, s7
	s_add_i32 s9, s21, s9
	s_load_dword s21, s[4:5], 0x48
	s_lshl_b64 s[8:9], s[8:9], 3
	v_and_b32_e32 v20, 31, v0
	v_mbcnt_lo_u32_b32 v38, -1, 0
	v_lshrrev_b32_e32 v39, 2, v0
	s_waitcnt lgkmcnt(0)
	s_add_u32 s8, s2, s8
	s_addc_u32 s9, s3, s9
	s_lshl_b64 s[2:3], s[10:11], 3
	s_mul_i32 s1, s1, s7
	s_mul_hi_u32 s22, s0, s7
	s_add_u32 s33, s8, s2
	s_mul_i32 s0, s0, s7
	s_addc_u32 s36, s9, s3
	s_add_i32 s1, s22, s1
	s_load_dword s10, s[4:5], 0x28
	s_lshl_b64 s[22:23], s[0:1], 3
	v_cmp_gt_u32_e64 s0, 32, v0
	s_add_u32 s1, s12, s22
	s_addc_u32 s2, s13, s23
	s_lshl_b64 s[14:15], s[14:15], 3
	s_add_u32 s3, s1, s14
	s_addc_u32 s2, s2, s15
	s_lshl_b32 s1, s6, 10
	s_ashr_i32 s4, s18, 31
	v_lshl_or_b32 v1, v0, 2, s1
	s_lshr_b32 s4, s4, 30
	s_lshr_b32 s5, s24, 30
	s_add_i32 s4, s18, s4
	s_add_i32 s5, s19, s5
	v_ashrrev_i32_e32 v2, 31, v1
	s_and_b32 s4, s4, -4
	v_mul_lo_u32 v19, s21, v1
	s_sub_i32 s37, s18, s4
	v_cmp_gt_u32_e64 s1, 8, v0
	v_lshlrev_b64 v[21:22], 3, v[1:2]
	v_add_nc_u32_e32 v40, 4, v1
	v_add_nc_u32_e32 v41, s37, v1
	s_and_b32 s40, s5, -4
	s_cmp_lt_i32 s40, 1
	v_add_co_u32 v36, vcc_lo, s3, v21
	v_add_co_ci_u32_e64 v37, null, s2, v22, vcc_lo
	s_cbranch_scc1 .LBB90_33
; %bb.7:
	v_cmp_gt_u32_e32 vcc_lo, 24, v38
	v_mul_lo_u32 v23, s21, v1
	v_mov_b32_e32 v9, 0
	s_cmp_gt_i32 s37, 0
	s_mov_b32 s25, 0
	v_cndmask_b32_e64 v2, 0, 8, vcc_lo
	v_cmp_gt_u32_e32 vcc_lo, 28, v38
	s_cselect_b32 s41, -1, 0
	s_waitcnt lgkmcnt(0)
	s_lshl_b32 s42, s10, 2
	v_ashrrev_i32_e32 v24, 31, v23
	v_add_lshl_u32 v43, v2, v38, 2
	v_cndmask_b32_e64 v3, 0, 4, vcc_lo
	v_cmp_gt_u32_e32 vcc_lo, 30, v38
	s_lshl_b32 s24, s10, 1
	v_lshlrev_b64 v[5:6], 3, v[23:24]
	s_add_u32 s7, s22, s14
	v_add_lshl_u32 v44, v3, v38, 2
	v_cndmask_b32_e64 v1, 0, 2, vcc_lo
	v_cmp_ne_u32_e32 vcc_lo, 31, v38
	s_addc_u32 s8, s23, s15
	v_mov_b32_e32 v10, v9
	v_mov_b32_e32 v11, v9
	v_add_lshl_u32 v45, v1, v38, 2
	v_add_nc_u32_e32 v1, s21, v23
	v_add_co_ci_u32_e64 v4, null, 0, v38, vcc_lo
	v_add_co_u32 v24, vcc_lo, s33, v5
	v_add_nc_u32_e32 v3, s21, v1
	v_ashrrev_i32_e32 v2, 31, v1
	v_lshlrev_b32_e32 v46, 2, v4
	v_add_co_ci_u32_e64 v25, null, s36, v6, vcc_lo
	v_add_nc_u32_e32 v7, s21, v3
	v_lshlrev_b64 v[1:2], 3, v[1:2]
	v_ashrrev_i32_e32 v4, 31, v3
	v_mov_b32_e32 v12, v9
	v_mov_b32_e32 v13, v9
	v_ashrrev_i32_e32 v8, 31, v7
	v_mov_b32_e32 v14, v9
	v_lshlrev_b64 v[3:4], 3, v[3:4]
	v_add_co_u32 v26, vcc_lo, s33, v1
	v_add_co_ci_u32_e64 v27, null, s36, v2, vcc_lo
	v_lshlrev_b64 v[1:2], 3, v[7:8]
	v_add_co_u32 v28, vcc_lo, s33, v3
	v_mov_b32_e32 v15, v9
	v_mov_b32_e32 v16, v9
	v_add_co_ci_u32_e64 v29, null, s36, v4, vcc_lo
	v_add_co_u32 v30, vcc_lo, s33, v1
	s_add_u32 s7, s12, s7
	v_add_co_ci_u32_e64 v31, null, s36, v2, vcc_lo
	s_addc_u32 s8, s13, s8
	v_add_co_u32 v49, vcc_lo, s7, v21
	v_mov_b32_e32 v1, v9
	v_cmp_ge_i32_e64 s2, s18, v40
	v_cmp_ge_i32_e64 s3, s18, v41
	v_lshl_or_b32 v42, v38, 2, 64
	v_cmp_eq_u32_e64 s4, 0, v20
	v_lshlrev_b32_e32 v47, 3, v20
	v_and_b32_e32 v48, 56, v39
	v_cmp_eq_u32_e64 s5, 0, v0
	v_add_co_ci_u32_e64 v50, null, s8, v22, vcc_lo
	v_mov_b32_e32 v2, v10
	v_mov_b32_e32 v3, v11
	;; [unrolled: 1-line block ×7, first 2 shown]
	s_mov_b32 s11, s25
	s_mul_i32 s43, s10, 3
	s_mov_b32 s44, s25
	s_mov_b32 s26, s25
	s_mov_b64 s[28:29], s[24:25]
	s_mov_b64 s[30:31], s[10:11]
	s_mov_b32 s11, 0
	s_branch .LBB90_9
.LBB90_8:                               ;   in Loop: Header=BB90_9 Depth=1
	s_or_b32 exec_lo, exec_lo, s7
	s_add_i32 s11, s11, 4
	s_add_u32 s30, s30, s42
	s_addc_u32 s31, s31, 0
	s_add_u32 s28, s28, s42
	s_addc_u32 s29, s29, 0
	s_add_u32 s43, s43, s42
	s_addc_u32 s44, s44, 0
	s_add_i32 s26, s26, s42
	s_cmp_ge_i32 s11, s40
	s_cbranch_scc1 .LBB90_34
.LBB90_9:                               ; =>This Loop Header: Depth=1
                                        ;     Child Loop BB90_15 Depth 2
                                        ;     Child Loop BB90_18 Depth 2
	;; [unrolled: 1-line block ×3, first 2 shown]
                                        ; implicit-def: $vgpr11_vgpr12_vgpr13_vgpr14_vgpr15_vgpr16_vgpr17_vgpr18
	s_and_saveexec_b32 s7, s2
	s_xor_b32 s7, exec_lo, s7
	s_cbranch_execz .LBB90_11
; %bb.10:                               ;   in Loop: Header=BB90_9 Depth=1
	s_mul_i32 s8, s11, s10
	s_ashr_i32 s9, s8, 31
	s_add_i32 s34, s8, s10
	s_lshl_b64 s[8:9], s[8:9], 3
	s_ashr_i32 s35, s34, 31
	v_add_co_u32 v5, vcc_lo, v36, s8
	v_add_co_ci_u32_e64 v6, null, s9, v37, vcc_lo
	s_lshl_b64 s[8:9], s[34:35], 3
	s_add_i32 s34, s34, s10
	v_add_co_u32 v7, vcc_lo, v36, s8
	s_ashr_i32 s35, s34, 31
	s_add_i32 s8, s34, s10
	v_add_co_ci_u32_e64 v8, null, s9, v37, vcc_lo
	s_lshl_b64 s[34:35], s[34:35], 3
	s_ashr_i32 s9, s8, 31
	v_add_co_u32 v63, vcc_lo, v36, s34
	s_lshl_b64 s[8:9], s[8:9], 3
	v_add_co_ci_u32_e64 v64, null, s35, v37, vcc_lo
	v_add_co_u32 v67, vcc_lo, v36, s8
	v_add_co_ci_u32_e64 v68, null, s9, v37, vcc_lo
	global_load_dwordx2 v[1:2], v[24:25], off
	s_clause 0x3
	global_load_dwordx4 v[10:13], v[5:6], off
	global_load_dwordx4 v[14:17], v[7:8], off
	;; [unrolled: 1-line block ×4, first 2 shown]
	global_load_dwordx2 v[3:4], v[26:27], off
	global_load_dwordx4 v[55:58], v[5:6], off offset:16
	global_load_dwordx2 v[5:6], v[28:29], off
	s_clause 0x2
	global_load_dwordx4 v[59:62], v[7:8], off offset:16
	global_load_dwordx4 v[63:66], v[63:64], off offset:16
	global_load_dwordx4 v[67:70], v[67:68], off offset:16
	global_load_dwordx2 v[7:8], v[30:31], off
	s_waitcnt vmcnt(10)
	v_fma_f64 v[10:11], v[1:2], v[10:11], 0
	s_waitcnt vmcnt(9)
	v_fma_f64 v[14:15], v[1:2], v[14:15], 0
	;; [unrolled: 2-line block ×5, first 2 shown]
	v_fma_f64 v[12:13], v[3:4], v[16:17], v[14:15]
	v_fma_f64 v[14:15], v[3:4], v[34:35], v[32:33]
	;; [unrolled: 1-line block ×3, first 2 shown]
	s_waitcnt vmcnt(4)
	v_fma_f64 v[10:11], v[5:6], v[55:56], v[10:11]
	s_waitcnt vmcnt(3)
	v_fma_f64 v[32:33], v[5:6], v[59:60], v[12:13]
	;; [unrolled: 2-line block ×5, first 2 shown]
	v_fma_f64 v[13:14], v[7:8], v[61:62], v[32:33]
	v_fma_f64 v[15:16], v[7:8], v[65:66], v[34:35]
	v_fma_f64 v[17:18], v[7:8], v[69:70], v[17:18]
.LBB90_11:                              ;   in Loop: Header=BB90_9 Depth=1
	s_andn2_saveexec_b32 s24, s7
	s_cbranch_execz .LBB90_21
; %bb.12:                               ;   in Loop: Header=BB90_9 Depth=1
	v_mov_b32_e32 v16, v9
	v_mov_b32_e32 v10, v9
	;; [unrolled: 1-line block ×15, first 2 shown]
	s_and_saveexec_b32 s45, s3
	s_cbranch_execz .LBB90_20
; %bb.13:                               ;   in Loop: Header=BB90_9 Depth=1
	s_andn2_b32 vcc_lo, exec_lo, s41
	s_cbranch_vccnz .LBB90_16
; %bb.14:                               ;   in Loop: Header=BB90_9 Depth=1
	v_mov_b32_e32 v10, v23
	s_mov_b64 s[34:35], 0
	s_inst_prefetch 0x1
	.p2align	6
.LBB90_15:                              ;   Parent Loop BB90_9 Depth=1
                                        ; =>  This Inner Loop Header: Depth=2
	v_ashrrev_i32_e32 v11, 31, v10
	s_cmp_eq_u32 s34, 3
	v_lshlrev_b64 v[11:12], 3, v[10:11]
	v_add_nc_u32_e32 v10, s21, v10
	v_add_co_u32 v11, vcc_lo, s33, v11
	v_add_co_ci_u32_e64 v12, null, s36, v12, vcc_lo
	s_cselect_b32 vcc_lo, -1, 0
	s_cmp_eq_u32 s34, 2
	s_cselect_b32 s7, -1, 0
	global_load_dwordx2 v[11:12], v[11:12], off
	s_cmp_eq_u32 s34, 1
	s_cselect_b32 s8, -1, 0
	s_cmp_eq_u32 s34, 0
	s_cselect_b32 s9, -1, 0
	s_add_u32 s34, s34, 1
	s_addc_u32 s35, s35, 0
	s_cmp_eq_u32 s37, s34
	s_waitcnt vmcnt(0)
	v_cndmask_b32_e32 v8, v8, v12, vcc_lo
	v_cndmask_b32_e32 v7, v7, v11, vcc_lo
	v_cndmask_b32_e64 v6, v6, v12, s7
	v_cndmask_b32_e64 v5, v5, v11, s7
	;; [unrolled: 1-line block ×6, first 2 shown]
	s_cbranch_scc0 .LBB90_15
.LBB90_16:                              ;   in Loop: Header=BB90_9 Depth=1
	s_inst_prefetch 0x2
	s_andn2_b32 vcc_lo, exec_lo, s41
	s_cbranch_vccnz .LBB90_19
; %bb.17:                               ;   in Loop: Header=BB90_9 Depth=1
	s_ashr_i32 s27, s26, 31
	v_mov_b32_e32 v11, 0
	s_lshl_b64 s[8:9], s[26:27], 3
	v_mov_b32_e32 v13, 0
	v_add_co_u32 v32, vcc_lo, v49, s8
	v_mov_b32_e32 v15, 0
	v_mov_b32_e32 v17, 0
	;; [unrolled: 1-line block ×6, first 2 shown]
	v_add_co_ci_u32_e64 v33, null, s9, v50, vcc_lo
	s_mov_b64 s[34:35], 0
.LBB90_18:                              ;   Parent Loop BB90_9 Depth=1
                                        ; =>  This Inner Loop Header: Depth=2
	s_cmp_eq_u32 s34, 1
	s_cselect_b32 vcc_lo, -1, 0
	s_cmp_eq_u32 s34, 2
	v_cndmask_b32_e32 v10, v2, v4, vcc_lo
	s_cselect_b32 s7, -1, 0
	s_cmp_eq_u32 s34, 3
	v_cndmask_b32_e32 v57, v1, v3, vcc_lo
	s_cselect_b32 s8, -1, 0
	s_add_i32 s46, s30, s34
	s_add_i32 s48, s28, s34
	s_ashr_i32 s47, s46, 31
	s_add_i32 s50, s43, s34
	s_ashr_i32 s49, s48, 31
	s_lshl_b64 s[46:47], s[46:47], 3
	s_ashr_i32 s51, s50, 31
	s_lshl_b64 s[48:49], s[48:49], 3
	v_add_co_u32 v34, s9, v36, s46
	s_lshl_b64 s[50:51], s[50:51], 3
	v_add_co_ci_u32_e64 v35, null, s47, v37, s9
	v_add_co_u32 v51, s9, v36, s48
	v_add_co_ci_u32_e64 v52, null, s49, v37, s9
	v_add_co_u32 v53, s9, v36, s50
	v_add_co_ci_u32_e64 v54, null, s51, v37, s9
	global_load_dwordx2 v[55:56], v[32:33], off
	s_clause 0x2
	global_load_dwordx2 v[34:35], v[34:35], off
	global_load_dwordx2 v[51:52], v[51:52], off
	;; [unrolled: 1-line block ×3, first 2 shown]
	v_cndmask_b32_e64 v10, v10, v6, s7
	v_cndmask_b32_e64 v57, v57, v5, s7
	v_add_co_u32 v32, vcc_lo, v32, 8
	v_add_co_ci_u32_e64 v33, null, 0, v33, vcc_lo
	v_cndmask_b32_e64 v58, v10, v8, s8
	v_cndmask_b32_e64 v57, v57, v7, s8
	s_add_u32 s34, s34, 1
	s_addc_u32 s35, s35, 0
	s_cmp_lg_u32 s37, s34
	s_waitcnt vmcnt(3)
	v_fma_f64 v[11:12], v[57:58], v[55:56], v[11:12]
	s_waitcnt vmcnt(2)
	v_fma_f64 v[13:14], v[57:58], v[34:35], v[13:14]
	;; [unrolled: 2-line block ×4, first 2 shown]
	s_cbranch_scc1 .LBB90_18
	s_branch .LBB90_20
.LBB90_19:                              ;   in Loop: Header=BB90_9 Depth=1
	v_mov_b32_e32 v16, v9
	v_mov_b32_e32 v10, v9
	;; [unrolled: 1-line block ×15, first 2 shown]
.LBB90_20:                              ;   in Loop: Header=BB90_9 Depth=1
	s_or_b32 exec_lo, exec_lo, s45
.LBB90_21:                              ;   in Loop: Header=BB90_9 Depth=1
	s_or_b32 exec_lo, exec_lo, s24
	s_mov_b64 s[8:9], 0
	s_branch .LBB90_23
.LBB90_22:                              ;   in Loop: Header=BB90_23 Depth=2
	s_or_b32 exec_lo, exec_lo, s7
	s_cmp_eq_u32 s8, 3
	s_cselect_b32 vcc_lo, -1, 0
	s_cmp_eq_u32 s8, 2
	s_waitcnt lgkmcnt(0)
	v_cndmask_b32_e32 v18, v18, v33, vcc_lo
	v_cndmask_b32_e32 v17, v17, v32, vcc_lo
	s_cselect_b32 vcc_lo, -1, 0
	s_cmp_eq_u32 s8, 1
	v_cndmask_b32_e32 v16, v16, v33, vcc_lo
	v_cndmask_b32_e32 v15, v15, v32, vcc_lo
	s_cselect_b32 vcc_lo, -1, 0
	s_cmp_eq_u32 s8, 0
	v_cndmask_b32_e32 v14, v14, v33, vcc_lo
	v_cndmask_b32_e32 v13, v13, v32, vcc_lo
	s_cselect_b32 vcc_lo, -1, 0
	s_add_u32 s8, s8, 1
	v_cndmask_b32_e32 v12, v12, v33, vcc_lo
	v_cndmask_b32_e32 v11, v11, v32, vcc_lo
	s_addc_u32 s9, s9, 0
	s_cmp_eq_u32 s8, 4
	s_cbranch_scc1 .LBB90_31
.LBB90_23:                              ;   Parent Loop BB90_9 Depth=1
                                        ; =>  This Inner Loop Header: Depth=2
	s_and_saveexec_b32 s7, s0
; %bb.24:                               ;   in Loop: Header=BB90_23 Depth=2
	v_mov_b32_e32 v10, v9
	ds_write_b64 v47, v[9:10]
; %bb.25:                               ;   in Loop: Header=BB90_23 Depth=2
	s_or_b32 exec_lo, exec_lo, s7
	s_cmp_eq_u32 s8, 1
	s_waitcnt lgkmcnt(0)
	s_waitcnt_vscnt null, 0x0
	s_cselect_b32 vcc_lo, -1, 0
	s_cmp_eq_u32 s8, 2
	v_cndmask_b32_e32 v10, v12, v14, vcc_lo
	v_cndmask_b32_e32 v32, v11, v13, vcc_lo
	s_cselect_b32 vcc_lo, -1, 0
	s_cmp_eq_u32 s8, 3
	s_barrier
	v_cndmask_b32_e32 v10, v10, v16, vcc_lo
	v_cndmask_b32_e32 v32, v32, v15, vcc_lo
	s_cselect_b32 vcc_lo, -1, 0
	buffer_gl0_inv
	v_cndmask_b32_e32 v33, v10, v18, vcc_lo
	v_cndmask_b32_e32 v32, v32, v17, vcc_lo
	ds_bpermute_b32 v35, v42, v33
	ds_bpermute_b32 v34, v42, v32
	s_waitcnt lgkmcnt(0)
	v_add_f64 v[32:33], v[32:33], v[34:35]
	ds_bpermute_b32 v34, v43, v32
	ds_bpermute_b32 v35, v43, v33
	s_waitcnt lgkmcnt(0)
	v_add_f64 v[32:33], v[32:33], v[34:35]
	;; [unrolled: 4-line block ×4, first 2 shown]
	ds_bpermute_b32 v34, v46, v32
	ds_bpermute_b32 v35, v46, v33
	s_and_saveexec_b32 s7, s4
	s_cbranch_execz .LBB90_27
; %bb.26:                               ;   in Loop: Header=BB90_23 Depth=2
	s_waitcnt lgkmcnt(0)
	v_add_f64 v[32:33], v[32:33], v[34:35]
	ds_write_b64 v48, v[32:33]
.LBB90_27:                              ;   in Loop: Header=BB90_23 Depth=2
	s_or_b32 exec_lo, exec_lo, s7
	v_mov_b32_e32 v32, 0
	v_mov_b32_e32 v33, 0
	s_waitcnt lgkmcnt(0)
	s_barrier
	buffer_gl0_inv
	s_and_saveexec_b32 s7, s1
; %bb.28:                               ;   in Loop: Header=BB90_23 Depth=2
	ds_read_b64 v[32:33], v47
; %bb.29:                               ;   in Loop: Header=BB90_23 Depth=2
	s_or_b32 exec_lo, exec_lo, s7
	s_and_saveexec_b32 s7, s0
	s_cbranch_execz .LBB90_22
; %bb.30:                               ;   in Loop: Header=BB90_23 Depth=2
	s_waitcnt lgkmcnt(0)
	ds_bpermute_b32 v34, v44, v32
	ds_bpermute_b32 v35, v44, v33
	s_waitcnt lgkmcnt(0)
	v_add_f64 v[32:33], v[32:33], v[34:35]
	ds_bpermute_b32 v34, v45, v32
	ds_bpermute_b32 v35, v45, v33
	s_waitcnt lgkmcnt(0)
	v_add_f64 v[32:33], v[32:33], v[34:35]
	;; [unrolled: 4-line block ×3, first 2 shown]
	s_branch .LBB90_22
.LBB90_31:                              ;   in Loop: Header=BB90_9 Depth=1
	s_and_saveexec_b32 s7, s5
	s_cbranch_execz .LBB90_8
; %bb.32:                               ;   in Loop: Header=BB90_9 Depth=1
	s_mul_i32 s8, s11, s20
	v_mul_f64 v[10:11], s[16:17], v[11:12]
	v_mul_f64 v[12:13], s[16:17], v[13:14]
	;; [unrolled: 1-line block ×3, first 2 shown]
	s_add_i32 s24, s8, s6
	v_mul_f64 v[16:17], s[16:17], v[17:18]
	s_lshl_b64 s[8:9], s[24:25], 3
	s_add_u32 s8, s39, s8
	s_addc_u32 s9, s38, s9
	s_add_i32 s24, s24, s20
	s_lshl_b64 s[34:35], s[24:25], 3
	s_add_u32 s34, s39, s34
	s_addc_u32 s35, s38, s35
	s_add_i32 s24, s24, s20
	global_store_dwordx2 v9, v[10:11], s[8:9]
	global_store_dwordx2 v9, v[12:13], s[34:35]
	s_lshl_b64 s[46:47], s[24:25], 3
	s_add_u32 s46, s39, s46
	s_addc_u32 s47, s38, s47
	s_add_i32 s24, s24, s20
	s_lshl_b64 s[48:49], s[24:25], 3
	s_add_u32 s48, s39, s48
	s_addc_u32 s49, s38, s49
	global_store_dwordx2 v9, v[14:15], s[46:47]
	global_store_dwordx2 v9, v[16:17], s[48:49]
	s_branch .LBB90_8
.LBB90_33:
	v_mov_b32_e32 v1, 0
	s_mov_b32 s11, 0
	v_mov_b32_e32 v2, v1
	v_mov_b32_e32 v3, v1
	;; [unrolled: 1-line block ×7, first 2 shown]
.LBB90_34:
	s_cmp_ge_i32 s11, s19
	s_cbranch_scc1 .LBB90_58
; %bb.35:
	v_cmp_gt_u32_e32 vcc_lo, 24, v38
	v_lshlrev_b32_e32 v24, 3, v20
	v_cmp_eq_u32_e64 s3, 0, v20
	v_ashrrev_i32_e32 v20, 31, v19
	s_cmp_gt_i32 s37, 0
	v_cndmask_b32_e64 v9, 0, 8, vcc_lo
	v_cmp_gt_u32_e32 vcc_lo, 28, v38
	s_mov_b32 s7, 0
	v_lshlrev_b64 v[13:14], 3, v[19:20]
	v_cmp_ge_i32_e64 s0, s18, v40
	v_add_lshl_u32 v26, v9, v38, 2
	v_cndmask_b32_e64 v10, 0, 4, vcc_lo
	v_cmp_gt_u32_e32 vcc_lo, 30, v38
	v_add_nc_u32_e32 v9, s21, v19
	v_cmp_ge_i32_e64 s1, s18, v41
	s_cselect_b32 s18, -1, 0
	v_add_lshl_u32 v27, v10, v38, 2
	v_cndmask_b32_e64 v11, 0, 2, vcc_lo
	v_cmp_ne_u32_e32 vcc_lo, 31, v38
	v_ashrrev_i32_e32 v10, 31, v9
	s_lshl_b64 s[8:9], s[6:7], 3
	v_cmp_gt_u32_e64 s2, 32, v0
	v_add_lshl_u32 v28, v11, v38, 2
	v_add_nc_u32_e32 v11, s21, v9
	v_add_co_ci_u32_e64 v12, null, 0, v38, vcc_lo
	v_lshlrev_b64 v[15:16], 3, v[9:10]
	v_add_co_u32 v9, vcc_lo, s33, v13
	v_add_nc_u32_e32 v17, s21, v11
	v_lshlrev_b32_e32 v29, 2, v12
	v_ashrrev_i32_e32 v12, 31, v11
	v_add_co_ci_u32_e64 v10, null, s36, v14, vcc_lo
	v_ashrrev_i32_e32 v18, 31, v17
	s_add_u32 s24, s39, s8
	v_lshlrev_b64 v[13:14], 3, v[11:12]
	v_add_co_u32 v11, vcc_lo, s33, v15
	v_add_co_ci_u32_e64 v12, null, s36, v16, vcc_lo
	v_lshlrev_b64 v[15:16], 3, v[17:18]
	s_addc_u32 s25, s38, s9
	v_add_co_u32 v13, vcc_lo, s33, v13
	s_add_u32 s6, s22, s14
	s_addc_u32 s8, s23, s15
	v_add_co_ci_u32_e64 v14, null, s36, v14, vcc_lo
	v_add_co_u32 v15, vcc_lo, s33, v15
	s_add_u32 s6, s12, s6
	v_cmp_gt_u32_e64 s4, 8, v0
	v_cmp_eq_u32_e64 s5, 0, v0
	v_add_co_ci_u32_e64 v16, null, s36, v16, vcc_lo
	s_addc_u32 s8, s13, s8
	v_add_co_u32 v0, vcc_lo, s6, v21
	v_lshl_or_b32 v25, v38, 2, 64
	v_and_b32_e32 v30, 56, v39
	v_add_co_ci_u32_e64 v31, null, s8, v22, vcc_lo
	v_mov_b32_e32 v17, 0
	s_waitcnt lgkmcnt(0)
	s_mul_i32 s12, s11, s10
	s_branch .LBB90_37
.LBB90_36:                              ;   in Loop: Header=BB90_37 Depth=1
	s_or_b32 exec_lo, exec_lo, s6
	s_add_i32 s11, s11, 1
	s_add_i32 s12, s12, s10
	s_cmp_ge_i32 s11, s19
	s_cbranch_scc1 .LBB90_58
.LBB90_37:                              ; =>This Loop Header: Depth=1
                                        ;     Child Loop BB90_50 Depth 2
                                        ;     Child Loop BB90_53 Depth 2
	s_waitcnt lgkmcnt(0)
	v_mov_b32_e32 v20, s7
	v_mov_b32_e32 v21, s7
	s_and_saveexec_b32 s6, s0
	s_xor_b32 s6, exec_lo, s6
	s_cbranch_execnz .LBB90_46
; %bb.38:                               ;   in Loop: Header=BB90_37 Depth=1
	s_andn2_saveexec_b32 s22, s6
	s_cbranch_execnz .LBB90_47
.LBB90_39:                              ;   in Loop: Header=BB90_37 Depth=1
	s_or_b32 exec_lo, exec_lo, s22
	s_and_saveexec_b32 s6, s2
.LBB90_40:                              ;   in Loop: Header=BB90_37 Depth=1
	v_mov_b32_e32 v18, v17
	ds_write_b64 v24, v[17:18]
.LBB90_41:                              ;   in Loop: Header=BB90_37 Depth=1
	s_or_b32 exec_lo, exec_lo, s6
	ds_bpermute_b32 v22, v25, v20
	ds_bpermute_b32 v23, v25, v21
	s_waitcnt lgkmcnt(0)
	s_waitcnt_vscnt null, 0x0
	s_barrier
	buffer_gl0_inv
	v_add_f64 v[20:21], v[20:21], v[22:23]
	ds_bpermute_b32 v22, v26, v20
	ds_bpermute_b32 v23, v26, v21
	s_waitcnt lgkmcnt(0)
	v_add_f64 v[20:21], v[20:21], v[22:23]
	ds_bpermute_b32 v22, v27, v20
	ds_bpermute_b32 v23, v27, v21
	s_waitcnt lgkmcnt(0)
	;; [unrolled: 4-line block ×3, first 2 shown]
	v_add_f64 v[20:21], v[20:21], v[22:23]
	ds_bpermute_b32 v22, v29, v20
	ds_bpermute_b32 v23, v29, v21
	s_and_saveexec_b32 s6, s3
	s_cbranch_execz .LBB90_43
; %bb.42:                               ;   in Loop: Header=BB90_37 Depth=1
	s_waitcnt lgkmcnt(0)
	v_add_f64 v[20:21], v[20:21], v[22:23]
	ds_write_b64 v30, v[20:21]
.LBB90_43:                              ;   in Loop: Header=BB90_37 Depth=1
	s_or_b32 exec_lo, exec_lo, s6
	v_mov_b32_e32 v20, 0
	v_mov_b32_e32 v21, 0
	s_waitcnt lgkmcnt(0)
	s_barrier
	buffer_gl0_inv
	s_and_saveexec_b32 s6, s4
	s_cbranch_execnz .LBB90_55
; %bb.44:                               ;   in Loop: Header=BB90_37 Depth=1
	s_or_b32 exec_lo, exec_lo, s6
	s_and_saveexec_b32 s6, s2
	s_cbranch_execnz .LBB90_56
.LBB90_45:                              ;   in Loop: Header=BB90_37 Depth=1
	s_or_b32 exec_lo, exec_lo, s6
	s_and_saveexec_b32 s6, s5
	s_cbranch_execz .LBB90_36
	s_branch .LBB90_57
.LBB90_46:                              ;   in Loop: Header=BB90_37 Depth=1
	s_mul_i32 s8, s11, s10
	s_ashr_i32 s9, s8, 31
	s_lshl_b64 s[8:9], s[8:9], 3
	v_add_co_u32 v5, vcc_lo, v36, s8
	v_add_co_ci_u32_e64 v6, null, s9, v37, vcc_lo
	global_load_dwordx4 v[20:23], v[5:6], off
	s_clause 0x1
	global_load_dwordx2 v[1:2], v[9:10], off
	global_load_dwordx2 v[3:4], v[11:12], off
	global_load_dwordx4 v[32:35], v[5:6], off offset:16
	s_clause 0x1
	global_load_dwordx2 v[5:6], v[13:14], off
	global_load_dwordx2 v[7:8], v[15:16], off
	s_waitcnt vmcnt(4)
	v_fma_f64 v[20:21], v[1:2], v[20:21], 0
	s_waitcnt vmcnt(3)
	v_fma_f64 v[20:21], v[3:4], v[22:23], v[20:21]
	;; [unrolled: 2-line block ×4, first 2 shown]
	s_andn2_saveexec_b32 s22, s6
	s_cbranch_execz .LBB90_39
.LBB90_47:                              ;   in Loop: Header=BB90_37 Depth=1
	s_and_saveexec_b32 s23, s1
	s_cbranch_execz .LBB90_54
; %bb.48:                               ;   in Loop: Header=BB90_37 Depth=1
	s_andn2_b32 vcc_lo, exec_lo, s18
	s_cbranch_vccnz .LBB90_51
; %bb.49:                               ;   in Loop: Header=BB90_37 Depth=1
	v_mov_b32_e32 v22, v19
	s_mov_b64 s[14:15], 0
	s_inst_prefetch 0x1
	.p2align	6
.LBB90_50:                              ;   Parent Loop BB90_37 Depth=1
                                        ; =>  This Inner Loop Header: Depth=2
	v_ashrrev_i32_e32 v23, 31, v22
	s_cmp_eq_u32 s14, 3
	v_lshlrev_b64 v[32:33], 3, v[22:23]
	v_add_nc_u32_e32 v22, s21, v22
	v_add_co_u32 v32, vcc_lo, s33, v32
	v_add_co_ci_u32_e64 v33, null, s36, v33, vcc_lo
	s_cselect_b32 vcc_lo, -1, 0
	s_cmp_eq_u32 s14, 2
	s_cselect_b32 s6, -1, 0
	global_load_dwordx2 v[32:33], v[32:33], off
	s_cmp_eq_u32 s14, 1
	s_cselect_b32 s8, -1, 0
	s_cmp_eq_u32 s14, 0
	s_cselect_b32 s9, -1, 0
	s_add_u32 s14, s14, 1
	s_addc_u32 s15, s15, 0
	s_cmp_eq_u32 s37, s14
	s_waitcnt vmcnt(0)
	v_cndmask_b32_e32 v8, v8, v33, vcc_lo
	v_cndmask_b32_e32 v7, v7, v32, vcc_lo
	v_cndmask_b32_e64 v6, v6, v33, s6
	v_cndmask_b32_e64 v5, v5, v32, s6
	;; [unrolled: 1-line block ×6, first 2 shown]
	s_cbranch_scc0 .LBB90_50
.LBB90_51:                              ;   in Loop: Header=BB90_37 Depth=1
	s_inst_prefetch 0x2
	s_andn2_b32 vcc_lo, exec_lo, s18
	s_cbranch_vccnz .LBB90_54
; %bb.52:                               ;   in Loop: Header=BB90_37 Depth=1
	s_ashr_i32 s13, s12, 31
	s_lshl_b64 s[8:9], s[12:13], 3
	v_add_co_u32 v22, vcc_lo, v0, s8
	v_add_co_ci_u32_e64 v23, null, s9, v31, vcc_lo
	s_mov_b64 s[8:9], 0
	.p2align	6
.LBB90_53:                              ;   Parent Loop BB90_37 Depth=1
                                        ; =>  This Inner Loop Header: Depth=2
	global_load_dwordx2 v[32:33], v[22:23], off
	s_cmp_eq_u32 s8, 1
	s_cselect_b32 vcc_lo, -1, 0
	s_cmp_eq_u32 s8, 2
	v_cndmask_b32_e32 v18, v2, v4, vcc_lo
	v_cndmask_b32_e32 v34, v1, v3, vcc_lo
	s_cselect_b32 vcc_lo, -1, 0
	s_cmp_eq_u32 s8, 3
	v_cndmask_b32_e32 v18, v18, v6, vcc_lo
	v_cndmask_b32_e32 v34, v34, v5, vcc_lo
	s_cselect_b32 vcc_lo, -1, 0
	s_add_u32 s8, s8, 1
	s_addc_u32 s9, s9, 0
	v_cndmask_b32_e32 v35, v18, v8, vcc_lo
	v_cndmask_b32_e32 v34, v34, v7, vcc_lo
	v_add_co_u32 v22, vcc_lo, v22, 8
	v_add_co_ci_u32_e64 v23, null, 0, v23, vcc_lo
	s_cmp_lg_u32 s37, s8
	s_waitcnt vmcnt(0)
	v_fma_f64 v[20:21], v[34:35], v[32:33], v[20:21]
	s_cbranch_scc1 .LBB90_53
.LBB90_54:                              ;   in Loop: Header=BB90_37 Depth=1
	s_or_b32 exec_lo, exec_lo, s23
	s_or_b32 exec_lo, exec_lo, s22
	s_and_saveexec_b32 s6, s2
	s_cbranch_execnz .LBB90_40
	s_branch .LBB90_41
.LBB90_55:                              ;   in Loop: Header=BB90_37 Depth=1
	ds_read_b64 v[20:21], v24
	s_or_b32 exec_lo, exec_lo, s6
	s_and_saveexec_b32 s6, s2
	s_cbranch_execz .LBB90_45
.LBB90_56:                              ;   in Loop: Header=BB90_37 Depth=1
	s_waitcnt lgkmcnt(0)
	ds_bpermute_b32 v22, v27, v20
	ds_bpermute_b32 v23, v27, v21
	s_waitcnt lgkmcnt(0)
	v_add_f64 v[20:21], v[20:21], v[22:23]
	ds_bpermute_b32 v22, v28, v20
	ds_bpermute_b32 v23, v28, v21
	s_waitcnt lgkmcnt(0)
	v_add_f64 v[20:21], v[20:21], v[22:23]
	;; [unrolled: 4-line block ×3, first 2 shown]
	s_or_b32 exec_lo, exec_lo, s6
	s_and_saveexec_b32 s6, s5
	s_cbranch_execz .LBB90_36
.LBB90_57:                              ;   in Loop: Header=BB90_37 Depth=1
	s_waitcnt lgkmcnt(0)
	v_mul_f64 v[20:21], s[16:17], v[20:21]
	s_mul_hi_u32 s9, s11, s20
	s_mul_i32 s8, s11, s20
	s_lshl_b64 s[8:9], s[8:9], 3
	s_add_u32 s8, s24, s8
	s_addc_u32 s9, s25, s9
	global_store_dwordx2 v17, v[20:21], s[8:9]
	s_branch .LBB90_36
.LBB90_58:
	s_endpgm
	.section	.rodata,"a",@progbits
	.p2align	6, 0x0
	.amdhsa_kernel _ZL23rocblas_gemvt_sn_kernelILb1ELi256ELi4EidPKddEviiT4_lPKT3_lilS5_lilPT5_i
		.amdhsa_group_segment_fixed_size 256
		.amdhsa_private_segment_fixed_size 0
		.amdhsa_kernarg_size 360
		.amdhsa_user_sgpr_count 6
		.amdhsa_user_sgpr_private_segment_buffer 1
		.amdhsa_user_sgpr_dispatch_ptr 0
		.amdhsa_user_sgpr_queue_ptr 0
		.amdhsa_user_sgpr_kernarg_segment_ptr 1
		.amdhsa_user_sgpr_dispatch_id 0
		.amdhsa_user_sgpr_flat_scratch_init 0
		.amdhsa_user_sgpr_private_segment_size 0
		.amdhsa_wavefront_size32 1
		.amdhsa_uses_dynamic_stack 0
		.amdhsa_system_sgpr_private_segment_wavefront_offset 0
		.amdhsa_system_sgpr_workgroup_id_x 1
		.amdhsa_system_sgpr_workgroup_id_y 0
		.amdhsa_system_sgpr_workgroup_id_z 1
		.amdhsa_system_sgpr_workgroup_info 0
		.amdhsa_system_vgpr_workitem_id 0
		.amdhsa_next_free_vgpr 71
		.amdhsa_next_free_sgpr 52
		.amdhsa_reserve_vcc 1
		.amdhsa_reserve_flat_scratch 0
		.amdhsa_float_round_mode_32 0
		.amdhsa_float_round_mode_16_64 0
		.amdhsa_float_denorm_mode_32 3
		.amdhsa_float_denorm_mode_16_64 3
		.amdhsa_dx10_clamp 1
		.amdhsa_ieee_mode 1
		.amdhsa_fp16_overflow 0
		.amdhsa_workgroup_processor_mode 1
		.amdhsa_memory_ordered 1
		.amdhsa_forward_progress 1
		.amdhsa_shared_vgpr_count 0
		.amdhsa_exception_fp_ieee_invalid_op 0
		.amdhsa_exception_fp_denorm_src 0
		.amdhsa_exception_fp_ieee_div_zero 0
		.amdhsa_exception_fp_ieee_overflow 0
		.amdhsa_exception_fp_ieee_underflow 0
		.amdhsa_exception_fp_ieee_inexact 0
		.amdhsa_exception_int_div_zero 0
	.end_amdhsa_kernel
	.section	.text._ZL23rocblas_gemvt_sn_kernelILb1ELi256ELi4EidPKddEviiT4_lPKT3_lilS5_lilPT5_i,"axG",@progbits,_ZL23rocblas_gemvt_sn_kernelILb1ELi256ELi4EidPKddEviiT4_lPKT3_lilS5_lilPT5_i,comdat
.Lfunc_end90:
	.size	_ZL23rocblas_gemvt_sn_kernelILb1ELi256ELi4EidPKddEviiT4_lPKT3_lilS5_lilPT5_i, .Lfunc_end90-_ZL23rocblas_gemvt_sn_kernelILb1ELi256ELi4EidPKddEviiT4_lPKT3_lilS5_lilPT5_i
                                        ; -- End function
	.set _ZL23rocblas_gemvt_sn_kernelILb1ELi256ELi4EidPKddEviiT4_lPKT3_lilS5_lilPT5_i.num_vgpr, 71
	.set _ZL23rocblas_gemvt_sn_kernelILb1ELi256ELi4EidPKddEviiT4_lPKT3_lilS5_lilPT5_i.num_agpr, 0
	.set _ZL23rocblas_gemvt_sn_kernelILb1ELi256ELi4EidPKddEviiT4_lPKT3_lilS5_lilPT5_i.numbered_sgpr, 52
	.set _ZL23rocblas_gemvt_sn_kernelILb1ELi256ELi4EidPKddEviiT4_lPKT3_lilS5_lilPT5_i.num_named_barrier, 0
	.set _ZL23rocblas_gemvt_sn_kernelILb1ELi256ELi4EidPKddEviiT4_lPKT3_lilS5_lilPT5_i.private_seg_size, 0
	.set _ZL23rocblas_gemvt_sn_kernelILb1ELi256ELi4EidPKddEviiT4_lPKT3_lilS5_lilPT5_i.uses_vcc, 1
	.set _ZL23rocblas_gemvt_sn_kernelILb1ELi256ELi4EidPKddEviiT4_lPKT3_lilS5_lilPT5_i.uses_flat_scratch, 0
	.set _ZL23rocblas_gemvt_sn_kernelILb1ELi256ELi4EidPKddEviiT4_lPKT3_lilS5_lilPT5_i.has_dyn_sized_stack, 0
	.set _ZL23rocblas_gemvt_sn_kernelILb1ELi256ELi4EidPKddEviiT4_lPKT3_lilS5_lilPT5_i.has_recursion, 0
	.set _ZL23rocblas_gemvt_sn_kernelILb1ELi256ELi4EidPKddEviiT4_lPKT3_lilS5_lilPT5_i.has_indirect_call, 0
	.section	.AMDGPU.csdata,"",@progbits
; Kernel info:
; codeLenInByte = 4000
; TotalNumSgprs: 54
; NumVgprs: 71
; ScratchSize: 0
; MemoryBound: 1
; FloatMode: 240
; IeeeMode: 1
; LDSByteSize: 256 bytes/workgroup (compile time only)
; SGPRBlocks: 0
; VGPRBlocks: 8
; NumSGPRsForWavesPerEU: 54
; NumVGPRsForWavesPerEU: 71
; Occupancy: 12
; WaveLimiterHint : 1
; COMPUTE_PGM_RSRC2:SCRATCH_EN: 0
; COMPUTE_PGM_RSRC2:USER_SGPR: 6
; COMPUTE_PGM_RSRC2:TRAP_HANDLER: 0
; COMPUTE_PGM_RSRC2:TGID_X_EN: 1
; COMPUTE_PGM_RSRC2:TGID_Y_EN: 0
; COMPUTE_PGM_RSRC2:TGID_Z_EN: 1
; COMPUTE_PGM_RSRC2:TIDIG_COMP_CNT: 0
	.section	.text._ZL23rocblas_gemvt_sn_kernelILb1ELi256ELi4EldPKddEviiT4_lPKT3_lilS5_lilPT5_i,"axG",@progbits,_ZL23rocblas_gemvt_sn_kernelILb1ELi256ELi4EldPKddEviiT4_lPKT3_lilS5_lilPT5_i,comdat
	.globl	_ZL23rocblas_gemvt_sn_kernelILb1ELi256ELi4EldPKddEviiT4_lPKT3_lilS5_lilPT5_i ; -- Begin function _ZL23rocblas_gemvt_sn_kernelILb1ELi256ELi4EldPKddEviiT4_lPKT3_lilS5_lilPT5_i
	.p2align	8
	.type	_ZL23rocblas_gemvt_sn_kernelILb1ELi256ELi4EldPKddEviiT4_lPKT3_lilS5_lilPT5_i,@function
_ZL23rocblas_gemvt_sn_kernelILb1ELi256ELi4EldPKddEviiT4_lPKT3_lilS5_lilPT5_i: ; @_ZL23rocblas_gemvt_sn_kernelILb1ELi256ELi4EldPKddEviiT4_lPKT3_lilS5_lilPT5_i
; %bb.0:
	s_load_dwordx8 s[8:15], s[4:5], 0x8
	s_mov_b32 s25, 0
	s_waitcnt lgkmcnt(0)
	s_mul_i32 s1, s11, s7
	s_mul_hi_u32 s2, s10, s7
	s_mul_i32 s0, s10, s7
	s_add_i32 s1, s2, s1
	s_lshl_b64 s[0:1], s[0:1], 3
	s_add_u32 s0, s8, s0
	s_addc_u32 s1, s9, s1
	s_load_dwordx2 s[20:21], s[0:1], 0x0
	s_clause 0x2
	s_load_dwordx2 s[22:23], s[4:5], 0x0
	s_load_dword s24, s[4:5], 0x68
	s_load_dwordx4 s[8:11], s[4:5], 0x50
	s_waitcnt lgkmcnt(0)
	v_cmp_neq_f64_e64 s2, s[20:21], 0
	s_ashr_i32 s36, s23, 31
	s_mul_hi_u32 s0, s23, s7
	s_mul_i32 s1, s36, s7
	s_mul_i32 s3, s23, s7
	s_add_i32 s0, s0, s1
	s_mul_hi_u32 s1, s3, s24
	s_mul_i32 s16, s0, s24
	s_mul_i32 s0, s3, s24
	s_add_i32 s1, s1, s16
	s_lshl_b64 s[0:1], s[0:1], 3
	s_add_u32 s33, s10, s0
	v_cmp_eq_u32_e64 s0, 0, v0
	s_addc_u32 s46, s11, s1
	s_and_b32 vcc_lo, exec_lo, s2
	s_cbranch_vccnz .LBB91_5
; %bb.1:
	s_cmp_gt_i32 s23, 0
	s_cselect_b32 s1, -1, 0
	s_and_b32 s0, s0, s1
	s_and_saveexec_b32 s10, s0
	s_cbranch_execz .LBB91_4
; %bb.2:
	v_mov_b32_e32 v1, 0
	s_mov_b32 s0, s7
	s_mov_b32 s7, 0
	s_mov_b32 s11, s23
	s_lshl_b64 s[2:3], s[6:7], 3
	v_mov_b32_e32 v2, v1
	s_mov_b32 s7, s0
	s_add_u32 s0, s33, s2
	s_addc_u32 s1, s46, s3
	s_lshl_b64 s[2:3], s[24:25], 3
.LBB91_3:                               ; =>This Inner Loop Header: Depth=1
	s_add_i32 s11, s11, -1
	global_store_dwordx2 v1, v[1:2], s[0:1]
	s_add_u32 s0, s0, s2
	s_addc_u32 s1, s1, s3
	s_cmp_eq_u32 s11, 0
	s_cbranch_scc0 .LBB91_3
.LBB91_4:
	s_or_b32 exec_lo, exec_lo, s10
	s_cbranch_execz .LBB91_6
	s_branch .LBB91_58
.LBB91_5:
.LBB91_6:
	s_clause 0x3
	s_load_dword s26, s[4:5], 0x28
	s_load_dword s28, s[4:5], 0x48
	s_load_dwordx4 s[16:19], s[4:5], 0x30
	s_load_dwordx2 s[0:1], s[4:5], 0x40
	s_mul_i32 s3, s9, s7
	s_mul_hi_u32 s4, s8, s7
	s_mul_i32 s2, s8, s7
	s_add_i32 s3, s4, s3
	v_and_b32_e32 v40, 31, v0
	s_lshl_b64 s[30:31], s[2:3], 3
	v_mbcnt_lo_u32_b32 v43, -1, 0
	v_lshrrev_b32_e32 v45, 2, v0
	s_waitcnt lgkmcnt(0)
	s_ashr_i32 s27, s26, 31
	s_ashr_i32 s29, s28, 31
	s_add_u32 s5, s18, s30
	s_addc_u32 s8, s19, s31
	s_lshl_b64 s[34:35], s[0:1], 3
	s_mul_i32 s3, s17, s7
	s_mul_hi_u32 s4, s16, s7
	s_add_u32 s47, s5, s34
	s_mul_i32 s2, s16, s7
	s_addc_u32 s48, s8, s35
	s_add_i32 s3, s4, s3
	v_cmp_gt_u32_e64 s0, 32, v0
	s_lshl_b64 s[16:17], s[2:3], 3
	v_cmp_gt_u32_e64 s1, 8, v0
	s_add_u32 s2, s12, s16
	s_addc_u32 s3, s13, s17
	s_lshl_b64 s[14:15], s[14:15], 3
	s_add_u32 s2, s2, s14
	s_addc_u32 s3, s3, s15
	s_lshl_b32 s4, s6, 10
	s_ashr_i32 s5, s22, 31
	v_lshl_or_b32 v23, v0, 2, s4
	s_lshr_b32 s4, s36, 30
	s_lshr_b32 s5, s5, 30
	s_add_i32 s4, s23, s4
	s_add_i32 s5, s22, s5
	v_ashrrev_i32_e32 v24, 31, v23
	s_and_b32 s49, s4, -4
	s_and_b32 s4, s5, -4
	v_add_nc_u32_e32 v46, 4, v23
	s_sub_i32 s25, s22, s4
	v_lshlrev_b64 v[21:22], 3, v[23:24]
	v_or_b32_e32 v44, 1, v23
	v_or_b32_e32 v42, 2, v23
	v_add_nc_u32_e32 v47, s25, v23
	v_or_b32_e32 v41, 3, v23
	s_cmp_lt_i32 s49, 1
	v_add_co_u32 v19, vcc_lo, s2, v21
	v_add_co_ci_u32_e64 v20, null, s3, v22, vcc_lo
	s_cbranch_scc1 .LBB91_33
; %bb.7:
	v_cmp_gt_u32_e32 vcc_lo, 24, v43
	v_mad_i64_i32 v[5:6], null, s28, v42, 0
	v_mad_i64_i32 v[7:8], null, s28, v41, 0
	v_cndmask_b32_e64 v1, 0, 8, vcc_lo
	v_cmp_gt_u32_e32 vcc_lo, 28, v43
	s_cmp_gt_i32 s25, 0
	s_mov_b32 s7, 0
	v_lshlrev_b64 v[5:6], 3, v[5:6]
	v_add_lshl_u32 v49, v1, v43, 2
	v_cndmask_b32_e64 v2, 0, 4, vcc_lo
	v_cmp_gt_u32_e32 vcc_lo, 30, v43
	s_cselect_b32 s50, -1, 0
	s_lshl_b64 s[8:9], s[6:7], 3
	v_mov_b32_e32 v9, 0
	v_add_lshl_u32 v50, v2, v43, 2
	v_cndmask_b32_e64 v3, 0, 2, vcc_lo
	v_cmp_ne_u32_e32 vcc_lo, 31, v43
	v_mad_i64_i32 v[1:2], null, s28, v23, 0
	s_add_u32 s51, s33, s8
	v_add_lshl_u32 v51, v3, v43, 2
	v_add_co_ci_u32_e64 v4, null, 0, v43, vcc_lo
	s_addc_u32 s52, s46, s9
	s_add_u32 s8, s18, s34
	v_lshlrev_b64 v[1:2], 3, v[1:2]
	v_lshlrev_b32_e32 v52, 2, v4
	v_mad_i64_i32 v[3:4], null, s28, v44, 0
	s_addc_u32 s9, s19, s35
	s_add_u32 s8, s8, s30
	v_add_co_u32 v24, vcc_lo, s47, v1
	v_add_co_ci_u32_e64 v25, null, s48, v2, vcc_lo
	v_lshlrev_b64 v[3:4], 3, v[3:4]
	v_mov_b32_e32 v10, v9
	v_mov_b32_e32 v11, v9
	;; [unrolled: 1-line block ×5, first 2 shown]
	v_add_co_u32 v26, vcc_lo, s47, v3
	v_add_co_ci_u32_e64 v27, null, s48, v4, vcc_lo
	v_lshlrev_b64 v[3:4], 3, v[7:8]
	v_add_co_u32 v28, vcc_lo, s47, v5
	v_add_co_ci_u32_e64 v29, null, s48, v6, vcc_lo
	v_mov_b32_e32 v15, v9
	v_add_co_u32 v30, vcc_lo, s47, v3
	v_mov_b32_e32 v16, v9
	v_add_co_ci_u32_e64 v31, null, s48, v4, vcc_lo
	s_addc_u32 s9, s9, s31
	v_add_co_u32 v32, vcc_lo, s8, v1
	v_add_co_ci_u32_e64 v33, null, s9, v2, vcc_lo
	v_mov_b32_e32 v35, v20
	v_mov_b32_e32 v1, v9
	v_cmp_ge_i32_e64 s2, s22, v46
	v_cmp_ge_i32_e64 s3, s22, v47
	v_lshl_or_b32 v48, v43, 2, 64
	v_cmp_eq_u32_e64 s4, 0, v40
	v_lshlrev_b32_e32 v53, 3, v40
	v_and_b32_e32 v54, 56, v45
	v_cmp_eq_u32_e64 s5, 0, v0
	v_mov_b32_e32 v34, v19
	v_mov_b32_e32 v2, v10
	;; [unrolled: 1-line block ×8, first 2 shown]
	s_lshl_b64 s[36:37], s[28:29], 3
	s_lshl_b64 s[38:39], s[26:27], 5
	;; [unrolled: 1-line block ×4, first 2 shown]
	s_mul_hi_i32 s53, s26, 24
	s_mul_i32 s54, s26, 24
	s_branch .LBB91_9
.LBB91_8:                               ;   in Loop: Header=BB91_9 Depth=1
	s_or_b32 exec_lo, exec_lo, s8
	v_add_co_u32 v34, vcc_lo, v34, s38
	v_add_co_ci_u32_e64 v35, null, s39, v35, vcc_lo
	s_add_i32 s7, s7, 4
	s_cmp_ge_i32 s7, s49
	s_cbranch_scc1 .LBB91_34
.LBB91_9:                               ; =>This Loop Header: Depth=1
                                        ;     Child Loop BB91_15 Depth 2
                                        ;     Child Loop BB91_18 Depth 2
	;; [unrolled: 1-line block ×3, first 2 shown]
                                        ; implicit-def: $vgpr11_vgpr12_vgpr13_vgpr14_vgpr15_vgpr16_vgpr17_vgpr18
	s_and_saveexec_b32 s8, s2
	s_xor_b32 s8, exec_lo, s8
	s_cbranch_execz .LBB91_11
; %bb.10:                               ;   in Loop: Header=BB91_9 Depth=1
	s_mul_i32 s9, s7, s27
	s_mul_hi_u32 s10, s7, s26
	s_add_i32 s11, s10, s9
	s_mul_i32 s10, s7, s26
	s_or_b32 s9, s7, 1
	s_lshl_b64 s[10:11], s[10:11], 3
	s_mul_i32 s44, s9, s27
	s_mul_hi_u32 s45, s9, s26
	v_add_co_u32 v5, vcc_lo, v19, s10
	v_add_co_ci_u32_e64 v6, null, s11, v20, vcc_lo
	s_add_i32 s11, s45, s44
	s_mul_i32 s10, s9, s26
	s_or_b32 s9, s7, 2
	s_lshl_b64 s[10:11], s[10:11], 3
	s_mul_i32 s44, s9, s27
	s_mul_hi_u32 s45, s9, s26
	v_add_co_u32 v7, vcc_lo, v19, s10
	v_add_co_ci_u32_e64 v8, null, s11, v20, vcc_lo
	s_add_i32 s11, s45, s44
	s_or_b32 s44, s7, 3
	s_mul_i32 s10, s9, s26
	s_mul_i32 s9, s44, s27
	s_mul_hi_u32 s45, s44, s26
	s_lshl_b64 s[10:11], s[10:11], 3
	s_add_i32 s45, s45, s9
	s_mul_i32 s44, s44, s26
	v_add_co_u32 v67, vcc_lo, v19, s10
	v_add_co_ci_u32_e64 v68, null, s11, v20, vcc_lo
	s_lshl_b64 s[10:11], s[44:45], 3
	v_add_co_u32 v71, vcc_lo, v19, s10
	v_add_co_ci_u32_e64 v72, null, s11, v20, vcc_lo
	global_load_dwordx2 v[1:2], v[24:25], off
	s_clause 0x3
	global_load_dwordx4 v[10:13], v[5:6], off
	global_load_dwordx4 v[14:17], v[7:8], off
	;; [unrolled: 1-line block ×4, first 2 shown]
	global_load_dwordx2 v[3:4], v[26:27], off
	global_load_dwordx4 v[59:62], v[5:6], off offset:16
	global_load_dwordx2 v[5:6], v[28:29], off
	s_clause 0x2
	global_load_dwordx4 v[63:66], v[7:8], off offset:16
	global_load_dwordx4 v[67:70], v[67:68], off offset:16
	global_load_dwordx4 v[71:74], v[71:72], off offset:16
	global_load_dwordx2 v[7:8], v[30:31], off
	s_waitcnt vmcnt(10)
	v_fma_f64 v[10:11], v[1:2], v[10:11], 0
	s_waitcnt vmcnt(9)
	v_fma_f64 v[14:15], v[1:2], v[14:15], 0
	;; [unrolled: 2-line block ×5, first 2 shown]
	v_fma_f64 v[12:13], v[3:4], v[16:17], v[14:15]
	v_fma_f64 v[14:15], v[3:4], v[38:39], v[36:37]
	;; [unrolled: 1-line block ×3, first 2 shown]
	s_waitcnt vmcnt(4)
	v_fma_f64 v[10:11], v[5:6], v[59:60], v[10:11]
	s_waitcnt vmcnt(3)
	v_fma_f64 v[36:37], v[5:6], v[63:64], v[12:13]
	;; [unrolled: 2-line block ×5, first 2 shown]
	v_fma_f64 v[13:14], v[7:8], v[65:66], v[36:37]
	v_fma_f64 v[15:16], v[7:8], v[69:70], v[38:39]
	;; [unrolled: 1-line block ×3, first 2 shown]
.LBB91_11:                              ;   in Loop: Header=BB91_9 Depth=1
	s_andn2_saveexec_b32 s55, s8
	s_cbranch_execz .LBB91_21
; %bb.12:                               ;   in Loop: Header=BB91_9 Depth=1
	v_mov_b32_e32 v16, v9
	v_mov_b32_e32 v10, v9
	;; [unrolled: 1-line block ×15, first 2 shown]
	s_and_saveexec_b32 s56, s3
	s_cbranch_execz .LBB91_20
; %bb.13:                               ;   in Loop: Header=BB91_9 Depth=1
	s_andn2_b32 vcc_lo, exec_lo, s50
	s_cbranch_vccnz .LBB91_16
; %bb.14:                               ;   in Loop: Header=BB91_9 Depth=1
	v_mov_b32_e32 v10, v32
	v_mov_b32_e32 v11, v33
	s_mov_b64 s[44:45], 0
	.p2align	6
.LBB91_15:                              ;   Parent Loop BB91_9 Depth=1
                                        ; =>  This Inner Loop Header: Depth=2
	global_load_dwordx2 v[12:13], v[10:11], off
	s_cmp_eq_u32 s44, 3
	v_add_co_u32 v10, vcc_lo, v10, s36
	v_add_co_ci_u32_e64 v11, null, s37, v11, vcc_lo
	s_cselect_b32 vcc_lo, -1, 0
	s_cmp_eq_u32 s44, 2
	s_cselect_b32 s8, -1, 0
	s_cmp_eq_u32 s44, 1
	s_cselect_b32 s9, -1, 0
	;; [unrolled: 2-line block ×3, first 2 shown]
	s_add_u32 s44, s44, 1
	s_addc_u32 s45, s45, 0
	s_cmp_eq_u32 s25, s44
	s_waitcnt vmcnt(0)
	v_cndmask_b32_e32 v8, v8, v13, vcc_lo
	v_cndmask_b32_e32 v7, v7, v12, vcc_lo
	v_cndmask_b32_e64 v6, v6, v13, s8
	v_cndmask_b32_e64 v5, v5, v12, s8
	;; [unrolled: 1-line block ×6, first 2 shown]
	s_cbranch_scc0 .LBB91_15
.LBB91_16:                              ;   in Loop: Header=BB91_9 Depth=1
	s_andn2_b32 vcc_lo, exec_lo, s50
	s_cbranch_vccnz .LBB91_19
; %bb.17:                               ;   in Loop: Header=BB91_9 Depth=1
	v_mov_b32_e32 v11, 0
	v_mov_b32_e32 v13, 0
	;; [unrolled: 1-line block ×10, first 2 shown]
	s_mov_b64 s[10:11], 0
.LBB91_18:                              ;   Parent Loop BB91_9 Depth=1
                                        ; =>  This Inner Loop Header: Depth=2
	v_add_co_u32 v38, vcc_lo, v36, s40
	v_add_co_ci_u32_e64 v39, null, s41, v37, vcc_lo
	v_add_co_u32 v55, vcc_lo, v36, s42
	v_add_co_ci_u32_e64 v56, null, s43, v37, vcc_lo
	;; [unrolled: 2-line block ×3, first 2 shown]
	s_clause 0x3
	global_load_dwordx2 v[59:60], v[36:37], off
	global_load_dwordx2 v[38:39], v[38:39], off
	;; [unrolled: 1-line block ×4, first 2 shown]
	s_cmp_eq_u32 s10, 1
	s_cselect_b32 vcc_lo, -1, 0
	s_cmp_eq_u32 s10, 2
	v_cndmask_b32_e32 v10, v2, v4, vcc_lo
	v_cndmask_b32_e32 v61, v1, v3, vcc_lo
	s_cselect_b32 vcc_lo, -1, 0
	s_cmp_eq_u32 s10, 3
	v_cndmask_b32_e32 v10, v10, v6, vcc_lo
	v_cndmask_b32_e32 v61, v61, v5, vcc_lo
	s_cselect_b32 s8, -1, 0
	v_add_co_u32 v36, vcc_lo, v36, 8
	v_cndmask_b32_e64 v62, v10, v8, s8
	v_cndmask_b32_e64 v61, v61, v7, s8
	v_add_co_ci_u32_e64 v37, null, 0, v37, vcc_lo
	s_add_u32 s10, s10, 1
	s_addc_u32 s11, s11, 0
	s_cmp_lg_u32 s25, s10
	s_waitcnt vmcnt(3)
	v_fma_f64 v[11:12], v[61:62], v[59:60], v[11:12]
	s_waitcnt vmcnt(2)
	v_fma_f64 v[13:14], v[61:62], v[38:39], v[13:14]
	;; [unrolled: 2-line block ×4, first 2 shown]
	s_cbranch_scc1 .LBB91_18
	s_branch .LBB91_20
.LBB91_19:                              ;   in Loop: Header=BB91_9 Depth=1
	v_mov_b32_e32 v16, v9
	v_mov_b32_e32 v10, v9
	;; [unrolled: 1-line block ×15, first 2 shown]
.LBB91_20:                              ;   in Loop: Header=BB91_9 Depth=1
	s_or_b32 exec_lo, exec_lo, s56
.LBB91_21:                              ;   in Loop: Header=BB91_9 Depth=1
	s_or_b32 exec_lo, exec_lo, s55
	s_mov_b64 s[8:9], 0
	s_branch .LBB91_23
.LBB91_22:                              ;   in Loop: Header=BB91_23 Depth=2
	s_or_b32 exec_lo, exec_lo, s10
	s_cmp_eq_u32 s8, 3
	s_cselect_b32 vcc_lo, -1, 0
	s_cmp_eq_u32 s8, 2
	s_waitcnt lgkmcnt(0)
	v_cndmask_b32_e32 v18, v18, v37, vcc_lo
	v_cndmask_b32_e32 v17, v17, v36, vcc_lo
	s_cselect_b32 vcc_lo, -1, 0
	s_cmp_eq_u32 s8, 1
	v_cndmask_b32_e32 v16, v16, v37, vcc_lo
	v_cndmask_b32_e32 v15, v15, v36, vcc_lo
	s_cselect_b32 vcc_lo, -1, 0
	s_cmp_eq_u32 s8, 0
	v_cndmask_b32_e32 v14, v14, v37, vcc_lo
	v_cndmask_b32_e32 v13, v13, v36, vcc_lo
	s_cselect_b32 vcc_lo, -1, 0
	s_add_u32 s8, s8, 1
	v_cndmask_b32_e32 v12, v12, v37, vcc_lo
	v_cndmask_b32_e32 v11, v11, v36, vcc_lo
	s_addc_u32 s9, s9, 0
	s_cmp_eq_u32 s8, 4
	s_cbranch_scc1 .LBB91_31
.LBB91_23:                              ;   Parent Loop BB91_9 Depth=1
                                        ; =>  This Inner Loop Header: Depth=2
	s_and_saveexec_b32 s10, s0
; %bb.24:                               ;   in Loop: Header=BB91_23 Depth=2
	v_mov_b32_e32 v10, v9
	ds_write_b64 v53, v[9:10]
; %bb.25:                               ;   in Loop: Header=BB91_23 Depth=2
	s_or_b32 exec_lo, exec_lo, s10
	s_cmp_eq_u32 s8, 1
	s_waitcnt lgkmcnt(0)
	s_waitcnt_vscnt null, 0x0
	s_cselect_b32 vcc_lo, -1, 0
	s_cmp_eq_u32 s8, 2
	v_cndmask_b32_e32 v10, v12, v14, vcc_lo
	v_cndmask_b32_e32 v36, v11, v13, vcc_lo
	s_cselect_b32 vcc_lo, -1, 0
	s_cmp_eq_u32 s8, 3
	s_barrier
	v_cndmask_b32_e32 v10, v10, v16, vcc_lo
	v_cndmask_b32_e32 v36, v36, v15, vcc_lo
	s_cselect_b32 vcc_lo, -1, 0
	buffer_gl0_inv
	v_cndmask_b32_e32 v37, v10, v18, vcc_lo
	v_cndmask_b32_e32 v36, v36, v17, vcc_lo
	ds_bpermute_b32 v39, v48, v37
	ds_bpermute_b32 v38, v48, v36
	s_waitcnt lgkmcnt(0)
	v_add_f64 v[36:37], v[36:37], v[38:39]
	ds_bpermute_b32 v38, v49, v36
	ds_bpermute_b32 v39, v49, v37
	s_waitcnt lgkmcnt(0)
	v_add_f64 v[36:37], v[36:37], v[38:39]
	;; [unrolled: 4-line block ×4, first 2 shown]
	ds_bpermute_b32 v38, v52, v36
	ds_bpermute_b32 v39, v52, v37
	s_and_saveexec_b32 s10, s4
	s_cbranch_execz .LBB91_27
; %bb.26:                               ;   in Loop: Header=BB91_23 Depth=2
	s_waitcnt lgkmcnt(0)
	v_add_f64 v[36:37], v[36:37], v[38:39]
	ds_write_b64 v54, v[36:37]
.LBB91_27:                              ;   in Loop: Header=BB91_23 Depth=2
	s_or_b32 exec_lo, exec_lo, s10
	v_mov_b32_e32 v36, 0
	v_mov_b32_e32 v37, 0
	s_waitcnt lgkmcnt(0)
	s_barrier
	buffer_gl0_inv
	s_and_saveexec_b32 s10, s1
; %bb.28:                               ;   in Loop: Header=BB91_23 Depth=2
	ds_read_b64 v[36:37], v53
; %bb.29:                               ;   in Loop: Header=BB91_23 Depth=2
	s_or_b32 exec_lo, exec_lo, s10
	s_and_saveexec_b32 s10, s0
	s_cbranch_execz .LBB91_22
; %bb.30:                               ;   in Loop: Header=BB91_23 Depth=2
	s_waitcnt lgkmcnt(0)
	ds_bpermute_b32 v38, v50, v36
	ds_bpermute_b32 v39, v50, v37
	s_waitcnt lgkmcnt(0)
	v_add_f64 v[36:37], v[36:37], v[38:39]
	ds_bpermute_b32 v38, v51, v36
	ds_bpermute_b32 v39, v51, v37
	s_waitcnt lgkmcnt(0)
	v_add_f64 v[36:37], v[36:37], v[38:39]
	;; [unrolled: 4-line block ×3, first 2 shown]
	s_branch .LBB91_22
.LBB91_31:                              ;   in Loop: Header=BB91_9 Depth=1
	s_and_saveexec_b32 s8, s5
	s_cbranch_execz .LBB91_8
; %bb.32:                               ;   in Loop: Header=BB91_9 Depth=1
	s_mul_hi_u32 s11, s7, s24
	s_mul_i32 s10, s7, s24
	v_mul_f64 v[10:11], s[20:21], v[11:12]
	s_lshl_b64 s[10:11], s[10:11], 3
	v_mul_f64 v[12:13], s[20:21], v[13:14]
	s_add_u32 s10, s51, s10
	s_addc_u32 s11, s52, s11
	s_or_b32 s9, s7, 1
	v_mul_f64 v[14:15], s[20:21], v[15:16]
	v_mul_f64 v[16:17], s[20:21], v[17:18]
	s_mul_hi_u32 s45, s9, s24
	s_mul_i32 s44, s9, s24
	s_lshl_b64 s[44:45], s[44:45], 3
	s_add_u32 s44, s51, s44
	s_addc_u32 s45, s52, s45
	s_or_b32 s9, s7, 2
	s_mul_hi_u32 s57, s9, s24
	s_mul_i32 s56, s9, s24
	s_lshl_b64 s[56:57], s[56:57], 3
	s_add_u32 s56, s51, s56
	s_addc_u32 s57, s52, s57
	s_or_b32 s9, s7, 3
	global_store_dwordx2 v9, v[10:11], s[10:11]
	s_mul_hi_u32 s59, s9, s24
	s_mul_i32 s58, s9, s24
	global_store_dwordx2 v9, v[12:13], s[44:45]
	s_lshl_b64 s[10:11], s[58:59], 3
	s_add_u32 s10, s51, s10
	s_addc_u32 s11, s52, s11
	global_store_dwordx2 v9, v[14:15], s[56:57]
	global_store_dwordx2 v9, v[16:17], s[10:11]
	s_branch .LBB91_8
.LBB91_33:
	v_mov_b32_e32 v1, 0
	s_mov_b32 s7, 0
	v_mov_b32_e32 v2, v1
	v_mov_b32_e32 v3, v1
	;; [unrolled: 1-line block ×7, first 2 shown]
.LBB91_34:
	s_cmp_ge_i32 s7, s23
	s_cbranch_scc1 .LBB91_58
; %bb.35:
	v_cmp_gt_u32_e32 vcc_lo, 24, v43
	v_mad_i64_i32 v[13:14], null, s28, v42, 0
	v_mad_i64_i32 v[15:16], null, s28, v41, 0
	v_cndmask_b32_e64 v9, 0, 8, vcc_lo
	v_cmp_gt_u32_e32 vcc_lo, 28, v43
	s_cmp_gt_i32 s25, 0
	s_mov_b32 s11, 0
	s_mov_b32 s10, s6
	v_add_lshl_u32 v31, v9, v43, 2
	v_cndmask_b32_e64 v10, 0, 4, vcc_lo
	v_cmp_gt_u32_e32 vcc_lo, 30, v43
	v_lshlrev_b64 v[13:14], 3, v[13:14]
	v_cmp_ge_i32_e64 s0, s22, v46
	v_cmp_ge_i32_e64 s1, s22, v47
	v_add_lshl_u32 v32, v10, v43, 2
	v_cndmask_b32_e64 v11, 0, 2, vcc_lo
	v_cmp_ne_u32_e32 vcc_lo, 31, v43
	v_mad_i64_i32 v[9:10], null, s28, v23, 0
	s_cselect_b32 s22, -1, 0
	v_add_lshl_u32 v33, v11, v43, 2
	v_add_co_ci_u32_e64 v12, null, 0, v43, vcc_lo
	s_lshl_b64 s[8:9], s[10:11], 3
	v_lshlrev_b64 v[15:16], 3, v[15:16]
	v_lshlrev_b64 v[17:18], 3, v[9:10]
	v_lshlrev_b32_e32 v34, 2, v12
	v_mad_i64_i32 v[11:12], null, s28, v44, 0
	s_add_u32 s10, s33, s8
	s_addc_u32 s33, s46, s9
	v_add_co_u32 v9, vcc_lo, s47, v17
	v_add_co_ci_u32_e64 v10, null, s48, v18, vcc_lo
	v_lshlrev_b64 v[11:12], 3, v[11:12]
	s_add_u32 s6, s18, s34
	s_addc_u32 s8, s19, s35
	s_mul_i32 s9, s27, s7
	s_mul_hi_u32 s18, s26, s7
	s_add_u32 s6, s6, s30
	v_add_co_u32 v11, vcc_lo, s47, v11
	v_add_co_ci_u32_e64 v12, null, s48, v12, vcc_lo
	v_add_co_u32 v13, vcc_lo, s47, v13
	v_add_co_ci_u32_e64 v14, null, s48, v14, vcc_lo
	v_add_co_u32 v15, vcc_lo, s47, v15
	s_addc_u32 s19, s8, s31
	s_add_i32 s9, s18, s9
	s_mul_i32 s8, s26, s7
	v_add_co_ci_u32_e64 v16, null, s48, v16, vcc_lo
	v_add_co_u32 v17, vcc_lo, s6, v17
	s_lshl_b64 s[8:9], s[8:9], 3
	v_add_co_ci_u32_e64 v18, null, s19, v18, vcc_lo
	s_lshl_b64 s[18:19], s[28:29], 3
	s_add_u32 s6, s16, s8
	s_addc_u32 s8, s17, s9
	s_add_u32 s6, s6, s14
	s_addc_u32 s8, s8, s15
	;; [unrolled: 2-line block ×3, first 2 shown]
	v_add_co_u32 v21, vcc_lo, s6, v21
	v_cmp_gt_u32_e64 s2, 32, v0
	v_lshlrev_b32_e32 v29, 3, v40
	v_lshl_or_b32 v30, v43, 2, 64
	v_cmp_eq_u32_e64 s3, 0, v40
	v_and_b32_e32 v35, 56, v45
	v_cmp_gt_u32_e64 s4, 8, v0
	v_cmp_eq_u32_e64 s5, 0, v0
	v_add_co_ci_u32_e64 v22, null, s8, v22, vcc_lo
	v_mov_b32_e32 v23, 0
	s_lshl_b64 s[12:13], s[26:27], 3
	s_branch .LBB91_37
.LBB91_36:                              ;   in Loop: Header=BB91_37 Depth=1
	s_or_b32 exec_lo, exec_lo, s6
	v_add_co_u32 v21, vcc_lo, v21, s12
	v_add_co_ci_u32_e64 v22, null, s13, v22, vcc_lo
	s_add_i32 s7, s7, 1
	s_cmp_ge_i32 s7, s23
	s_cbranch_scc1 .LBB91_58
.LBB91_37:                              ; =>This Loop Header: Depth=1
                                        ;     Child Loop BB91_50 Depth 2
                                        ;     Child Loop BB91_53 Depth 2
	s_waitcnt lgkmcnt(0)
	v_mov_b32_e32 v25, s11
	v_mov_b32_e32 v26, s11
	s_and_saveexec_b32 s6, s0
	s_xor_b32 s6, exec_lo, s6
	s_cbranch_execnz .LBB91_46
; %bb.38:                               ;   in Loop: Header=BB91_37 Depth=1
	s_andn2_saveexec_b32 s16, s6
	s_cbranch_execnz .LBB91_47
.LBB91_39:                              ;   in Loop: Header=BB91_37 Depth=1
	s_or_b32 exec_lo, exec_lo, s16
	s_and_saveexec_b32 s6, s2
.LBB91_40:                              ;   in Loop: Header=BB91_37 Depth=1
	v_mov_b32_e32 v24, v23
	ds_write_b64 v29, v[23:24]
.LBB91_41:                              ;   in Loop: Header=BB91_37 Depth=1
	s_or_b32 exec_lo, exec_lo, s6
	ds_bpermute_b32 v27, v30, v25
	ds_bpermute_b32 v28, v30, v26
	s_waitcnt lgkmcnt(0)
	s_waitcnt_vscnt null, 0x0
	s_barrier
	buffer_gl0_inv
	v_add_f64 v[24:25], v[25:26], v[27:28]
	ds_bpermute_b32 v26, v31, v24
	ds_bpermute_b32 v27, v31, v25
	s_waitcnt lgkmcnt(0)
	v_add_f64 v[24:25], v[24:25], v[26:27]
	ds_bpermute_b32 v26, v32, v24
	ds_bpermute_b32 v27, v32, v25
	s_waitcnt lgkmcnt(0)
	;; [unrolled: 4-line block ×3, first 2 shown]
	v_add_f64 v[24:25], v[24:25], v[26:27]
	ds_bpermute_b32 v26, v34, v24
	ds_bpermute_b32 v27, v34, v25
	s_and_saveexec_b32 s6, s3
	s_cbranch_execz .LBB91_43
; %bb.42:                               ;   in Loop: Header=BB91_37 Depth=1
	s_waitcnt lgkmcnt(0)
	v_add_f64 v[24:25], v[24:25], v[26:27]
	ds_write_b64 v35, v[24:25]
.LBB91_43:                              ;   in Loop: Header=BB91_37 Depth=1
	s_or_b32 exec_lo, exec_lo, s6
	v_mov_b32_e32 v24, 0
	v_mov_b32_e32 v25, 0
	s_waitcnt lgkmcnt(0)
	s_barrier
	buffer_gl0_inv
	s_and_saveexec_b32 s6, s4
	s_cbranch_execnz .LBB91_55
; %bb.44:                               ;   in Loop: Header=BB91_37 Depth=1
	s_or_b32 exec_lo, exec_lo, s6
	s_and_saveexec_b32 s6, s2
	s_cbranch_execnz .LBB91_56
.LBB91_45:                              ;   in Loop: Header=BB91_37 Depth=1
	s_or_b32 exec_lo, exec_lo, s6
	s_and_saveexec_b32 s6, s5
	s_cbranch_execz .LBB91_36
	s_branch .LBB91_57
.LBB91_46:                              ;   in Loop: Header=BB91_37 Depth=1
	s_mul_i32 s9, s7, s27
	s_mul_hi_u32 s14, s7, s26
	s_mul_i32 s8, s7, s26
	s_add_i32 s9, s14, s9
	s_lshl_b64 s[8:9], s[8:9], 3
	v_add_co_u32 v5, vcc_lo, v19, s8
	v_add_co_ci_u32_e64 v6, null, s9, v20, vcc_lo
	global_load_dwordx4 v[24:27], v[5:6], off
	s_clause 0x1
	global_load_dwordx2 v[1:2], v[9:10], off
	global_load_dwordx2 v[3:4], v[11:12], off
	global_load_dwordx4 v[36:39], v[5:6], off offset:16
	s_clause 0x1
	global_load_dwordx2 v[5:6], v[13:14], off
	global_load_dwordx2 v[7:8], v[15:16], off
	s_waitcnt vmcnt(4)
	v_fma_f64 v[24:25], v[1:2], v[24:25], 0
	s_waitcnt vmcnt(3)
	v_fma_f64 v[24:25], v[3:4], v[26:27], v[24:25]
	s_waitcnt vmcnt(1)
	v_fma_f64 v[24:25], v[5:6], v[36:37], v[24:25]
	s_waitcnt vmcnt(0)
	v_fma_f64 v[25:26], v[7:8], v[38:39], v[24:25]
	s_andn2_saveexec_b32 s16, s6
	s_cbranch_execz .LBB91_39
.LBB91_47:                              ;   in Loop: Header=BB91_37 Depth=1
	s_and_saveexec_b32 s17, s1
	s_cbranch_execz .LBB91_54
; %bb.48:                               ;   in Loop: Header=BB91_37 Depth=1
	s_andn2_b32 vcc_lo, exec_lo, s22
	s_cbranch_vccnz .LBB91_51
; %bb.49:                               ;   in Loop: Header=BB91_37 Depth=1
	v_mov_b32_e32 v28, v18
	v_mov_b32_e32 v27, v17
	s_mov_b64 s[14:15], 0
	.p2align	6
.LBB91_50:                              ;   Parent Loop BB91_37 Depth=1
                                        ; =>  This Inner Loop Header: Depth=2
	global_load_dwordx2 v[36:37], v[27:28], off
	s_cmp_eq_u32 s14, 3
	v_add_co_u32 v27, vcc_lo, v27, s18
	v_add_co_ci_u32_e64 v28, null, s19, v28, vcc_lo
	s_cselect_b32 vcc_lo, -1, 0
	s_cmp_eq_u32 s14, 2
	s_cselect_b32 s6, -1, 0
	s_cmp_eq_u32 s14, 1
	s_cselect_b32 s8, -1, 0
	;; [unrolled: 2-line block ×3, first 2 shown]
	s_add_u32 s14, s14, 1
	s_addc_u32 s15, s15, 0
	s_cmp_eq_u32 s25, s14
	s_waitcnt vmcnt(0)
	v_cndmask_b32_e32 v8, v8, v37, vcc_lo
	v_cndmask_b32_e32 v7, v7, v36, vcc_lo
	v_cndmask_b32_e64 v6, v6, v37, s6
	v_cndmask_b32_e64 v5, v5, v36, s6
	;; [unrolled: 1-line block ×6, first 2 shown]
	s_cbranch_scc0 .LBB91_50
.LBB91_51:                              ;   in Loop: Header=BB91_37 Depth=1
	s_andn2_b32 vcc_lo, exec_lo, s22
	s_cbranch_vccnz .LBB91_54
; %bb.52:                               ;   in Loop: Header=BB91_37 Depth=1
	v_mov_b32_e32 v28, v22
	v_mov_b32_e32 v27, v21
	s_mov_b64 s[8:9], 0
	.p2align	6
.LBB91_53:                              ;   Parent Loop BB91_37 Depth=1
                                        ; =>  This Inner Loop Header: Depth=2
	global_load_dwordx2 v[36:37], v[27:28], off
	s_cmp_eq_u32 s8, 1
	s_cselect_b32 vcc_lo, -1, 0
	s_cmp_eq_u32 s8, 2
	v_cndmask_b32_e32 v0, v2, v4, vcc_lo
	v_cndmask_b32_e32 v24, v1, v3, vcc_lo
	s_cselect_b32 vcc_lo, -1, 0
	s_cmp_eq_u32 s8, 3
	v_cndmask_b32_e32 v0, v0, v6, vcc_lo
	v_cndmask_b32_e32 v24, v24, v5, vcc_lo
	s_cselect_b32 vcc_lo, -1, 0
	s_add_u32 s8, s8, 1
	s_addc_u32 s9, s9, 0
	v_cndmask_b32_e32 v39, v0, v8, vcc_lo
	v_cndmask_b32_e32 v38, v24, v7, vcc_lo
	v_add_co_u32 v27, vcc_lo, v27, 8
	v_add_co_ci_u32_e64 v28, null, 0, v28, vcc_lo
	s_cmp_lg_u32 s25, s8
	s_waitcnt vmcnt(0)
	v_fma_f64 v[25:26], v[38:39], v[36:37], v[25:26]
	s_cbranch_scc1 .LBB91_53
.LBB91_54:                              ;   in Loop: Header=BB91_37 Depth=1
	s_or_b32 exec_lo, exec_lo, s17
	s_or_b32 exec_lo, exec_lo, s16
	s_and_saveexec_b32 s6, s2
	s_cbranch_execnz .LBB91_40
	s_branch .LBB91_41
.LBB91_55:                              ;   in Loop: Header=BB91_37 Depth=1
	ds_read_b64 v[24:25], v29
	s_or_b32 exec_lo, exec_lo, s6
	s_and_saveexec_b32 s6, s2
	s_cbranch_execz .LBB91_45
.LBB91_56:                              ;   in Loop: Header=BB91_37 Depth=1
	s_waitcnt lgkmcnt(0)
	ds_bpermute_b32 v26, v32, v24
	ds_bpermute_b32 v27, v32, v25
	s_waitcnt lgkmcnt(0)
	v_add_f64 v[24:25], v[24:25], v[26:27]
	ds_bpermute_b32 v26, v33, v24
	ds_bpermute_b32 v27, v33, v25
	s_waitcnt lgkmcnt(0)
	v_add_f64 v[24:25], v[24:25], v[26:27]
	;; [unrolled: 4-line block ×3, first 2 shown]
	s_or_b32 exec_lo, exec_lo, s6
	s_and_saveexec_b32 s6, s5
	s_cbranch_execz .LBB91_36
.LBB91_57:                              ;   in Loop: Header=BB91_37 Depth=1
	s_waitcnt lgkmcnt(0)
	v_mul_f64 v[24:25], s[20:21], v[24:25]
	s_mul_hi_u32 s9, s7, s24
	s_mul_i32 s8, s7, s24
	s_lshl_b64 s[8:9], s[8:9], 3
	s_add_u32 s8, s10, s8
	s_addc_u32 s9, s33, s9
	global_store_dwordx2 v23, v[24:25], s[8:9]
	s_branch .LBB91_36
.LBB91_58:
	s_endpgm
	.section	.rodata,"a",@progbits
	.p2align	6, 0x0
	.amdhsa_kernel _ZL23rocblas_gemvt_sn_kernelILb1ELi256ELi4EldPKddEviiT4_lPKT3_lilS5_lilPT5_i
		.amdhsa_group_segment_fixed_size 256
		.amdhsa_private_segment_fixed_size 0
		.amdhsa_kernarg_size 360
		.amdhsa_user_sgpr_count 6
		.amdhsa_user_sgpr_private_segment_buffer 1
		.amdhsa_user_sgpr_dispatch_ptr 0
		.amdhsa_user_sgpr_queue_ptr 0
		.amdhsa_user_sgpr_kernarg_segment_ptr 1
		.amdhsa_user_sgpr_dispatch_id 0
		.amdhsa_user_sgpr_flat_scratch_init 0
		.amdhsa_user_sgpr_private_segment_size 0
		.amdhsa_wavefront_size32 1
		.amdhsa_uses_dynamic_stack 0
		.amdhsa_system_sgpr_private_segment_wavefront_offset 0
		.amdhsa_system_sgpr_workgroup_id_x 1
		.amdhsa_system_sgpr_workgroup_id_y 0
		.amdhsa_system_sgpr_workgroup_id_z 1
		.amdhsa_system_sgpr_workgroup_info 0
		.amdhsa_system_vgpr_workitem_id 0
		.amdhsa_next_free_vgpr 75
		.amdhsa_next_free_sgpr 60
		.amdhsa_reserve_vcc 1
		.amdhsa_reserve_flat_scratch 0
		.amdhsa_float_round_mode_32 0
		.amdhsa_float_round_mode_16_64 0
		.amdhsa_float_denorm_mode_32 3
		.amdhsa_float_denorm_mode_16_64 3
		.amdhsa_dx10_clamp 1
		.amdhsa_ieee_mode 1
		.amdhsa_fp16_overflow 0
		.amdhsa_workgroup_processor_mode 1
		.amdhsa_memory_ordered 1
		.amdhsa_forward_progress 1
		.amdhsa_shared_vgpr_count 0
		.amdhsa_exception_fp_ieee_invalid_op 0
		.amdhsa_exception_fp_denorm_src 0
		.amdhsa_exception_fp_ieee_div_zero 0
		.amdhsa_exception_fp_ieee_overflow 0
		.amdhsa_exception_fp_ieee_underflow 0
		.amdhsa_exception_fp_ieee_inexact 0
		.amdhsa_exception_int_div_zero 0
	.end_amdhsa_kernel
	.section	.text._ZL23rocblas_gemvt_sn_kernelILb1ELi256ELi4EldPKddEviiT4_lPKT3_lilS5_lilPT5_i,"axG",@progbits,_ZL23rocblas_gemvt_sn_kernelILb1ELi256ELi4EldPKddEviiT4_lPKT3_lilS5_lilPT5_i,comdat
.Lfunc_end91:
	.size	_ZL23rocblas_gemvt_sn_kernelILb1ELi256ELi4EldPKddEviiT4_lPKT3_lilS5_lilPT5_i, .Lfunc_end91-_ZL23rocblas_gemvt_sn_kernelILb1ELi256ELi4EldPKddEviiT4_lPKT3_lilS5_lilPT5_i
                                        ; -- End function
	.set _ZL23rocblas_gemvt_sn_kernelILb1ELi256ELi4EldPKddEviiT4_lPKT3_lilS5_lilPT5_i.num_vgpr, 75
	.set _ZL23rocblas_gemvt_sn_kernelILb1ELi256ELi4EldPKddEviiT4_lPKT3_lilS5_lilPT5_i.num_agpr, 0
	.set _ZL23rocblas_gemvt_sn_kernelILb1ELi256ELi4EldPKddEviiT4_lPKT3_lilS5_lilPT5_i.numbered_sgpr, 60
	.set _ZL23rocblas_gemvt_sn_kernelILb1ELi256ELi4EldPKddEviiT4_lPKT3_lilS5_lilPT5_i.num_named_barrier, 0
	.set _ZL23rocblas_gemvt_sn_kernelILb1ELi256ELi4EldPKddEviiT4_lPKT3_lilS5_lilPT5_i.private_seg_size, 0
	.set _ZL23rocblas_gemvt_sn_kernelILb1ELi256ELi4EldPKddEviiT4_lPKT3_lilS5_lilPT5_i.uses_vcc, 1
	.set _ZL23rocblas_gemvt_sn_kernelILb1ELi256ELi4EldPKddEviiT4_lPKT3_lilS5_lilPT5_i.uses_flat_scratch, 0
	.set _ZL23rocblas_gemvt_sn_kernelILb1ELi256ELi4EldPKddEviiT4_lPKT3_lilS5_lilPT5_i.has_dyn_sized_stack, 0
	.set _ZL23rocblas_gemvt_sn_kernelILb1ELi256ELi4EldPKddEviiT4_lPKT3_lilS5_lilPT5_i.has_recursion, 0
	.set _ZL23rocblas_gemvt_sn_kernelILb1ELi256ELi4EldPKddEviiT4_lPKT3_lilS5_lilPT5_i.has_indirect_call, 0
	.section	.AMDGPU.csdata,"",@progbits
; Kernel info:
; codeLenInByte = 4128
; TotalNumSgprs: 62
; NumVgprs: 75
; ScratchSize: 0
; MemoryBound: 1
; FloatMode: 240
; IeeeMode: 1
; LDSByteSize: 256 bytes/workgroup (compile time only)
; SGPRBlocks: 0
; VGPRBlocks: 9
; NumSGPRsForWavesPerEU: 62
; NumVGPRsForWavesPerEU: 75
; Occupancy: 12
; WaveLimiterHint : 1
; COMPUTE_PGM_RSRC2:SCRATCH_EN: 0
; COMPUTE_PGM_RSRC2:USER_SGPR: 6
; COMPUTE_PGM_RSRC2:TRAP_HANDLER: 0
; COMPUTE_PGM_RSRC2:TGID_X_EN: 1
; COMPUTE_PGM_RSRC2:TGID_Y_EN: 0
; COMPUTE_PGM_RSRC2:TGID_Z_EN: 1
; COMPUTE_PGM_RSRC2:TIDIG_COMP_CNT: 0
	.section	.text._ZL23rocblas_gemvt_sn_kernelILb1ELi256ELi4EidddEviiT4_lPKT3_lilS3_lilPT5_i,"axG",@progbits,_ZL23rocblas_gemvt_sn_kernelILb1ELi256ELi4EidddEviiT4_lPKT3_lilS3_lilPT5_i,comdat
	.globl	_ZL23rocblas_gemvt_sn_kernelILb1ELi256ELi4EidddEviiT4_lPKT3_lilS3_lilPT5_i ; -- Begin function _ZL23rocblas_gemvt_sn_kernelILb1ELi256ELi4EidddEviiT4_lPKT3_lilS3_lilPT5_i
	.p2align	8
	.type	_ZL23rocblas_gemvt_sn_kernelILb1ELi256ELi4EidddEviiT4_lPKT3_lilS3_lilPT5_i,@function
_ZL23rocblas_gemvt_sn_kernelILb1ELi256ELi4EidddEviiT4_lPKT3_lilS3_lilPT5_i: ; @_ZL23rocblas_gemvt_sn_kernelILb1ELi256ELi4EidddEviiT4_lPKT3_lilS3_lilPT5_i
; %bb.0:
	s_clause 0x2
	s_load_dwordx4 s[12:15], s[4:5], 0x0
	s_load_dword s20, s[4:5], 0x68
	s_load_dwordx4 s[8:11], s[4:5], 0x50
	s_mov_b32 s21, 0
	s_waitcnt lgkmcnt(0)
	v_cmp_neq_f64_e64 s2, s[14:15], 0
	s_ashr_i32 s24, s13, 31
	s_mul_hi_u32 s0, s13, s7
	s_mul_i32 s1, s24, s7
	s_mul_i32 s3, s13, s7
	s_add_i32 s0, s0, s1
	s_mul_hi_u32 s1, s3, s20
	s_mul_i32 s16, s0, s20
	s_mul_i32 s0, s3, s20
	s_add_i32 s1, s1, s16
	s_lshl_b64 s[0:1], s[0:1], 3
	s_add_u32 s39, s10, s0
	v_cmp_eq_u32_e64 s0, 0, v0
	s_addc_u32 s38, s11, s1
	s_and_b32 vcc_lo, exec_lo, s2
	s_cbranch_vccnz .LBB92_5
; %bb.1:
	s_cmp_gt_i32 s13, 0
	s_cselect_b32 s1, -1, 0
	s_and_b32 s0, s0, s1
	s_and_saveexec_b32 s10, s0
	s_cbranch_execz .LBB92_4
; %bb.2:
	v_mov_b32_e32 v1, 0
	s_mov_b32 s0, s7
	s_mov_b32 s7, 0
	;; [unrolled: 1-line block ×3, first 2 shown]
	s_lshl_b64 s[2:3], s[6:7], 3
	v_mov_b32_e32 v2, v1
	s_mov_b32 s7, s0
	s_add_u32 s0, s39, s2
	s_addc_u32 s1, s38, s3
	s_lshl_b64 s[2:3], s[20:21], 3
.LBB92_3:                               ; =>This Inner Loop Header: Depth=1
	s_add_i32 s11, s11, -1
	global_store_dwordx2 v1, v[1:2], s[0:1]
	s_add_u32 s0, s0, s2
	s_addc_u32 s1, s1, s3
	s_cmp_eq_u32 s11, 0
	s_cbranch_scc0 .LBB92_3
.LBB92_4:
	s_or_b32 exec_lo, exec_lo, s10
	s_cbranch_execz .LBB92_6
	s_branch .LBB92_58
.LBB92_5:
.LBB92_6:
	s_clause 0x2
	s_load_dwordx4 s[0:3], s[4:5], 0x30
	s_load_dwordx2 s[22:23], s[4:5], 0x40
	s_load_dwordx4 s[16:19], s[4:5], 0x18
	s_mul_i32 s9, s9, s7
	s_mul_hi_u32 s10, s8, s7
	s_mul_i32 s8, s8, s7
	s_add_i32 s9, s10, s9
	s_clause 0x1
	s_load_dword s10, s[4:5], 0x28
	s_load_dword s36, s[4:5], 0x48
	s_lshl_b64 s[8:9], s[8:9], 3
	v_and_b32_e32 v20, 31, v0
	v_mbcnt_lo_u32_b32 v38, -1, 0
	v_lshrrev_b32_e32 v39, 2, v0
	s_waitcnt lgkmcnt(0)
	s_add_u32 s8, s2, s8
	s_addc_u32 s9, s3, s9
	s_lshl_b64 s[2:3], s[22:23], 3
	s_mul_i32 s1, s1, s7
	s_mul_hi_u32 s11, s0, s7
	s_add_u32 s21, s8, s2
	s_mul_i32 s0, s0, s7
	s_addc_u32 s33, s9, s3
	s_add_i32 s1, s11, s1
	s_lshl_b64 s[22:23], s[0:1], 3
	v_cmp_gt_u32_e64 s0, 32, v0
	s_add_u32 s1, s16, s22
	s_addc_u32 s2, s17, s23
	s_lshl_b64 s[18:19], s[18:19], 3
	s_add_u32 s3, s1, s18
	s_addc_u32 s2, s2, s19
	s_lshl_b32 s1, s6, 10
	s_ashr_i32 s4, s12, 31
	v_lshl_or_b32 v1, v0, 2, s1
	s_lshr_b32 s4, s4, 30
	s_lshr_b32 s5, s24, 30
	s_add_i32 s4, s12, s4
	s_add_i32 s5, s13, s5
	v_ashrrev_i32_e32 v2, 31, v1
	s_and_b32 s4, s4, -4
	v_mul_lo_u32 v19, s36, v1
	s_sub_i32 s37, s12, s4
	v_cmp_gt_u32_e64 s1, 8, v0
	v_lshlrev_b64 v[21:22], 3, v[1:2]
	v_add_nc_u32_e32 v40, 4, v1
	v_add_nc_u32_e32 v41, s37, v1
	s_and_b32 s40, s5, -4
	s_cmp_lt_i32 s40, 1
	v_add_co_u32 v36, vcc_lo, s3, v21
	v_add_co_ci_u32_e64 v37, null, s2, v22, vcc_lo
	s_cbranch_scc1 .LBB92_33
; %bb.7:
	v_cmp_gt_u32_e32 vcc_lo, 24, v38
	v_mul_lo_u32 v23, s36, v1
	v_mov_b32_e32 v9, 0
	s_cmp_gt_i32 s37, 0
	s_mov_b32 s25, 0
	v_cndmask_b32_e64 v2, 0, 8, vcc_lo
	v_cmp_gt_u32_e32 vcc_lo, 28, v38
	s_cselect_b32 s41, -1, 0
	s_lshl_b32 s42, s10, 2
	v_ashrrev_i32_e32 v24, 31, v23
	v_add_lshl_u32 v43, v2, v38, 2
	v_cndmask_b32_e64 v3, 0, 4, vcc_lo
	v_cmp_gt_u32_e32 vcc_lo, 30, v38
	s_lshl_b32 s24, s10, 1
	v_lshlrev_b64 v[5:6], 3, v[23:24]
	s_add_u32 s7, s22, s18
	v_add_lshl_u32 v44, v3, v38, 2
	v_cndmask_b32_e64 v1, 0, 2, vcc_lo
	v_cmp_ne_u32_e32 vcc_lo, 31, v38
	s_addc_u32 s8, s23, s19
	v_mov_b32_e32 v10, v9
	v_mov_b32_e32 v11, v9
	v_add_lshl_u32 v45, v1, v38, 2
	v_add_nc_u32_e32 v1, s36, v23
	v_add_co_ci_u32_e64 v4, null, 0, v38, vcc_lo
	v_add_co_u32 v24, vcc_lo, s21, v5
	v_add_nc_u32_e32 v3, s36, v1
	v_ashrrev_i32_e32 v2, 31, v1
	v_lshlrev_b32_e32 v46, 2, v4
	v_add_co_ci_u32_e64 v25, null, s33, v6, vcc_lo
	v_add_nc_u32_e32 v7, s36, v3
	v_lshlrev_b64 v[1:2], 3, v[1:2]
	v_ashrrev_i32_e32 v4, 31, v3
	v_mov_b32_e32 v12, v9
	v_mov_b32_e32 v13, v9
	v_ashrrev_i32_e32 v8, 31, v7
	v_mov_b32_e32 v14, v9
	v_lshlrev_b64 v[3:4], 3, v[3:4]
	v_add_co_u32 v26, vcc_lo, s21, v1
	v_add_co_ci_u32_e64 v27, null, s33, v2, vcc_lo
	v_lshlrev_b64 v[1:2], 3, v[7:8]
	v_add_co_u32 v28, vcc_lo, s21, v3
	v_mov_b32_e32 v15, v9
	v_mov_b32_e32 v16, v9
	v_add_co_ci_u32_e64 v29, null, s33, v4, vcc_lo
	v_add_co_u32 v30, vcc_lo, s21, v1
	s_add_u32 s7, s16, s7
	v_add_co_ci_u32_e64 v31, null, s33, v2, vcc_lo
	s_addc_u32 s8, s17, s8
	v_add_co_u32 v49, vcc_lo, s7, v21
	v_mov_b32_e32 v1, v9
	v_cmp_ge_i32_e64 s2, s12, v40
	v_cmp_ge_i32_e64 s3, s12, v41
	v_lshl_or_b32 v42, v38, 2, 64
	v_cmp_eq_u32_e64 s4, 0, v20
	v_lshlrev_b32_e32 v47, 3, v20
	v_and_b32_e32 v48, 56, v39
	v_cmp_eq_u32_e64 s5, 0, v0
	v_add_co_ci_u32_e64 v50, null, s8, v22, vcc_lo
	v_mov_b32_e32 v2, v10
	v_mov_b32_e32 v3, v11
	;; [unrolled: 1-line block ×7, first 2 shown]
	s_mov_b32 s11, s25
	s_mul_i32 s43, s10, 3
	s_mov_b32 s44, s25
	s_mov_b32 s26, s25
	s_mov_b64 s[28:29], s[24:25]
	s_mov_b64 s[30:31], s[10:11]
	s_mov_b32 s11, 0
	s_branch .LBB92_9
.LBB92_8:                               ;   in Loop: Header=BB92_9 Depth=1
	s_or_b32 exec_lo, exec_lo, s7
	s_add_i32 s11, s11, 4
	s_add_u32 s30, s30, s42
	s_addc_u32 s31, s31, 0
	s_add_u32 s28, s28, s42
	s_addc_u32 s29, s29, 0
	;; [unrolled: 2-line block ×3, first 2 shown]
	s_add_i32 s26, s26, s42
	s_cmp_ge_i32 s11, s40
	s_cbranch_scc1 .LBB92_34
.LBB92_9:                               ; =>This Loop Header: Depth=1
                                        ;     Child Loop BB92_15 Depth 2
                                        ;     Child Loop BB92_18 Depth 2
	;; [unrolled: 1-line block ×3, first 2 shown]
                                        ; implicit-def: $vgpr11_vgpr12_vgpr13_vgpr14_vgpr15_vgpr16_vgpr17_vgpr18
	s_and_saveexec_b32 s7, s2
	s_xor_b32 s7, exec_lo, s7
	s_cbranch_execz .LBB92_11
; %bb.10:                               ;   in Loop: Header=BB92_9 Depth=1
	s_mul_i32 s8, s11, s10
	s_ashr_i32 s9, s8, 31
	s_add_i32 s34, s8, s10
	s_lshl_b64 s[8:9], s[8:9], 3
	s_ashr_i32 s35, s34, 31
	v_add_co_u32 v5, vcc_lo, v36, s8
	v_add_co_ci_u32_e64 v6, null, s9, v37, vcc_lo
	s_lshl_b64 s[8:9], s[34:35], 3
	s_add_i32 s34, s34, s10
	v_add_co_u32 v7, vcc_lo, v36, s8
	s_ashr_i32 s35, s34, 31
	s_add_i32 s8, s34, s10
	v_add_co_ci_u32_e64 v8, null, s9, v37, vcc_lo
	s_lshl_b64 s[34:35], s[34:35], 3
	s_ashr_i32 s9, s8, 31
	v_add_co_u32 v63, vcc_lo, v36, s34
	s_lshl_b64 s[8:9], s[8:9], 3
	v_add_co_ci_u32_e64 v64, null, s35, v37, vcc_lo
	v_add_co_u32 v67, vcc_lo, v36, s8
	v_add_co_ci_u32_e64 v68, null, s9, v37, vcc_lo
	global_load_dwordx2 v[1:2], v[24:25], off
	s_clause 0x3
	global_load_dwordx4 v[10:13], v[5:6], off
	global_load_dwordx4 v[14:17], v[7:8], off
	;; [unrolled: 1-line block ×4, first 2 shown]
	global_load_dwordx2 v[3:4], v[26:27], off
	global_load_dwordx4 v[55:58], v[5:6], off offset:16
	global_load_dwordx2 v[5:6], v[28:29], off
	s_clause 0x2
	global_load_dwordx4 v[59:62], v[7:8], off offset:16
	global_load_dwordx4 v[63:66], v[63:64], off offset:16
	;; [unrolled: 1-line block ×3, first 2 shown]
	global_load_dwordx2 v[7:8], v[30:31], off
	s_waitcnt vmcnt(10)
	v_fma_f64 v[10:11], v[1:2], v[10:11], 0
	s_waitcnt vmcnt(9)
	v_fma_f64 v[14:15], v[1:2], v[14:15], 0
	;; [unrolled: 2-line block ×5, first 2 shown]
	v_fma_f64 v[12:13], v[3:4], v[16:17], v[14:15]
	v_fma_f64 v[14:15], v[3:4], v[34:35], v[32:33]
	;; [unrolled: 1-line block ×3, first 2 shown]
	s_waitcnt vmcnt(4)
	v_fma_f64 v[10:11], v[5:6], v[55:56], v[10:11]
	s_waitcnt vmcnt(3)
	v_fma_f64 v[32:33], v[5:6], v[59:60], v[12:13]
	;; [unrolled: 2-line block ×5, first 2 shown]
	v_fma_f64 v[13:14], v[7:8], v[61:62], v[32:33]
	v_fma_f64 v[15:16], v[7:8], v[65:66], v[34:35]
	;; [unrolled: 1-line block ×3, first 2 shown]
.LBB92_11:                              ;   in Loop: Header=BB92_9 Depth=1
	s_andn2_saveexec_b32 s24, s7
	s_cbranch_execz .LBB92_21
; %bb.12:                               ;   in Loop: Header=BB92_9 Depth=1
	v_mov_b32_e32 v16, v9
	v_mov_b32_e32 v10, v9
	;; [unrolled: 1-line block ×15, first 2 shown]
	s_and_saveexec_b32 s45, s3
	s_cbranch_execz .LBB92_20
; %bb.13:                               ;   in Loop: Header=BB92_9 Depth=1
	s_andn2_b32 vcc_lo, exec_lo, s41
	s_cbranch_vccnz .LBB92_16
; %bb.14:                               ;   in Loop: Header=BB92_9 Depth=1
	v_mov_b32_e32 v10, v23
	s_mov_b64 s[34:35], 0
	s_inst_prefetch 0x1
	.p2align	6
.LBB92_15:                              ;   Parent Loop BB92_9 Depth=1
                                        ; =>  This Inner Loop Header: Depth=2
	v_ashrrev_i32_e32 v11, 31, v10
	s_cmp_eq_u32 s34, 3
	v_lshlrev_b64 v[11:12], 3, v[10:11]
	v_add_nc_u32_e32 v10, s36, v10
	v_add_co_u32 v11, vcc_lo, s21, v11
	v_add_co_ci_u32_e64 v12, null, s33, v12, vcc_lo
	s_cselect_b32 vcc_lo, -1, 0
	s_cmp_eq_u32 s34, 2
	s_cselect_b32 s7, -1, 0
	global_load_dwordx2 v[11:12], v[11:12], off
	s_cmp_eq_u32 s34, 1
	s_cselect_b32 s8, -1, 0
	s_cmp_eq_u32 s34, 0
	s_cselect_b32 s9, -1, 0
	s_add_u32 s34, s34, 1
	s_addc_u32 s35, s35, 0
	s_cmp_eq_u32 s37, s34
	s_waitcnt vmcnt(0)
	v_cndmask_b32_e32 v8, v8, v12, vcc_lo
	v_cndmask_b32_e32 v7, v7, v11, vcc_lo
	v_cndmask_b32_e64 v6, v6, v12, s7
	v_cndmask_b32_e64 v5, v5, v11, s7
	;; [unrolled: 1-line block ×6, first 2 shown]
	s_cbranch_scc0 .LBB92_15
.LBB92_16:                              ;   in Loop: Header=BB92_9 Depth=1
	s_inst_prefetch 0x2
	s_andn2_b32 vcc_lo, exec_lo, s41
	s_cbranch_vccnz .LBB92_19
; %bb.17:                               ;   in Loop: Header=BB92_9 Depth=1
	s_ashr_i32 s27, s26, 31
	v_mov_b32_e32 v11, 0
	s_lshl_b64 s[8:9], s[26:27], 3
	v_mov_b32_e32 v13, 0
	v_add_co_u32 v32, vcc_lo, v49, s8
	v_mov_b32_e32 v15, 0
	v_mov_b32_e32 v17, 0
	;; [unrolled: 1-line block ×6, first 2 shown]
	v_add_co_ci_u32_e64 v33, null, s9, v50, vcc_lo
	s_mov_b64 s[34:35], 0
.LBB92_18:                              ;   Parent Loop BB92_9 Depth=1
                                        ; =>  This Inner Loop Header: Depth=2
	s_cmp_eq_u32 s34, 1
	s_cselect_b32 vcc_lo, -1, 0
	s_cmp_eq_u32 s34, 2
	v_cndmask_b32_e32 v10, v2, v4, vcc_lo
	s_cselect_b32 s7, -1, 0
	s_cmp_eq_u32 s34, 3
	v_cndmask_b32_e32 v57, v1, v3, vcc_lo
	s_cselect_b32 s8, -1, 0
	s_add_i32 s46, s30, s34
	s_add_i32 s48, s28, s34
	s_ashr_i32 s47, s46, 31
	s_add_i32 s50, s43, s34
	s_ashr_i32 s49, s48, 31
	s_lshl_b64 s[46:47], s[46:47], 3
	s_ashr_i32 s51, s50, 31
	s_lshl_b64 s[48:49], s[48:49], 3
	v_add_co_u32 v34, s9, v36, s46
	s_lshl_b64 s[50:51], s[50:51], 3
	v_add_co_ci_u32_e64 v35, null, s47, v37, s9
	v_add_co_u32 v51, s9, v36, s48
	v_add_co_ci_u32_e64 v52, null, s49, v37, s9
	v_add_co_u32 v53, s9, v36, s50
	v_add_co_ci_u32_e64 v54, null, s51, v37, s9
	global_load_dwordx2 v[55:56], v[32:33], off
	s_clause 0x2
	global_load_dwordx2 v[34:35], v[34:35], off
	global_load_dwordx2 v[51:52], v[51:52], off
	;; [unrolled: 1-line block ×3, first 2 shown]
	v_cndmask_b32_e64 v10, v10, v6, s7
	v_cndmask_b32_e64 v57, v57, v5, s7
	v_add_co_u32 v32, vcc_lo, v32, 8
	v_add_co_ci_u32_e64 v33, null, 0, v33, vcc_lo
	v_cndmask_b32_e64 v58, v10, v8, s8
	v_cndmask_b32_e64 v57, v57, v7, s8
	s_add_u32 s34, s34, 1
	s_addc_u32 s35, s35, 0
	s_cmp_lg_u32 s37, s34
	s_waitcnt vmcnt(3)
	v_fma_f64 v[11:12], v[57:58], v[55:56], v[11:12]
	s_waitcnt vmcnt(2)
	v_fma_f64 v[13:14], v[57:58], v[34:35], v[13:14]
	;; [unrolled: 2-line block ×4, first 2 shown]
	s_cbranch_scc1 .LBB92_18
	s_branch .LBB92_20
.LBB92_19:                              ;   in Loop: Header=BB92_9 Depth=1
	v_mov_b32_e32 v16, v9
	v_mov_b32_e32 v10, v9
	;; [unrolled: 1-line block ×15, first 2 shown]
.LBB92_20:                              ;   in Loop: Header=BB92_9 Depth=1
	s_or_b32 exec_lo, exec_lo, s45
.LBB92_21:                              ;   in Loop: Header=BB92_9 Depth=1
	s_or_b32 exec_lo, exec_lo, s24
	s_mov_b64 s[8:9], 0
	s_branch .LBB92_23
.LBB92_22:                              ;   in Loop: Header=BB92_23 Depth=2
	s_or_b32 exec_lo, exec_lo, s7
	s_cmp_eq_u32 s8, 3
	s_cselect_b32 vcc_lo, -1, 0
	s_cmp_eq_u32 s8, 2
	s_waitcnt lgkmcnt(0)
	v_cndmask_b32_e32 v18, v18, v33, vcc_lo
	v_cndmask_b32_e32 v17, v17, v32, vcc_lo
	s_cselect_b32 vcc_lo, -1, 0
	s_cmp_eq_u32 s8, 1
	v_cndmask_b32_e32 v16, v16, v33, vcc_lo
	v_cndmask_b32_e32 v15, v15, v32, vcc_lo
	s_cselect_b32 vcc_lo, -1, 0
	s_cmp_eq_u32 s8, 0
	v_cndmask_b32_e32 v14, v14, v33, vcc_lo
	v_cndmask_b32_e32 v13, v13, v32, vcc_lo
	s_cselect_b32 vcc_lo, -1, 0
	s_add_u32 s8, s8, 1
	v_cndmask_b32_e32 v12, v12, v33, vcc_lo
	v_cndmask_b32_e32 v11, v11, v32, vcc_lo
	s_addc_u32 s9, s9, 0
	s_cmp_eq_u32 s8, 4
	s_cbranch_scc1 .LBB92_31
.LBB92_23:                              ;   Parent Loop BB92_9 Depth=1
                                        ; =>  This Inner Loop Header: Depth=2
	s_and_saveexec_b32 s7, s0
; %bb.24:                               ;   in Loop: Header=BB92_23 Depth=2
	v_mov_b32_e32 v10, v9
	ds_write_b64 v47, v[9:10]
; %bb.25:                               ;   in Loop: Header=BB92_23 Depth=2
	s_or_b32 exec_lo, exec_lo, s7
	s_cmp_eq_u32 s8, 1
	s_waitcnt lgkmcnt(0)
	s_waitcnt_vscnt null, 0x0
	s_cselect_b32 vcc_lo, -1, 0
	s_cmp_eq_u32 s8, 2
	v_cndmask_b32_e32 v10, v12, v14, vcc_lo
	v_cndmask_b32_e32 v32, v11, v13, vcc_lo
	s_cselect_b32 vcc_lo, -1, 0
	s_cmp_eq_u32 s8, 3
	s_barrier
	v_cndmask_b32_e32 v10, v10, v16, vcc_lo
	v_cndmask_b32_e32 v32, v32, v15, vcc_lo
	s_cselect_b32 vcc_lo, -1, 0
	buffer_gl0_inv
	v_cndmask_b32_e32 v33, v10, v18, vcc_lo
	v_cndmask_b32_e32 v32, v32, v17, vcc_lo
	ds_bpermute_b32 v35, v42, v33
	ds_bpermute_b32 v34, v42, v32
	s_waitcnt lgkmcnt(0)
	v_add_f64 v[32:33], v[32:33], v[34:35]
	ds_bpermute_b32 v34, v43, v32
	ds_bpermute_b32 v35, v43, v33
	s_waitcnt lgkmcnt(0)
	v_add_f64 v[32:33], v[32:33], v[34:35]
	;; [unrolled: 4-line block ×4, first 2 shown]
	ds_bpermute_b32 v34, v46, v32
	ds_bpermute_b32 v35, v46, v33
	s_and_saveexec_b32 s7, s4
	s_cbranch_execz .LBB92_27
; %bb.26:                               ;   in Loop: Header=BB92_23 Depth=2
	s_waitcnt lgkmcnt(0)
	v_add_f64 v[32:33], v[32:33], v[34:35]
	ds_write_b64 v48, v[32:33]
.LBB92_27:                              ;   in Loop: Header=BB92_23 Depth=2
	s_or_b32 exec_lo, exec_lo, s7
	v_mov_b32_e32 v32, 0
	v_mov_b32_e32 v33, 0
	s_waitcnt lgkmcnt(0)
	s_barrier
	buffer_gl0_inv
	s_and_saveexec_b32 s7, s1
; %bb.28:                               ;   in Loop: Header=BB92_23 Depth=2
	ds_read_b64 v[32:33], v47
; %bb.29:                               ;   in Loop: Header=BB92_23 Depth=2
	s_or_b32 exec_lo, exec_lo, s7
	s_and_saveexec_b32 s7, s0
	s_cbranch_execz .LBB92_22
; %bb.30:                               ;   in Loop: Header=BB92_23 Depth=2
	s_waitcnt lgkmcnt(0)
	ds_bpermute_b32 v34, v44, v32
	ds_bpermute_b32 v35, v44, v33
	s_waitcnt lgkmcnt(0)
	v_add_f64 v[32:33], v[32:33], v[34:35]
	ds_bpermute_b32 v34, v45, v32
	ds_bpermute_b32 v35, v45, v33
	s_waitcnt lgkmcnt(0)
	v_add_f64 v[32:33], v[32:33], v[34:35]
	;; [unrolled: 4-line block ×3, first 2 shown]
	s_branch .LBB92_22
.LBB92_31:                              ;   in Loop: Header=BB92_9 Depth=1
	s_and_saveexec_b32 s7, s5
	s_cbranch_execz .LBB92_8
; %bb.32:                               ;   in Loop: Header=BB92_9 Depth=1
	s_mul_i32 s8, s11, s20
	v_mul_f64 v[10:11], s[14:15], v[11:12]
	v_mul_f64 v[12:13], s[14:15], v[13:14]
	;; [unrolled: 1-line block ×3, first 2 shown]
	s_add_i32 s24, s8, s6
	v_mul_f64 v[16:17], s[14:15], v[17:18]
	s_lshl_b64 s[8:9], s[24:25], 3
	s_add_u32 s8, s39, s8
	s_addc_u32 s9, s38, s9
	s_add_i32 s24, s24, s20
	s_lshl_b64 s[34:35], s[24:25], 3
	s_add_u32 s34, s39, s34
	s_addc_u32 s35, s38, s35
	s_add_i32 s24, s24, s20
	global_store_dwordx2 v9, v[10:11], s[8:9]
	global_store_dwordx2 v9, v[12:13], s[34:35]
	s_lshl_b64 s[46:47], s[24:25], 3
	s_add_u32 s46, s39, s46
	s_addc_u32 s47, s38, s47
	s_add_i32 s24, s24, s20
	s_lshl_b64 s[48:49], s[24:25], 3
	s_add_u32 s48, s39, s48
	s_addc_u32 s49, s38, s49
	global_store_dwordx2 v9, v[14:15], s[46:47]
	global_store_dwordx2 v9, v[16:17], s[48:49]
	s_branch .LBB92_8
.LBB92_33:
	v_mov_b32_e32 v1, 0
	s_mov_b32 s11, 0
	v_mov_b32_e32 v2, v1
	v_mov_b32_e32 v3, v1
	;; [unrolled: 1-line block ×7, first 2 shown]
.LBB92_34:
	s_cmp_ge_i32 s11, s13
	s_cbranch_scc1 .LBB92_58
; %bb.35:
	v_cmp_gt_u32_e32 vcc_lo, 24, v38
	v_lshlrev_b32_e32 v24, 3, v20
	v_cmp_eq_u32_e64 s3, 0, v20
	v_ashrrev_i32_e32 v20, 31, v19
	s_cmp_gt_i32 s37, 0
	v_cndmask_b32_e64 v9, 0, 8, vcc_lo
	v_cmp_gt_u32_e32 vcc_lo, 28, v38
	s_mov_b32 s7, 0
	v_lshlrev_b64 v[13:14], 3, v[19:20]
	v_cmp_ge_i32_e64 s0, s12, v40
	v_add_lshl_u32 v26, v9, v38, 2
	v_cndmask_b32_e64 v10, 0, 4, vcc_lo
	v_cmp_gt_u32_e32 vcc_lo, 30, v38
	v_add_nc_u32_e32 v9, s36, v19
	v_cmp_ge_i32_e64 s1, s12, v41
	s_cselect_b32 s12, -1, 0
	v_add_lshl_u32 v27, v10, v38, 2
	v_cndmask_b32_e64 v11, 0, 2, vcc_lo
	v_cmp_ne_u32_e32 vcc_lo, 31, v38
	v_ashrrev_i32_e32 v10, 31, v9
	s_lshl_b64 s[8:9], s[6:7], 3
	v_cmp_gt_u32_e64 s2, 32, v0
	v_add_lshl_u32 v28, v11, v38, 2
	v_add_nc_u32_e32 v11, s36, v9
	v_add_co_ci_u32_e64 v12, null, 0, v38, vcc_lo
	v_lshlrev_b64 v[15:16], 3, v[9:10]
	v_add_co_u32 v9, vcc_lo, s21, v13
	v_add_nc_u32_e32 v17, s36, v11
	v_lshlrev_b32_e32 v29, 2, v12
	v_ashrrev_i32_e32 v12, 31, v11
	v_add_co_ci_u32_e64 v10, null, s33, v14, vcc_lo
	v_ashrrev_i32_e32 v18, 31, v17
	s_add_u32 s24, s39, s8
	v_lshlrev_b64 v[13:14], 3, v[11:12]
	v_add_co_u32 v11, vcc_lo, s21, v15
	v_add_co_ci_u32_e64 v12, null, s33, v16, vcc_lo
	v_lshlrev_b64 v[15:16], 3, v[17:18]
	s_addc_u32 s25, s38, s9
	v_add_co_u32 v13, vcc_lo, s21, v13
	s_add_u32 s6, s22, s18
	s_addc_u32 s8, s23, s19
	v_add_co_ci_u32_e64 v14, null, s33, v14, vcc_lo
	v_add_co_u32 v15, vcc_lo, s21, v15
	s_add_u32 s6, s16, s6
	v_cmp_gt_u32_e64 s4, 8, v0
	v_cmp_eq_u32_e64 s5, 0, v0
	v_add_co_ci_u32_e64 v16, null, s33, v16, vcc_lo
	s_addc_u32 s8, s17, s8
	v_add_co_u32 v0, vcc_lo, s6, v21
	v_lshl_or_b32 v25, v38, 2, 64
	v_and_b32_e32 v30, 56, v39
	v_add_co_ci_u32_e64 v31, null, s8, v22, vcc_lo
	v_mov_b32_e32 v17, 0
	s_mul_i32 s16, s11, s10
	s_branch .LBB92_37
.LBB92_36:                              ;   in Loop: Header=BB92_37 Depth=1
	s_or_b32 exec_lo, exec_lo, s6
	s_add_i32 s11, s11, 1
	s_add_i32 s16, s16, s10
	s_cmp_ge_i32 s11, s13
	s_cbranch_scc1 .LBB92_58
.LBB92_37:                              ; =>This Loop Header: Depth=1
                                        ;     Child Loop BB92_50 Depth 2
                                        ;     Child Loop BB92_53 Depth 2
	s_waitcnt lgkmcnt(0)
	v_mov_b32_e32 v20, s7
	v_mov_b32_e32 v21, s7
	s_and_saveexec_b32 s6, s0
	s_xor_b32 s6, exec_lo, s6
	s_cbranch_execnz .LBB92_46
; %bb.38:                               ;   in Loop: Header=BB92_37 Depth=1
	s_andn2_saveexec_b32 s22, s6
	s_cbranch_execnz .LBB92_47
.LBB92_39:                              ;   in Loop: Header=BB92_37 Depth=1
	s_or_b32 exec_lo, exec_lo, s22
	s_and_saveexec_b32 s6, s2
.LBB92_40:                              ;   in Loop: Header=BB92_37 Depth=1
	v_mov_b32_e32 v18, v17
	ds_write_b64 v24, v[17:18]
.LBB92_41:                              ;   in Loop: Header=BB92_37 Depth=1
	s_or_b32 exec_lo, exec_lo, s6
	ds_bpermute_b32 v22, v25, v20
	ds_bpermute_b32 v23, v25, v21
	s_waitcnt lgkmcnt(0)
	s_waitcnt_vscnt null, 0x0
	s_barrier
	buffer_gl0_inv
	v_add_f64 v[20:21], v[20:21], v[22:23]
	ds_bpermute_b32 v22, v26, v20
	ds_bpermute_b32 v23, v26, v21
	s_waitcnt lgkmcnt(0)
	v_add_f64 v[20:21], v[20:21], v[22:23]
	ds_bpermute_b32 v22, v27, v20
	ds_bpermute_b32 v23, v27, v21
	s_waitcnt lgkmcnt(0)
	;; [unrolled: 4-line block ×3, first 2 shown]
	v_add_f64 v[20:21], v[20:21], v[22:23]
	ds_bpermute_b32 v22, v29, v20
	ds_bpermute_b32 v23, v29, v21
	s_and_saveexec_b32 s6, s3
	s_cbranch_execz .LBB92_43
; %bb.42:                               ;   in Loop: Header=BB92_37 Depth=1
	s_waitcnt lgkmcnt(0)
	v_add_f64 v[20:21], v[20:21], v[22:23]
	ds_write_b64 v30, v[20:21]
.LBB92_43:                              ;   in Loop: Header=BB92_37 Depth=1
	s_or_b32 exec_lo, exec_lo, s6
	v_mov_b32_e32 v20, 0
	v_mov_b32_e32 v21, 0
	s_waitcnt lgkmcnt(0)
	s_barrier
	buffer_gl0_inv
	s_and_saveexec_b32 s6, s4
	s_cbranch_execnz .LBB92_55
; %bb.44:                               ;   in Loop: Header=BB92_37 Depth=1
	s_or_b32 exec_lo, exec_lo, s6
	s_and_saveexec_b32 s6, s2
	s_cbranch_execnz .LBB92_56
.LBB92_45:                              ;   in Loop: Header=BB92_37 Depth=1
	s_or_b32 exec_lo, exec_lo, s6
	s_and_saveexec_b32 s6, s5
	s_cbranch_execz .LBB92_36
	s_branch .LBB92_57
.LBB92_46:                              ;   in Loop: Header=BB92_37 Depth=1
	s_mul_i32 s8, s11, s10
	s_ashr_i32 s9, s8, 31
	s_lshl_b64 s[8:9], s[8:9], 3
	v_add_co_u32 v5, vcc_lo, v36, s8
	v_add_co_ci_u32_e64 v6, null, s9, v37, vcc_lo
	global_load_dwordx4 v[20:23], v[5:6], off
	s_clause 0x1
	global_load_dwordx2 v[1:2], v[9:10], off
	global_load_dwordx2 v[3:4], v[11:12], off
	global_load_dwordx4 v[32:35], v[5:6], off offset:16
	s_clause 0x1
	global_load_dwordx2 v[5:6], v[13:14], off
	global_load_dwordx2 v[7:8], v[15:16], off
	s_waitcnt vmcnt(4)
	v_fma_f64 v[20:21], v[1:2], v[20:21], 0
	s_waitcnt vmcnt(3)
	v_fma_f64 v[20:21], v[3:4], v[22:23], v[20:21]
	;; [unrolled: 2-line block ×4, first 2 shown]
	s_andn2_saveexec_b32 s22, s6
	s_cbranch_execz .LBB92_39
.LBB92_47:                              ;   in Loop: Header=BB92_37 Depth=1
	s_and_saveexec_b32 s23, s1
	s_cbranch_execz .LBB92_54
; %bb.48:                               ;   in Loop: Header=BB92_37 Depth=1
	s_andn2_b32 vcc_lo, exec_lo, s12
	s_cbranch_vccnz .LBB92_51
; %bb.49:                               ;   in Loop: Header=BB92_37 Depth=1
	v_mov_b32_e32 v22, v19
	s_mov_b64 s[18:19], 0
	s_inst_prefetch 0x1
	.p2align	6
.LBB92_50:                              ;   Parent Loop BB92_37 Depth=1
                                        ; =>  This Inner Loop Header: Depth=2
	v_ashrrev_i32_e32 v23, 31, v22
	s_cmp_eq_u32 s18, 3
	v_lshlrev_b64 v[32:33], 3, v[22:23]
	v_add_nc_u32_e32 v22, s36, v22
	v_add_co_u32 v32, vcc_lo, s21, v32
	v_add_co_ci_u32_e64 v33, null, s33, v33, vcc_lo
	s_cselect_b32 vcc_lo, -1, 0
	s_cmp_eq_u32 s18, 2
	s_cselect_b32 s6, -1, 0
	global_load_dwordx2 v[32:33], v[32:33], off
	s_cmp_eq_u32 s18, 1
	s_cselect_b32 s8, -1, 0
	s_cmp_eq_u32 s18, 0
	s_cselect_b32 s9, -1, 0
	s_add_u32 s18, s18, 1
	s_addc_u32 s19, s19, 0
	s_cmp_eq_u32 s37, s18
	s_waitcnt vmcnt(0)
	v_cndmask_b32_e32 v8, v8, v33, vcc_lo
	v_cndmask_b32_e32 v7, v7, v32, vcc_lo
	v_cndmask_b32_e64 v6, v6, v33, s6
	v_cndmask_b32_e64 v5, v5, v32, s6
	v_cndmask_b32_e64 v4, v4, v33, s8
	v_cndmask_b32_e64 v3, v3, v32, s8
	v_cndmask_b32_e64 v2, v2, v33, s9
	v_cndmask_b32_e64 v1, v1, v32, s9
	s_cbranch_scc0 .LBB92_50
.LBB92_51:                              ;   in Loop: Header=BB92_37 Depth=1
	s_inst_prefetch 0x2
	s_andn2_b32 vcc_lo, exec_lo, s12
	s_cbranch_vccnz .LBB92_54
; %bb.52:                               ;   in Loop: Header=BB92_37 Depth=1
	s_ashr_i32 s17, s16, 31
	s_lshl_b64 s[8:9], s[16:17], 3
	v_add_co_u32 v22, vcc_lo, v0, s8
	v_add_co_ci_u32_e64 v23, null, s9, v31, vcc_lo
	s_mov_b64 s[8:9], 0
	.p2align	6
.LBB92_53:                              ;   Parent Loop BB92_37 Depth=1
                                        ; =>  This Inner Loop Header: Depth=2
	global_load_dwordx2 v[32:33], v[22:23], off
	s_cmp_eq_u32 s8, 1
	s_cselect_b32 vcc_lo, -1, 0
	s_cmp_eq_u32 s8, 2
	v_cndmask_b32_e32 v18, v2, v4, vcc_lo
	v_cndmask_b32_e32 v34, v1, v3, vcc_lo
	s_cselect_b32 vcc_lo, -1, 0
	s_cmp_eq_u32 s8, 3
	v_cndmask_b32_e32 v18, v18, v6, vcc_lo
	v_cndmask_b32_e32 v34, v34, v5, vcc_lo
	s_cselect_b32 vcc_lo, -1, 0
	s_add_u32 s8, s8, 1
	s_addc_u32 s9, s9, 0
	v_cndmask_b32_e32 v35, v18, v8, vcc_lo
	v_cndmask_b32_e32 v34, v34, v7, vcc_lo
	v_add_co_u32 v22, vcc_lo, v22, 8
	v_add_co_ci_u32_e64 v23, null, 0, v23, vcc_lo
	s_cmp_lg_u32 s37, s8
	s_waitcnt vmcnt(0)
	v_fma_f64 v[20:21], v[34:35], v[32:33], v[20:21]
	s_cbranch_scc1 .LBB92_53
.LBB92_54:                              ;   in Loop: Header=BB92_37 Depth=1
	s_or_b32 exec_lo, exec_lo, s23
	s_or_b32 exec_lo, exec_lo, s22
	s_and_saveexec_b32 s6, s2
	s_cbranch_execnz .LBB92_40
	s_branch .LBB92_41
.LBB92_55:                              ;   in Loop: Header=BB92_37 Depth=1
	ds_read_b64 v[20:21], v24
	s_or_b32 exec_lo, exec_lo, s6
	s_and_saveexec_b32 s6, s2
	s_cbranch_execz .LBB92_45
.LBB92_56:                              ;   in Loop: Header=BB92_37 Depth=1
	s_waitcnt lgkmcnt(0)
	ds_bpermute_b32 v22, v27, v20
	ds_bpermute_b32 v23, v27, v21
	s_waitcnt lgkmcnt(0)
	v_add_f64 v[20:21], v[20:21], v[22:23]
	ds_bpermute_b32 v22, v28, v20
	ds_bpermute_b32 v23, v28, v21
	s_waitcnt lgkmcnt(0)
	v_add_f64 v[20:21], v[20:21], v[22:23]
	ds_bpermute_b32 v22, v29, v20
	ds_bpermute_b32 v23, v29, v21
	s_waitcnt lgkmcnt(0)
	v_add_f64 v[20:21], v[20:21], v[22:23]
	s_or_b32 exec_lo, exec_lo, s6
	s_and_saveexec_b32 s6, s5
	s_cbranch_execz .LBB92_36
.LBB92_57:                              ;   in Loop: Header=BB92_37 Depth=1
	s_waitcnt lgkmcnt(0)
	v_mul_f64 v[20:21], s[14:15], v[20:21]
	s_mul_hi_u32 s9, s11, s20
	s_mul_i32 s8, s11, s20
	s_lshl_b64 s[8:9], s[8:9], 3
	s_add_u32 s8, s24, s8
	s_addc_u32 s9, s25, s9
	global_store_dwordx2 v17, v[20:21], s[8:9]
	s_branch .LBB92_36
.LBB92_58:
	s_endpgm
	.section	.rodata,"a",@progbits
	.p2align	6, 0x0
	.amdhsa_kernel _ZL23rocblas_gemvt_sn_kernelILb1ELi256ELi4EidddEviiT4_lPKT3_lilS3_lilPT5_i
		.amdhsa_group_segment_fixed_size 256
		.amdhsa_private_segment_fixed_size 0
		.amdhsa_kernarg_size 360
		.amdhsa_user_sgpr_count 6
		.amdhsa_user_sgpr_private_segment_buffer 1
		.amdhsa_user_sgpr_dispatch_ptr 0
		.amdhsa_user_sgpr_queue_ptr 0
		.amdhsa_user_sgpr_kernarg_segment_ptr 1
		.amdhsa_user_sgpr_dispatch_id 0
		.amdhsa_user_sgpr_flat_scratch_init 0
		.amdhsa_user_sgpr_private_segment_size 0
		.amdhsa_wavefront_size32 1
		.amdhsa_uses_dynamic_stack 0
		.amdhsa_system_sgpr_private_segment_wavefront_offset 0
		.amdhsa_system_sgpr_workgroup_id_x 1
		.amdhsa_system_sgpr_workgroup_id_y 0
		.amdhsa_system_sgpr_workgroup_id_z 1
		.amdhsa_system_sgpr_workgroup_info 0
		.amdhsa_system_vgpr_workitem_id 0
		.amdhsa_next_free_vgpr 71
		.amdhsa_next_free_sgpr 52
		.amdhsa_reserve_vcc 1
		.amdhsa_reserve_flat_scratch 0
		.amdhsa_float_round_mode_32 0
		.amdhsa_float_round_mode_16_64 0
		.amdhsa_float_denorm_mode_32 3
		.amdhsa_float_denorm_mode_16_64 3
		.amdhsa_dx10_clamp 1
		.amdhsa_ieee_mode 1
		.amdhsa_fp16_overflow 0
		.amdhsa_workgroup_processor_mode 1
		.amdhsa_memory_ordered 1
		.amdhsa_forward_progress 1
		.amdhsa_shared_vgpr_count 0
		.amdhsa_exception_fp_ieee_invalid_op 0
		.amdhsa_exception_fp_denorm_src 0
		.amdhsa_exception_fp_ieee_div_zero 0
		.amdhsa_exception_fp_ieee_overflow 0
		.amdhsa_exception_fp_ieee_underflow 0
		.amdhsa_exception_fp_ieee_inexact 0
		.amdhsa_exception_int_div_zero 0
	.end_amdhsa_kernel
	.section	.text._ZL23rocblas_gemvt_sn_kernelILb1ELi256ELi4EidddEviiT4_lPKT3_lilS3_lilPT5_i,"axG",@progbits,_ZL23rocblas_gemvt_sn_kernelILb1ELi256ELi4EidddEviiT4_lPKT3_lilS3_lilPT5_i,comdat
.Lfunc_end92:
	.size	_ZL23rocblas_gemvt_sn_kernelILb1ELi256ELi4EidddEviiT4_lPKT3_lilS3_lilPT5_i, .Lfunc_end92-_ZL23rocblas_gemvt_sn_kernelILb1ELi256ELi4EidddEviiT4_lPKT3_lilS3_lilPT5_i
                                        ; -- End function
	.set _ZL23rocblas_gemvt_sn_kernelILb1ELi256ELi4EidddEviiT4_lPKT3_lilS3_lilPT5_i.num_vgpr, 71
	.set _ZL23rocblas_gemvt_sn_kernelILb1ELi256ELi4EidddEviiT4_lPKT3_lilS3_lilPT5_i.num_agpr, 0
	.set _ZL23rocblas_gemvt_sn_kernelILb1ELi256ELi4EidddEviiT4_lPKT3_lilS3_lilPT5_i.numbered_sgpr, 52
	.set _ZL23rocblas_gemvt_sn_kernelILb1ELi256ELi4EidddEviiT4_lPKT3_lilS3_lilPT5_i.num_named_barrier, 0
	.set _ZL23rocblas_gemvt_sn_kernelILb1ELi256ELi4EidddEviiT4_lPKT3_lilS3_lilPT5_i.private_seg_size, 0
	.set _ZL23rocblas_gemvt_sn_kernelILb1ELi256ELi4EidddEviiT4_lPKT3_lilS3_lilPT5_i.uses_vcc, 1
	.set _ZL23rocblas_gemvt_sn_kernelILb1ELi256ELi4EidddEviiT4_lPKT3_lilS3_lilPT5_i.uses_flat_scratch, 0
	.set _ZL23rocblas_gemvt_sn_kernelILb1ELi256ELi4EidddEviiT4_lPKT3_lilS3_lilPT5_i.has_dyn_sized_stack, 0
	.set _ZL23rocblas_gemvt_sn_kernelILb1ELi256ELi4EidddEviiT4_lPKT3_lilS3_lilPT5_i.has_recursion, 0
	.set _ZL23rocblas_gemvt_sn_kernelILb1ELi256ELi4EidddEviiT4_lPKT3_lilS3_lilPT5_i.has_indirect_call, 0
	.section	.AMDGPU.csdata,"",@progbits
; Kernel info:
; codeLenInByte = 3936
; TotalNumSgprs: 54
; NumVgprs: 71
; ScratchSize: 0
; MemoryBound: 1
; FloatMode: 240
; IeeeMode: 1
; LDSByteSize: 256 bytes/workgroup (compile time only)
; SGPRBlocks: 0
; VGPRBlocks: 8
; NumSGPRsForWavesPerEU: 54
; NumVGPRsForWavesPerEU: 71
; Occupancy: 12
; WaveLimiterHint : 1
; COMPUTE_PGM_RSRC2:SCRATCH_EN: 0
; COMPUTE_PGM_RSRC2:USER_SGPR: 6
; COMPUTE_PGM_RSRC2:TRAP_HANDLER: 0
; COMPUTE_PGM_RSRC2:TGID_X_EN: 1
; COMPUTE_PGM_RSRC2:TGID_Y_EN: 0
; COMPUTE_PGM_RSRC2:TGID_Z_EN: 1
; COMPUTE_PGM_RSRC2:TIDIG_COMP_CNT: 0
	.section	.text._ZL23rocblas_gemvt_sn_kernelILb1ELi256ELi4EldddEviiT4_lPKT3_lilS3_lilPT5_i,"axG",@progbits,_ZL23rocblas_gemvt_sn_kernelILb1ELi256ELi4EldddEviiT4_lPKT3_lilS3_lilPT5_i,comdat
	.globl	_ZL23rocblas_gemvt_sn_kernelILb1ELi256ELi4EldddEviiT4_lPKT3_lilS3_lilPT5_i ; -- Begin function _ZL23rocblas_gemvt_sn_kernelILb1ELi256ELi4EldddEviiT4_lPKT3_lilS3_lilPT5_i
	.p2align	8
	.type	_ZL23rocblas_gemvt_sn_kernelILb1ELi256ELi4EldddEviiT4_lPKT3_lilS3_lilPT5_i,@function
_ZL23rocblas_gemvt_sn_kernelILb1ELi256ELi4EldddEviiT4_lPKT3_lilS3_lilPT5_i: ; @_ZL23rocblas_gemvt_sn_kernelILb1ELi256ELi4EldddEviiT4_lPKT3_lilS3_lilPT5_i
; %bb.0:
	s_clause 0x2
	s_load_dwordx4 s[12:15], s[4:5], 0x0
	s_load_dword s24, s[4:5], 0x68
	s_load_dwordx4 s[8:11], s[4:5], 0x50
	s_mov_b32 s25, 0
	s_waitcnt lgkmcnt(0)
	v_cmp_neq_f64_e64 s2, s[14:15], 0
	s_ashr_i32 s36, s13, 31
	s_mul_hi_u32 s0, s13, s7
	s_mul_i32 s1, s36, s7
	s_mul_i32 s3, s13, s7
	s_add_i32 s0, s0, s1
	s_mul_hi_u32 s1, s3, s24
	s_mul_i32 s16, s0, s24
	s_mul_i32 s0, s3, s24
	s_add_i32 s1, s1, s16
	s_lshl_b64 s[0:1], s[0:1], 3
	s_add_u32 s33, s10, s0
	v_cmp_eq_u32_e64 s0, 0, v0
	s_addc_u32 s46, s11, s1
	s_and_b32 vcc_lo, exec_lo, s2
	s_cbranch_vccnz .LBB93_5
; %bb.1:
	s_cmp_gt_i32 s13, 0
	s_cselect_b32 s1, -1, 0
	s_and_b32 s0, s0, s1
	s_and_saveexec_b32 s10, s0
	s_cbranch_execz .LBB93_4
; %bb.2:
	v_mov_b32_e32 v1, 0
	s_mov_b32 s0, s7
	s_mov_b32 s7, 0
	;; [unrolled: 1-line block ×3, first 2 shown]
	s_lshl_b64 s[2:3], s[6:7], 3
	v_mov_b32_e32 v2, v1
	s_mov_b32 s7, s0
	s_add_u32 s0, s33, s2
	s_addc_u32 s1, s46, s3
	s_lshl_b64 s[2:3], s[24:25], 3
.LBB93_3:                               ; =>This Inner Loop Header: Depth=1
	s_add_i32 s11, s11, -1
	global_store_dwordx2 v1, v[1:2], s[0:1]
	s_add_u32 s0, s0, s2
	s_addc_u32 s1, s1, s3
	s_cmp_eq_u32 s11, 0
	s_cbranch_scc0 .LBB93_3
.LBB93_4:
	s_or_b32 exec_lo, exec_lo, s10
	s_cbranch_execz .LBB93_6
	s_branch .LBB93_58
.LBB93_5:
.LBB93_6:
	s_clause 0x4
	s_load_dword s26, s[4:5], 0x28
	s_load_dword s28, s[4:5], 0x48
	s_load_dwordx4 s[20:23], s[4:5], 0x30
	s_load_dwordx2 s[0:1], s[4:5], 0x40
	s_load_dwordx4 s[16:19], s[4:5], 0x18
	s_mul_i32 s3, s9, s7
	s_mul_hi_u32 s4, s8, s7
	s_mul_i32 s2, s8, s7
	s_add_i32 s3, s4, s3
	v_and_b32_e32 v40, 31, v0
	s_lshl_b64 s[30:31], s[2:3], 3
	v_mbcnt_lo_u32_b32 v43, -1, 0
	v_lshrrev_b32_e32 v45, 2, v0
	s_waitcnt lgkmcnt(0)
	s_ashr_i32 s27, s26, 31
	s_ashr_i32 s29, s28, 31
	s_add_u32 s5, s22, s30
	s_addc_u32 s8, s23, s31
	s_lshl_b64 s[34:35], s[0:1], 3
	s_mul_i32 s3, s21, s7
	s_mul_hi_u32 s4, s20, s7
	s_add_u32 s47, s5, s34
	s_mul_i32 s2, s20, s7
	s_addc_u32 s48, s8, s35
	s_add_i32 s3, s4, s3
	v_cmp_gt_u32_e64 s0, 32, v0
	s_lshl_b64 s[20:21], s[2:3], 3
	v_cmp_gt_u32_e64 s1, 8, v0
	s_add_u32 s2, s16, s20
	s_addc_u32 s3, s17, s21
	s_lshl_b64 s[18:19], s[18:19], 3
	s_add_u32 s2, s2, s18
	s_addc_u32 s3, s3, s19
	s_lshl_b32 s4, s6, 10
	s_ashr_i32 s5, s12, 31
	v_lshl_or_b32 v23, v0, 2, s4
	s_lshr_b32 s4, s36, 30
	s_lshr_b32 s5, s5, 30
	s_add_i32 s4, s13, s4
	s_add_i32 s5, s12, s5
	v_ashrrev_i32_e32 v24, 31, v23
	s_and_b32 s49, s4, -4
	s_and_b32 s4, s5, -4
	v_add_nc_u32_e32 v46, 4, v23
	s_sub_i32 s25, s12, s4
	v_lshlrev_b64 v[21:22], 3, v[23:24]
	v_or_b32_e32 v44, 1, v23
	v_or_b32_e32 v42, 2, v23
	v_add_nc_u32_e32 v47, s25, v23
	v_or_b32_e32 v41, 3, v23
	s_cmp_lt_i32 s49, 1
	v_add_co_u32 v19, vcc_lo, s2, v21
	v_add_co_ci_u32_e64 v20, null, s3, v22, vcc_lo
	s_cbranch_scc1 .LBB93_33
; %bb.7:
	v_cmp_gt_u32_e32 vcc_lo, 24, v43
	v_mad_i64_i32 v[5:6], null, s28, v42, 0
	v_mad_i64_i32 v[7:8], null, s28, v41, 0
	v_cndmask_b32_e64 v1, 0, 8, vcc_lo
	v_cmp_gt_u32_e32 vcc_lo, 28, v43
	s_cmp_gt_i32 s25, 0
	s_mov_b32 s7, 0
	v_lshlrev_b64 v[5:6], 3, v[5:6]
	v_add_lshl_u32 v49, v1, v43, 2
	v_cndmask_b32_e64 v2, 0, 4, vcc_lo
	v_cmp_gt_u32_e32 vcc_lo, 30, v43
	s_cselect_b32 s50, -1, 0
	s_lshl_b64 s[8:9], s[6:7], 3
	v_mov_b32_e32 v9, 0
	v_add_lshl_u32 v50, v2, v43, 2
	v_cndmask_b32_e64 v3, 0, 2, vcc_lo
	v_cmp_ne_u32_e32 vcc_lo, 31, v43
	v_mad_i64_i32 v[1:2], null, s28, v23, 0
	s_add_u32 s51, s33, s8
	v_add_lshl_u32 v51, v3, v43, 2
	v_add_co_ci_u32_e64 v4, null, 0, v43, vcc_lo
	s_addc_u32 s52, s46, s9
	s_add_u32 s8, s22, s34
	v_lshlrev_b64 v[1:2], 3, v[1:2]
	v_lshlrev_b32_e32 v52, 2, v4
	v_mad_i64_i32 v[3:4], null, s28, v44, 0
	s_addc_u32 s9, s23, s35
	s_add_u32 s8, s8, s30
	v_add_co_u32 v24, vcc_lo, s47, v1
	v_add_co_ci_u32_e64 v25, null, s48, v2, vcc_lo
	v_lshlrev_b64 v[3:4], 3, v[3:4]
	v_mov_b32_e32 v10, v9
	v_mov_b32_e32 v11, v9
	;; [unrolled: 1-line block ×5, first 2 shown]
	v_add_co_u32 v26, vcc_lo, s47, v3
	v_add_co_ci_u32_e64 v27, null, s48, v4, vcc_lo
	v_lshlrev_b64 v[3:4], 3, v[7:8]
	v_add_co_u32 v28, vcc_lo, s47, v5
	v_add_co_ci_u32_e64 v29, null, s48, v6, vcc_lo
	v_mov_b32_e32 v15, v9
	v_add_co_u32 v30, vcc_lo, s47, v3
	v_mov_b32_e32 v16, v9
	v_add_co_ci_u32_e64 v31, null, s48, v4, vcc_lo
	s_addc_u32 s9, s9, s31
	v_add_co_u32 v32, vcc_lo, s8, v1
	v_add_co_ci_u32_e64 v33, null, s9, v2, vcc_lo
	v_mov_b32_e32 v35, v20
	v_mov_b32_e32 v1, v9
	v_cmp_ge_i32_e64 s2, s12, v46
	v_cmp_ge_i32_e64 s3, s12, v47
	v_lshl_or_b32 v48, v43, 2, 64
	v_cmp_eq_u32_e64 s4, 0, v40
	v_lshlrev_b32_e32 v53, 3, v40
	v_and_b32_e32 v54, 56, v45
	v_cmp_eq_u32_e64 s5, 0, v0
	v_mov_b32_e32 v34, v19
	v_mov_b32_e32 v2, v10
	;; [unrolled: 1-line block ×8, first 2 shown]
	s_lshl_b64 s[36:37], s[28:29], 3
	s_lshl_b64 s[38:39], s[26:27], 5
	;; [unrolled: 1-line block ×4, first 2 shown]
	s_mul_hi_i32 s53, s26, 24
	s_mul_i32 s54, s26, 24
	s_branch .LBB93_9
.LBB93_8:                               ;   in Loop: Header=BB93_9 Depth=1
	s_or_b32 exec_lo, exec_lo, s8
	v_add_co_u32 v34, vcc_lo, v34, s38
	v_add_co_ci_u32_e64 v35, null, s39, v35, vcc_lo
	s_add_i32 s7, s7, 4
	s_cmp_ge_i32 s7, s49
	s_cbranch_scc1 .LBB93_34
.LBB93_9:                               ; =>This Loop Header: Depth=1
                                        ;     Child Loop BB93_15 Depth 2
                                        ;     Child Loop BB93_18 Depth 2
                                        ;     Child Loop BB93_23 Depth 2
                                        ; implicit-def: $vgpr11_vgpr12_vgpr13_vgpr14_vgpr15_vgpr16_vgpr17_vgpr18
	s_and_saveexec_b32 s8, s2
	s_xor_b32 s8, exec_lo, s8
	s_cbranch_execz .LBB93_11
; %bb.10:                               ;   in Loop: Header=BB93_9 Depth=1
	s_mul_i32 s9, s7, s27
	s_mul_hi_u32 s10, s7, s26
	s_add_i32 s11, s10, s9
	s_mul_i32 s10, s7, s26
	s_or_b32 s9, s7, 1
	s_lshl_b64 s[10:11], s[10:11], 3
	s_mul_i32 s44, s9, s27
	s_mul_hi_u32 s45, s9, s26
	v_add_co_u32 v5, vcc_lo, v19, s10
	v_add_co_ci_u32_e64 v6, null, s11, v20, vcc_lo
	s_add_i32 s11, s45, s44
	s_mul_i32 s10, s9, s26
	s_or_b32 s9, s7, 2
	s_lshl_b64 s[10:11], s[10:11], 3
	s_mul_i32 s44, s9, s27
	s_mul_hi_u32 s45, s9, s26
	v_add_co_u32 v7, vcc_lo, v19, s10
	v_add_co_ci_u32_e64 v8, null, s11, v20, vcc_lo
	s_add_i32 s11, s45, s44
	s_or_b32 s44, s7, 3
	s_mul_i32 s10, s9, s26
	s_mul_i32 s9, s44, s27
	s_mul_hi_u32 s45, s44, s26
	s_lshl_b64 s[10:11], s[10:11], 3
	s_add_i32 s45, s45, s9
	s_mul_i32 s44, s44, s26
	v_add_co_u32 v67, vcc_lo, v19, s10
	v_add_co_ci_u32_e64 v68, null, s11, v20, vcc_lo
	s_lshl_b64 s[10:11], s[44:45], 3
	v_add_co_u32 v71, vcc_lo, v19, s10
	v_add_co_ci_u32_e64 v72, null, s11, v20, vcc_lo
	global_load_dwordx2 v[1:2], v[24:25], off
	s_clause 0x3
	global_load_dwordx4 v[10:13], v[5:6], off
	global_load_dwordx4 v[14:17], v[7:8], off
	global_load_dwordx4 v[36:39], v[67:68], off
	global_load_dwordx4 v[55:58], v[71:72], off
	global_load_dwordx2 v[3:4], v[26:27], off
	global_load_dwordx4 v[59:62], v[5:6], off offset:16
	global_load_dwordx2 v[5:6], v[28:29], off
	s_clause 0x2
	global_load_dwordx4 v[63:66], v[7:8], off offset:16
	global_load_dwordx4 v[67:70], v[67:68], off offset:16
	;; [unrolled: 1-line block ×3, first 2 shown]
	global_load_dwordx2 v[7:8], v[30:31], off
	s_waitcnt vmcnt(10)
	v_fma_f64 v[10:11], v[1:2], v[10:11], 0
	s_waitcnt vmcnt(9)
	v_fma_f64 v[14:15], v[1:2], v[14:15], 0
	;; [unrolled: 2-line block ×5, first 2 shown]
	v_fma_f64 v[12:13], v[3:4], v[16:17], v[14:15]
	v_fma_f64 v[14:15], v[3:4], v[38:39], v[36:37]
	;; [unrolled: 1-line block ×3, first 2 shown]
	s_waitcnt vmcnt(4)
	v_fma_f64 v[10:11], v[5:6], v[59:60], v[10:11]
	s_waitcnt vmcnt(3)
	v_fma_f64 v[36:37], v[5:6], v[63:64], v[12:13]
	;; [unrolled: 2-line block ×5, first 2 shown]
	v_fma_f64 v[13:14], v[7:8], v[65:66], v[36:37]
	v_fma_f64 v[15:16], v[7:8], v[69:70], v[38:39]
	;; [unrolled: 1-line block ×3, first 2 shown]
.LBB93_11:                              ;   in Loop: Header=BB93_9 Depth=1
	s_andn2_saveexec_b32 s55, s8
	s_cbranch_execz .LBB93_21
; %bb.12:                               ;   in Loop: Header=BB93_9 Depth=1
	v_mov_b32_e32 v16, v9
	v_mov_b32_e32 v10, v9
	;; [unrolled: 1-line block ×15, first 2 shown]
	s_and_saveexec_b32 s56, s3
	s_cbranch_execz .LBB93_20
; %bb.13:                               ;   in Loop: Header=BB93_9 Depth=1
	s_andn2_b32 vcc_lo, exec_lo, s50
	s_cbranch_vccnz .LBB93_16
; %bb.14:                               ;   in Loop: Header=BB93_9 Depth=1
	v_mov_b32_e32 v10, v32
	v_mov_b32_e32 v11, v33
	s_mov_b64 s[44:45], 0
	.p2align	6
.LBB93_15:                              ;   Parent Loop BB93_9 Depth=1
                                        ; =>  This Inner Loop Header: Depth=2
	global_load_dwordx2 v[12:13], v[10:11], off
	s_cmp_eq_u32 s44, 3
	v_add_co_u32 v10, vcc_lo, v10, s36
	v_add_co_ci_u32_e64 v11, null, s37, v11, vcc_lo
	s_cselect_b32 vcc_lo, -1, 0
	s_cmp_eq_u32 s44, 2
	s_cselect_b32 s8, -1, 0
	s_cmp_eq_u32 s44, 1
	s_cselect_b32 s9, -1, 0
	;; [unrolled: 2-line block ×3, first 2 shown]
	s_add_u32 s44, s44, 1
	s_addc_u32 s45, s45, 0
	s_cmp_eq_u32 s25, s44
	s_waitcnt vmcnt(0)
	v_cndmask_b32_e32 v8, v8, v13, vcc_lo
	v_cndmask_b32_e32 v7, v7, v12, vcc_lo
	v_cndmask_b32_e64 v6, v6, v13, s8
	v_cndmask_b32_e64 v5, v5, v12, s8
	;; [unrolled: 1-line block ×6, first 2 shown]
	s_cbranch_scc0 .LBB93_15
.LBB93_16:                              ;   in Loop: Header=BB93_9 Depth=1
	s_andn2_b32 vcc_lo, exec_lo, s50
	s_cbranch_vccnz .LBB93_19
; %bb.17:                               ;   in Loop: Header=BB93_9 Depth=1
	v_mov_b32_e32 v11, 0
	v_mov_b32_e32 v13, 0
	;; [unrolled: 1-line block ×10, first 2 shown]
	s_mov_b64 s[10:11], 0
.LBB93_18:                              ;   Parent Loop BB93_9 Depth=1
                                        ; =>  This Inner Loop Header: Depth=2
	v_add_co_u32 v38, vcc_lo, v36, s40
	v_add_co_ci_u32_e64 v39, null, s41, v37, vcc_lo
	v_add_co_u32 v55, vcc_lo, v36, s42
	v_add_co_ci_u32_e64 v56, null, s43, v37, vcc_lo
	;; [unrolled: 2-line block ×3, first 2 shown]
	s_clause 0x3
	global_load_dwordx2 v[59:60], v[36:37], off
	global_load_dwordx2 v[38:39], v[38:39], off
	;; [unrolled: 1-line block ×4, first 2 shown]
	s_cmp_eq_u32 s10, 1
	s_cselect_b32 vcc_lo, -1, 0
	s_cmp_eq_u32 s10, 2
	v_cndmask_b32_e32 v10, v2, v4, vcc_lo
	v_cndmask_b32_e32 v61, v1, v3, vcc_lo
	s_cselect_b32 vcc_lo, -1, 0
	s_cmp_eq_u32 s10, 3
	v_cndmask_b32_e32 v10, v10, v6, vcc_lo
	v_cndmask_b32_e32 v61, v61, v5, vcc_lo
	s_cselect_b32 s8, -1, 0
	v_add_co_u32 v36, vcc_lo, v36, 8
	v_cndmask_b32_e64 v62, v10, v8, s8
	v_cndmask_b32_e64 v61, v61, v7, s8
	v_add_co_ci_u32_e64 v37, null, 0, v37, vcc_lo
	s_add_u32 s10, s10, 1
	s_addc_u32 s11, s11, 0
	s_cmp_lg_u32 s25, s10
	s_waitcnt vmcnt(3)
	v_fma_f64 v[11:12], v[61:62], v[59:60], v[11:12]
	s_waitcnt vmcnt(2)
	v_fma_f64 v[13:14], v[61:62], v[38:39], v[13:14]
	;; [unrolled: 2-line block ×4, first 2 shown]
	s_cbranch_scc1 .LBB93_18
	s_branch .LBB93_20
.LBB93_19:                              ;   in Loop: Header=BB93_9 Depth=1
	v_mov_b32_e32 v16, v9
	v_mov_b32_e32 v10, v9
	;; [unrolled: 1-line block ×15, first 2 shown]
.LBB93_20:                              ;   in Loop: Header=BB93_9 Depth=1
	s_or_b32 exec_lo, exec_lo, s56
.LBB93_21:                              ;   in Loop: Header=BB93_9 Depth=1
	s_or_b32 exec_lo, exec_lo, s55
	s_mov_b64 s[8:9], 0
	s_branch .LBB93_23
.LBB93_22:                              ;   in Loop: Header=BB93_23 Depth=2
	s_or_b32 exec_lo, exec_lo, s10
	s_cmp_eq_u32 s8, 3
	s_cselect_b32 vcc_lo, -1, 0
	s_cmp_eq_u32 s8, 2
	s_waitcnt lgkmcnt(0)
	v_cndmask_b32_e32 v18, v18, v37, vcc_lo
	v_cndmask_b32_e32 v17, v17, v36, vcc_lo
	s_cselect_b32 vcc_lo, -1, 0
	s_cmp_eq_u32 s8, 1
	v_cndmask_b32_e32 v16, v16, v37, vcc_lo
	v_cndmask_b32_e32 v15, v15, v36, vcc_lo
	s_cselect_b32 vcc_lo, -1, 0
	s_cmp_eq_u32 s8, 0
	v_cndmask_b32_e32 v14, v14, v37, vcc_lo
	v_cndmask_b32_e32 v13, v13, v36, vcc_lo
	s_cselect_b32 vcc_lo, -1, 0
	s_add_u32 s8, s8, 1
	v_cndmask_b32_e32 v12, v12, v37, vcc_lo
	v_cndmask_b32_e32 v11, v11, v36, vcc_lo
	s_addc_u32 s9, s9, 0
	s_cmp_eq_u32 s8, 4
	s_cbranch_scc1 .LBB93_31
.LBB93_23:                              ;   Parent Loop BB93_9 Depth=1
                                        ; =>  This Inner Loop Header: Depth=2
	s_and_saveexec_b32 s10, s0
; %bb.24:                               ;   in Loop: Header=BB93_23 Depth=2
	v_mov_b32_e32 v10, v9
	ds_write_b64 v53, v[9:10]
; %bb.25:                               ;   in Loop: Header=BB93_23 Depth=2
	s_or_b32 exec_lo, exec_lo, s10
	s_cmp_eq_u32 s8, 1
	s_waitcnt lgkmcnt(0)
	s_waitcnt_vscnt null, 0x0
	s_cselect_b32 vcc_lo, -1, 0
	s_cmp_eq_u32 s8, 2
	v_cndmask_b32_e32 v10, v12, v14, vcc_lo
	v_cndmask_b32_e32 v36, v11, v13, vcc_lo
	s_cselect_b32 vcc_lo, -1, 0
	s_cmp_eq_u32 s8, 3
	s_barrier
	v_cndmask_b32_e32 v10, v10, v16, vcc_lo
	v_cndmask_b32_e32 v36, v36, v15, vcc_lo
	s_cselect_b32 vcc_lo, -1, 0
	buffer_gl0_inv
	v_cndmask_b32_e32 v37, v10, v18, vcc_lo
	v_cndmask_b32_e32 v36, v36, v17, vcc_lo
	ds_bpermute_b32 v39, v48, v37
	ds_bpermute_b32 v38, v48, v36
	s_waitcnt lgkmcnt(0)
	v_add_f64 v[36:37], v[36:37], v[38:39]
	ds_bpermute_b32 v38, v49, v36
	ds_bpermute_b32 v39, v49, v37
	s_waitcnt lgkmcnt(0)
	v_add_f64 v[36:37], v[36:37], v[38:39]
	;; [unrolled: 4-line block ×4, first 2 shown]
	ds_bpermute_b32 v38, v52, v36
	ds_bpermute_b32 v39, v52, v37
	s_and_saveexec_b32 s10, s4
	s_cbranch_execz .LBB93_27
; %bb.26:                               ;   in Loop: Header=BB93_23 Depth=2
	s_waitcnt lgkmcnt(0)
	v_add_f64 v[36:37], v[36:37], v[38:39]
	ds_write_b64 v54, v[36:37]
.LBB93_27:                              ;   in Loop: Header=BB93_23 Depth=2
	s_or_b32 exec_lo, exec_lo, s10
	v_mov_b32_e32 v36, 0
	v_mov_b32_e32 v37, 0
	s_waitcnt lgkmcnt(0)
	s_barrier
	buffer_gl0_inv
	s_and_saveexec_b32 s10, s1
; %bb.28:                               ;   in Loop: Header=BB93_23 Depth=2
	ds_read_b64 v[36:37], v53
; %bb.29:                               ;   in Loop: Header=BB93_23 Depth=2
	s_or_b32 exec_lo, exec_lo, s10
	s_and_saveexec_b32 s10, s0
	s_cbranch_execz .LBB93_22
; %bb.30:                               ;   in Loop: Header=BB93_23 Depth=2
	s_waitcnt lgkmcnt(0)
	ds_bpermute_b32 v38, v50, v36
	ds_bpermute_b32 v39, v50, v37
	s_waitcnt lgkmcnt(0)
	v_add_f64 v[36:37], v[36:37], v[38:39]
	ds_bpermute_b32 v38, v51, v36
	ds_bpermute_b32 v39, v51, v37
	s_waitcnt lgkmcnt(0)
	v_add_f64 v[36:37], v[36:37], v[38:39]
	;; [unrolled: 4-line block ×3, first 2 shown]
	s_branch .LBB93_22
.LBB93_31:                              ;   in Loop: Header=BB93_9 Depth=1
	s_and_saveexec_b32 s8, s5
	s_cbranch_execz .LBB93_8
; %bb.32:                               ;   in Loop: Header=BB93_9 Depth=1
	s_mul_hi_u32 s11, s7, s24
	s_mul_i32 s10, s7, s24
	v_mul_f64 v[10:11], s[14:15], v[11:12]
	s_lshl_b64 s[10:11], s[10:11], 3
	v_mul_f64 v[12:13], s[14:15], v[13:14]
	s_add_u32 s10, s51, s10
	s_addc_u32 s11, s52, s11
	s_or_b32 s9, s7, 1
	v_mul_f64 v[14:15], s[14:15], v[15:16]
	v_mul_f64 v[16:17], s[14:15], v[17:18]
	s_mul_hi_u32 s45, s9, s24
	s_mul_i32 s44, s9, s24
	s_lshl_b64 s[44:45], s[44:45], 3
	s_add_u32 s44, s51, s44
	s_addc_u32 s45, s52, s45
	s_or_b32 s9, s7, 2
	s_mul_hi_u32 s57, s9, s24
	s_mul_i32 s56, s9, s24
	s_lshl_b64 s[56:57], s[56:57], 3
	s_add_u32 s56, s51, s56
	s_addc_u32 s57, s52, s57
	s_or_b32 s9, s7, 3
	global_store_dwordx2 v9, v[10:11], s[10:11]
	s_mul_hi_u32 s59, s9, s24
	s_mul_i32 s58, s9, s24
	global_store_dwordx2 v9, v[12:13], s[44:45]
	s_lshl_b64 s[10:11], s[58:59], 3
	s_add_u32 s10, s51, s10
	s_addc_u32 s11, s52, s11
	global_store_dwordx2 v9, v[14:15], s[56:57]
	global_store_dwordx2 v9, v[16:17], s[10:11]
	s_branch .LBB93_8
.LBB93_33:
	v_mov_b32_e32 v1, 0
	s_mov_b32 s7, 0
	v_mov_b32_e32 v2, v1
	v_mov_b32_e32 v3, v1
	;; [unrolled: 1-line block ×7, first 2 shown]
.LBB93_34:
	s_cmp_ge_i32 s7, s13
	s_cbranch_scc1 .LBB93_58
; %bb.35:
	v_cmp_gt_u32_e32 vcc_lo, 24, v43
	v_mad_i64_i32 v[13:14], null, s28, v42, 0
	v_mad_i64_i32 v[15:16], null, s28, v41, 0
	v_cndmask_b32_e64 v9, 0, 8, vcc_lo
	v_cmp_gt_u32_e32 vcc_lo, 28, v43
	s_cmp_gt_i32 s25, 0
	s_mov_b32 s11, 0
	s_mov_b32 s10, s6
	v_add_lshl_u32 v31, v9, v43, 2
	v_cndmask_b32_e64 v10, 0, 4, vcc_lo
	v_cmp_gt_u32_e32 vcc_lo, 30, v43
	v_lshlrev_b64 v[13:14], 3, v[13:14]
	v_cmp_ge_i32_e64 s0, s12, v46
	v_cmp_ge_i32_e64 s1, s12, v47
	v_add_lshl_u32 v32, v10, v43, 2
	v_cndmask_b32_e64 v11, 0, 2, vcc_lo
	v_cmp_ne_u32_e32 vcc_lo, 31, v43
	v_mad_i64_i32 v[9:10], null, s28, v23, 0
	s_cselect_b32 s12, -1, 0
	v_add_lshl_u32 v33, v11, v43, 2
	v_add_co_ci_u32_e64 v12, null, 0, v43, vcc_lo
	s_lshl_b64 s[8:9], s[10:11], 3
	v_lshlrev_b64 v[15:16], 3, v[15:16]
	v_lshlrev_b64 v[17:18], 3, v[9:10]
	v_lshlrev_b32_e32 v34, 2, v12
	v_mad_i64_i32 v[11:12], null, s28, v44, 0
	s_add_u32 s10, s33, s8
	s_addc_u32 s33, s46, s9
	v_add_co_u32 v9, vcc_lo, s47, v17
	v_add_co_ci_u32_e64 v10, null, s48, v18, vcc_lo
	v_lshlrev_b64 v[11:12], 3, v[11:12]
	s_add_u32 s6, s22, s34
	s_addc_u32 s8, s23, s35
	s_mul_i32 s9, s27, s7
	s_mul_hi_u32 s22, s26, s7
	s_add_u32 s6, s6, s30
	v_add_co_u32 v11, vcc_lo, s47, v11
	v_add_co_ci_u32_e64 v12, null, s48, v12, vcc_lo
	v_add_co_u32 v13, vcc_lo, s47, v13
	v_add_co_ci_u32_e64 v14, null, s48, v14, vcc_lo
	v_add_co_u32 v15, vcc_lo, s47, v15
	s_addc_u32 s23, s8, s31
	s_add_i32 s9, s22, s9
	s_mul_i32 s8, s26, s7
	v_add_co_ci_u32_e64 v16, null, s48, v16, vcc_lo
	v_add_co_u32 v17, vcc_lo, s6, v17
	s_lshl_b64 s[8:9], s[8:9], 3
	v_add_co_ci_u32_e64 v18, null, s23, v18, vcc_lo
	s_lshl_b64 s[22:23], s[28:29], 3
	s_add_u32 s6, s20, s8
	s_addc_u32 s8, s21, s9
	s_add_u32 s6, s6, s18
	s_addc_u32 s8, s8, s19
	;; [unrolled: 2-line block ×3, first 2 shown]
	v_add_co_u32 v21, vcc_lo, s6, v21
	v_cmp_gt_u32_e64 s2, 32, v0
	v_lshlrev_b32_e32 v29, 3, v40
	v_lshl_or_b32 v30, v43, 2, 64
	v_cmp_eq_u32_e64 s3, 0, v40
	v_and_b32_e32 v35, 56, v45
	v_cmp_gt_u32_e64 s4, 8, v0
	v_cmp_eq_u32_e64 s5, 0, v0
	v_add_co_ci_u32_e64 v22, null, s8, v22, vcc_lo
	v_mov_b32_e32 v23, 0
	s_lshl_b64 s[16:17], s[26:27], 3
	s_branch .LBB93_37
.LBB93_36:                              ;   in Loop: Header=BB93_37 Depth=1
	s_or_b32 exec_lo, exec_lo, s6
	v_add_co_u32 v21, vcc_lo, v21, s16
	v_add_co_ci_u32_e64 v22, null, s17, v22, vcc_lo
	s_add_i32 s7, s7, 1
	s_cmp_ge_i32 s7, s13
	s_cbranch_scc1 .LBB93_58
.LBB93_37:                              ; =>This Loop Header: Depth=1
                                        ;     Child Loop BB93_50 Depth 2
                                        ;     Child Loop BB93_53 Depth 2
	s_waitcnt lgkmcnt(0)
	v_mov_b32_e32 v25, s11
	v_mov_b32_e32 v26, s11
	s_and_saveexec_b32 s6, s0
	s_xor_b32 s6, exec_lo, s6
	s_cbranch_execnz .LBB93_46
; %bb.38:                               ;   in Loop: Header=BB93_37 Depth=1
	s_andn2_saveexec_b32 s20, s6
	s_cbranch_execnz .LBB93_47
.LBB93_39:                              ;   in Loop: Header=BB93_37 Depth=1
	s_or_b32 exec_lo, exec_lo, s20
	s_and_saveexec_b32 s6, s2
.LBB93_40:                              ;   in Loop: Header=BB93_37 Depth=1
	v_mov_b32_e32 v24, v23
	ds_write_b64 v29, v[23:24]
.LBB93_41:                              ;   in Loop: Header=BB93_37 Depth=1
	s_or_b32 exec_lo, exec_lo, s6
	ds_bpermute_b32 v27, v30, v25
	ds_bpermute_b32 v28, v30, v26
	s_waitcnt lgkmcnt(0)
	s_waitcnt_vscnt null, 0x0
	s_barrier
	buffer_gl0_inv
	v_add_f64 v[24:25], v[25:26], v[27:28]
	ds_bpermute_b32 v26, v31, v24
	ds_bpermute_b32 v27, v31, v25
	s_waitcnt lgkmcnt(0)
	v_add_f64 v[24:25], v[24:25], v[26:27]
	ds_bpermute_b32 v26, v32, v24
	ds_bpermute_b32 v27, v32, v25
	s_waitcnt lgkmcnt(0)
	;; [unrolled: 4-line block ×3, first 2 shown]
	v_add_f64 v[24:25], v[24:25], v[26:27]
	ds_bpermute_b32 v26, v34, v24
	ds_bpermute_b32 v27, v34, v25
	s_and_saveexec_b32 s6, s3
	s_cbranch_execz .LBB93_43
; %bb.42:                               ;   in Loop: Header=BB93_37 Depth=1
	s_waitcnt lgkmcnt(0)
	v_add_f64 v[24:25], v[24:25], v[26:27]
	ds_write_b64 v35, v[24:25]
.LBB93_43:                              ;   in Loop: Header=BB93_37 Depth=1
	s_or_b32 exec_lo, exec_lo, s6
	v_mov_b32_e32 v24, 0
	v_mov_b32_e32 v25, 0
	s_waitcnt lgkmcnt(0)
	s_barrier
	buffer_gl0_inv
	s_and_saveexec_b32 s6, s4
	s_cbranch_execnz .LBB93_55
; %bb.44:                               ;   in Loop: Header=BB93_37 Depth=1
	s_or_b32 exec_lo, exec_lo, s6
	s_and_saveexec_b32 s6, s2
	s_cbranch_execnz .LBB93_56
.LBB93_45:                              ;   in Loop: Header=BB93_37 Depth=1
	s_or_b32 exec_lo, exec_lo, s6
	s_and_saveexec_b32 s6, s5
	s_cbranch_execz .LBB93_36
	s_branch .LBB93_57
.LBB93_46:                              ;   in Loop: Header=BB93_37 Depth=1
	s_mul_i32 s9, s7, s27
	s_mul_hi_u32 s18, s7, s26
	s_mul_i32 s8, s7, s26
	s_add_i32 s9, s18, s9
	s_lshl_b64 s[8:9], s[8:9], 3
	v_add_co_u32 v5, vcc_lo, v19, s8
	v_add_co_ci_u32_e64 v6, null, s9, v20, vcc_lo
	global_load_dwordx4 v[24:27], v[5:6], off
	s_clause 0x1
	global_load_dwordx2 v[1:2], v[9:10], off
	global_load_dwordx2 v[3:4], v[11:12], off
	global_load_dwordx4 v[36:39], v[5:6], off offset:16
	s_clause 0x1
	global_load_dwordx2 v[5:6], v[13:14], off
	global_load_dwordx2 v[7:8], v[15:16], off
	s_waitcnt vmcnt(4)
	v_fma_f64 v[24:25], v[1:2], v[24:25], 0
	s_waitcnt vmcnt(3)
	v_fma_f64 v[24:25], v[3:4], v[26:27], v[24:25]
	;; [unrolled: 2-line block ×4, first 2 shown]
	s_andn2_saveexec_b32 s20, s6
	s_cbranch_execz .LBB93_39
.LBB93_47:                              ;   in Loop: Header=BB93_37 Depth=1
	s_and_saveexec_b32 s21, s1
	s_cbranch_execz .LBB93_54
; %bb.48:                               ;   in Loop: Header=BB93_37 Depth=1
	s_andn2_b32 vcc_lo, exec_lo, s12
	s_cbranch_vccnz .LBB93_51
; %bb.49:                               ;   in Loop: Header=BB93_37 Depth=1
	v_mov_b32_e32 v28, v18
	v_mov_b32_e32 v27, v17
	s_mov_b64 s[18:19], 0
	.p2align	6
.LBB93_50:                              ;   Parent Loop BB93_37 Depth=1
                                        ; =>  This Inner Loop Header: Depth=2
	global_load_dwordx2 v[36:37], v[27:28], off
	s_cmp_eq_u32 s18, 3
	v_add_co_u32 v27, vcc_lo, v27, s22
	v_add_co_ci_u32_e64 v28, null, s23, v28, vcc_lo
	s_cselect_b32 vcc_lo, -1, 0
	s_cmp_eq_u32 s18, 2
	s_cselect_b32 s6, -1, 0
	s_cmp_eq_u32 s18, 1
	s_cselect_b32 s8, -1, 0
	s_cmp_eq_u32 s18, 0
	s_cselect_b32 s9, -1, 0
	s_add_u32 s18, s18, 1
	s_addc_u32 s19, s19, 0
	s_cmp_eq_u32 s25, s18
	s_waitcnt vmcnt(0)
	v_cndmask_b32_e32 v8, v8, v37, vcc_lo
	v_cndmask_b32_e32 v7, v7, v36, vcc_lo
	v_cndmask_b32_e64 v6, v6, v37, s6
	v_cndmask_b32_e64 v5, v5, v36, s6
	v_cndmask_b32_e64 v4, v4, v37, s8
	v_cndmask_b32_e64 v3, v3, v36, s8
	v_cndmask_b32_e64 v2, v2, v37, s9
	v_cndmask_b32_e64 v1, v1, v36, s9
	s_cbranch_scc0 .LBB93_50
.LBB93_51:                              ;   in Loop: Header=BB93_37 Depth=1
	s_andn2_b32 vcc_lo, exec_lo, s12
	s_cbranch_vccnz .LBB93_54
; %bb.52:                               ;   in Loop: Header=BB93_37 Depth=1
	v_mov_b32_e32 v28, v22
	v_mov_b32_e32 v27, v21
	s_mov_b64 s[8:9], 0
	.p2align	6
.LBB93_53:                              ;   Parent Loop BB93_37 Depth=1
                                        ; =>  This Inner Loop Header: Depth=2
	global_load_dwordx2 v[36:37], v[27:28], off
	s_cmp_eq_u32 s8, 1
	s_cselect_b32 vcc_lo, -1, 0
	s_cmp_eq_u32 s8, 2
	v_cndmask_b32_e32 v0, v2, v4, vcc_lo
	v_cndmask_b32_e32 v24, v1, v3, vcc_lo
	s_cselect_b32 vcc_lo, -1, 0
	s_cmp_eq_u32 s8, 3
	v_cndmask_b32_e32 v0, v0, v6, vcc_lo
	v_cndmask_b32_e32 v24, v24, v5, vcc_lo
	s_cselect_b32 vcc_lo, -1, 0
	s_add_u32 s8, s8, 1
	s_addc_u32 s9, s9, 0
	v_cndmask_b32_e32 v39, v0, v8, vcc_lo
	v_cndmask_b32_e32 v38, v24, v7, vcc_lo
	v_add_co_u32 v27, vcc_lo, v27, 8
	v_add_co_ci_u32_e64 v28, null, 0, v28, vcc_lo
	s_cmp_lg_u32 s25, s8
	s_waitcnt vmcnt(0)
	v_fma_f64 v[25:26], v[38:39], v[36:37], v[25:26]
	s_cbranch_scc1 .LBB93_53
.LBB93_54:                              ;   in Loop: Header=BB93_37 Depth=1
	s_or_b32 exec_lo, exec_lo, s21
	s_or_b32 exec_lo, exec_lo, s20
	s_and_saveexec_b32 s6, s2
	s_cbranch_execnz .LBB93_40
	s_branch .LBB93_41
.LBB93_55:                              ;   in Loop: Header=BB93_37 Depth=1
	ds_read_b64 v[24:25], v29
	s_or_b32 exec_lo, exec_lo, s6
	s_and_saveexec_b32 s6, s2
	s_cbranch_execz .LBB93_45
.LBB93_56:                              ;   in Loop: Header=BB93_37 Depth=1
	s_waitcnt lgkmcnt(0)
	ds_bpermute_b32 v26, v32, v24
	ds_bpermute_b32 v27, v32, v25
	s_waitcnt lgkmcnt(0)
	v_add_f64 v[24:25], v[24:25], v[26:27]
	ds_bpermute_b32 v26, v33, v24
	ds_bpermute_b32 v27, v33, v25
	s_waitcnt lgkmcnt(0)
	v_add_f64 v[24:25], v[24:25], v[26:27]
	;; [unrolled: 4-line block ×3, first 2 shown]
	s_or_b32 exec_lo, exec_lo, s6
	s_and_saveexec_b32 s6, s5
	s_cbranch_execz .LBB93_36
.LBB93_57:                              ;   in Loop: Header=BB93_37 Depth=1
	s_waitcnt lgkmcnt(0)
	v_mul_f64 v[24:25], s[14:15], v[24:25]
	s_mul_hi_u32 s9, s7, s24
	s_mul_i32 s8, s7, s24
	s_lshl_b64 s[8:9], s[8:9], 3
	s_add_u32 s8, s10, s8
	s_addc_u32 s9, s33, s9
	global_store_dwordx2 v23, v[24:25], s[8:9]
	s_branch .LBB93_36
.LBB93_58:
	s_endpgm
	.section	.rodata,"a",@progbits
	.p2align	6, 0x0
	.amdhsa_kernel _ZL23rocblas_gemvt_sn_kernelILb1ELi256ELi4EldddEviiT4_lPKT3_lilS3_lilPT5_i
		.amdhsa_group_segment_fixed_size 256
		.amdhsa_private_segment_fixed_size 0
		.amdhsa_kernarg_size 360
		.amdhsa_user_sgpr_count 6
		.amdhsa_user_sgpr_private_segment_buffer 1
		.amdhsa_user_sgpr_dispatch_ptr 0
		.amdhsa_user_sgpr_queue_ptr 0
		.amdhsa_user_sgpr_kernarg_segment_ptr 1
		.amdhsa_user_sgpr_dispatch_id 0
		.amdhsa_user_sgpr_flat_scratch_init 0
		.amdhsa_user_sgpr_private_segment_size 0
		.amdhsa_wavefront_size32 1
		.amdhsa_uses_dynamic_stack 0
		.amdhsa_system_sgpr_private_segment_wavefront_offset 0
		.amdhsa_system_sgpr_workgroup_id_x 1
		.amdhsa_system_sgpr_workgroup_id_y 0
		.amdhsa_system_sgpr_workgroup_id_z 1
		.amdhsa_system_sgpr_workgroup_info 0
		.amdhsa_system_vgpr_workitem_id 0
		.amdhsa_next_free_vgpr 75
		.amdhsa_next_free_sgpr 60
		.amdhsa_reserve_vcc 1
		.amdhsa_reserve_flat_scratch 0
		.amdhsa_float_round_mode_32 0
		.amdhsa_float_round_mode_16_64 0
		.amdhsa_float_denorm_mode_32 3
		.amdhsa_float_denorm_mode_16_64 3
		.amdhsa_dx10_clamp 1
		.amdhsa_ieee_mode 1
		.amdhsa_fp16_overflow 0
		.amdhsa_workgroup_processor_mode 1
		.amdhsa_memory_ordered 1
		.amdhsa_forward_progress 1
		.amdhsa_shared_vgpr_count 0
		.amdhsa_exception_fp_ieee_invalid_op 0
		.amdhsa_exception_fp_denorm_src 0
		.amdhsa_exception_fp_ieee_div_zero 0
		.amdhsa_exception_fp_ieee_overflow 0
		.amdhsa_exception_fp_ieee_underflow 0
		.amdhsa_exception_fp_ieee_inexact 0
		.amdhsa_exception_int_div_zero 0
	.end_amdhsa_kernel
	.section	.text._ZL23rocblas_gemvt_sn_kernelILb1ELi256ELi4EldddEviiT4_lPKT3_lilS3_lilPT5_i,"axG",@progbits,_ZL23rocblas_gemvt_sn_kernelILb1ELi256ELi4EldddEviiT4_lPKT3_lilS3_lilPT5_i,comdat
.Lfunc_end93:
	.size	_ZL23rocblas_gemvt_sn_kernelILb1ELi256ELi4EldddEviiT4_lPKT3_lilS3_lilPT5_i, .Lfunc_end93-_ZL23rocblas_gemvt_sn_kernelILb1ELi256ELi4EldddEviiT4_lPKT3_lilS3_lilPT5_i
                                        ; -- End function
	.set _ZL23rocblas_gemvt_sn_kernelILb1ELi256ELi4EldddEviiT4_lPKT3_lilS3_lilPT5_i.num_vgpr, 75
	.set _ZL23rocblas_gemvt_sn_kernelILb1ELi256ELi4EldddEviiT4_lPKT3_lilS3_lilPT5_i.num_agpr, 0
	.set _ZL23rocblas_gemvt_sn_kernelILb1ELi256ELi4EldddEviiT4_lPKT3_lilS3_lilPT5_i.numbered_sgpr, 60
	.set _ZL23rocblas_gemvt_sn_kernelILb1ELi256ELi4EldddEviiT4_lPKT3_lilS3_lilPT5_i.num_named_barrier, 0
	.set _ZL23rocblas_gemvt_sn_kernelILb1ELi256ELi4EldddEviiT4_lPKT3_lilS3_lilPT5_i.private_seg_size, 0
	.set _ZL23rocblas_gemvt_sn_kernelILb1ELi256ELi4EldddEviiT4_lPKT3_lilS3_lilPT5_i.uses_vcc, 1
	.set _ZL23rocblas_gemvt_sn_kernelILb1ELi256ELi4EldddEviiT4_lPKT3_lilS3_lilPT5_i.uses_flat_scratch, 0
	.set _ZL23rocblas_gemvt_sn_kernelILb1ELi256ELi4EldddEviiT4_lPKT3_lilS3_lilPT5_i.has_dyn_sized_stack, 0
	.set _ZL23rocblas_gemvt_sn_kernelILb1ELi256ELi4EldddEviiT4_lPKT3_lilS3_lilPT5_i.has_recursion, 0
	.set _ZL23rocblas_gemvt_sn_kernelILb1ELi256ELi4EldddEviiT4_lPKT3_lilS3_lilPT5_i.has_indirect_call, 0
	.section	.AMDGPU.csdata,"",@progbits
; Kernel info:
; codeLenInByte = 4064
; TotalNumSgprs: 62
; NumVgprs: 75
; ScratchSize: 0
; MemoryBound: 1
; FloatMode: 240
; IeeeMode: 1
; LDSByteSize: 256 bytes/workgroup (compile time only)
; SGPRBlocks: 0
; VGPRBlocks: 9
; NumSGPRsForWavesPerEU: 62
; NumVGPRsForWavesPerEU: 75
; Occupancy: 12
; WaveLimiterHint : 1
; COMPUTE_PGM_RSRC2:SCRATCH_EN: 0
; COMPUTE_PGM_RSRC2:USER_SGPR: 6
; COMPUTE_PGM_RSRC2:TRAP_HANDLER: 0
; COMPUTE_PGM_RSRC2:TGID_X_EN: 1
; COMPUTE_PGM_RSRC2:TGID_Y_EN: 0
; COMPUTE_PGM_RSRC2:TGID_Z_EN: 1
; COMPUTE_PGM_RSRC2:TIDIG_COMP_CNT: 0
	.section	.text._ZL36rocblas_gemvt_double_buffered_kernelILb1ELi128ELi4ELi16EdPKddEviiT4_lPKT3_lilS5_lilPT5_lili,"axG",@progbits,_ZL36rocblas_gemvt_double_buffered_kernelILb1ELi128ELi4ELi16EdPKddEviiT4_lPKT3_lilS5_lilPT5_lili,comdat
	.globl	_ZL36rocblas_gemvt_double_buffered_kernelILb1ELi128ELi4ELi16EdPKddEviiT4_lPKT3_lilS5_lilPT5_lili ; -- Begin function _ZL36rocblas_gemvt_double_buffered_kernelILb1ELi128ELi4ELi16EdPKddEviiT4_lPKT3_lilS5_lilPT5_lili
	.p2align	8
	.type	_ZL36rocblas_gemvt_double_buffered_kernelILb1ELi128ELi4ELi16EdPKddEviiT4_lPKT3_lilS5_lilPT5_lili,@function
_ZL36rocblas_gemvt_double_buffered_kernelILb1ELi128ELi4ELi16EdPKddEviiT4_lPKT3_lilS5_lilPT5_lili: ; @_ZL36rocblas_gemvt_double_buffered_kernelILb1ELi128ELi4ELi16EdPKddEviiT4_lPKT3_lilS5_lilPT5_lili
; %bb.0:
	s_load_dwordx8 s[12:19], s[4:5], 0x8
	s_waitcnt lgkmcnt(0)
	s_mul_i32 s0, s15, s8
	s_mul_hi_u32 s1, s14, s8
	s_add_i32 s1, s1, s0
	s_mul_i32 s0, s14, s8
	s_lshl_b64 s[0:1], s[0:1], 3
	s_add_u32 s0, s12, s0
	s_addc_u32 s1, s13, s1
	s_load_dwordx2 s[10:11], s[0:1], 0x0
	s_waitcnt lgkmcnt(0)
	v_cmp_eq_f64_e64 s0, s[10:11], 0
	s_and_b32 vcc_lo, exec_lo, s0
	s_cbranch_vccnz .LBB94_12
; %bb.1:
	s_clause 0x1
	s_load_dword s0, s[4:5], 0x84
	s_load_dword s1, s[4:5], 0x0
	s_waitcnt lgkmcnt(0)
	v_cvt_f32_u32_e32 v2, s0
	s_ashr_i32 s3, s1, 31
	s_sub_i32 s9, 0, s0
	s_lshr_b32 s3, s3, 25
	s_add_i32 s1, s1, s3
	v_rcp_iflag_f32_e32 v2, v2
	s_ashr_i32 s1, s1, 7
	v_mul_f32_e32 v2, 0x4f7ffffe, v2
	v_cvt_u32_f32_e32 v2, v2
	v_readfirstlane_b32 s2, v2
	s_mul_i32 s9, s9, s2
	s_mul_hi_u32 s3, s2, s9
	s_add_i32 s2, s2, s3
	s_mul_hi_u32 s2, s1, s2
	s_mul_i32 s3, s2, s0
	s_add_i32 s9, s2, 1
	s_sub_i32 s3, s1, s3
	s_sub_i32 s12, s3, s0
	s_cmp_ge_u32 s3, s0
	s_cselect_b32 s2, s9, s2
	s_cselect_b32 s3, s12, s3
	s_add_i32 s9, s2, 1
	s_cmp_ge_u32 s3, s0
	s_cselect_b32 s20, s9, s2
	s_mul_i32 s0, s20, s0
	s_sub_i32 s21, s1, s0
	s_cmp_lt_u32 s7, s21
	s_cselect_b32 s0, -1, 0
	s_cmp_lg_u32 s0, 0
	s_addc_u32 s9, s20, 0
	s_cmp_eq_u32 s9, 0
	s_cbranch_scc1 .LBB94_12
; %bb.2:
	s_clause 0x1
	s_load_dwordx4 s[0:3], s[4:5], 0x50
	s_load_dwordx2 s[12:13], s[4:5], 0x60
	v_lshl_add_u32 v35, v1, 7, v0
	v_and_b32_e32 v2, 63, v0
	s_lshl_b32 s14, s6, 7
	s_ashr_i32 s15, s14, 31
	v_lshrrev_b32_e32 v141, 2, v35
	v_lshlrev_b32_e32 v142, 3, v2
	s_cmp_lt_i32 s9, 1
	v_and_b32_e32 v143, 0x7ff0, v141
	s_cbranch_scc1 .LBB94_8
; %bb.3:
	v_cvt_f64_i32_e32 v[3:4], s7
	v_cvt_f64_u32_e32 v[5:6], s21
	s_mul_i32 s20, s20, s7
	s_load_dwordx4 s[28:31], s[4:5], 0x30
	v_cvt_f64_u32_e32 v[7:8], s20
	s_clause 0x2
	s_load_dword s20, s[4:5], 0x28
	s_load_dword s22, s[4:5], 0x48
	s_load_dwordx2 s[6:7], s[4:5], 0x40
	s_waitcnt lgkmcnt(0)
	s_mul_i32 s1, s1, s8
	s_mul_hi_u32 s33, s0, s8
	s_mul_i32 s0, s0, s8
	v_lshlrev_b32_e32 v67, 1, v35
	v_mov_b32_e32 v35, 0
	v_mov_b32_e32 v63, 0
	;; [unrolled: 1-line block ×4, first 2 shown]
	v_and_b32_e32 v69, 0x3ff80, v67
	v_mov_b32_e32 v55, 0
	v_mov_b32_e32 v57, 0
	;; [unrolled: 1-line block ×8, first 2 shown]
	v_min_f64 v[3:4], v[3:4], v[5:6]
	s_mul_i32 s21, s29, s8
	s_mul_hi_u32 s23, s28, s8
	s_mul_i32 s24, s28, s8
	s_add_i32 s25, s23, s21
	s_ashr_i32 s21, s20, 31
	s_lshl_b64 s[24:25], s[24:25], 3
	s_ashr_i32 s23, s22, 31
	s_add_u32 s28, s16, s24
	s_addc_u32 s29, s17, s25
	s_lshl_b64 s[26:27], s[18:19], 3
	s_mul_hi_i32 s19, s20, s14
	s_add_u32 s34, s28, s26
	s_addc_u32 s35, s29, s27
	s_add_i32 s1, s33, s1
	s_mul_i32 s18, s20, s14
	s_lshl_b64 s[0:1], s[0:1], 3
	v_mov_b32_e32 v39, 0
	s_add_u32 s28, s30, s0
	s_addc_u32 s29, s31, s1
	s_lshl_b64 s[0:1], s[6:7], 3
	v_mov_b32_e32 v41, 0
	v_add_f64 v[4:5], v[3:4], v[7:8]
	v_mov_b32_e32 v3, 0
	s_add_u32 s28, s28, s0
	s_addc_u32 s29, s29, s1
	s_lshl_b64 s[0:1], s[18:19], 3
	v_mov_b32_e32 v37, 0
	s_add_u32 s7, s34, s0
	s_addc_u32 s18, s35, s1
	v_mov_b32_e32 v65, 0
	v_mov_b32_e32 v36, 0
	;; [unrolled: 1-line block ×14, first 2 shown]
	v_cvt_i32_f64_e32 v5, v[4:5]
	v_mad_i64_i32 v[3:4], null, s20, v143, v[2:3]
	v_mov_b32_e32 v42, 0
	v_mov_b32_e32 v38, 0
	;; [unrolled: 1-line block ×3, first 2 shown]
	v_lshlrev_b64 v[3:4], 3, v[3:4]
	v_readfirstlane_b32 s6, v5
	s_lshl_b32 s0, s6, 7
	s_ashr_i32 s1, s0, 31
	s_lshl_b64 s[0:1], s[0:1], 3
	s_add_u32 s6, s7, s0
	s_addc_u32 s7, s18, s1
	v_add_co_u32 v3, vcc_lo, s6, v3
	v_add_co_ci_u32_e64 v4, null, s7, v4, vcc_lo
	s_lshl_b64 s[6:7], s[20:21], 3
	v_or_b32_e32 v70, s0, v142
	s_sub_u32 s18, 0, s6
	v_mad_i64_i32 v[33:34], null, 0x78, s20, v[3:4]
	s_subb_u32 s19, 0, s7
	s_lshl_b64 s[34:35], s[14:15], 3
	s_add_i32 s30, s9, -1
	v_add_co_u32 v71, s15, v69, s34
	v_add_co_ci_u32_e64 v72, null, 0, s35, s15
	v_add_co_u32 v5, vcc_lo, v33, s18
	v_add_co_ci_u32_e64 v6, null, s19, v34, vcc_lo
	v_mul_lo_u32 v73, v70, s23
	v_add_co_u32 v7, vcc_lo, v5, s18
	v_add_co_ci_u32_e64 v8, null, s19, v6, vcc_lo
	v_mad_u64_u32 v[67:68], null, v70, s22, 0
	v_add_co_u32 v9, vcc_lo, v7, s18
	v_add_co_ci_u32_e64 v10, null, s19, v8, vcc_lo
	s_clause 0x2
	global_load_dwordx2 v[3:4], v[3:4], off
	global_load_dwordx2 v[5:6], v[5:6], off
	;; [unrolled: 1-line block ×3, first 2 shown]
	v_add_co_u32 v11, vcc_lo, v9, s18
	v_add_co_ci_u32_e64 v12, null, s19, v10, vcc_lo
	s_mul_i32 s31, s1, s22
	v_add_co_u32 v13, vcc_lo, v11, s18
	v_add_co_ci_u32_e64 v14, null, s19, v12, vcc_lo
	s_clause 0x1
	global_load_dwordx2 v[9:10], v[9:10], off
	global_load_dwordx2 v[11:12], v[11:12], off
	v_add_co_u32 v15, vcc_lo, v13, s18
	v_add_co_ci_u32_e64 v16, null, s19, v14, vcc_lo
	global_load_dwordx2 v[13:14], v[13:14], off
	v_add_co_u32 v17, vcc_lo, v15, s18
	v_add_co_ci_u32_e64 v18, null, s19, v16, vcc_lo
	;; [unrolled: 3-line block ×6, first 2 shown]
	v_add3_u32 v68, v68, v73, s31
	v_add_co_u32 v27, vcc_lo, v25, s18
	v_add_co_ci_u32_e64 v28, null, s19, v26, vcc_lo
	v_or_b32_e32 v70, 0x200, v70
	v_add_co_u32 v29, vcc_lo, v27, s18
	v_add_co_ci_u32_e64 v30, null, s19, v28, vcc_lo
	v_mul_lo_u32 v103, v70, s23
	v_add_co_u32 v31, vcc_lo, v29, s18
	v_add_co_ci_u32_e64 v32, null, s19, v30, vcc_lo
	global_load_dwordx2 v[23:24], v[23:24], off
	global_load_dwordx2 v[25:26], v[25:26], off
	;; [unrolled: 1-line block ×6, first 2 shown]
	v_add_co_u32 v75, vcc_lo, v71, 8
	v_add_co_ci_u32_e64 v76, null, 0, v72, vcc_lo
	v_add_co_u32 v77, vcc_lo, v71, 16
	v_add_co_ci_u32_e64 v78, null, 0, v72, vcc_lo
	;; [unrolled: 2-line block ×5, first 2 shown]
	v_add_co_u32 v85, vcc_lo, v71, 48
	s_lshl_b64 s[18:19], s[22:23], 10
	s_add_u32 s0, s16, s0
	v_add_co_ci_u32_e64 v86, null, 0, v72, vcc_lo
	v_add_co_u32 v87, vcc_lo, v71, 56
	s_addc_u32 s1, s17, s1
	s_add_u32 s0, s0, s26
	v_add_co_ci_u32_e64 v88, null, 0, v72, vcc_lo
	v_add_co_u32 v89, vcc_lo, v71, 64
	s_addc_u32 s1, s1, s27
	;; [unrolled: 4-line block ×3, first 2 shown]
	v_add_co_ci_u32_e64 v92, null, 0, v72, vcc_lo
	v_add_co_u32 v93, vcc_lo, 0x50, v71
	v_mad_u64_u32 v[73:74], null, v75, s20, s[0:1]
	v_mul_lo_u32 v108, v75, s21
	v_mul_lo_u32 v109, v76, s20
	v_add_co_ci_u32_e64 v94, null, 0, v72, vcc_lo
	v_add_co_u32 v95, vcc_lo, 0x58, v71
	v_mad_u64_u32 v[75:76], null, v77, s20, s[0:1]
	v_mul_lo_u32 v110, v77, s21
	v_mul_lo_u32 v111, v78, s20
	;; [unrolled: 5-line block ×5, first 2 shown]
	v_add3_u32 v74, v109, v74, v108
	v_add_co_ci_u32_e64 v102, null, 0, v72, vcc_lo
	v_add_co_u32 v106, vcc_lo, 0x78, v71
	v_mad_u64_u32 v[83:84], null, v85, s20, s[0:1]
	v_mul_lo_u32 v118, v85, s21
	v_mul_lo_u32 v119, v86, s20
	v_add3_u32 v76, v111, v76, v110
	v_add_co_ci_u32_e64 v107, null, 0, v72, vcc_lo
	v_add_co_u32 v144, vcc_lo, 0x400, v73
	v_mad_u64_u32 v[85:86], null, v87, s20, s[0:1]
	v_mul_lo_u32 v120, v87, s21
	v_mul_lo_u32 v121, v88, s20
	;; [unrolled: 6-line block ×10, first 2 shown]
	v_add3_u32 v94, v129, v94, v128
	v_add_co_ci_u32_e64 v161, null, 0, v90, vcc_lo
	v_add_co_u32 v162, vcc_lo, 0x400, v91
	v_add3_u32 v96, v131, v96, v130
	v_add_co_ci_u32_e64 v163, null, 0, v92, vcc_lo
	v_add_co_u32 v164, vcc_lo, 0x400, v93
	v_add3_u32 v98, v133, v98, v132
	v_mad_u64_u32 v[69:70], null, v70, s22, 0
	v_mul_lo_u32 v104, v71, s21
	v_mul_lo_u32 v105, v72, s20
	v_mad_u64_u32 v[71:72], null, v71, s20, s[0:1]
	v_add_co_ci_u32_e64 v165, null, 0, v94, vcc_lo
	v_add_co_u32 v166, vcc_lo, 0x400, v95
	v_add3_u32 v100, v135, v100, v134
	v_add_co_ci_u32_e64 v167, null, 0, v96, vcc_lo
	v_add_co_u32 v168, vcc_lo, 0x400, v97
	v_add3_u32 v102, v107, v102, v106
	v_add_co_ci_u32_e64 v169, null, 0, v98, vcc_lo
	v_add_co_u32 v170, vcc_lo, 0x400, v99
	v_add_co_ci_u32_e64 v171, null, 0, v100, vcc_lo
	v_add_co_u32 v172, vcc_lo, 0x400, v101
	v_add3_u32 v70, v70, v103, s31
	v_add3_u32 v72, v105, v72, v104
	v_add_co_ci_u32_e64 v173, null, 0, v102, vcc_lo
	s_mov_b32 s1, 0
	s_waitcnt vmcnt(15)
	v_mov_b32_e32 v74, v4
	s_waitcnt vmcnt(14)
	v_mov_b32_e32 v102, v6
	;; [unrolled: 2-line block ×3, first 2 shown]
	v_mov_b32_e32 v73, v3
	v_mov_b32_e32 v101, v5
	;; [unrolled: 1-line block ×3, first 2 shown]
	s_waitcnt vmcnt(12)
	v_mov_b32_e32 v98, v10
	s_waitcnt vmcnt(11)
	v_mov_b32_e32 v96, v12
	v_mov_b32_e32 v97, v9
	;; [unrolled: 1-line block ×3, first 2 shown]
	s_waitcnt vmcnt(10)
	v_mov_b32_e32 v94, v14
	v_mov_b32_e32 v93, v13
	s_waitcnt vmcnt(9)
	v_mov_b32_e32 v92, v16
	v_mov_b32_e32 v91, v15
	s_waitcnt vmcnt(8)
	v_mov_b32_e32 v90, v18
	v_mov_b32_e32 v89, v17
	s_waitcnt vmcnt(7)
	v_mov_b32_e32 v88, v20
	v_mov_b32_e32 v87, v19
	s_waitcnt vmcnt(6)
	v_mov_b32_e32 v86, v22
	v_mov_b32_e32 v85, v21
	s_waitcnt vmcnt(5)
	v_mov_b32_e32 v84, v24
	s_waitcnt vmcnt(4)
	v_mov_b32_e32 v82, v26
	s_waitcnt vmcnt(3)
	v_mov_b32_e32 v80, v28
	s_waitcnt vmcnt(2)
	v_mov_b32_e32 v78, v30
	s_waitcnt vmcnt(1)
	v_mov_b32_e32 v76, v32
	s_waitcnt vmcnt(0)
	v_mov_b32_e32 v104, v34
	v_mov_b32_e32 v83, v23
	v_mov_b32_e32 v81, v25
	;; [unrolled: 1-line block ×6, first 2 shown]
.LBB94_4:                               ; =>This Inner Loop Header: Depth=1
	v_add_co_u32 v139, vcc_lo, v71, v142
	v_add_co_ci_u32_e64 v140, null, 0, v72, vcc_lo
	s_cmp_lg_u32 s30, s1
	v_add_co_u32 v105, vcc_lo, 0x200, v139
	v_add_co_ci_u32_e64 v106, null, 0, v140, vcc_lo
	v_add_co_u32 v107, vcc_lo, v105, s6
	v_add_co_ci_u32_e64 v108, null, s7, v106, vcc_lo
	global_load_dwordx2 v[105:106], v[139:140], off offset:512
	v_add_co_u32 v109, vcc_lo, v107, s6
	v_add_co_ci_u32_e64 v110, null, s7, v108, vcc_lo
	v_add_co_u32 v137, vcc_lo, s28, v67
	v_add_co_u32 v111, s0, v109, s6
	v_add_co_ci_u32_e64 v112, null, s7, v110, s0
	v_add_co_ci_u32_e64 v138, null, s29, v68, vcc_lo
	v_add_co_u32 v113, vcc_lo, v111, s6
	v_add_co_ci_u32_e64 v114, null, s7, v112, vcc_lo
	s_clause 0x2
	global_load_dwordx2 v[107:108], v[107:108], off
	global_load_dwordx2 v[109:110], v[109:110], off
	;; [unrolled: 1-line block ×3, first 2 shown]
	v_add_co_u32 v115, vcc_lo, v113, s6
	v_add_co_ci_u32_e64 v116, null, s7, v114, vcc_lo
	global_load_dwordx2 v[113:114], v[113:114], off
	v_add_co_u32 v117, vcc_lo, v115, s6
	v_add_co_ci_u32_e64 v118, null, s7, v116, vcc_lo
	global_load_dwordx2 v[115:116], v[115:116], off
	;; [unrolled: 3-line block ×7, first 2 shown]
	v_add_co_u32 v129, vcc_lo, v127, s6
	v_add_co_ci_u32_e64 v130, null, s7, v128, vcc_lo
	v_add_co_u32 v131, vcc_lo, v129, s6
	v_add_co_ci_u32_e64 v132, null, s7, v130, vcc_lo
	v_add_co_u32 v133, vcc_lo, v131, s6
	v_add_co_ci_u32_e64 v134, null, s7, v132, vcc_lo
	v_add_co_u32 v135, vcc_lo, v133, s6
	v_add_co_ci_u32_e64 v136, null, s7, v134, vcc_lo
	global_load_dwordx2 v[127:128], v[127:128], off
	global_load_dwordx2 v[129:130], v[129:130], off
	;; [unrolled: 1-line block ×6, first 2 shown]
	s_cbranch_scc0 .LBB94_6
; %bb.5:                                ;   in Loop: Header=BB94_4 Depth=1
	v_add_co_u32 v75, vcc_lo, v144, v142
	v_add_co_ci_u32_e64 v76, null, 0, v145, vcc_lo
	v_add_co_u32 v77, vcc_lo, v146, v142
	v_add_co_ci_u32_e64 v78, null, 0, v147, vcc_lo
	v_add_co_u32 v79, vcc_lo, v148, v142
	v_add_co_ci_u32_e64 v80, null, 0, v149, vcc_lo
	v_add_co_u32 v81, vcc_lo, v150, v142
	v_add_co_ci_u32_e64 v82, null, 0, v151, vcc_lo
	v_add_co_u32 v83, vcc_lo, v152, v142
	v_add_co_ci_u32_e64 v84, null, 0, v153, vcc_lo
	v_add_co_u32 v85, vcc_lo, v154, v142
	v_add_co_ci_u32_e64 v86, null, 0, v155, vcc_lo
	v_add_co_u32 v87, vcc_lo, v156, v142
	v_add_co_ci_u32_e64 v88, null, 0, v157, vcc_lo
	v_add_co_u32 v89, vcc_lo, v158, v142
	v_add_co_ci_u32_e64 v90, null, 0, v159, vcc_lo
	v_add_co_u32 v91, vcc_lo, v160, v142
	v_add_co_ci_u32_e64 v92, null, 0, v161, vcc_lo
	v_add_co_u32 v93, vcc_lo, v162, v142
	v_add_co_ci_u32_e64 v94, null, 0, v163, vcc_lo
	v_add_co_u32 v95, vcc_lo, v164, v142
	v_add_co_ci_u32_e64 v96, null, 0, v165, vcc_lo
	v_add_co_u32 v97, vcc_lo, v166, v142
	v_add_co_ci_u32_e64 v98, null, 0, v167, vcc_lo
	v_add_co_u32 v99, vcc_lo, v168, v142
	v_add_co_ci_u32_e64 v100, null, 0, v169, vcc_lo
	v_add_co_u32 v101, vcc_lo, v170, v142
	v_add_co_ci_u32_e64 v102, null, 0, v171, vcc_lo
	v_add_co_u32 v103, vcc_lo, v172, v142
	v_add_co_ci_u32_e64 v104, null, 0, v173, vcc_lo
	global_load_dwordx2 v[73:74], v[139:140], off offset:1024
	global_load_dwordx2 v[75:76], v[75:76], off
	global_load_dwordx2 v[77:78], v[77:78], off
	;; [unrolled: 1-line block ×15, first 2 shown]
.LBB94_6:                               ;   in Loop: Header=BB94_4 Depth=1
	v_add_co_u32 v139, vcc_lo, s28, v69
	v_add_co_ci_u32_e64 v140, null, s29, v70, vcc_lo
	s_waitcnt vmcnt(0)
	v_fma_f64 v[3:4], v[3:4], v[137:138], v[35:36]
	v_fma_f64 v[31:32], v[31:32], v[137:138], v[63:64]
	;; [unrolled: 1-line block ×3, first 2 shown]
	global_load_dwordx2 v[139:140], v[139:140], off
	v_fma_f64 v[27:28], v[27:28], v[137:138], v[61:62]
	v_fma_f64 v[25:26], v[25:26], v[137:138], v[55:56]
	;; [unrolled: 1-line block ×13, first 2 shown]
	v_add_co_u32 v71, vcc_lo, 0x400, v71
	v_add_co_ci_u32_e64 v72, null, 0, v72, vcc_lo
	v_add_co_u32 v144, vcc_lo, 0x400, v144
	v_add_co_ci_u32_e64 v145, null, 0, v145, vcc_lo
	;; [unrolled: 2-line block ×15, first 2 shown]
	v_add_co_u32 v172, vcc_lo, 0x400, v172
	s_add_i32 s1, s1, 1
	v_add_co_ci_u32_e64 v173, null, 0, v173, vcc_lo
	s_add_u32 s28, s28, s18
	s_addc_u32 s29, s29, s19
	s_cmp_ge_i32 s1, s9
	s_waitcnt vmcnt(0)
	v_fma_f64 v[35:36], v[105:106], v[139:140], v[3:4]
	v_fma_f64 v[63:64], v[107:108], v[139:140], v[31:32]
	;; [unrolled: 1-line block ×16, first 2 shown]
	s_cbranch_scc1 .LBB94_9
; %bb.7:                                ;   in Loop: Header=BB94_4 Depth=1
	v_mov_b32_e32 v3, v73
	v_mov_b32_e32 v31, v75
	;; [unrolled: 1-line block ×32, first 2 shown]
	s_branch .LBB94_4
.LBB94_8:
	v_mov_b32_e32 v65, 0
	v_mov_b32_e32 v37, 0
	;; [unrolled: 1-line block ×32, first 2 shown]
.LBB94_9:
	v_lshlrev_b32_e32 v4, 9, v141
	v_lshl_or_b32 v3, v143, 9, v142
	s_waitcnt lgkmcnt(0)
	s_mov_b32 s0, 0
	s_mov_b32 s1, exec_lo
	ds_write2st64_b64 v3, v[35:36], v[63:64] offset1:1
	ds_write2st64_b64 v3, v[59:60], v[61:62] offset0:2 offset1:3
	ds_write2st64_b64 v3, v[55:56], v[57:58] offset0:4 offset1:5
	;; [unrolled: 1-line block ×3, first 2 shown]
	v_or3_b32 v4, v4, v142, 0x1e00
	ds_write2st64_b64 v3, v[47:48], v[49:50] offset0:8 offset1:9
	ds_write2st64_b64 v3, v[43:44], v[45:46] offset0:10 offset1:11
	;; [unrolled: 1-line block ×3, first 2 shown]
	ds_write_b64 v3, v[37:38] offset:7168
	ds_write_b64 v4, v[65:66]
	s_waitcnt lgkmcnt(0)
	s_barrier
	buffer_gl0_inv
	v_cmpx_eq_u32_e32 0, v1
	s_cbranch_execz .LBB94_12
; %bb.10:
	v_lshlrev_b32_e32 v1, 9, v0
	v_add_nc_u32_e32 v5, 1, v0
	v_add_nc_u32_e32 v6, 2, v0
	;; [unrolled: 1-line block ×3, first 2 shown]
	v_lshl_or_b32 v3, v2, 3, v1
	v_and_b32_e32 v5, 63, v5
	v_and_b32_e32 v6, 63, v6
	v_and_b32_e32 v7, 63, v7
	v_xor_b32_e32 v2, 32, v2
	ds_read_b64 v[3:4], v3
	v_lshl_or_b32 v5, v5, 3, v1
	v_lshl_or_b32 v8, v6, 3, v1
	;; [unrolled: 1-line block ×3, first 2 shown]
	ds_read_b64 v[5:6], v5
	ds_read_b64 v[7:8], v8
	;; [unrolled: 1-line block ×3, first 2 shown]
	s_waitcnt lgkmcnt(3)
	v_add_f64 v[3:4], v[3:4], 0
	s_waitcnt lgkmcnt(2)
	v_add_f64 v[3:4], v[3:4], v[5:6]
	v_add_nc_u32_e32 v5, 4, v0
	v_and_b32_e32 v5, 63, v5
	v_lshl_or_b32 v5, v5, 3, v1
	ds_read_b64 v[5:6], v5
	s_waitcnt lgkmcnt(2)
	v_add_f64 v[3:4], v[3:4], v[7:8]
	v_add_nc_u32_e32 v7, 5, v0
	v_add_nc_u32_e32 v8, 6, v0
	v_and_b32_e32 v7, 63, v7
	v_and_b32_e32 v8, 63, v8
	v_lshl_or_b32 v7, v7, 3, v1
	s_waitcnt lgkmcnt(1)
	v_add_f64 v[3:4], v[3:4], v[9:10]
	v_add_nc_u32_e32 v9, 7, v0
	v_lshl_or_b32 v10, v8, 3, v1
	v_and_b32_e32 v9, 63, v9
	v_lshl_or_b32 v11, v9, 3, v1
	ds_read_b64 v[7:8], v7
	ds_read_b64 v[9:10], v10
	ds_read_b64 v[11:12], v11
	s_waitcnt lgkmcnt(3)
	v_add_f64 v[3:4], v[3:4], v[5:6]
	v_add_nc_u32_e32 v5, 8, v0
	v_and_b32_e32 v5, 63, v5
	v_lshl_or_b32 v5, v5, 3, v1
	ds_read_b64 v[5:6], v5
	s_waitcnt lgkmcnt(3)
	v_add_f64 v[3:4], v[3:4], v[7:8]
	v_add_nc_u32_e32 v7, 9, v0
	v_add_nc_u32_e32 v8, 10, v0
	v_and_b32_e32 v7, 63, v7
	v_and_b32_e32 v8, 63, v8
	v_lshl_or_b32 v7, v7, 3, v1
	s_waitcnt lgkmcnt(2)
	v_add_f64 v[3:4], v[3:4], v[9:10]
	v_add_nc_u32_e32 v9, 11, v0
	v_lshl_or_b32 v10, v8, 3, v1
	v_and_b32_e32 v9, 63, v9
	s_waitcnt lgkmcnt(1)
	v_add_f64 v[3:4], v[3:4], v[11:12]
	v_lshl_or_b32 v11, v9, 3, v1
	ds_read_b64 v[7:8], v7
	ds_read_b64 v[9:10], v10
	ds_read_b64 v[11:12], v11
	s_waitcnt lgkmcnt(3)
	v_add_f64 v[3:4], v[3:4], v[5:6]
	v_add_nc_u32_e32 v5, 12, v0
	v_and_b32_e32 v5, 63, v5
	v_lshl_or_b32 v5, v5, 3, v1
	ds_read_b64 v[5:6], v5
	s_waitcnt lgkmcnt(3)
	v_add_f64 v[3:4], v[3:4], v[7:8]
	v_add_nc_u32_e32 v7, 13, v0
	v_add_nc_u32_e32 v8, 14, v0
	v_and_b32_e32 v7, 63, v7
	v_and_b32_e32 v8, 63, v8
	v_lshl_or_b32 v7, v7, 3, v1
	s_waitcnt lgkmcnt(2)
	v_add_f64 v[3:4], v[3:4], v[9:10]
	v_add_nc_u32_e32 v9, 15, v0
	v_lshl_or_b32 v10, v8, 3, v1
	v_and_b32_e32 v9, 63, v9
	s_waitcnt lgkmcnt(1)
	v_add_f64 v[3:4], v[3:4], v[11:12]
	;; [unrolled: 24-line block ×6, first 2 shown]
	v_lshl_or_b32 v11, v9, 3, v1
	ds_read_b64 v[7:8], v7
	ds_read_b64 v[9:10], v10
	;; [unrolled: 1-line block ×3, first 2 shown]
	s_waitcnt lgkmcnt(3)
	v_add_f64 v[3:4], v[3:4], v[5:6]
	v_lshl_or_b32 v5, v2, 3, v1
	v_add_nc_u32_e32 v6, 33, v0
	v_and_b32_e32 v6, 63, v6
	v_lshl_or_b32 v6, v6, 3, v1
	s_waitcnt lgkmcnt(2)
	v_add_f64 v[3:4], v[3:4], v[7:8]
	v_add_nc_u32_e32 v7, 34, v0
	v_add_nc_u32_e32 v8, 35, v0
	v_and_b32_e32 v7, 63, v7
	v_and_b32_e32 v8, 63, v8
	s_waitcnt lgkmcnt(1)
	v_add_f64 v[3:4], v[3:4], v[9:10]
	v_lshl_or_b32 v9, v7, 3, v1
	v_lshl_or_b32 v10, v8, 3, v1
	s_waitcnt lgkmcnt(0)
	v_add_f64 v[2:3], v[3:4], v[11:12]
	ds_read_b64 v[4:5], v5
	ds_read_b64 v[6:7], v6
	;; [unrolled: 1-line block ×4, first 2 shown]
	v_add_nc_u32_e32 v12, 55, v0
	v_and_b32_e32 v12, 63, v12
	v_lshl_or_b32 v14, v12, 3, v1
	s_waitcnt lgkmcnt(3)
	v_add_f64 v[2:3], v[2:3], v[4:5]
	v_add_nc_u32_e32 v4, 36, v0
	v_and_b32_e32 v4, 63, v4
	v_lshl_or_b32 v4, v4, 3, v1
	ds_read_b64 v[4:5], v4
	s_waitcnt lgkmcnt(3)
	v_add_f64 v[2:3], v[2:3], v[6:7]
	v_add_nc_u32_e32 v6, 37, v0
	v_add_nc_u32_e32 v7, 38, v0
	v_and_b32_e32 v6, 63, v6
	v_and_b32_e32 v7, 63, v7
	v_lshl_or_b32 v6, v6, 3, v1
	s_waitcnt lgkmcnt(2)
	v_add_f64 v[2:3], v[2:3], v[8:9]
	v_add_nc_u32_e32 v8, 39, v0
	v_lshl_or_b32 v9, v7, 3, v1
	v_and_b32_e32 v8, 63, v8
	s_waitcnt lgkmcnt(1)
	v_add_f64 v[2:3], v[2:3], v[10:11]
	v_lshl_or_b32 v10, v8, 3, v1
	ds_read_b64 v[6:7], v6
	ds_read_b64 v[8:9], v9
	ds_read_b64 v[10:11], v10
	s_waitcnt lgkmcnt(3)
	v_add_f64 v[2:3], v[2:3], v[4:5]
	v_add_nc_u32_e32 v4, 40, v0
	v_and_b32_e32 v4, 63, v4
	v_lshl_or_b32 v4, v4, 3, v1
	ds_read_b64 v[4:5], v4
	s_waitcnt lgkmcnt(3)
	v_add_f64 v[2:3], v[2:3], v[6:7]
	v_add_nc_u32_e32 v6, 41, v0
	v_add_nc_u32_e32 v7, 42, v0
	v_and_b32_e32 v6, 63, v6
	v_and_b32_e32 v7, 63, v7
	v_lshl_or_b32 v6, v6, 3, v1
	s_waitcnt lgkmcnt(2)
	v_add_f64 v[2:3], v[2:3], v[8:9]
	v_add_nc_u32_e32 v8, 43, v0
	v_lshl_or_b32 v9, v7, 3, v1
	v_and_b32_e32 v8, 63, v8
	s_waitcnt lgkmcnt(1)
	v_add_f64 v[2:3], v[2:3], v[10:11]
	v_lshl_or_b32 v10, v8, 3, v1
	ds_read_b64 v[6:7], v6
	ds_read_b64 v[8:9], v9
	ds_read_b64 v[10:11], v10
	;; [unrolled: 24-line block ×4, first 2 shown]
	s_clause 0x1
	s_load_dwordx2 s[6:7], s[4:5], 0x70
	s_load_dword s1, s[4:5], 0x68
	s_waitcnt lgkmcnt(0)
	v_add_f64 v[2:3], v[2:3], v[4:5]
	s_mul_i32 s4, s7, s8
	s_mul_hi_u32 s5, s6, s8
	v_mad_i64_i32 v[4:5], null, s1, v0, 0
	s_add_i32 s5, s5, s4
	s_mul_i32 s4, s6, s8
	s_lshl_b64 s[4:5], s[4:5], 3
	s_add_u32 s4, s2, s4
	s_addc_u32 s6, s3, s5
	s_lshl_b64 s[2:3], s[12:13], 3
	s_mul_hi_i32 s5, s1, s14
	s_add_u32 s7, s4, s2
	s_mul_i32 s4, s1, s14
	v_lshlrev_b64 v[4:5], 3, v[4:5]
	s_addc_u32 s1, s6, s3
	s_lshl_b64 s[2:3], s[4:5], 3
	s_add_u32 s2, s7, s2
	v_add_f64 v[2:3], v[2:3], v[6:7]
	s_addc_u32 s1, s1, s3
	v_add_co_u32 v4, vcc_lo, s2, v4
	v_add_co_ci_u32_e64 v5, null, s1, v5, vcc_lo
	v_add_f64 v[6:7], v[2:3], v[8:9]
	v_add_nc_u32_e32 v8, 52, v0
	global_load_dwordx2 v[2:3], v[4:5], off
	v_and_b32_e32 v8, 63, v8
	v_lshl_or_b32 v8, v8, 3, v1
	ds_read_b64 v[8:9], v8
	v_add_f64 v[6:7], v[6:7], v[10:11]
	v_add_nc_u32_e32 v10, 53, v0
	v_add_nc_u32_e32 v11, 54, v0
	v_and_b32_e32 v10, 63, v10
	v_and_b32_e32 v11, 63, v11
	v_lshl_or_b32 v10, v10, 3, v1
	v_lshl_or_b32 v13, v11, 3, v1
	ds_read_b64 v[10:11], v10
	ds_read_b64 v[12:13], v13
	;; [unrolled: 1-line block ×3, first 2 shown]
	s_waitcnt lgkmcnt(3)
	v_add_f64 v[6:7], v[6:7], v[8:9]
	v_add_nc_u32_e32 v8, 56, v0
	v_and_b32_e32 v8, 63, v8
	v_lshl_or_b32 v8, v8, 3, v1
	ds_read_b64 v[8:9], v8
	s_waitcnt lgkmcnt(3)
	v_add_f64 v[6:7], v[6:7], v[10:11]
	v_add_nc_u32_e32 v10, 57, v0
	v_add_nc_u32_e32 v11, 58, v0
	v_and_b32_e32 v10, 63, v10
	v_and_b32_e32 v11, 63, v11
	v_lshl_or_b32 v10, v10, 3, v1
	s_waitcnt lgkmcnt(2)
	v_add_f64 v[6:7], v[6:7], v[12:13]
	v_add_nc_u32_e32 v12, 59, v0
	v_lshl_or_b32 v13, v11, 3, v1
	v_and_b32_e32 v12, 63, v12
	s_waitcnt lgkmcnt(1)
	v_add_f64 v[6:7], v[6:7], v[14:15]
	v_lshl_or_b32 v14, v12, 3, v1
	ds_read_b64 v[10:11], v10
	ds_read_b64 v[12:13], v13
	ds_read_b64 v[14:15], v14
	s_waitcnt lgkmcnt(3)
	v_add_f64 v[6:7], v[6:7], v[8:9]
	v_add_nc_u32_e32 v8, 60, v0
	v_and_b32_e32 v8, 63, v8
	v_lshl_or_b32 v8, v8, 3, v1
	ds_read_b64 v[8:9], v8
	s_waitcnt lgkmcnt(3)
	v_add_f64 v[6:7], v[6:7], v[10:11]
	v_add_nc_u32_e32 v10, 61, v0
	v_add_nc_u32_e32 v11, 62, v0
	v_add_nc_u32_e32 v0, -1, v0
	v_and_b32_e32 v10, 63, v10
	v_and_b32_e32 v11, 63, v11
	;; [unrolled: 1-line block ×3, first 2 shown]
	v_lshl_or_b32 v10, v10, 3, v1
	v_lshl_or_b32 v11, v11, 3, v1
	s_waitcnt lgkmcnt(2)
	v_add_f64 v[6:7], v[6:7], v[12:13]
	v_lshl_or_b32 v12, v0, 3, v1
	ds_read_b64 v[0:1], v10
	ds_read_b64 v[10:11], v11
	;; [unrolled: 1-line block ×3, first 2 shown]
	s_waitcnt lgkmcnt(4)
	v_add_f64 v[6:7], v[6:7], v[14:15]
	s_waitcnt lgkmcnt(3)
	v_add_f64 v[6:7], v[6:7], v[8:9]
	;; [unrolled: 2-line block ×5, first 2 shown]
	v_mul_f64 v[6:7], s[10:11], v[0:1]
.LBB94_11:                              ; =>This Inner Loop Header: Depth=1
	s_waitcnt vmcnt(0)
	v_add_f64 v[0:1], v[2:3], v[6:7]
	global_atomic_cmpswap_x2 v[0:1], v[4:5], v[0:3], off glc
	s_waitcnt vmcnt(0)
	v_cmp_eq_u64_e32 vcc_lo, v[0:1], v[2:3]
	v_mov_b32_e32 v3, v1
	v_mov_b32_e32 v2, v0
	s_or_b32 s0, vcc_lo, s0
	s_andn2_b32 exec_lo, exec_lo, s0
	s_cbranch_execnz .LBB94_11
.LBB94_12:
	s_endpgm
	.section	.rodata,"a",@progbits
	.p2align	6, 0x0
	.amdhsa_kernel _ZL36rocblas_gemvt_double_buffered_kernelILb1ELi128ELi4ELi16EdPKddEviiT4_lPKT3_lilS5_lilPT5_lili
		.amdhsa_group_segment_fixed_size 65536
		.amdhsa_private_segment_fixed_size 0
		.amdhsa_kernarg_size 384
		.amdhsa_user_sgpr_count 6
		.amdhsa_user_sgpr_private_segment_buffer 1
		.amdhsa_user_sgpr_dispatch_ptr 0
		.amdhsa_user_sgpr_queue_ptr 0
		.amdhsa_user_sgpr_kernarg_segment_ptr 1
		.amdhsa_user_sgpr_dispatch_id 0
		.amdhsa_user_sgpr_flat_scratch_init 0
		.amdhsa_user_sgpr_private_segment_size 0
		.amdhsa_wavefront_size32 1
		.amdhsa_uses_dynamic_stack 0
		.amdhsa_system_sgpr_private_segment_wavefront_offset 0
		.amdhsa_system_sgpr_workgroup_id_x 1
		.amdhsa_system_sgpr_workgroup_id_y 1
		.amdhsa_system_sgpr_workgroup_id_z 1
		.amdhsa_system_sgpr_workgroup_info 0
		.amdhsa_system_vgpr_workitem_id 1
		.amdhsa_next_free_vgpr 174
		.amdhsa_next_free_sgpr 36
		.amdhsa_reserve_vcc 1
		.amdhsa_reserve_flat_scratch 0
		.amdhsa_float_round_mode_32 0
		.amdhsa_float_round_mode_16_64 0
		.amdhsa_float_denorm_mode_32 3
		.amdhsa_float_denorm_mode_16_64 3
		.amdhsa_dx10_clamp 1
		.amdhsa_ieee_mode 1
		.amdhsa_fp16_overflow 0
		.amdhsa_workgroup_processor_mode 1
		.amdhsa_memory_ordered 1
		.amdhsa_forward_progress 1
		.amdhsa_shared_vgpr_count 0
		.amdhsa_exception_fp_ieee_invalid_op 0
		.amdhsa_exception_fp_denorm_src 0
		.amdhsa_exception_fp_ieee_div_zero 0
		.amdhsa_exception_fp_ieee_overflow 0
		.amdhsa_exception_fp_ieee_underflow 0
		.amdhsa_exception_fp_ieee_inexact 0
		.amdhsa_exception_int_div_zero 0
	.end_amdhsa_kernel
	.section	.text._ZL36rocblas_gemvt_double_buffered_kernelILb1ELi128ELi4ELi16EdPKddEviiT4_lPKT3_lilS5_lilPT5_lili,"axG",@progbits,_ZL36rocblas_gemvt_double_buffered_kernelILb1ELi128ELi4ELi16EdPKddEviiT4_lPKT3_lilS5_lilPT5_lili,comdat
.Lfunc_end94:
	.size	_ZL36rocblas_gemvt_double_buffered_kernelILb1ELi128ELi4ELi16EdPKddEviiT4_lPKT3_lilS5_lilPT5_lili, .Lfunc_end94-_ZL36rocblas_gemvt_double_buffered_kernelILb1ELi128ELi4ELi16EdPKddEviiT4_lPKT3_lilS5_lilPT5_lili
                                        ; -- End function
	.set _ZL36rocblas_gemvt_double_buffered_kernelILb1ELi128ELi4ELi16EdPKddEviiT4_lPKT3_lilS5_lilPT5_lili.num_vgpr, 174
	.set _ZL36rocblas_gemvt_double_buffered_kernelILb1ELi128ELi4ELi16EdPKddEviiT4_lPKT3_lilS5_lilPT5_lili.num_agpr, 0
	.set _ZL36rocblas_gemvt_double_buffered_kernelILb1ELi128ELi4ELi16EdPKddEviiT4_lPKT3_lilS5_lilPT5_lili.numbered_sgpr, 36
	.set _ZL36rocblas_gemvt_double_buffered_kernelILb1ELi128ELi4ELi16EdPKddEviiT4_lPKT3_lilS5_lilPT5_lili.num_named_barrier, 0
	.set _ZL36rocblas_gemvt_double_buffered_kernelILb1ELi128ELi4ELi16EdPKddEviiT4_lPKT3_lilS5_lilPT5_lili.private_seg_size, 0
	.set _ZL36rocblas_gemvt_double_buffered_kernelILb1ELi128ELi4ELi16EdPKddEviiT4_lPKT3_lilS5_lilPT5_lili.uses_vcc, 1
	.set _ZL36rocblas_gemvt_double_buffered_kernelILb1ELi128ELi4ELi16EdPKddEviiT4_lPKT3_lilS5_lilPT5_lili.uses_flat_scratch, 0
	.set _ZL36rocblas_gemvt_double_buffered_kernelILb1ELi128ELi4ELi16EdPKddEviiT4_lPKT3_lilS5_lilPT5_lili.has_dyn_sized_stack, 0
	.set _ZL36rocblas_gemvt_double_buffered_kernelILb1ELi128ELi4ELi16EdPKddEviiT4_lPKT3_lilS5_lilPT5_lili.has_recursion, 0
	.set _ZL36rocblas_gemvt_double_buffered_kernelILb1ELi128ELi4ELi16EdPKddEviiT4_lPKT3_lilS5_lilPT5_lili.has_indirect_call, 0
	.section	.AMDGPU.csdata,"",@progbits
; Kernel info:
; codeLenInByte = 6740
; TotalNumSgprs: 38
; NumVgprs: 174
; ScratchSize: 0
; MemoryBound: 0
; FloatMode: 240
; IeeeMode: 1
; LDSByteSize: 65536 bytes/workgroup (compile time only)
; SGPRBlocks: 0
; VGPRBlocks: 21
; NumSGPRsForWavesPerEU: 38
; NumVGPRsForWavesPerEU: 174
; Occupancy: 5
; WaveLimiterHint : 0
; COMPUTE_PGM_RSRC2:SCRATCH_EN: 0
; COMPUTE_PGM_RSRC2:USER_SGPR: 6
; COMPUTE_PGM_RSRC2:TRAP_HANDLER: 0
; COMPUTE_PGM_RSRC2:TGID_X_EN: 1
; COMPUTE_PGM_RSRC2:TGID_Y_EN: 1
; COMPUTE_PGM_RSRC2:TGID_Z_EN: 1
; COMPUTE_PGM_RSRC2:TIDIG_COMP_CNT: 1
	.section	.text._ZL36rocblas_gemvt_double_buffered_kernelILb1ELi128ELi4ELi16EdddEviiT4_lPKT3_lilS3_lilPT5_lili,"axG",@progbits,_ZL36rocblas_gemvt_double_buffered_kernelILb1ELi128ELi4ELi16EdddEviiT4_lPKT3_lilS3_lilPT5_lili,comdat
	.globl	_ZL36rocblas_gemvt_double_buffered_kernelILb1ELi128ELi4ELi16EdddEviiT4_lPKT3_lilS3_lilPT5_lili ; -- Begin function _ZL36rocblas_gemvt_double_buffered_kernelILb1ELi128ELi4ELi16EdddEviiT4_lPKT3_lilS3_lilPT5_lili
	.p2align	8
	.type	_ZL36rocblas_gemvt_double_buffered_kernelILb1ELi128ELi4ELi16EdddEviiT4_lPKT3_lilS3_lilPT5_lili,@function
_ZL36rocblas_gemvt_double_buffered_kernelILb1ELi128ELi4ELi16EdddEviiT4_lPKT3_lilS3_lilPT5_lili: ; @_ZL36rocblas_gemvt_double_buffered_kernelILb1ELi128ELi4ELi16EdddEviiT4_lPKT3_lilS3_lilPT5_lili
; %bb.0:
	s_load_dwordx2 s[10:11], s[4:5], 0x8
	s_waitcnt lgkmcnt(0)
	v_cmp_eq_f64_e64 s0, s[10:11], 0
	s_and_b32 vcc_lo, exec_lo, s0
	s_cbranch_vccnz .LBB95_12
; %bb.1:
	s_clause 0x1
	s_load_dword s0, s[4:5], 0x84
	s_load_dword s1, s[4:5], 0x0
	s_waitcnt lgkmcnt(0)
	v_cvt_f32_u32_e32 v2, s0
	s_ashr_i32 s3, s1, 31
	s_sub_i32 s9, 0, s0
	s_lshr_b32 s3, s3, 25
	s_add_i32 s1, s1, s3
	v_rcp_iflag_f32_e32 v2, v2
	s_ashr_i32 s1, s1, 7
	v_mul_f32_e32 v2, 0x4f7ffffe, v2
	v_cvt_u32_f32_e32 v2, v2
	v_readfirstlane_b32 s2, v2
	s_mul_i32 s9, s9, s2
	s_mul_hi_u32 s3, s2, s9
	s_add_i32 s2, s2, s3
	s_mul_hi_u32 s2, s1, s2
	s_mul_i32 s3, s2, s0
	s_add_i32 s9, s2, 1
	s_sub_i32 s3, s1, s3
	s_sub_i32 s12, s3, s0
	s_cmp_ge_u32 s3, s0
	s_cselect_b32 s2, s9, s2
	s_cselect_b32 s3, s12, s3
	s_add_i32 s9, s2, 1
	s_cmp_ge_u32 s3, s0
	s_cselect_b32 s12, s9, s2
	s_mul_i32 s0, s12, s0
	s_sub_i32 s13, s1, s0
	s_cmp_lt_u32 s7, s13
	s_cselect_b32 s0, -1, 0
	s_cmp_lg_u32 s0, 0
	s_addc_u32 s9, s12, 0
	s_cmp_eq_u32 s9, 0
	s_cbranch_scc1 .LBB95_12
; %bb.2:
	s_clause 0x1
	s_load_dwordx4 s[0:3], s[4:5], 0x50
	s_load_dwordx2 s[16:17], s[4:5], 0x60
	v_lshl_add_u32 v35, v1, 7, v0
	v_and_b32_e32 v2, 63, v0
	s_lshl_b32 s18, s6, 7
	s_ashr_i32 s19, s18, 31
	v_lshrrev_b32_e32 v141, 2, v35
	v_lshlrev_b32_e32 v142, 3, v2
	s_cmp_lt_i32 s9, 1
	v_and_b32_e32 v143, 0x7ff0, v141
	s_cbranch_scc1 .LBB95_8
; %bb.3:
	v_cvt_f64_i32_e32 v[3:4], s7
	v_cvt_f64_u32_e32 v[5:6], s13
	s_mul_i32 s12, s12, s7
	s_load_dwordx4 s[28:31], s[4:5], 0x30
	v_cvt_f64_u32_e32 v[7:8], s12
	s_clause 0x3
	s_load_dword s20, s[4:5], 0x28
	s_load_dword s22, s[4:5], 0x48
	s_load_dwordx4 s[12:15], s[4:5], 0x18
	s_load_dwordx2 s[6:7], s[4:5], 0x40
	s_waitcnt lgkmcnt(0)
	s_mul_i32 s1, s1, s8
	s_mul_hi_u32 s33, s0, s8
	s_mul_i32 s0, s0, s8
	v_lshlrev_b32_e32 v67, 1, v35
	v_mov_b32_e32 v35, 0
	v_mov_b32_e32 v63, 0
	;; [unrolled: 1-line block ×4, first 2 shown]
	v_and_b32_e32 v69, 0x3ff80, v67
	v_mov_b32_e32 v55, 0
	v_mov_b32_e32 v57, 0
	;; [unrolled: 1-line block ×8, first 2 shown]
	v_min_f64 v[3:4], v[3:4], v[5:6]
	s_mul_i32 s21, s29, s8
	s_mul_hi_u32 s23, s28, s8
	s_mul_i32 s24, s28, s8
	s_add_i32 s25, s23, s21
	s_ashr_i32 s21, s20, 31
	s_lshl_b64 s[24:25], s[24:25], 3
	s_ashr_i32 s23, s22, 31
	s_add_u32 s28, s12, s24
	s_addc_u32 s29, s13, s25
	s_lshl_b64 s[26:27], s[14:15], 3
	s_mul_hi_i32 s15, s20, s18
	s_add_u32 s34, s28, s26
	s_addc_u32 s35, s29, s27
	s_add_i32 s1, s33, s1
	s_mul_i32 s14, s20, s18
	s_lshl_b64 s[0:1], s[0:1], 3
	v_mov_b32_e32 v39, 0
	s_add_u32 s28, s30, s0
	s_addc_u32 s29, s31, s1
	s_lshl_b64 s[0:1], s[6:7], 3
	v_mov_b32_e32 v41, 0
	v_add_f64 v[4:5], v[3:4], v[7:8]
	v_mov_b32_e32 v3, 0
	s_add_u32 s28, s28, s0
	s_addc_u32 s29, s29, s1
	s_lshl_b64 s[0:1], s[14:15], 3
	v_mov_b32_e32 v37, 0
	s_add_u32 s7, s34, s0
	s_addc_u32 s14, s35, s1
	v_mov_b32_e32 v65, 0
	v_mov_b32_e32 v36, 0
	;; [unrolled: 1-line block ×14, first 2 shown]
	v_cvt_i32_f64_e32 v5, v[4:5]
	v_mad_i64_i32 v[3:4], null, s20, v143, v[2:3]
	v_mov_b32_e32 v42, 0
	v_mov_b32_e32 v38, 0
	;; [unrolled: 1-line block ×3, first 2 shown]
	v_lshlrev_b64 v[3:4], 3, v[3:4]
	v_readfirstlane_b32 s6, v5
	s_lshl_b32 s0, s6, 7
	s_ashr_i32 s1, s0, 31
	s_lshl_b64 s[0:1], s[0:1], 3
	s_add_u32 s6, s7, s0
	s_addc_u32 s7, s14, s1
	v_add_co_u32 v3, vcc_lo, s6, v3
	v_add_co_ci_u32_e64 v4, null, s7, v4, vcc_lo
	s_lshl_b64 s[6:7], s[20:21], 3
	v_or_b32_e32 v70, s0, v142
	s_sub_u32 s14, 0, s6
	v_mad_i64_i32 v[33:34], null, 0x78, s20, v[3:4]
	s_subb_u32 s15, 0, s7
	s_lshl_b64 s[34:35], s[18:19], 3
	s_add_i32 s30, s9, -1
	v_mul_lo_u32 v73, v70, s23
	v_mad_u64_u32 v[67:68], null, v70, s22, 0
	v_add_co_u32 v5, vcc_lo, v33, s14
	v_add_co_ci_u32_e64 v6, null, s15, v34, vcc_lo
	s_mul_i32 s31, s1, s22
	v_add_co_u32 v7, vcc_lo, v5, s14
	v_add_co_ci_u32_e64 v8, null, s15, v6, vcc_lo
	v_add3_u32 v68, v68, v73, s31
	v_add_co_u32 v9, vcc_lo, v7, s14
	v_add_co_ci_u32_e64 v10, null, s15, v8, vcc_lo
	s_clause 0x2
	global_load_dwordx2 v[3:4], v[3:4], off
	global_load_dwordx2 v[5:6], v[5:6], off
	;; [unrolled: 1-line block ×3, first 2 shown]
	v_add_co_u32 v11, vcc_lo, v9, s14
	v_add_co_ci_u32_e64 v12, null, s15, v10, vcc_lo
	v_or_b32_e32 v70, 0x200, v70
	v_add_co_u32 v13, vcc_lo, v11, s14
	v_add_co_ci_u32_e64 v14, null, s15, v12, vcc_lo
	s_clause 0x1
	global_load_dwordx2 v[9:10], v[9:10], off
	global_load_dwordx2 v[11:12], v[11:12], off
	v_add_co_u32 v15, vcc_lo, v13, s14
	v_add_co_ci_u32_e64 v16, null, s15, v14, vcc_lo
	global_load_dwordx2 v[13:14], v[13:14], off
	v_add_co_u32 v17, vcc_lo, v15, s14
	v_add_co_ci_u32_e64 v18, null, s15, v16, vcc_lo
	;; [unrolled: 3-line block ×6, first 2 shown]
	v_mul_lo_u32 v103, v70, s23
	v_add_co_u32 v27, vcc_lo, v25, s14
	v_add_co_ci_u32_e64 v28, null, s15, v26, vcc_lo
	v_add_co_u32 v29, vcc_lo, v27, s14
	v_add_co_ci_u32_e64 v30, null, s15, v28, vcc_lo
	;; [unrolled: 2-line block ×3, first 2 shown]
	global_load_dwordx2 v[23:24], v[23:24], off
	global_load_dwordx2 v[25:26], v[25:26], off
	;; [unrolled: 1-line block ×6, first 2 shown]
	s_lshl_b64 s[14:15], s[22:23], 10
	s_add_u32 s0, s12, s0
	v_add_co_u32 v71, s12, v69, s34
	v_add_co_ci_u32_e64 v72, null, 0, s35, s12
	s_addc_u32 s1, s13, s1
	v_add_co_u32 v75, vcc_lo, v71, 8
	v_add_co_ci_u32_e64 v76, null, 0, v72, vcc_lo
	v_add_co_u32 v77, vcc_lo, v71, 16
	v_add_co_ci_u32_e64 v78, null, 0, v72, vcc_lo
	;; [unrolled: 2-line block ×6, first 2 shown]
	v_add_co_u32 v87, vcc_lo, v71, 56
	s_add_u32 s0, s0, s26
	v_add_co_ci_u32_e64 v88, null, 0, v72, vcc_lo
	v_add_co_u32 v89, vcc_lo, v71, 64
	s_addc_u32 s1, s1, s27
	s_add_u32 s0, s0, s24
	v_add_co_ci_u32_e64 v90, null, 0, v72, vcc_lo
	v_add_co_u32 v91, vcc_lo, 0x48, v71
	s_addc_u32 s1, s1, s25
	v_add_co_ci_u32_e64 v92, null, 0, v72, vcc_lo
	v_add_co_u32 v93, vcc_lo, 0x50, v71
	v_mad_u64_u32 v[73:74], null, v75, s20, s[0:1]
	v_mul_lo_u32 v108, v75, s21
	v_mul_lo_u32 v109, v76, s20
	v_add_co_ci_u32_e64 v94, null, 0, v72, vcc_lo
	v_add_co_u32 v95, vcc_lo, 0x58, v71
	v_mad_u64_u32 v[75:76], null, v77, s20, s[0:1]
	v_mul_lo_u32 v110, v77, s21
	v_mul_lo_u32 v111, v78, s20
	;; [unrolled: 5-line block ×5, first 2 shown]
	v_add3_u32 v74, v109, v74, v108
	v_add_co_ci_u32_e64 v102, null, 0, v72, vcc_lo
	v_add_co_u32 v106, vcc_lo, 0x78, v71
	v_mad_u64_u32 v[83:84], null, v85, s20, s[0:1]
	v_mul_lo_u32 v118, v85, s21
	v_mul_lo_u32 v119, v86, s20
	v_add3_u32 v76, v111, v76, v110
	v_add_co_ci_u32_e64 v107, null, 0, v72, vcc_lo
	v_add_co_u32 v144, vcc_lo, 0x400, v73
	v_mad_u64_u32 v[85:86], null, v87, s20, s[0:1]
	v_mul_lo_u32 v120, v87, s21
	v_mul_lo_u32 v121, v88, s20
	;; [unrolled: 6-line block ×10, first 2 shown]
	v_add3_u32 v94, v129, v94, v128
	v_add_co_ci_u32_e64 v161, null, 0, v90, vcc_lo
	v_add_co_u32 v162, vcc_lo, 0x400, v91
	v_add3_u32 v96, v131, v96, v130
	v_add_co_ci_u32_e64 v163, null, 0, v92, vcc_lo
	v_add_co_u32 v164, vcc_lo, 0x400, v93
	v_add3_u32 v98, v133, v98, v132
	v_mad_u64_u32 v[69:70], null, v70, s22, 0
	v_mul_lo_u32 v104, v71, s21
	v_mul_lo_u32 v105, v72, s20
	v_mad_u64_u32 v[71:72], null, v71, s20, s[0:1]
	v_add_co_ci_u32_e64 v165, null, 0, v94, vcc_lo
	v_add_co_u32 v166, vcc_lo, 0x400, v95
	v_add3_u32 v100, v135, v100, v134
	v_add_co_ci_u32_e64 v167, null, 0, v96, vcc_lo
	v_add_co_u32 v168, vcc_lo, 0x400, v97
	v_add3_u32 v102, v107, v102, v106
	v_add_co_ci_u32_e64 v169, null, 0, v98, vcc_lo
	v_add_co_u32 v170, vcc_lo, 0x400, v99
	v_add_co_ci_u32_e64 v171, null, 0, v100, vcc_lo
	v_add_co_u32 v172, vcc_lo, 0x400, v101
	v_add3_u32 v70, v70, v103, s31
	v_add3_u32 v72, v105, v72, v104
	v_add_co_ci_u32_e64 v173, null, 0, v102, vcc_lo
	s_mov_b32 s1, 0
	s_waitcnt vmcnt(15)
	v_mov_b32_e32 v74, v4
	s_waitcnt vmcnt(14)
	v_mov_b32_e32 v102, v6
	;; [unrolled: 2-line block ×3, first 2 shown]
	v_mov_b32_e32 v73, v3
	v_mov_b32_e32 v101, v5
	;; [unrolled: 1-line block ×3, first 2 shown]
	s_waitcnt vmcnt(12)
	v_mov_b32_e32 v98, v10
	s_waitcnt vmcnt(11)
	v_mov_b32_e32 v96, v12
	v_mov_b32_e32 v97, v9
	;; [unrolled: 1-line block ×3, first 2 shown]
	s_waitcnt vmcnt(10)
	v_mov_b32_e32 v94, v14
	v_mov_b32_e32 v93, v13
	s_waitcnt vmcnt(9)
	v_mov_b32_e32 v92, v16
	v_mov_b32_e32 v91, v15
	;; [unrolled: 3-line block ×5, first 2 shown]
	s_waitcnt vmcnt(5)
	v_mov_b32_e32 v84, v24
	s_waitcnt vmcnt(4)
	v_mov_b32_e32 v82, v26
	;; [unrolled: 2-line block ×6, first 2 shown]
	v_mov_b32_e32 v83, v23
	v_mov_b32_e32 v81, v25
	;; [unrolled: 1-line block ×6, first 2 shown]
.LBB95_4:                               ; =>This Inner Loop Header: Depth=1
	v_add_co_u32 v139, vcc_lo, v71, v142
	v_add_co_ci_u32_e64 v140, null, 0, v72, vcc_lo
	s_cmp_lg_u32 s30, s1
	v_add_co_u32 v105, vcc_lo, 0x200, v139
	v_add_co_ci_u32_e64 v106, null, 0, v140, vcc_lo
	v_add_co_u32 v107, vcc_lo, v105, s6
	v_add_co_ci_u32_e64 v108, null, s7, v106, vcc_lo
	global_load_dwordx2 v[105:106], v[139:140], off offset:512
	v_add_co_u32 v109, vcc_lo, v107, s6
	v_add_co_ci_u32_e64 v110, null, s7, v108, vcc_lo
	v_add_co_u32 v137, vcc_lo, s28, v67
	v_add_co_u32 v111, s0, v109, s6
	v_add_co_ci_u32_e64 v112, null, s7, v110, s0
	v_add_co_ci_u32_e64 v138, null, s29, v68, vcc_lo
	v_add_co_u32 v113, vcc_lo, v111, s6
	v_add_co_ci_u32_e64 v114, null, s7, v112, vcc_lo
	s_clause 0x2
	global_load_dwordx2 v[107:108], v[107:108], off
	global_load_dwordx2 v[109:110], v[109:110], off
	;; [unrolled: 1-line block ×3, first 2 shown]
	v_add_co_u32 v115, vcc_lo, v113, s6
	v_add_co_ci_u32_e64 v116, null, s7, v114, vcc_lo
	global_load_dwordx2 v[113:114], v[113:114], off
	v_add_co_u32 v117, vcc_lo, v115, s6
	v_add_co_ci_u32_e64 v118, null, s7, v116, vcc_lo
	global_load_dwordx2 v[115:116], v[115:116], off
	;; [unrolled: 3-line block ×7, first 2 shown]
	v_add_co_u32 v129, vcc_lo, v127, s6
	v_add_co_ci_u32_e64 v130, null, s7, v128, vcc_lo
	v_add_co_u32 v131, vcc_lo, v129, s6
	v_add_co_ci_u32_e64 v132, null, s7, v130, vcc_lo
	;; [unrolled: 2-line block ×4, first 2 shown]
	global_load_dwordx2 v[127:128], v[127:128], off
	global_load_dwordx2 v[129:130], v[129:130], off
	;; [unrolled: 1-line block ×6, first 2 shown]
	s_cbranch_scc0 .LBB95_6
; %bb.5:                                ;   in Loop: Header=BB95_4 Depth=1
	v_add_co_u32 v75, vcc_lo, v144, v142
	v_add_co_ci_u32_e64 v76, null, 0, v145, vcc_lo
	v_add_co_u32 v77, vcc_lo, v146, v142
	v_add_co_ci_u32_e64 v78, null, 0, v147, vcc_lo
	;; [unrolled: 2-line block ×15, first 2 shown]
	global_load_dwordx2 v[73:74], v[139:140], off offset:1024
	global_load_dwordx2 v[75:76], v[75:76], off
	global_load_dwordx2 v[77:78], v[77:78], off
	;; [unrolled: 1-line block ×15, first 2 shown]
.LBB95_6:                               ;   in Loop: Header=BB95_4 Depth=1
	v_add_co_u32 v139, vcc_lo, s28, v69
	v_add_co_ci_u32_e64 v140, null, s29, v70, vcc_lo
	s_waitcnt vmcnt(0)
	v_fma_f64 v[3:4], v[3:4], v[137:138], v[35:36]
	v_fma_f64 v[31:32], v[31:32], v[137:138], v[63:64]
	;; [unrolled: 1-line block ×3, first 2 shown]
	global_load_dwordx2 v[139:140], v[139:140], off
	v_fma_f64 v[27:28], v[27:28], v[137:138], v[61:62]
	v_fma_f64 v[25:26], v[25:26], v[137:138], v[55:56]
	;; [unrolled: 1-line block ×13, first 2 shown]
	v_add_co_u32 v71, vcc_lo, 0x400, v71
	v_add_co_ci_u32_e64 v72, null, 0, v72, vcc_lo
	v_add_co_u32 v144, vcc_lo, 0x400, v144
	v_add_co_ci_u32_e64 v145, null, 0, v145, vcc_lo
	;; [unrolled: 2-line block ×15, first 2 shown]
	v_add_co_u32 v172, vcc_lo, 0x400, v172
	s_add_i32 s1, s1, 1
	v_add_co_ci_u32_e64 v173, null, 0, v173, vcc_lo
	s_add_u32 s28, s28, s14
	s_addc_u32 s29, s29, s15
	s_cmp_ge_i32 s1, s9
	s_waitcnt vmcnt(0)
	v_fma_f64 v[35:36], v[105:106], v[139:140], v[3:4]
	v_fma_f64 v[63:64], v[107:108], v[139:140], v[31:32]
	;; [unrolled: 1-line block ×16, first 2 shown]
	s_cbranch_scc1 .LBB95_9
; %bb.7:                                ;   in Loop: Header=BB95_4 Depth=1
	v_mov_b32_e32 v3, v73
	v_mov_b32_e32 v31, v75
	;; [unrolled: 1-line block ×32, first 2 shown]
	s_branch .LBB95_4
.LBB95_8:
	v_mov_b32_e32 v65, 0
	v_mov_b32_e32 v37, 0
	;; [unrolled: 1-line block ×32, first 2 shown]
.LBB95_9:
	v_lshlrev_b32_e32 v4, 9, v141
	v_lshl_or_b32 v3, v143, 9, v142
	s_waitcnt lgkmcnt(0)
	s_mov_b32 s0, 0
	s_mov_b32 s1, exec_lo
	ds_write2st64_b64 v3, v[35:36], v[63:64] offset1:1
	ds_write2st64_b64 v3, v[59:60], v[61:62] offset0:2 offset1:3
	ds_write2st64_b64 v3, v[55:56], v[57:58] offset0:4 offset1:5
	;; [unrolled: 1-line block ×3, first 2 shown]
	v_or3_b32 v4, v4, v142, 0x1e00
	ds_write2st64_b64 v3, v[47:48], v[49:50] offset0:8 offset1:9
	ds_write2st64_b64 v3, v[43:44], v[45:46] offset0:10 offset1:11
	;; [unrolled: 1-line block ×3, first 2 shown]
	ds_write_b64 v3, v[37:38] offset:7168
	ds_write_b64 v4, v[65:66]
	s_waitcnt lgkmcnt(0)
	s_barrier
	buffer_gl0_inv
	v_cmpx_eq_u32_e32 0, v1
	s_cbranch_execz .LBB95_12
; %bb.10:
	v_lshlrev_b32_e32 v1, 9, v0
	v_add_nc_u32_e32 v5, 1, v0
	v_add_nc_u32_e32 v6, 2, v0
	;; [unrolled: 1-line block ×3, first 2 shown]
	v_lshl_or_b32 v3, v2, 3, v1
	v_and_b32_e32 v5, 63, v5
	v_and_b32_e32 v6, 63, v6
	;; [unrolled: 1-line block ×3, first 2 shown]
	v_xor_b32_e32 v2, 32, v2
	ds_read_b64 v[3:4], v3
	v_lshl_or_b32 v5, v5, 3, v1
	v_lshl_or_b32 v8, v6, 3, v1
	v_lshl_or_b32 v9, v7, 3, v1
	ds_read_b64 v[5:6], v5
	ds_read_b64 v[7:8], v8
	;; [unrolled: 1-line block ×3, first 2 shown]
	s_waitcnt lgkmcnt(3)
	v_add_f64 v[3:4], v[3:4], 0
	s_waitcnt lgkmcnt(2)
	v_add_f64 v[3:4], v[3:4], v[5:6]
	v_add_nc_u32_e32 v5, 4, v0
	v_and_b32_e32 v5, 63, v5
	v_lshl_or_b32 v5, v5, 3, v1
	ds_read_b64 v[5:6], v5
	s_waitcnt lgkmcnt(2)
	v_add_f64 v[3:4], v[3:4], v[7:8]
	v_add_nc_u32_e32 v7, 5, v0
	v_add_nc_u32_e32 v8, 6, v0
	v_and_b32_e32 v7, 63, v7
	v_and_b32_e32 v8, 63, v8
	v_lshl_or_b32 v7, v7, 3, v1
	s_waitcnt lgkmcnt(1)
	v_add_f64 v[3:4], v[3:4], v[9:10]
	v_add_nc_u32_e32 v9, 7, v0
	v_lshl_or_b32 v10, v8, 3, v1
	v_and_b32_e32 v9, 63, v9
	v_lshl_or_b32 v11, v9, 3, v1
	ds_read_b64 v[7:8], v7
	ds_read_b64 v[9:10], v10
	ds_read_b64 v[11:12], v11
	s_waitcnt lgkmcnt(3)
	v_add_f64 v[3:4], v[3:4], v[5:6]
	v_add_nc_u32_e32 v5, 8, v0
	v_and_b32_e32 v5, 63, v5
	v_lshl_or_b32 v5, v5, 3, v1
	ds_read_b64 v[5:6], v5
	s_waitcnt lgkmcnt(3)
	v_add_f64 v[3:4], v[3:4], v[7:8]
	v_add_nc_u32_e32 v7, 9, v0
	v_add_nc_u32_e32 v8, 10, v0
	v_and_b32_e32 v7, 63, v7
	v_and_b32_e32 v8, 63, v8
	v_lshl_or_b32 v7, v7, 3, v1
	s_waitcnt lgkmcnt(2)
	v_add_f64 v[3:4], v[3:4], v[9:10]
	v_add_nc_u32_e32 v9, 11, v0
	v_lshl_or_b32 v10, v8, 3, v1
	v_and_b32_e32 v9, 63, v9
	s_waitcnt lgkmcnt(1)
	v_add_f64 v[3:4], v[3:4], v[11:12]
	v_lshl_or_b32 v11, v9, 3, v1
	ds_read_b64 v[7:8], v7
	ds_read_b64 v[9:10], v10
	ds_read_b64 v[11:12], v11
	s_waitcnt lgkmcnt(3)
	v_add_f64 v[3:4], v[3:4], v[5:6]
	v_add_nc_u32_e32 v5, 12, v0
	v_and_b32_e32 v5, 63, v5
	v_lshl_or_b32 v5, v5, 3, v1
	ds_read_b64 v[5:6], v5
	s_waitcnt lgkmcnt(3)
	v_add_f64 v[3:4], v[3:4], v[7:8]
	v_add_nc_u32_e32 v7, 13, v0
	v_add_nc_u32_e32 v8, 14, v0
	v_and_b32_e32 v7, 63, v7
	v_and_b32_e32 v8, 63, v8
	v_lshl_or_b32 v7, v7, 3, v1
	s_waitcnt lgkmcnt(2)
	v_add_f64 v[3:4], v[3:4], v[9:10]
	v_add_nc_u32_e32 v9, 15, v0
	v_lshl_or_b32 v10, v8, 3, v1
	v_and_b32_e32 v9, 63, v9
	s_waitcnt lgkmcnt(1)
	v_add_f64 v[3:4], v[3:4], v[11:12]
	;; [unrolled: 24-line block ×6, first 2 shown]
	v_lshl_or_b32 v11, v9, 3, v1
	ds_read_b64 v[7:8], v7
	ds_read_b64 v[9:10], v10
	ds_read_b64 v[11:12], v11
	s_waitcnt lgkmcnt(3)
	v_add_f64 v[3:4], v[3:4], v[5:6]
	v_lshl_or_b32 v5, v2, 3, v1
	v_add_nc_u32_e32 v6, 33, v0
	v_and_b32_e32 v6, 63, v6
	v_lshl_or_b32 v6, v6, 3, v1
	s_waitcnt lgkmcnt(2)
	v_add_f64 v[3:4], v[3:4], v[7:8]
	v_add_nc_u32_e32 v7, 34, v0
	v_add_nc_u32_e32 v8, 35, v0
	v_and_b32_e32 v7, 63, v7
	v_and_b32_e32 v8, 63, v8
	s_waitcnt lgkmcnt(1)
	v_add_f64 v[3:4], v[3:4], v[9:10]
	v_lshl_or_b32 v9, v7, 3, v1
	v_lshl_or_b32 v10, v8, 3, v1
	s_waitcnt lgkmcnt(0)
	v_add_f64 v[2:3], v[3:4], v[11:12]
	ds_read_b64 v[4:5], v5
	ds_read_b64 v[6:7], v6
	;; [unrolled: 1-line block ×4, first 2 shown]
	v_add_nc_u32_e32 v12, 55, v0
	v_and_b32_e32 v12, 63, v12
	v_lshl_or_b32 v14, v12, 3, v1
	s_waitcnt lgkmcnt(3)
	v_add_f64 v[2:3], v[2:3], v[4:5]
	v_add_nc_u32_e32 v4, 36, v0
	v_and_b32_e32 v4, 63, v4
	v_lshl_or_b32 v4, v4, 3, v1
	ds_read_b64 v[4:5], v4
	s_waitcnt lgkmcnt(3)
	v_add_f64 v[2:3], v[2:3], v[6:7]
	v_add_nc_u32_e32 v6, 37, v0
	v_add_nc_u32_e32 v7, 38, v0
	v_and_b32_e32 v6, 63, v6
	v_and_b32_e32 v7, 63, v7
	v_lshl_or_b32 v6, v6, 3, v1
	s_waitcnt lgkmcnt(2)
	v_add_f64 v[2:3], v[2:3], v[8:9]
	v_add_nc_u32_e32 v8, 39, v0
	v_lshl_or_b32 v9, v7, 3, v1
	v_and_b32_e32 v8, 63, v8
	s_waitcnt lgkmcnt(1)
	v_add_f64 v[2:3], v[2:3], v[10:11]
	v_lshl_or_b32 v10, v8, 3, v1
	ds_read_b64 v[6:7], v6
	ds_read_b64 v[8:9], v9
	ds_read_b64 v[10:11], v10
	s_waitcnt lgkmcnt(3)
	v_add_f64 v[2:3], v[2:3], v[4:5]
	v_add_nc_u32_e32 v4, 40, v0
	v_and_b32_e32 v4, 63, v4
	v_lshl_or_b32 v4, v4, 3, v1
	ds_read_b64 v[4:5], v4
	s_waitcnt lgkmcnt(3)
	v_add_f64 v[2:3], v[2:3], v[6:7]
	v_add_nc_u32_e32 v6, 41, v0
	v_add_nc_u32_e32 v7, 42, v0
	v_and_b32_e32 v6, 63, v6
	v_and_b32_e32 v7, 63, v7
	v_lshl_or_b32 v6, v6, 3, v1
	s_waitcnt lgkmcnt(2)
	v_add_f64 v[2:3], v[2:3], v[8:9]
	v_add_nc_u32_e32 v8, 43, v0
	v_lshl_or_b32 v9, v7, 3, v1
	v_and_b32_e32 v8, 63, v8
	s_waitcnt lgkmcnt(1)
	v_add_f64 v[2:3], v[2:3], v[10:11]
	v_lshl_or_b32 v10, v8, 3, v1
	ds_read_b64 v[6:7], v6
	ds_read_b64 v[8:9], v9
	ds_read_b64 v[10:11], v10
	s_waitcnt lgkmcnt(3)
	v_add_f64 v[2:3], v[2:3], v[4:5]
	v_add_nc_u32_e32 v4, 44, v0
	v_and_b32_e32 v4, 63, v4
	v_lshl_or_b32 v4, v4, 3, v1
	ds_read_b64 v[4:5], v4
	s_waitcnt lgkmcnt(3)
	v_add_f64 v[2:3], v[2:3], v[6:7]
	v_add_nc_u32_e32 v6, 45, v0
	v_add_nc_u32_e32 v7, 46, v0
	v_and_b32_e32 v6, 63, v6
	v_and_b32_e32 v7, 63, v7
	v_lshl_or_b32 v6, v6, 3, v1
	s_waitcnt lgkmcnt(2)
	v_add_f64 v[2:3], v[2:3], v[8:9]
	v_add_nc_u32_e32 v8, 47, v0
	v_lshl_or_b32 v9, v7, 3, v1
	v_and_b32_e32 v8, 63, v8
	s_waitcnt lgkmcnt(1)
	v_add_f64 v[2:3], v[2:3], v[10:11]
	v_lshl_or_b32 v10, v8, 3, v1
	ds_read_b64 v[6:7], v6
	ds_read_b64 v[8:9], v9
	ds_read_b64 v[10:11], v10
	s_waitcnt lgkmcnt(3)
	v_add_f64 v[2:3], v[2:3], v[4:5]
	v_add_nc_u32_e32 v4, 48, v0
	v_and_b32_e32 v4, 63, v4
	v_lshl_or_b32 v4, v4, 3, v1
	ds_read_b64 v[4:5], v4
	s_waitcnt lgkmcnt(3)
	v_add_f64 v[2:3], v[2:3], v[6:7]
	v_add_nc_u32_e32 v6, 49, v0
	v_add_nc_u32_e32 v7, 50, v0
	v_and_b32_e32 v6, 63, v6
	v_and_b32_e32 v7, 63, v7
	v_lshl_or_b32 v6, v6, 3, v1
	s_waitcnt lgkmcnt(2)
	v_add_f64 v[2:3], v[2:3], v[8:9]
	v_add_nc_u32_e32 v8, 51, v0
	v_lshl_or_b32 v9, v7, 3, v1
	v_and_b32_e32 v8, 63, v8
	s_waitcnt lgkmcnt(1)
	v_add_f64 v[2:3], v[2:3], v[10:11]
	v_lshl_or_b32 v10, v8, 3, v1
	ds_read_b64 v[6:7], v6
	ds_read_b64 v[8:9], v9
	ds_read_b64 v[10:11], v10
	s_clause 0x1
	s_load_dwordx2 s[6:7], s[4:5], 0x70
	s_load_dword s1, s[4:5], 0x68
	s_waitcnt lgkmcnt(0)
	v_add_f64 v[2:3], v[2:3], v[4:5]
	s_mul_i32 s4, s7, s8
	s_mul_hi_u32 s5, s6, s8
	v_mad_i64_i32 v[4:5], null, s1, v0, 0
	s_add_i32 s5, s5, s4
	s_mul_i32 s4, s6, s8
	s_lshl_b64 s[4:5], s[4:5], 3
	s_add_u32 s4, s2, s4
	s_addc_u32 s6, s3, s5
	s_lshl_b64 s[2:3], s[16:17], 3
	s_mul_hi_i32 s5, s1, s18
	s_add_u32 s7, s4, s2
	s_mul_i32 s4, s1, s18
	v_lshlrev_b64 v[4:5], 3, v[4:5]
	s_addc_u32 s1, s6, s3
	s_lshl_b64 s[2:3], s[4:5], 3
	s_add_u32 s2, s7, s2
	v_add_f64 v[2:3], v[2:3], v[6:7]
	s_addc_u32 s1, s1, s3
	v_add_co_u32 v4, vcc_lo, s2, v4
	v_add_co_ci_u32_e64 v5, null, s1, v5, vcc_lo
	v_add_f64 v[6:7], v[2:3], v[8:9]
	v_add_nc_u32_e32 v8, 52, v0
	global_load_dwordx2 v[2:3], v[4:5], off
	v_and_b32_e32 v8, 63, v8
	v_lshl_or_b32 v8, v8, 3, v1
	ds_read_b64 v[8:9], v8
	v_add_f64 v[6:7], v[6:7], v[10:11]
	v_add_nc_u32_e32 v10, 53, v0
	v_add_nc_u32_e32 v11, 54, v0
	v_and_b32_e32 v10, 63, v10
	v_and_b32_e32 v11, 63, v11
	v_lshl_or_b32 v10, v10, 3, v1
	v_lshl_or_b32 v13, v11, 3, v1
	ds_read_b64 v[10:11], v10
	ds_read_b64 v[12:13], v13
	;; [unrolled: 1-line block ×3, first 2 shown]
	s_waitcnt lgkmcnt(3)
	v_add_f64 v[6:7], v[6:7], v[8:9]
	v_add_nc_u32_e32 v8, 56, v0
	v_and_b32_e32 v8, 63, v8
	v_lshl_or_b32 v8, v8, 3, v1
	ds_read_b64 v[8:9], v8
	s_waitcnt lgkmcnt(3)
	v_add_f64 v[6:7], v[6:7], v[10:11]
	v_add_nc_u32_e32 v10, 57, v0
	v_add_nc_u32_e32 v11, 58, v0
	v_and_b32_e32 v10, 63, v10
	v_and_b32_e32 v11, 63, v11
	v_lshl_or_b32 v10, v10, 3, v1
	s_waitcnt lgkmcnt(2)
	v_add_f64 v[6:7], v[6:7], v[12:13]
	v_add_nc_u32_e32 v12, 59, v0
	v_lshl_or_b32 v13, v11, 3, v1
	v_and_b32_e32 v12, 63, v12
	s_waitcnt lgkmcnt(1)
	v_add_f64 v[6:7], v[6:7], v[14:15]
	v_lshl_or_b32 v14, v12, 3, v1
	ds_read_b64 v[10:11], v10
	ds_read_b64 v[12:13], v13
	;; [unrolled: 1-line block ×3, first 2 shown]
	s_waitcnt lgkmcnt(3)
	v_add_f64 v[6:7], v[6:7], v[8:9]
	v_add_nc_u32_e32 v8, 60, v0
	v_and_b32_e32 v8, 63, v8
	v_lshl_or_b32 v8, v8, 3, v1
	ds_read_b64 v[8:9], v8
	s_waitcnt lgkmcnt(3)
	v_add_f64 v[6:7], v[6:7], v[10:11]
	v_add_nc_u32_e32 v10, 61, v0
	v_add_nc_u32_e32 v11, 62, v0
	v_add_nc_u32_e32 v0, -1, v0
	v_and_b32_e32 v10, 63, v10
	v_and_b32_e32 v11, 63, v11
	;; [unrolled: 1-line block ×3, first 2 shown]
	v_lshl_or_b32 v10, v10, 3, v1
	v_lshl_or_b32 v11, v11, 3, v1
	s_waitcnt lgkmcnt(2)
	v_add_f64 v[6:7], v[6:7], v[12:13]
	v_lshl_or_b32 v12, v0, 3, v1
	ds_read_b64 v[0:1], v10
	ds_read_b64 v[10:11], v11
	;; [unrolled: 1-line block ×3, first 2 shown]
	s_waitcnt lgkmcnt(4)
	v_add_f64 v[6:7], v[6:7], v[14:15]
	s_waitcnt lgkmcnt(3)
	v_add_f64 v[6:7], v[6:7], v[8:9]
	;; [unrolled: 2-line block ×5, first 2 shown]
	v_mul_f64 v[6:7], s[10:11], v[0:1]
.LBB95_11:                              ; =>This Inner Loop Header: Depth=1
	s_waitcnt vmcnt(0)
	v_add_f64 v[0:1], v[2:3], v[6:7]
	global_atomic_cmpswap_x2 v[0:1], v[4:5], v[0:3], off glc
	s_waitcnt vmcnt(0)
	v_cmp_eq_u64_e32 vcc_lo, v[0:1], v[2:3]
	v_mov_b32_e32 v3, v1
	v_mov_b32_e32 v2, v0
	s_or_b32 s0, vcc_lo, s0
	s_andn2_b32 exec_lo, exec_lo, s0
	s_cbranch_execnz .LBB95_11
.LBB95_12:
	s_endpgm
	.section	.rodata,"a",@progbits
	.p2align	6, 0x0
	.amdhsa_kernel _ZL36rocblas_gemvt_double_buffered_kernelILb1ELi128ELi4ELi16EdddEviiT4_lPKT3_lilS3_lilPT5_lili
		.amdhsa_group_segment_fixed_size 65536
		.amdhsa_private_segment_fixed_size 0
		.amdhsa_kernarg_size 384
		.amdhsa_user_sgpr_count 6
		.amdhsa_user_sgpr_private_segment_buffer 1
		.amdhsa_user_sgpr_dispatch_ptr 0
		.amdhsa_user_sgpr_queue_ptr 0
		.amdhsa_user_sgpr_kernarg_segment_ptr 1
		.amdhsa_user_sgpr_dispatch_id 0
		.amdhsa_user_sgpr_flat_scratch_init 0
		.amdhsa_user_sgpr_private_segment_size 0
		.amdhsa_wavefront_size32 1
		.amdhsa_uses_dynamic_stack 0
		.amdhsa_system_sgpr_private_segment_wavefront_offset 0
		.amdhsa_system_sgpr_workgroup_id_x 1
		.amdhsa_system_sgpr_workgroup_id_y 1
		.amdhsa_system_sgpr_workgroup_id_z 1
		.amdhsa_system_sgpr_workgroup_info 0
		.amdhsa_system_vgpr_workitem_id 1
		.amdhsa_next_free_vgpr 174
		.amdhsa_next_free_sgpr 36
		.amdhsa_reserve_vcc 1
		.amdhsa_reserve_flat_scratch 0
		.amdhsa_float_round_mode_32 0
		.amdhsa_float_round_mode_16_64 0
		.amdhsa_float_denorm_mode_32 3
		.amdhsa_float_denorm_mode_16_64 3
		.amdhsa_dx10_clamp 1
		.amdhsa_ieee_mode 1
		.amdhsa_fp16_overflow 0
		.amdhsa_workgroup_processor_mode 1
		.amdhsa_memory_ordered 1
		.amdhsa_forward_progress 1
		.amdhsa_shared_vgpr_count 0
		.amdhsa_exception_fp_ieee_invalid_op 0
		.amdhsa_exception_fp_denorm_src 0
		.amdhsa_exception_fp_ieee_div_zero 0
		.amdhsa_exception_fp_ieee_overflow 0
		.amdhsa_exception_fp_ieee_underflow 0
		.amdhsa_exception_fp_ieee_inexact 0
		.amdhsa_exception_int_div_zero 0
	.end_amdhsa_kernel
	.section	.text._ZL36rocblas_gemvt_double_buffered_kernelILb1ELi128ELi4ELi16EdddEviiT4_lPKT3_lilS3_lilPT5_lili,"axG",@progbits,_ZL36rocblas_gemvt_double_buffered_kernelILb1ELi128ELi4ELi16EdddEviiT4_lPKT3_lilS3_lilPT5_lili,comdat
.Lfunc_end95:
	.size	_ZL36rocblas_gemvt_double_buffered_kernelILb1ELi128ELi4ELi16EdddEviiT4_lPKT3_lilS3_lilPT5_lili, .Lfunc_end95-_ZL36rocblas_gemvt_double_buffered_kernelILb1ELi128ELi4ELi16EdddEviiT4_lPKT3_lilS3_lilPT5_lili
                                        ; -- End function
	.set _ZL36rocblas_gemvt_double_buffered_kernelILb1ELi128ELi4ELi16EdddEviiT4_lPKT3_lilS3_lilPT5_lili.num_vgpr, 174
	.set _ZL36rocblas_gemvt_double_buffered_kernelILb1ELi128ELi4ELi16EdddEviiT4_lPKT3_lilS3_lilPT5_lili.num_agpr, 0
	.set _ZL36rocblas_gemvt_double_buffered_kernelILb1ELi128ELi4ELi16EdddEviiT4_lPKT3_lilS3_lilPT5_lili.numbered_sgpr, 36
	.set _ZL36rocblas_gemvt_double_buffered_kernelILb1ELi128ELi4ELi16EdddEviiT4_lPKT3_lilS3_lilPT5_lili.num_named_barrier, 0
	.set _ZL36rocblas_gemvt_double_buffered_kernelILb1ELi128ELi4ELi16EdddEviiT4_lPKT3_lilS3_lilPT5_lili.private_seg_size, 0
	.set _ZL36rocblas_gemvt_double_buffered_kernelILb1ELi128ELi4ELi16EdddEviiT4_lPKT3_lilS3_lilPT5_lili.uses_vcc, 1
	.set _ZL36rocblas_gemvt_double_buffered_kernelILb1ELi128ELi4ELi16EdddEviiT4_lPKT3_lilS3_lilPT5_lili.uses_flat_scratch, 0
	.set _ZL36rocblas_gemvt_double_buffered_kernelILb1ELi128ELi4ELi16EdddEviiT4_lPKT3_lilS3_lilPT5_lili.has_dyn_sized_stack, 0
	.set _ZL36rocblas_gemvt_double_buffered_kernelILb1ELi128ELi4ELi16EdddEviiT4_lPKT3_lilS3_lilPT5_lili.has_recursion, 0
	.set _ZL36rocblas_gemvt_double_buffered_kernelILb1ELi128ELi4ELi16EdddEviiT4_lPKT3_lilS3_lilPT5_lili.has_indirect_call, 0
	.section	.AMDGPU.csdata,"",@progbits
; Kernel info:
; codeLenInByte = 6708
; TotalNumSgprs: 38
; NumVgprs: 174
; ScratchSize: 0
; MemoryBound: 0
; FloatMode: 240
; IeeeMode: 1
; LDSByteSize: 65536 bytes/workgroup (compile time only)
; SGPRBlocks: 0
; VGPRBlocks: 21
; NumSGPRsForWavesPerEU: 38
; NumVGPRsForWavesPerEU: 174
; Occupancy: 5
; WaveLimiterHint : 0
; COMPUTE_PGM_RSRC2:SCRATCH_EN: 0
; COMPUTE_PGM_RSRC2:USER_SGPR: 6
; COMPUTE_PGM_RSRC2:TRAP_HANDLER: 0
; COMPUTE_PGM_RSRC2:TGID_X_EN: 1
; COMPUTE_PGM_RSRC2:TGID_Y_EN: 1
; COMPUTE_PGM_RSRC2:TGID_Z_EN: 1
; COMPUTE_PGM_RSRC2:TIDIG_COMP_CNT: 1
	.section	.text._ZL20rocblas_gemvt_kernelILb1ELi256EdPKddEviiT2_lPKT1_lilS5_lilS2_lPT3_lili,"axG",@progbits,_ZL20rocblas_gemvt_kernelILb1ELi256EdPKddEviiT2_lPKT1_lilS5_lilS2_lPT3_lili,comdat
	.globl	_ZL20rocblas_gemvt_kernelILb1ELi256EdPKddEviiT2_lPKT1_lilS5_lilS2_lPT3_lili ; -- Begin function _ZL20rocblas_gemvt_kernelILb1ELi256EdPKddEviiT2_lPKT1_lilS5_lilS2_lPT3_lili
	.p2align	8
	.type	_ZL20rocblas_gemvt_kernelILb1ELi256EdPKddEviiT2_lPKT1_lilS5_lilS2_lPT3_lili,@function
_ZL20rocblas_gemvt_kernelILb1ELi256EdPKddEviiT2_lPKT1_lilS5_lilS2_lPT3_lili: ; @_ZL20rocblas_gemvt_kernelILb1ELi256EdPKddEviiT2_lPKT1_lilS5_lilS2_lPT3_lili
; %bb.0:
	s_clause 0x1
	s_load_dwordx8 s[8:15], s[4:5], 0x8
	s_load_dwordx8 s[16:23], s[4:5], 0x50
	s_waitcnt lgkmcnt(0)
	s_mul_i32 s1, s11, s7
	s_mul_hi_u32 s2, s10, s7
	s_mul_i32 s0, s10, s7
	s_add_i32 s1, s2, s1
	s_mul_i32 s2, s21, s7
	s_lshl_b64 s[0:1], s[0:1], 3
	s_mul_hi_u32 s3, s20, s7
	s_add_u32 s0, s8, s0
	s_addc_u32 s1, s9, s1
	s_add_i32 s3, s3, s2
	s_mul_i32 s2, s20, s7
	s_lshl_b64 s[2:3], s[2:3], 3
	s_add_u32 s2, s18, s2
	s_addc_u32 s3, s19, s3
	s_load_dwordx2 s[10:11], s[0:1], 0x0
	s_load_dwordx2 s[8:9], s[2:3], 0x0
	s_waitcnt lgkmcnt(0)
	v_cmp_eq_f64_e64 s0, s[10:11], 0
	v_cmp_eq_f64_e64 s1, s[8:9], 1.0
	s_and_b32 s0, s0, s1
	s_and_b32 vcc_lo, exec_lo, s0
	s_cbranch_vccnz .LBB96_37
; %bb.1:
	s_clause 0x1
	s_load_dwordx2 s[0:1], s[4:5], 0x80
	s_load_dwordx2 s[2:3], s[4:5], 0x70
	v_cmp_neq_f64_e64 s18, s[10:11], 0
	s_load_dword s24, s[4:5], 0x78
	s_waitcnt lgkmcnt(0)
	s_mul_i32 s1, s1, s7
	s_mul_hi_u32 s19, s0, s7
	s_mul_i32 s0, s0, s7
	s_add_i32 s1, s19, s1
	s_lshl_b64 s[0:1], s[0:1], 3
	s_add_u32 s19, s22, s0
	s_addc_u32 s21, s23, s1
	s_lshl_b64 s[0:1], s[2:3], 3
	s_mov_b32 s22, 0
	s_add_u32 s20, s19, s0
	v_cmp_eq_u32_e64 s0, 0, v0
	s_addc_u32 s21, s21, s1
	s_and_b32 vcc_lo, exec_lo, s18
	s_cbranch_vccnz .LBB96_5
; %bb.2:
	s_mov_b32 s1, 0
                                        ; implicit-def: $vgpr1_vgpr2
                                        ; implicit-def: $sgpr2_sgpr3
	s_and_saveexec_b32 s18, s0
	s_cbranch_execz .LBB96_6
; %bb.3:
	v_cmp_eq_f64_e64 s0, s[8:9], 0
	s_mul_hi_i32 s3, s24, s6
	s_mul_i32 s2, s24, s6
	s_and_b32 vcc_lo, exec_lo, s0
	s_cbranch_vccnz .LBB96_7
; %bb.4:
	s_lshl_b64 s[22:23], s[2:3], 3
	s_add_u32 s22, s20, s22
	s_addc_u32 s23, s21, s23
	s_load_dwordx2 s[22:23], s[22:23], 0x0
	s_waitcnt lgkmcnt(0)
	v_mul_f64 v[1:2], s[8:9], s[22:23]
	s_branch .LBB96_8
.LBB96_5:
                                        ; implicit-def: $vgpr1_vgpr2
                                        ; implicit-def: $sgpr2_sgpr3
	s_cbranch_execnz .LBB96_9
	s_branch .LBB96_35
.LBB96_6:
	s_or_b32 exec_lo, exec_lo, s18
	s_and_b32 vcc_lo, exec_lo, s1
	s_cbranch_vccnz .LBB96_9
	s_branch .LBB96_35
.LBB96_7:
	v_mov_b32_e32 v1, 0
	v_mov_b32_e32 v2, 0
.LBB96_8:
	s_mov_b32 s22, exec_lo
	s_or_b32 exec_lo, exec_lo, s18
	s_and_b32 vcc_lo, exec_lo, s1
	s_cbranch_vccz .LBB96_35
.LBB96_9:
	s_clause 0x4
	s_load_dwordx4 s[0:3], s[4:5], 0x30
	s_load_dword s23, s[4:5], 0x0
	s_load_dword s25, s[4:5], 0x28
	s_load_dwordx2 s[18:19], s[4:5], 0x40
	s_load_dword s4, s[4:5], 0x48
	s_mul_i32 s17, s17, s7
	s_mul_hi_u32 s26, s16, s7
	s_mul_i32 s16, s16, s7
	s_add_i32 s17, s26, s17
	v_mov_b32_e32 v1, 0
	v_mov_b32_e32 v2, 0
	s_waitcnt lgkmcnt(0)
	s_mul_i32 s1, s1, s7
	v_cmp_gt_i32_e32 vcc_lo, s23, v0
	s_mul_hi_u32 s5, s0, s7
	s_mul_i32 s0, s0, s7
	s_add_i32 s1, s5, s1
	s_mul_hi_i32 s27, s25, s6
	v_cndmask_b32_e32 v3, 0, v0, vcc_lo
	s_lshl_b64 s[0:1], s[0:1], 3
	s_mul_i32 s26, s25, s6
	s_add_u32 s5, s12, s0
	s_addc_u32 s7, s13, s1
	v_lshlrev_b32_e32 v3, 3, v3
	s_lshl_b64 s[0:1], s[14:15], 3
	s_add_u32 s5, s5, s0
	s_addc_u32 s7, s7, s1
	v_add_co_u32 v3, s5, s5, v3
	v_add_co_ci_u32_e64 v4, null, s7, 0, s5
	s_ashr_i32 s12, s23, 31
	s_lshl_b64 s[0:1], s[26:27], 3
	s_lshr_b32 s12, s12, 24
	v_add_co_u32 v3, vcc_lo, v3, s0
	s_add_i32 s5, s23, s12
	v_add_co_ci_u32_e64 v4, null, s1, v4, vcc_lo
	s_and_b32 s0, s5, 0xffffff00
	s_cmpk_lt_i32 s23, 0x100
	s_mov_b32 s1, 0
	s_cbranch_scc1 .LBB96_12
; %bb.10:
	v_mad_i64_i32 v[5:6], null, s4, v0, 0
	s_lshl_b64 s[14:15], s[18:19], 3
	s_ashr_i32 s5, s4, 31
	s_lshl_b64 s[12:13], s[16:17], 3
	s_add_u32 s7, s2, s14
	s_addc_u32 s14, s3, s15
	s_add_u32 s7, s7, s12
	v_lshlrev_b64 v[5:6], 3, v[5:6]
	s_addc_u32 s12, s14, s13
	v_mov_b32_e32 v1, 0
	v_mov_b32_e32 v8, v4
	;; [unrolled: 1-line block ×4, first 2 shown]
	v_add_co_u32 v5, vcc_lo, s7, v5
	v_add_co_ci_u32_e64 v6, null, s12, v6, vcc_lo
	s_lshl_b64 s[12:13], s[4:5], 11
	.p2align	6
.LBB96_11:                              ; =>This Inner Loop Header: Depth=1
	global_load_dwordx2 v[9:10], v[7:8], off
	global_load_dwordx2 v[11:12], v[5:6], off
	v_add_co_u32 v5, vcc_lo, v5, s12
	v_add_co_ci_u32_e64 v6, null, s13, v6, vcc_lo
	v_add_co_u32 v7, vcc_lo, 0x800, v7
	v_add_co_ci_u32_e64 v8, null, 0, v8, vcc_lo
	s_addk_i32 s1, 0x100
	s_cmp_ge_i32 s1, s0
	s_waitcnt vmcnt(0)
	v_fma_f64 v[1:2], v[9:10], v[11:12], v[1:2]
	s_cbranch_scc0 .LBB96_11
.LBB96_12:
	v_add_nc_u32_e32 v5, s0, v0
	s_mov_b32 s5, exec_lo
	v_cmpx_gt_i32_e64 s23, v5
	s_cbranch_execz .LBB96_14
; %bb.13:
	v_mad_i64_i32 v[5:6], null, s4, v5, 0
	s_lshl_b64 s[12:13], s[16:17], 3
	s_add_u32 s1, s2, s12
	s_addc_u32 s7, s3, s13
	s_lshl_b64 s[2:3], s[18:19], 3
	s_add_u32 s2, s1, s2
	s_addc_u32 s3, s7, s3
	s_ashr_i32 s1, s0, 31
	v_lshlrev_b64 v[5:6], 3, v[5:6]
	s_lshl_b64 s[0:1], s[0:1], 3
	v_add_co_u32 v3, vcc_lo, v3, s0
	v_add_co_ci_u32_e64 v4, null, s1, v4, vcc_lo
	v_add_co_u32 v5, vcc_lo, s2, v5
	v_add_co_ci_u32_e64 v6, null, s3, v6, vcc_lo
	global_load_dwordx2 v[3:4], v[3:4], off
	global_load_dwordx2 v[5:6], v[5:6], off
	s_waitcnt vmcnt(0)
	v_fma_f64 v[1:2], v[3:4], v[5:6], v[1:2]
.LBB96_14:
	s_or_b32 exec_lo, exec_lo, s5
	v_lshlrev_b32_e32 v3, 3, v0
	s_mov_b32 s0, exec_lo
	ds_write_b64 v3, v[1:2]
	s_waitcnt lgkmcnt(0)
	s_barrier
	buffer_gl0_inv
	v_cmpx_gt_u32_e32 0x80, v0
	s_cbranch_execz .LBB96_16
; %bb.15:
	ds_read2st64_b64 v[4:7], v3 offset1:2
	s_waitcnt lgkmcnt(0)
	v_add_f64 v[1:2], v[6:7], v[4:5]
	ds_write_b64 v3, v[1:2]
.LBB96_16:
	s_or_b32 exec_lo, exec_lo, s0
	s_mov_b32 s0, exec_lo
	s_waitcnt lgkmcnt(0)
	s_barrier
	buffer_gl0_inv
	v_cmpx_gt_u32_e32 64, v0
	s_cbranch_execz .LBB96_18
; %bb.17:
	ds_read2st64_b64 v[4:7], v3 offset1:1
	s_waitcnt lgkmcnt(0)
	v_add_f64 v[1:2], v[6:7], v[4:5]
	ds_write_b64 v3, v[1:2]
.LBB96_18:
	s_or_b32 exec_lo, exec_lo, s0
	s_mov_b32 s0, exec_lo
	s_waitcnt lgkmcnt(0)
	s_barrier
	buffer_gl0_inv
	v_cmpx_gt_u32_e32 32, v0
	s_cbranch_execz .LBB96_20
; %bb.19:
	ds_read2_b64 v[4:7], v3 offset1:32
	s_waitcnt lgkmcnt(0)
	v_add_f64 v[1:2], v[6:7], v[4:5]
	ds_write_b64 v3, v[1:2]
.LBB96_20:
	s_or_b32 exec_lo, exec_lo, s0
	s_mov_b32 s0, exec_lo
	s_waitcnt lgkmcnt(0)
	s_barrier
	buffer_gl0_inv
	v_cmpx_gt_u32_e32 16, v0
	s_cbranch_execz .LBB96_22
; %bb.21:
	ds_read2_b64 v[4:7], v3 offset1:16
	s_waitcnt lgkmcnt(0)
	v_add_f64 v[1:2], v[6:7], v[4:5]
	ds_write_b64 v3, v[1:2]
.LBB96_22:
	;; [unrolled: 13-line block ×5, first 2 shown]
	s_or_b32 exec_lo, exec_lo, s0
	v_cmp_eq_u32_e32 vcc_lo, 0, v0
	s_waitcnt lgkmcnt(0)
	s_barrier
	buffer_gl0_inv
	s_and_saveexec_b32 s0, vcc_lo
	s_cbranch_execz .LBB96_30
; %bb.29:
	v_mov_b32_e32 v4, 0
	ds_read_b128 v[0:3], v4
	s_waitcnt lgkmcnt(0)
	v_add_f64 v[0:1], v[2:3], v[0:1]
	ds_write_b64 v4, v[0:1]
.LBB96_30:
	s_or_b32 exec_lo, exec_lo, s0
	s_waitcnt lgkmcnt(0)
	s_barrier
	buffer_gl0_inv
                                        ; implicit-def: $vgpr1_vgpr2
                                        ; implicit-def: $sgpr2_sgpr3
	s_and_saveexec_b32 s0, vcc_lo
	s_cbranch_execz .LBB96_34
; %bb.31:
	v_mov_b32_e32 v0, 0
	v_cmp_eq_f64_e64 s1, s[8:9], 0
	s_mul_hi_i32 s3, s24, s6
	s_mul_i32 s2, s24, s6
	ds_read_b64 v[0:1], v0
	s_and_b32 vcc_lo, exec_lo, s1
	s_waitcnt lgkmcnt(0)
	v_mul_f64 v[1:2], s[10:11], v[0:1]
	s_cbranch_vccnz .LBB96_33
; %bb.32:
	s_lshl_b64 s[4:5], s[2:3], 3
	s_add_u32 s4, s20, s4
	s_addc_u32 s5, s21, s5
	s_load_dwordx2 s[4:5], s[4:5], 0x0
	s_waitcnt lgkmcnt(0)
	v_fma_f64 v[1:2], s[8:9], s[4:5], v[1:2]
.LBB96_33:
	s_or_b32 s22, s22, exec_lo
.LBB96_34:
	s_or_b32 exec_lo, exec_lo, s0
.LBB96_35:
	s_and_saveexec_b32 s0, s22
	s_cbranch_execz .LBB96_37
; %bb.36:
	s_lshl_b64 s[0:1], s[2:3], 3
	v_mov_b32_e32 v0, 0
	s_add_u32 s0, s20, s0
	s_addc_u32 s1, s21, s1
	global_store_dwordx2 v0, v[1:2], s[0:1]
.LBB96_37:
	s_endpgm
	.section	.rodata,"a",@progbits
	.p2align	6, 0x0
	.amdhsa_kernel _ZL20rocblas_gemvt_kernelILb1ELi256EdPKddEviiT2_lPKT1_lilS5_lilS2_lPT3_lili
		.amdhsa_group_segment_fixed_size 2048
		.amdhsa_private_segment_fixed_size 0
		.amdhsa_kernarg_size 140
		.amdhsa_user_sgpr_count 6
		.amdhsa_user_sgpr_private_segment_buffer 1
		.amdhsa_user_sgpr_dispatch_ptr 0
		.amdhsa_user_sgpr_queue_ptr 0
		.amdhsa_user_sgpr_kernarg_segment_ptr 1
		.amdhsa_user_sgpr_dispatch_id 0
		.amdhsa_user_sgpr_flat_scratch_init 0
		.amdhsa_user_sgpr_private_segment_size 0
		.amdhsa_wavefront_size32 1
		.amdhsa_uses_dynamic_stack 0
		.amdhsa_system_sgpr_private_segment_wavefront_offset 0
		.amdhsa_system_sgpr_workgroup_id_x 1
		.amdhsa_system_sgpr_workgroup_id_y 0
		.amdhsa_system_sgpr_workgroup_id_z 1
		.amdhsa_system_sgpr_workgroup_info 0
		.amdhsa_system_vgpr_workitem_id 0
		.amdhsa_next_free_vgpr 13
		.amdhsa_next_free_sgpr 28
		.amdhsa_reserve_vcc 1
		.amdhsa_reserve_flat_scratch 0
		.amdhsa_float_round_mode_32 0
		.amdhsa_float_round_mode_16_64 0
		.amdhsa_float_denorm_mode_32 3
		.amdhsa_float_denorm_mode_16_64 3
		.amdhsa_dx10_clamp 1
		.amdhsa_ieee_mode 1
		.amdhsa_fp16_overflow 0
		.amdhsa_workgroup_processor_mode 1
		.amdhsa_memory_ordered 1
		.amdhsa_forward_progress 1
		.amdhsa_shared_vgpr_count 0
		.amdhsa_exception_fp_ieee_invalid_op 0
		.amdhsa_exception_fp_denorm_src 0
		.amdhsa_exception_fp_ieee_div_zero 0
		.amdhsa_exception_fp_ieee_overflow 0
		.amdhsa_exception_fp_ieee_underflow 0
		.amdhsa_exception_fp_ieee_inexact 0
		.amdhsa_exception_int_div_zero 0
	.end_amdhsa_kernel
	.section	.text._ZL20rocblas_gemvt_kernelILb1ELi256EdPKddEviiT2_lPKT1_lilS5_lilS2_lPT3_lili,"axG",@progbits,_ZL20rocblas_gemvt_kernelILb1ELi256EdPKddEviiT2_lPKT1_lilS5_lilS2_lPT3_lili,comdat
.Lfunc_end96:
	.size	_ZL20rocblas_gemvt_kernelILb1ELi256EdPKddEviiT2_lPKT1_lilS5_lilS2_lPT3_lili, .Lfunc_end96-_ZL20rocblas_gemvt_kernelILb1ELi256EdPKddEviiT2_lPKT1_lilS5_lilS2_lPT3_lili
                                        ; -- End function
	.set _ZL20rocblas_gemvt_kernelILb1ELi256EdPKddEviiT2_lPKT1_lilS5_lilS2_lPT3_lili.num_vgpr, 13
	.set _ZL20rocblas_gemvt_kernelILb1ELi256EdPKddEviiT2_lPKT1_lilS5_lilS2_lPT3_lili.num_agpr, 0
	.set _ZL20rocblas_gemvt_kernelILb1ELi256EdPKddEviiT2_lPKT1_lilS5_lilS2_lPT3_lili.numbered_sgpr, 28
	.set _ZL20rocblas_gemvt_kernelILb1ELi256EdPKddEviiT2_lPKT1_lilS5_lilS2_lPT3_lili.num_named_barrier, 0
	.set _ZL20rocblas_gemvt_kernelILb1ELi256EdPKddEviiT2_lPKT1_lilS5_lilS2_lPT3_lili.private_seg_size, 0
	.set _ZL20rocblas_gemvt_kernelILb1ELi256EdPKddEviiT2_lPKT1_lilS5_lilS2_lPT3_lili.uses_vcc, 1
	.set _ZL20rocblas_gemvt_kernelILb1ELi256EdPKddEviiT2_lPKT1_lilS5_lilS2_lPT3_lili.uses_flat_scratch, 0
	.set _ZL20rocblas_gemvt_kernelILb1ELi256EdPKddEviiT2_lPKT1_lilS5_lilS2_lPT3_lili.has_dyn_sized_stack, 0
	.set _ZL20rocblas_gemvt_kernelILb1ELi256EdPKddEviiT2_lPKT1_lilS5_lilS2_lPT3_lili.has_recursion, 0
	.set _ZL20rocblas_gemvt_kernelILb1ELi256EdPKddEviiT2_lPKT1_lilS5_lilS2_lPT3_lili.has_indirect_call, 0
	.section	.AMDGPU.csdata,"",@progbits
; Kernel info:
; codeLenInByte = 1496
; TotalNumSgprs: 30
; NumVgprs: 13
; ScratchSize: 0
; MemoryBound: 0
; FloatMode: 240
; IeeeMode: 1
; LDSByteSize: 2048 bytes/workgroup (compile time only)
; SGPRBlocks: 0
; VGPRBlocks: 1
; NumSGPRsForWavesPerEU: 30
; NumVGPRsForWavesPerEU: 13
; Occupancy: 16
; WaveLimiterHint : 1
; COMPUTE_PGM_RSRC2:SCRATCH_EN: 0
; COMPUTE_PGM_RSRC2:USER_SGPR: 6
; COMPUTE_PGM_RSRC2:TRAP_HANDLER: 0
; COMPUTE_PGM_RSRC2:TGID_X_EN: 1
; COMPUTE_PGM_RSRC2:TGID_Y_EN: 0
; COMPUTE_PGM_RSRC2:TGID_Z_EN: 1
; COMPUTE_PGM_RSRC2:TIDIG_COMP_CNT: 0
	.section	.text._ZL20rocblas_gemvt_kernelILb1ELi256EdddEviiT2_lPKT1_lilS3_lilS0_lPT3_lili,"axG",@progbits,_ZL20rocblas_gemvt_kernelILb1ELi256EdddEviiT2_lPKT1_lilS3_lilS0_lPT3_lili,comdat
	.globl	_ZL20rocblas_gemvt_kernelILb1ELi256EdddEviiT2_lPKT1_lilS3_lilS0_lPT3_lili ; -- Begin function _ZL20rocblas_gemvt_kernelILb1ELi256EdddEviiT2_lPKT1_lilS3_lilS0_lPT3_lili
	.p2align	8
	.type	_ZL20rocblas_gemvt_kernelILb1ELi256EdddEviiT2_lPKT1_lilS3_lilS0_lPT3_lili,@function
_ZL20rocblas_gemvt_kernelILb1ELi256EdddEviiT2_lPKT1_lilS3_lilS0_lPT3_lili: ; @_ZL20rocblas_gemvt_kernelILb1ELi256EdddEviiT2_lPKT1_lilS3_lilS0_lPT3_lili
; %bb.0:
	s_clause 0x1
	s_load_dwordx2 s[16:17], s[4:5], 0x8
	s_load_dwordx4 s[8:11], s[4:5], 0x50
	s_waitcnt lgkmcnt(0)
	v_cmp_eq_f64_e64 s0, s[16:17], 0
	v_cmp_eq_f64_e64 s1, s[10:11], 1.0
	s_and_b32 s0, s0, s1
	s_and_b32 vcc_lo, exec_lo, s0
	s_cbranch_vccnz .LBB97_37
; %bb.1:
	s_clause 0x1
	s_load_dwordx2 s[12:13], s[4:5], 0x80
	s_load_dwordx4 s[0:3], s[4:5], 0x68
	v_cmp_neq_f64_e64 s14, s[16:17], 0
	s_load_dword s22, s[4:5], 0x78
	s_mov_b32 s23, 0
	s_waitcnt lgkmcnt(0)
	s_mul_i32 s13, s13, s7
	s_mul_hi_u32 s15, s12, s7
	s_mul_i32 s12, s12, s7
	s_add_i32 s13, s15, s13
	s_lshl_b64 s[12:13], s[12:13], 3
	s_add_u32 s12, s0, s12
	s_addc_u32 s13, s1, s13
	s_lshl_b64 s[0:1], s[2:3], 3
	s_add_u32 s20, s12, s0
	v_cmp_eq_u32_e64 s0, 0, v0
	s_addc_u32 s21, s13, s1
	s_and_b32 vcc_lo, exec_lo, s14
	s_cbranch_vccnz .LBB97_5
; %bb.2:
	s_mov_b32 s1, 0
                                        ; implicit-def: $vgpr1_vgpr2
                                        ; implicit-def: $sgpr2_sgpr3
	s_and_saveexec_b32 s12, s0
	s_cbranch_execz .LBB97_6
; %bb.3:
	v_cmp_eq_f64_e64 s0, s[10:11], 0
	s_mul_hi_i32 s3, s22, s6
	s_mul_i32 s2, s22, s6
	s_and_b32 vcc_lo, exec_lo, s0
	s_cbranch_vccnz .LBB97_7
; %bb.4:
	s_lshl_b64 s[14:15], s[2:3], 3
	s_add_u32 s14, s20, s14
	s_addc_u32 s15, s21, s15
	s_load_dwordx2 s[14:15], s[14:15], 0x0
	s_waitcnt lgkmcnt(0)
	v_mul_f64 v[1:2], s[10:11], s[14:15]
	s_branch .LBB97_8
.LBB97_5:
                                        ; implicit-def: $vgpr1_vgpr2
                                        ; implicit-def: $sgpr2_sgpr3
	s_cbranch_execnz .LBB97_9
	s_branch .LBB97_35
.LBB97_6:
	s_or_b32 exec_lo, exec_lo, s12
	s_and_b32 vcc_lo, exec_lo, s1
	s_cbranch_vccnz .LBB97_9
	s_branch .LBB97_35
.LBB97_7:
	v_mov_b32_e32 v1, 0
	v_mov_b32_e32 v2, 0
.LBB97_8:
	s_mov_b32 s23, exec_lo
	s_or_b32 exec_lo, exec_lo, s12
	s_and_b32 vcc_lo, exec_lo, s1
	s_cbranch_vccz .LBB97_35
.LBB97_9:
	s_clause 0x5
	s_load_dwordx4 s[0:3], s[4:5], 0x30
	s_load_dword s24, s[4:5], 0x0
	s_load_dword s25, s[4:5], 0x28
	s_load_dwordx4 s[12:15], s[4:5], 0x18
	s_load_dwordx2 s[18:19], s[4:5], 0x40
	s_load_dword s4, s[4:5], 0x48
	s_mul_i32 s9, s9, s7
	s_mul_hi_u32 s26, s8, s7
	s_mul_i32 s8, s8, s7
	s_add_i32 s9, s26, s9
	v_mov_b32_e32 v1, 0
	v_mov_b32_e32 v2, 0
	s_waitcnt lgkmcnt(0)
	s_mul_i32 s1, s1, s7
	v_cmp_gt_i32_e32 vcc_lo, s24, v0
	s_mul_hi_u32 s5, s0, s7
	s_mul_i32 s0, s0, s7
	s_add_i32 s1, s5, s1
	s_mul_hi_i32 s27, s25, s6
	v_cndmask_b32_e32 v3, 0, v0, vcc_lo
	s_lshl_b64 s[0:1], s[0:1], 3
	s_mul_i32 s26, s25, s6
	s_add_u32 s5, s12, s0
	s_addc_u32 s7, s13, s1
	v_lshlrev_b32_e32 v3, 3, v3
	s_lshl_b64 s[0:1], s[14:15], 3
	s_add_u32 s5, s5, s0
	s_addc_u32 s7, s7, s1
	v_add_co_u32 v3, s5, s5, v3
	v_add_co_ci_u32_e64 v4, null, s7, 0, s5
	s_ashr_i32 s12, s24, 31
	s_lshl_b64 s[0:1], s[26:27], 3
	s_lshr_b32 s12, s12, 24
	v_add_co_u32 v3, vcc_lo, v3, s0
	s_add_i32 s5, s24, s12
	v_add_co_ci_u32_e64 v4, null, s1, v4, vcc_lo
	s_and_b32 s0, s5, 0xffffff00
	s_cmpk_lt_i32 s24, 0x100
	s_mov_b32 s1, 0
	s_cbranch_scc1 .LBB97_12
; %bb.10:
	v_mad_i64_i32 v[5:6], null, s4, v0, 0
	s_lshl_b64 s[14:15], s[18:19], 3
	s_ashr_i32 s5, s4, 31
	s_lshl_b64 s[12:13], s[8:9], 3
	s_add_u32 s7, s2, s14
	s_addc_u32 s14, s3, s15
	s_add_u32 s7, s7, s12
	v_lshlrev_b64 v[5:6], 3, v[5:6]
	s_addc_u32 s12, s14, s13
	v_mov_b32_e32 v1, 0
	v_mov_b32_e32 v8, v4
	;; [unrolled: 1-line block ×4, first 2 shown]
	v_add_co_u32 v5, vcc_lo, s7, v5
	v_add_co_ci_u32_e64 v6, null, s12, v6, vcc_lo
	s_lshl_b64 s[12:13], s[4:5], 11
	.p2align	6
.LBB97_11:                              ; =>This Inner Loop Header: Depth=1
	global_load_dwordx2 v[9:10], v[7:8], off
	global_load_dwordx2 v[11:12], v[5:6], off
	v_add_co_u32 v5, vcc_lo, v5, s12
	v_add_co_ci_u32_e64 v6, null, s13, v6, vcc_lo
	v_add_co_u32 v7, vcc_lo, 0x800, v7
	v_add_co_ci_u32_e64 v8, null, 0, v8, vcc_lo
	s_addk_i32 s1, 0x100
	s_cmp_ge_i32 s1, s0
	s_waitcnt vmcnt(0)
	v_fma_f64 v[1:2], v[9:10], v[11:12], v[1:2]
	s_cbranch_scc0 .LBB97_11
.LBB97_12:
	v_add_nc_u32_e32 v5, s0, v0
	s_mov_b32 s5, exec_lo
	v_cmpx_gt_i32_e64 s24, v5
	s_cbranch_execz .LBB97_14
; %bb.13:
	v_mad_i64_i32 v[5:6], null, s4, v5, 0
	s_lshl_b64 s[8:9], s[8:9], 3
	s_add_u32 s1, s2, s8
	s_addc_u32 s7, s3, s9
	s_lshl_b64 s[2:3], s[18:19], 3
	s_add_u32 s2, s1, s2
	s_addc_u32 s3, s7, s3
	s_ashr_i32 s1, s0, 31
	v_lshlrev_b64 v[5:6], 3, v[5:6]
	s_lshl_b64 s[0:1], s[0:1], 3
	v_add_co_u32 v3, vcc_lo, v3, s0
	v_add_co_ci_u32_e64 v4, null, s1, v4, vcc_lo
	v_add_co_u32 v5, vcc_lo, s2, v5
	v_add_co_ci_u32_e64 v6, null, s3, v6, vcc_lo
	global_load_dwordx2 v[3:4], v[3:4], off
	global_load_dwordx2 v[5:6], v[5:6], off
	s_waitcnt vmcnt(0)
	v_fma_f64 v[1:2], v[3:4], v[5:6], v[1:2]
.LBB97_14:
	s_or_b32 exec_lo, exec_lo, s5
	v_lshlrev_b32_e32 v3, 3, v0
	s_mov_b32 s0, exec_lo
	ds_write_b64 v3, v[1:2]
	s_waitcnt lgkmcnt(0)
	s_barrier
	buffer_gl0_inv
	v_cmpx_gt_u32_e32 0x80, v0
	s_cbranch_execz .LBB97_16
; %bb.15:
	ds_read2st64_b64 v[4:7], v3 offset1:2
	s_waitcnt lgkmcnt(0)
	v_add_f64 v[1:2], v[6:7], v[4:5]
	ds_write_b64 v3, v[1:2]
.LBB97_16:
	s_or_b32 exec_lo, exec_lo, s0
	s_mov_b32 s0, exec_lo
	s_waitcnt lgkmcnt(0)
	s_barrier
	buffer_gl0_inv
	v_cmpx_gt_u32_e32 64, v0
	s_cbranch_execz .LBB97_18
; %bb.17:
	ds_read2st64_b64 v[4:7], v3 offset1:1
	s_waitcnt lgkmcnt(0)
	v_add_f64 v[1:2], v[6:7], v[4:5]
	ds_write_b64 v3, v[1:2]
.LBB97_18:
	s_or_b32 exec_lo, exec_lo, s0
	s_mov_b32 s0, exec_lo
	s_waitcnt lgkmcnt(0)
	s_barrier
	buffer_gl0_inv
	v_cmpx_gt_u32_e32 32, v0
	s_cbranch_execz .LBB97_20
; %bb.19:
	ds_read2_b64 v[4:7], v3 offset1:32
	s_waitcnt lgkmcnt(0)
	v_add_f64 v[1:2], v[6:7], v[4:5]
	ds_write_b64 v3, v[1:2]
.LBB97_20:
	s_or_b32 exec_lo, exec_lo, s0
	s_mov_b32 s0, exec_lo
	s_waitcnt lgkmcnt(0)
	s_barrier
	buffer_gl0_inv
	v_cmpx_gt_u32_e32 16, v0
	s_cbranch_execz .LBB97_22
; %bb.21:
	ds_read2_b64 v[4:7], v3 offset1:16
	s_waitcnt lgkmcnt(0)
	v_add_f64 v[1:2], v[6:7], v[4:5]
	ds_write_b64 v3, v[1:2]
.LBB97_22:
	;; [unrolled: 13-line block ×5, first 2 shown]
	s_or_b32 exec_lo, exec_lo, s0
	v_cmp_eq_u32_e32 vcc_lo, 0, v0
	s_waitcnt lgkmcnt(0)
	s_barrier
	buffer_gl0_inv
	s_and_saveexec_b32 s0, vcc_lo
	s_cbranch_execz .LBB97_30
; %bb.29:
	v_mov_b32_e32 v4, 0
	ds_read_b128 v[0:3], v4
	s_waitcnt lgkmcnt(0)
	v_add_f64 v[0:1], v[2:3], v[0:1]
	ds_write_b64 v4, v[0:1]
.LBB97_30:
	s_or_b32 exec_lo, exec_lo, s0
	s_waitcnt lgkmcnt(0)
	s_barrier
	buffer_gl0_inv
                                        ; implicit-def: $vgpr1_vgpr2
                                        ; implicit-def: $sgpr2_sgpr3
	s_and_saveexec_b32 s0, vcc_lo
	s_cbranch_execz .LBB97_34
; %bb.31:
	v_mov_b32_e32 v0, 0
	v_cmp_eq_f64_e64 s1, s[10:11], 0
	s_mul_hi_i32 s3, s22, s6
	s_mul_i32 s2, s22, s6
	ds_read_b64 v[0:1], v0
	s_and_b32 vcc_lo, exec_lo, s1
	s_waitcnt lgkmcnt(0)
	v_mul_f64 v[1:2], s[16:17], v[0:1]
	s_cbranch_vccnz .LBB97_33
; %bb.32:
	s_lshl_b64 s[4:5], s[2:3], 3
	s_add_u32 s4, s20, s4
	s_addc_u32 s5, s21, s5
	s_load_dwordx2 s[4:5], s[4:5], 0x0
	s_waitcnt lgkmcnt(0)
	v_fma_f64 v[1:2], s[10:11], s[4:5], v[1:2]
.LBB97_33:
	s_or_b32 s23, s23, exec_lo
.LBB97_34:
	s_or_b32 exec_lo, exec_lo, s0
.LBB97_35:
	s_and_saveexec_b32 s0, s23
	s_cbranch_execz .LBB97_37
; %bb.36:
	s_lshl_b64 s[0:1], s[2:3], 3
	v_mov_b32_e32 v0, 0
	s_add_u32 s0, s20, s0
	s_addc_u32 s1, s21, s1
	global_store_dwordx2 v0, v[1:2], s[0:1]
.LBB97_37:
	s_endpgm
	.section	.rodata,"a",@progbits
	.p2align	6, 0x0
	.amdhsa_kernel _ZL20rocblas_gemvt_kernelILb1ELi256EdddEviiT2_lPKT1_lilS3_lilS0_lPT3_lili
		.amdhsa_group_segment_fixed_size 2048
		.amdhsa_private_segment_fixed_size 0
		.amdhsa_kernarg_size 140
		.amdhsa_user_sgpr_count 6
		.amdhsa_user_sgpr_private_segment_buffer 1
		.amdhsa_user_sgpr_dispatch_ptr 0
		.amdhsa_user_sgpr_queue_ptr 0
		.amdhsa_user_sgpr_kernarg_segment_ptr 1
		.amdhsa_user_sgpr_dispatch_id 0
		.amdhsa_user_sgpr_flat_scratch_init 0
		.amdhsa_user_sgpr_private_segment_size 0
		.amdhsa_wavefront_size32 1
		.amdhsa_uses_dynamic_stack 0
		.amdhsa_system_sgpr_private_segment_wavefront_offset 0
		.amdhsa_system_sgpr_workgroup_id_x 1
		.amdhsa_system_sgpr_workgroup_id_y 0
		.amdhsa_system_sgpr_workgroup_id_z 1
		.amdhsa_system_sgpr_workgroup_info 0
		.amdhsa_system_vgpr_workitem_id 0
		.amdhsa_next_free_vgpr 13
		.amdhsa_next_free_sgpr 28
		.amdhsa_reserve_vcc 1
		.amdhsa_reserve_flat_scratch 0
		.amdhsa_float_round_mode_32 0
		.amdhsa_float_round_mode_16_64 0
		.amdhsa_float_denorm_mode_32 3
		.amdhsa_float_denorm_mode_16_64 3
		.amdhsa_dx10_clamp 1
		.amdhsa_ieee_mode 1
		.amdhsa_fp16_overflow 0
		.amdhsa_workgroup_processor_mode 1
		.amdhsa_memory_ordered 1
		.amdhsa_forward_progress 1
		.amdhsa_shared_vgpr_count 0
		.amdhsa_exception_fp_ieee_invalid_op 0
		.amdhsa_exception_fp_denorm_src 0
		.amdhsa_exception_fp_ieee_div_zero 0
		.amdhsa_exception_fp_ieee_overflow 0
		.amdhsa_exception_fp_ieee_underflow 0
		.amdhsa_exception_fp_ieee_inexact 0
		.amdhsa_exception_int_div_zero 0
	.end_amdhsa_kernel
	.section	.text._ZL20rocblas_gemvt_kernelILb1ELi256EdddEviiT2_lPKT1_lilS3_lilS0_lPT3_lili,"axG",@progbits,_ZL20rocblas_gemvt_kernelILb1ELi256EdddEviiT2_lPKT1_lilS3_lilS0_lPT3_lili,comdat
.Lfunc_end97:
	.size	_ZL20rocblas_gemvt_kernelILb1ELi256EdddEviiT2_lPKT1_lilS3_lilS0_lPT3_lili, .Lfunc_end97-_ZL20rocblas_gemvt_kernelILb1ELi256EdddEviiT2_lPKT1_lilS3_lilS0_lPT3_lili
                                        ; -- End function
	.set _ZL20rocblas_gemvt_kernelILb1ELi256EdddEviiT2_lPKT1_lilS3_lilS0_lPT3_lili.num_vgpr, 13
	.set _ZL20rocblas_gemvt_kernelILb1ELi256EdddEviiT2_lPKT1_lilS3_lilS0_lPT3_lili.num_agpr, 0
	.set _ZL20rocblas_gemvt_kernelILb1ELi256EdddEviiT2_lPKT1_lilS3_lilS0_lPT3_lili.numbered_sgpr, 28
	.set _ZL20rocblas_gemvt_kernelILb1ELi256EdddEviiT2_lPKT1_lilS3_lilS0_lPT3_lili.num_named_barrier, 0
	.set _ZL20rocblas_gemvt_kernelILb1ELi256EdddEviiT2_lPKT1_lilS3_lilS0_lPT3_lili.private_seg_size, 0
	.set _ZL20rocblas_gemvt_kernelILb1ELi256EdddEviiT2_lPKT1_lilS3_lilS0_lPT3_lili.uses_vcc, 1
	.set _ZL20rocblas_gemvt_kernelILb1ELi256EdddEviiT2_lPKT1_lilS3_lilS0_lPT3_lili.uses_flat_scratch, 0
	.set _ZL20rocblas_gemvt_kernelILb1ELi256EdddEviiT2_lPKT1_lilS3_lilS0_lPT3_lili.has_dyn_sized_stack, 0
	.set _ZL20rocblas_gemvt_kernelILb1ELi256EdddEviiT2_lPKT1_lilS3_lilS0_lPT3_lili.has_recursion, 0
	.set _ZL20rocblas_gemvt_kernelILb1ELi256EdddEviiT2_lPKT1_lilS3_lilS0_lPT3_lili.has_indirect_call, 0
	.section	.AMDGPU.csdata,"",@progbits
; Kernel info:
; codeLenInByte = 1432
; TotalNumSgprs: 30
; NumVgprs: 13
; ScratchSize: 0
; MemoryBound: 0
; FloatMode: 240
; IeeeMode: 1
; LDSByteSize: 2048 bytes/workgroup (compile time only)
; SGPRBlocks: 0
; VGPRBlocks: 1
; NumSGPRsForWavesPerEU: 30
; NumVGPRsForWavesPerEU: 13
; Occupancy: 16
; WaveLimiterHint : 1
; COMPUTE_PGM_RSRC2:SCRATCH_EN: 0
; COMPUTE_PGM_RSRC2:USER_SGPR: 6
; COMPUTE_PGM_RSRC2:TRAP_HANDLER: 0
; COMPUTE_PGM_RSRC2:TGID_X_EN: 1
; COMPUTE_PGM_RSRC2:TGID_Y_EN: 0
; COMPUTE_PGM_RSRC2:TGID_Z_EN: 1
; COMPUTE_PGM_RSRC2:TIDIG_COMP_CNT: 0
	.section	.text._ZL32rocblas_gemvt_warp_reduce_kernelILb1ELi1024EidPKddEviiT3_lPKT2_lT1_lS5_lS6_lS2_lPT4_lS6_li,"axG",@progbits,_ZL32rocblas_gemvt_warp_reduce_kernelILb1ELi1024EidPKddEviiT3_lPKT2_lT1_lS5_lS6_lS2_lPT4_lS6_li,comdat
	.globl	_ZL32rocblas_gemvt_warp_reduce_kernelILb1ELi1024EidPKddEviiT3_lPKT2_lT1_lS5_lS6_lS2_lPT4_lS6_li ; -- Begin function _ZL32rocblas_gemvt_warp_reduce_kernelILb1ELi1024EidPKddEviiT3_lPKT2_lT1_lS5_lS6_lS2_lPT4_lS6_li
	.p2align	8
	.type	_ZL32rocblas_gemvt_warp_reduce_kernelILb1ELi1024EidPKddEviiT3_lPKT2_lT1_lS5_lS6_lS2_lPT4_lS6_li,@function
_ZL32rocblas_gemvt_warp_reduce_kernelILb1ELi1024EidPKddEviiT3_lPKT2_lT1_lS5_lS6_lS2_lPT4_lS6_li: ; @_ZL32rocblas_gemvt_warp_reduce_kernelILb1ELi1024EidPKddEviiT3_lPKT2_lT1_lS5_lS6_lS2_lPT4_lS6_li
; %bb.0:
	s_clause 0x1
	s_load_dwordx8 s[8:15], s[4:5], 0x8
	s_load_dwordx8 s[16:23], s[4:5], 0x50
	s_waitcnt lgkmcnt(0)
	s_mul_i32 s1, s11, s7
	s_mul_hi_u32 s2, s10, s7
	s_mul_i32 s0, s10, s7
	s_add_i32 s1, s2, s1
	s_mul_i32 s2, s21, s7
	s_lshl_b64 s[0:1], s[0:1], 3
	s_mul_hi_u32 s3, s20, s7
	s_add_u32 s0, s8, s0
	s_addc_u32 s1, s9, s1
	s_add_i32 s3, s3, s2
	s_mul_i32 s2, s20, s7
	s_lshl_b64 s[2:3], s[2:3], 3
	s_add_u32 s2, s18, s2
	s_addc_u32 s3, s19, s3
	s_load_dwordx2 s[8:9], s[0:1], 0x0
	s_load_dwordx2 s[2:3], s[2:3], 0x0
	s_waitcnt lgkmcnt(0)
	v_cmp_eq_f64_e64 s0, s[8:9], 0
	v_cmp_eq_f64_e64 s1, s[2:3], 1.0
	s_and_b32 s0, s0, s1
	s_and_b32 vcc_lo, exec_lo, s0
	s_cbranch_vccnz .LBB98_30
; %bb.1:
	s_clause 0x1
	s_load_dwordx2 s[0:1], s[4:5], 0x80
	s_load_dwordx2 s[10:11], s[4:5], 0x70
	v_cmp_neq_f64_e64 s19, s[8:9], 0
	s_load_dword s20, s[4:5], 0x78
	s_waitcnt lgkmcnt(0)
	s_mul_i32 s1, s1, s7
	s_mul_hi_u32 s18, s0, s7
	s_mul_i32 s0, s0, s7
	s_add_i32 s1, s18, s1
	s_lshl_b64 s[0:1], s[0:1], 3
	s_add_u32 s0, s22, s0
	s_addc_u32 s18, s23, s1
	s_lshl_b64 s[10:11], s[10:11], 3
	s_add_u32 s1, s0, s10
	v_cmp_eq_u32_e64 s0, 0, v0
	s_addc_u32 s18, s18, s11
	s_and_b32 vcc_lo, exec_lo, s19
	s_mov_b32 s19, 0
	s_cbranch_vccnz .LBB98_5
; %bb.2:
	s_mov_b32 s21, 0
                                        ; implicit-def: $vgpr1_vgpr2
                                        ; implicit-def: $sgpr10_sgpr11
	s_and_saveexec_b32 s22, s0
	s_cbranch_execz .LBB98_6
; %bb.3:
	v_cmp_eq_f64_e64 s0, s[2:3], 0
	s_mul_i32 s10, s20, s6
	s_ashr_i32 s11, s10, 31
	s_and_b32 vcc_lo, exec_lo, s0
	s_cbranch_vccnz .LBB98_7
; %bb.4:
	s_lshl_b64 s[24:25], s[10:11], 3
	s_add_u32 s24, s1, s24
	s_addc_u32 s25, s18, s25
	s_load_dwordx2 s[24:25], s[24:25], 0x0
	s_waitcnt lgkmcnt(0)
	v_mul_f64 v[1:2], s[2:3], s[24:25]
	s_branch .LBB98_8
.LBB98_5:
                                        ; implicit-def: $vgpr1_vgpr2
                                        ; implicit-def: $sgpr10_sgpr11
	s_cbranch_execnz .LBB98_9
	s_branch .LBB98_28
.LBB98_6:
	s_or_b32 exec_lo, exec_lo, s22
	s_and_b32 vcc_lo, exec_lo, s21
	s_cbranch_vccnz .LBB98_9
	s_branch .LBB98_28
.LBB98_7:
	v_mov_b32_e32 v1, 0
	v_mov_b32_e32 v2, 0
.LBB98_8:
	s_mov_b32 s19, exec_lo
	s_or_b32 exec_lo, exec_lo, s22
	s_and_b32 vcc_lo, exec_lo, s21
	s_cbranch_vccz .LBB98_28
.LBB98_9:
	s_clause 0x3
	s_load_dwordx4 s[24:27], s[4:5], 0x30
	s_load_dwordx2 s[22:23], s[4:5], 0x40
	s_load_dword s10, s[4:5], 0x0
	s_load_dword s0, s[4:5], 0x28
	s_mul_i32 s11, s17, s7
	s_mul_hi_u32 s17, s16, s7
	s_mul_i32 s16, s16, s7
	s_add_i32 s17, s17, s11
	s_load_dword s5, s[4:5], 0x48
	s_lshl_b64 s[16:17], s[16:17], 3
	s_waitcnt lgkmcnt(0)
	s_add_u32 s4, s26, s16
	s_addc_u32 s11, s27, s17
	v_cmp_gt_i32_e32 vcc_lo, s10, v0
	s_lshl_b64 s[16:17], s[22:23], 3
	s_mul_i32 s21, s25, s7
	s_mul_hi_u32 s25, s24, s7
	s_mul_i32 s22, s24, s7
	s_add_u32 s7, s4, s16
	v_cndmask_b32_e32 v1, 0, v0, vcc_lo
	s_addc_u32 s11, s11, s17
	s_add_i32 s23, s25, s21
	s_lshl_b64 s[16:17], s[22:23], 3
	s_mul_i32 s22, s0, s6
	s_add_u32 s0, s12, s16
	v_lshlrev_b32_e32 v1, 3, v1
	s_addc_u32 s4, s13, s17
	s_lshl_b64 s[12:13], s[14:15], 3
	s_add_u32 s0, s0, s12
	s_addc_u32 s4, s4, s13
	v_add_co_u32 v1, s0, s0, v1
	s_ashr_i32 s23, s22, 31
	s_ashr_i32 s12, s10, 31
	v_add_co_ci_u32_e64 v2, null, s4, 0, s0
	s_lshr_b32 s0, s12, 22
	s_lshl_b64 s[12:13], s[22:23], 3
	s_add_i32 s0, s10, s0
	v_add_co_u32 v3, vcc_lo, v1, s12
	v_add_co_ci_u32_e64 v4, null, s13, v2, vcc_lo
	v_mov_b32_e32 v1, 0
	v_mov_b32_e32 v2, 0
	s_and_b32 s4, s0, 0xfffffc00
	s_mov_b32 s13, 0
	s_mov_b32 s12, exec_lo
	v_cmpx_gt_i32_e64 s4, v0
	s_cbranch_execz .LBB98_13
; %bb.10:
	v_mul_lo_u32 v5, v0, s5
	v_mov_b32_e32 v1, 0
	v_mov_b32_e32 v8, v4
	v_mov_b32_e32 v2, 0
	v_mov_b32_e32 v7, v3
	v_mov_b32_e32 v9, v0
	s_lshl_b32 s14, s5, 10
	.p2align	6
.LBB98_11:                              ; =>This Inner Loop Header: Depth=1
	v_ashrrev_i32_e32 v6, 31, v5
	v_add_nc_u32_e32 v9, 0x400, v9
	v_lshlrev_b64 v[10:11], 3, v[5:6]
	v_cmp_le_i32_e64 s0, s4, v9
	v_add_nc_u32_e32 v5, s14, v5
	s_or_b32 s13, s0, s13
	v_add_co_u32 v10, vcc_lo, s7, v10
	v_add_co_ci_u32_e64 v11, null, s11, v11, vcc_lo
	global_load_dwordx2 v[12:13], v[7:8], off
	global_load_dwordx2 v[10:11], v[10:11], off
	v_add_co_u32 v7, vcc_lo, 0x2000, v7
	v_add_co_ci_u32_e64 v8, null, 0, v8, vcc_lo
	s_waitcnt vmcnt(0)
	v_fma_f64 v[1:2], v[12:13], v[10:11], v[1:2]
	s_andn2_b32 exec_lo, exec_lo, s13
	s_cbranch_execnz .LBB98_11
; %bb.12:
	s_or_b32 exec_lo, exec_lo, s13
.LBB98_13:
	s_or_b32 exec_lo, exec_lo, s12
	v_or_b32_e32 v5, s4, v0
	s_mov_b32 s0, exec_lo
	v_cmpx_gt_i32_e64 s10, v5
	s_cbranch_execz .LBB98_15
; %bb.14:
	v_mul_lo_u32 v5, s5, v5
	s_ashr_i32 s5, s4, 31
	s_lshl_b64 s[4:5], s[4:5], 3
	v_add_co_u32 v3, vcc_lo, v3, s4
	v_add_co_ci_u32_e64 v4, null, s5, v4, vcc_lo
	v_ashrrev_i32_e32 v6, 31, v5
	v_lshlrev_b64 v[5:6], 3, v[5:6]
	v_add_co_u32 v5, vcc_lo, s7, v5
	v_add_co_ci_u32_e64 v6, null, s11, v6, vcc_lo
	global_load_dwordx2 v[3:4], v[3:4], off
	global_load_dwordx2 v[5:6], v[5:6], off
	s_waitcnt vmcnt(0)
	v_fma_f64 v[1:2], v[3:4], v[5:6], v[1:2]
.LBB98_15:
	s_or_b32 exec_lo, exec_lo, s0
	v_and_b32_e32 v11, 31, v0
	v_cmp_gt_u32_e32 vcc_lo, 32, v0
	v_lshlrev_b32_e32 v5, 3, v11
	s_and_saveexec_b32 s0, vcc_lo
; %bb.16:
	v_mov_b32_e32 v3, 0
	v_mov_b32_e32 v4, v3
	ds_write_b64 v5, v[3:4]
; %bb.17:
	s_or_b32 exec_lo, exec_lo, s0
	v_mbcnt_lo_u32_b32 v10, -1, 0
	s_mov_b32 s4, exec_lo
	s_waitcnt lgkmcnt(0)
	s_barrier
	buffer_gl0_inv
	v_lshl_or_b32 v6, v10, 2, 64
	v_cmp_gt_u32_e64 s0, 24, v10
	ds_bpermute_b32 v3, v6, v1
	ds_bpermute_b32 v4, v6, v2
	s_waitcnt lgkmcnt(0)
	v_add_f64 v[1:2], v[1:2], v[3:4]
	v_cndmask_b32_e64 v3, 0, 8, s0
	v_cmp_gt_u32_e64 s0, 28, v10
	v_add_lshl_u32 v7, v3, v10, 2
	ds_bpermute_b32 v3, v7, v1
	ds_bpermute_b32 v4, v7, v2
	s_waitcnt lgkmcnt(0)
	v_add_f64 v[1:2], v[1:2], v[3:4]
	v_cndmask_b32_e64 v3, 0, 4, s0
	v_cmp_gt_u32_e64 s0, 30, v10
	v_add_lshl_u32 v8, v3, v10, 2
	ds_bpermute_b32 v3, v8, v1
	ds_bpermute_b32 v4, v8, v2
	s_waitcnt lgkmcnt(0)
	v_add_f64 v[1:2], v[1:2], v[3:4]
	v_cndmask_b32_e64 v3, 0, 2, s0
	v_cmp_ne_u32_e64 s0, 31, v10
	v_add_lshl_u32 v9, v3, v10, 2
	ds_bpermute_b32 v3, v9, v1
	ds_bpermute_b32 v4, v9, v2
	s_waitcnt lgkmcnt(0)
	v_add_f64 v[1:2], v[1:2], v[3:4]
	v_add_co_ci_u32_e64 v3, null, 0, v10, s0
	v_lshlrev_b32_e32 v10, 2, v3
	ds_bpermute_b32 v3, v10, v1
	ds_bpermute_b32 v4, v10, v2
	v_cmpx_eq_u32_e32 0, v11
	s_cbranch_execz .LBB98_19
; %bb.18:
	s_waitcnt lgkmcnt(0)
	v_add_f64 v[1:2], v[1:2], v[3:4]
	v_lshrrev_b32_e32 v3, 2, v0
	v_and_b32_e32 v3, 0xf8, v3
	ds_write_b64 v3, v[1:2]
.LBB98_19:
	s_or_b32 exec_lo, exec_lo, s4
	s_waitcnt lgkmcnt(0)
	v_mov_b32_e32 v3, 0
	v_mov_b32_e32 v4, 0
	s_barrier
	buffer_gl0_inv
	s_and_saveexec_b32 s0, vcc_lo
; %bb.20:
	ds_read_b64 v[3:4], v5
; %bb.21:
	s_or_b32 exec_lo, exec_lo, s0
	s_and_saveexec_b32 s0, vcc_lo
	s_cbranch_execz .LBB98_23
; %bb.22:
	s_waitcnt lgkmcnt(0)
	ds_bpermute_b32 v1, v6, v3
	ds_bpermute_b32 v2, v6, v4
	s_waitcnt lgkmcnt(0)
	v_add_f64 v[1:2], v[3:4], v[1:2]
	ds_bpermute_b32 v3, v7, v1
	ds_bpermute_b32 v4, v7, v2
	s_waitcnt lgkmcnt(0)
	v_add_f64 v[1:2], v[1:2], v[3:4]
	;; [unrolled: 4-line block ×5, first 2 shown]
.LBB98_23:
	s_or_b32 exec_lo, exec_lo, s0
	s_mov_b32 s0, exec_lo
                                        ; implicit-def: $vgpr1_vgpr2
                                        ; implicit-def: $sgpr10_sgpr11
	v_cmpx_eq_u32_e32 0, v0
	s_cbranch_execz .LBB98_27
; %bb.24:
	v_cmp_eq_f64_e64 s4, s[2:3], 0
	s_waitcnt lgkmcnt(0)
	v_mul_f64 v[1:2], s[8:9], v[3:4]
	s_mul_i32 s10, s20, s6
	s_ashr_i32 s11, s10, 31
	s_and_b32 vcc_lo, exec_lo, s4
	s_cbranch_vccnz .LBB98_26
; %bb.25:
	s_lshl_b64 s[4:5], s[10:11], 3
	s_add_u32 s4, s1, s4
	s_addc_u32 s5, s18, s5
	s_load_dwordx2 s[4:5], s[4:5], 0x0
	s_waitcnt lgkmcnt(0)
	v_fma_f64 v[1:2], s[2:3], s[4:5], v[1:2]
.LBB98_26:
	s_or_b32 s19, s19, exec_lo
.LBB98_27:
	s_or_b32 exec_lo, exec_lo, s0
.LBB98_28:
	s_and_saveexec_b32 s0, s19
	s_cbranch_execz .LBB98_30
; %bb.29:
	s_lshl_b64 s[2:3], s[10:11], 3
	v_mov_b32_e32 v0, 0
	s_add_u32 s0, s1, s2
	s_addc_u32 s1, s18, s3
	global_store_dwordx2 v0, v[1:2], s[0:1]
.LBB98_30:
	s_endpgm
	.section	.rodata,"a",@progbits
	.p2align	6, 0x0
	.amdhsa_kernel _ZL32rocblas_gemvt_warp_reduce_kernelILb1ELi1024EidPKddEviiT3_lPKT2_lT1_lS5_lS6_lS2_lPT4_lS6_li
		.amdhsa_group_segment_fixed_size 256
		.amdhsa_private_segment_fixed_size 0
		.amdhsa_kernarg_size 140
		.amdhsa_user_sgpr_count 6
		.amdhsa_user_sgpr_private_segment_buffer 1
		.amdhsa_user_sgpr_dispatch_ptr 0
		.amdhsa_user_sgpr_queue_ptr 0
		.amdhsa_user_sgpr_kernarg_segment_ptr 1
		.amdhsa_user_sgpr_dispatch_id 0
		.amdhsa_user_sgpr_flat_scratch_init 0
		.amdhsa_user_sgpr_private_segment_size 0
		.amdhsa_wavefront_size32 1
		.amdhsa_uses_dynamic_stack 0
		.amdhsa_system_sgpr_private_segment_wavefront_offset 0
		.amdhsa_system_sgpr_workgroup_id_x 1
		.amdhsa_system_sgpr_workgroup_id_y 0
		.amdhsa_system_sgpr_workgroup_id_z 1
		.amdhsa_system_sgpr_workgroup_info 0
		.amdhsa_system_vgpr_workitem_id 0
		.amdhsa_next_free_vgpr 14
		.amdhsa_next_free_sgpr 28
		.amdhsa_reserve_vcc 1
		.amdhsa_reserve_flat_scratch 0
		.amdhsa_float_round_mode_32 0
		.amdhsa_float_round_mode_16_64 0
		.amdhsa_float_denorm_mode_32 3
		.amdhsa_float_denorm_mode_16_64 3
		.amdhsa_dx10_clamp 1
		.amdhsa_ieee_mode 1
		.amdhsa_fp16_overflow 0
		.amdhsa_workgroup_processor_mode 1
		.amdhsa_memory_ordered 1
		.amdhsa_forward_progress 1
		.amdhsa_shared_vgpr_count 0
		.amdhsa_exception_fp_ieee_invalid_op 0
		.amdhsa_exception_fp_denorm_src 0
		.amdhsa_exception_fp_ieee_div_zero 0
		.amdhsa_exception_fp_ieee_overflow 0
		.amdhsa_exception_fp_ieee_underflow 0
		.amdhsa_exception_fp_ieee_inexact 0
		.amdhsa_exception_int_div_zero 0
	.end_amdhsa_kernel
	.section	.text._ZL32rocblas_gemvt_warp_reduce_kernelILb1ELi1024EidPKddEviiT3_lPKT2_lT1_lS5_lS6_lS2_lPT4_lS6_li,"axG",@progbits,_ZL32rocblas_gemvt_warp_reduce_kernelILb1ELi1024EidPKddEviiT3_lPKT2_lT1_lS5_lS6_lS2_lPT4_lS6_li,comdat
.Lfunc_end98:
	.size	_ZL32rocblas_gemvt_warp_reduce_kernelILb1ELi1024EidPKddEviiT3_lPKT2_lT1_lS5_lS6_lS2_lPT4_lS6_li, .Lfunc_end98-_ZL32rocblas_gemvt_warp_reduce_kernelILb1ELi1024EidPKddEviiT3_lPKT2_lT1_lS5_lS6_lS2_lPT4_lS6_li
                                        ; -- End function
	.set _ZL32rocblas_gemvt_warp_reduce_kernelILb1ELi1024EidPKddEviiT3_lPKT2_lT1_lS5_lS6_lS2_lPT4_lS6_li.num_vgpr, 14
	.set _ZL32rocblas_gemvt_warp_reduce_kernelILb1ELi1024EidPKddEviiT3_lPKT2_lT1_lS5_lS6_lS2_lPT4_lS6_li.num_agpr, 0
	.set _ZL32rocblas_gemvt_warp_reduce_kernelILb1ELi1024EidPKddEviiT3_lPKT2_lT1_lS5_lS6_lS2_lPT4_lS6_li.numbered_sgpr, 28
	.set _ZL32rocblas_gemvt_warp_reduce_kernelILb1ELi1024EidPKddEviiT3_lPKT2_lT1_lS5_lS6_lS2_lPT4_lS6_li.num_named_barrier, 0
	.set _ZL32rocblas_gemvt_warp_reduce_kernelILb1ELi1024EidPKddEviiT3_lPKT2_lT1_lS5_lS6_lS2_lPT4_lS6_li.private_seg_size, 0
	.set _ZL32rocblas_gemvt_warp_reduce_kernelILb1ELi1024EidPKddEviiT3_lPKT2_lT1_lS5_lS6_lS2_lPT4_lS6_li.uses_vcc, 1
	.set _ZL32rocblas_gemvt_warp_reduce_kernelILb1ELi1024EidPKddEviiT3_lPKT2_lT1_lS5_lS6_lS2_lPT4_lS6_li.uses_flat_scratch, 0
	.set _ZL32rocblas_gemvt_warp_reduce_kernelILb1ELi1024EidPKddEviiT3_lPKT2_lT1_lS5_lS6_lS2_lPT4_lS6_li.has_dyn_sized_stack, 0
	.set _ZL32rocblas_gemvt_warp_reduce_kernelILb1ELi1024EidPKddEviiT3_lPKT2_lT1_lS5_lS6_lS2_lPT4_lS6_li.has_recursion, 0
	.set _ZL32rocblas_gemvt_warp_reduce_kernelILb1ELi1024EidPKddEviiT3_lPKT2_lT1_lS5_lS6_lS2_lPT4_lS6_li.has_indirect_call, 0
	.section	.AMDGPU.csdata,"",@progbits
; Kernel info:
; codeLenInByte = 1524
; TotalNumSgprs: 30
; NumVgprs: 14
; ScratchSize: 0
; MemoryBound: 0
; FloatMode: 240
; IeeeMode: 1
; LDSByteSize: 256 bytes/workgroup (compile time only)
; SGPRBlocks: 0
; VGPRBlocks: 1
; NumSGPRsForWavesPerEU: 30
; NumVGPRsForWavesPerEU: 14
; Occupancy: 16
; WaveLimiterHint : 1
; COMPUTE_PGM_RSRC2:SCRATCH_EN: 0
; COMPUTE_PGM_RSRC2:USER_SGPR: 6
; COMPUTE_PGM_RSRC2:TRAP_HANDLER: 0
; COMPUTE_PGM_RSRC2:TGID_X_EN: 1
; COMPUTE_PGM_RSRC2:TGID_Y_EN: 0
; COMPUTE_PGM_RSRC2:TGID_Z_EN: 1
; COMPUTE_PGM_RSRC2:TIDIG_COMP_CNT: 0
	.section	.text._ZL32rocblas_gemvt_warp_reduce_kernelILb1ELi1024EldPKddEviiT3_lPKT2_lT1_lS5_lS6_lS2_lPT4_lS6_li,"axG",@progbits,_ZL32rocblas_gemvt_warp_reduce_kernelILb1ELi1024EldPKddEviiT3_lPKT2_lT1_lS5_lS6_lS2_lPT4_lS6_li,comdat
	.globl	_ZL32rocblas_gemvt_warp_reduce_kernelILb1ELi1024EldPKddEviiT3_lPKT2_lT1_lS5_lS6_lS2_lPT4_lS6_li ; -- Begin function _ZL32rocblas_gemvt_warp_reduce_kernelILb1ELi1024EldPKddEviiT3_lPKT2_lT1_lS5_lS6_lS2_lPT4_lS6_li
	.p2align	8
	.type	_ZL32rocblas_gemvt_warp_reduce_kernelILb1ELi1024EldPKddEviiT3_lPKT2_lT1_lS5_lS6_lS2_lPT4_lS6_li,@function
_ZL32rocblas_gemvt_warp_reduce_kernelILb1ELi1024EldPKddEviiT3_lPKT2_lT1_lS5_lS6_lS2_lPT4_lS6_li: ; @_ZL32rocblas_gemvt_warp_reduce_kernelILb1ELi1024EldPKddEviiT3_lPKT2_lT1_lS5_lS6_lS2_lPT4_lS6_li
; %bb.0:
	s_clause 0x1
	s_load_dwordx16 s[36:51], s[4:5], 0x8
	s_load_dwordx16 s[8:23], s[4:5], 0x48
	s_waitcnt lgkmcnt(0)
	s_mul_i32 s1, s39, s7
	s_mul_hi_u32 s2, s38, s7
	s_mul_i32 s0, s38, s7
	s_add_i32 s1, s2, s1
	s_mul_i32 s2, s15, s7
	s_lshl_b64 s[0:1], s[0:1], 3
	s_mul_hi_u32 s3, s14, s7
	s_add_u32 s0, s36, s0
	s_addc_u32 s1, s37, s1
	s_add_i32 s3, s3, s2
	s_mul_i32 s2, s14, s7
	s_lshl_b64 s[2:3], s[2:3], 3
	s_add_u32 s2, s12, s2
	s_addc_u32 s3, s13, s3
	s_load_dwordx2 s[12:13], s[0:1], 0x0
	s_load_dwordx2 s[2:3], s[2:3], 0x0
	s_waitcnt lgkmcnt(0)
	v_cmp_eq_f64_e64 s0, s[12:13], 0
	v_cmp_eq_f64_e64 s1, s[2:3], 1.0
	s_and_b32 s0, s0, s1
	s_and_b32 vcc_lo, exec_lo, s0
	s_cbranch_vccnz .LBB99_30
; %bb.1:
	v_cmp_neq_f64_e64 s24, s[12:13], 0
	s_mul_i32 s1, s23, s7
	s_mul_hi_u32 s14, s22, s7
	s_mul_i32 s0, s22, s7
	s_add_i32 s1, s14, s1
	s_lshl_b64 s[0:1], s[0:1], 3
	s_add_u32 s0, s16, s0
	s_addc_u32 s16, s17, s1
	s_lshl_b64 s[14:15], s[18:19], 3
	s_mov_b32 s17, 0
	s_add_u32 s1, s0, s14
	v_cmp_eq_u32_e64 s0, 0, v0
	s_addc_u32 s16, s16, s15
	s_and_b32 vcc_lo, exec_lo, s24
	s_cbranch_vccnz .LBB99_5
; %bb.2:
	s_mov_b32 s18, 0
                                        ; implicit-def: $vgpr1_vgpr2
                                        ; implicit-def: $sgpr14_sgpr15
	s_and_saveexec_b32 s19, s0
	s_cbranch_execz .LBB99_6
; %bb.3:
	v_cmp_eq_f64_e64 s0, s[2:3], 0
	s_ashr_i32 s14, s6, 31
	s_mul_hi_u32 s15, s20, s6
	s_mul_i32 s14, s20, s14
	s_add_i32 s14, s15, s14
	s_mul_i32 s15, s21, s6
	s_add_i32 s15, s14, s15
	s_mul_i32 s14, s20, s6
	s_and_b32 vcc_lo, exec_lo, s0
	s_cbranch_vccnz .LBB99_7
; %bb.4:
	s_lshl_b64 s[22:23], s[14:15], 3
	s_add_u32 s22, s1, s22
	s_addc_u32 s23, s16, s23
	s_load_dwordx2 s[22:23], s[22:23], 0x0
	s_waitcnt lgkmcnt(0)
	v_mul_f64 v[1:2], s[2:3], s[22:23]
	s_branch .LBB99_8
.LBB99_5:
                                        ; implicit-def: $vgpr1_vgpr2
                                        ; implicit-def: $sgpr14_sgpr15
	s_cbranch_execnz .LBB99_9
	s_branch .LBB99_28
.LBB99_6:
	s_or_b32 exec_lo, exec_lo, s19
	s_and_b32 vcc_lo, exec_lo, s18
	s_cbranch_vccnz .LBB99_9
	s_branch .LBB99_28
.LBB99_7:
	v_mov_b32_e32 v1, 0
	v_mov_b32_e32 v2, 0
.LBB99_8:
	s_mov_b32 s17, exec_lo
	s_or_b32 exec_lo, exec_lo, s19
	s_and_b32 vcc_lo, exec_lo, s18
	s_cbranch_vccz .LBB99_28
.LBB99_9:
	s_load_dword s15, s[4:5], 0x0
	s_mul_i32 s0, s11, s7
	s_mul_i32 s5, s47, s7
	s_mul_hi_u32 s11, s46, s7
	s_mul_i32 s4, s46, s7
	s_add_i32 s5, s11, s5
	s_mul_hi_u32 s11, s10, s7
	s_lshl_b64 s[18:19], s[4:5], 3
	s_add_i32 s5, s11, s0
	s_add_u32 s0, s40, s18
	s_addc_u32 s4, s41, s19
	s_lshl_b64 s[18:19], s[42:43], 3
	s_mul_hi_u32 s11, s44, s6
	s_add_u32 s0, s0, s18
	s_addc_u32 s4, s4, s19
	s_ashr_i32 s18, s6, 31
	s_mul_i32 s19, s45, s6
	s_mul_i32 s14, s44, s18
	;; [unrolled: 1-line block ×3, first 2 shown]
	s_add_i32 s11, s11, s14
	s_waitcnt lgkmcnt(0)
	v_cmp_gt_i32_e32 vcc_lo, s15, v0
	s_add_i32 s23, s11, s19
	s_ashr_i32 s11, s15, 31
	s_lshl_b64 s[22:23], s[22:23], 3
	s_lshr_b32 s11, s11, 22
	v_cndmask_b32_e32 v1, 0, v0, vcc_lo
	s_mov_b32 s19, 0
	v_lshlrev_b32_e32 v1, 3, v1
	v_add_co_u32 v1, s0, s0, v1
	v_add_co_ci_u32_e64 v2, null, s4, 0, s0
	s_add_i32 s0, s15, s11
	v_add_co_u32 v3, vcc_lo, v1, s22
	v_add_co_ci_u32_e64 v4, null, s23, v2, vcc_lo
	v_mov_b32_e32 v1, 0
	v_mov_b32_e32 v2, 0
	s_and_b32 s14, s0, 0xfffffc00
	s_mul_i32 s4, s10, s7
	s_mov_b32 s7, exec_lo
	v_cmpx_gt_i32_e64 s14, v0
	s_cbranch_execz .LBB99_13
; %bb.10:
	v_mad_u64_u32 v[7:8], null, s8, v0, 0
	s_lshl_b64 s[22:23], s[50:51], 3
	s_lshl_b64 s[10:11], s[4:5], 3
	s_add_u32 s0, s48, s22
	s_addc_u32 s22, s49, s23
	s_add_u32 s0, s0, s10
	s_addc_u32 s10, s22, s11
	v_mov_b32_e32 v1, v8
	v_mov_b32_e32 v6, v4
	;; [unrolled: 1-line block ×4, first 2 shown]
	v_mad_u64_u32 v[1:2], null, s9, v0, v[1:2]
	v_mov_b32_e32 v8, v1
	v_mov_b32_e32 v1, 0
	;; [unrolled: 1-line block ×3, first 2 shown]
	v_lshlrev_b64 v[7:8], 3, v[7:8]
	v_add_co_u32 v7, vcc_lo, s0, v7
	v_add_co_ci_u32_e64 v8, null, s10, v8, vcc_lo
	s_lshl_b64 s[10:11], s[8:9], 13
	.p2align	6
.LBB99_11:                              ; =>This Inner Loop Header: Depth=1
	global_load_dwordx2 v[10:11], v[5:6], off
	global_load_dwordx2 v[12:13], v[7:8], off
	v_add_nc_u32_e32 v9, 0x400, v9
	v_add_co_u32 v5, vcc_lo, 0x2000, v5
	v_add_co_ci_u32_e64 v6, null, 0, v6, vcc_lo
	v_cmp_le_i32_e32 vcc_lo, s14, v9
	v_add_co_u32 v7, s0, v7, s10
	v_add_co_ci_u32_e64 v8, null, s11, v8, s0
	s_or_b32 s19, vcc_lo, s19
	s_waitcnt vmcnt(0)
	v_fma_f64 v[1:2], v[10:11], v[12:13], v[1:2]
	s_andn2_b32 exec_lo, exec_lo, s19
	s_cbranch_execnz .LBB99_11
; %bb.12:
	s_or_b32 exec_lo, exec_lo, s19
.LBB99_13:
	s_or_b32 exec_lo, exec_lo, s7
	v_or_b32_e32 v5, s14, v0
	s_mov_b32 s0, exec_lo
	v_cmpx_gt_i32_e64 s15, v5
	s_cbranch_execz .LBB99_15
; %bb.14:
	v_ashrrev_i32_e32 v7, 31, v5
	v_mul_lo_u32 v8, s9, v5
	v_mad_u64_u32 v[5:6], null, s8, v5, 0
	s_lshl_b64 s[4:5], s[4:5], 3
	v_mul_lo_u32 v7, s8, v7
	s_add_u32 s7, s48, s4
	s_addc_u32 s8, s49, s5
	s_lshl_b64 s[4:5], s[50:51], 3
	s_add_u32 s7, s7, s4
	s_addc_u32 s8, s8, s5
	s_ashr_i32 s15, s14, 31
	v_add3_u32 v6, v6, v7, v8
	s_lshl_b64 s[4:5], s[14:15], 3
	v_add_co_u32 v3, vcc_lo, v3, s4
	v_lshlrev_b64 v[5:6], 3, v[5:6]
	v_add_co_ci_u32_e64 v4, null, s5, v4, vcc_lo
	v_add_co_u32 v5, vcc_lo, s7, v5
	v_add_co_ci_u32_e64 v6, null, s8, v6, vcc_lo
	global_load_dwordx2 v[3:4], v[3:4], off
	global_load_dwordx2 v[5:6], v[5:6], off
	s_waitcnt vmcnt(0)
	v_fma_f64 v[1:2], v[3:4], v[5:6], v[1:2]
.LBB99_15:
	s_or_b32 exec_lo, exec_lo, s0
	v_and_b32_e32 v11, 31, v0
	v_cmp_gt_u32_e32 vcc_lo, 32, v0
	v_lshlrev_b32_e32 v5, 3, v11
	s_and_saveexec_b32 s0, vcc_lo
; %bb.16:
	v_mov_b32_e32 v3, 0
	v_mov_b32_e32 v4, v3
	ds_write_b64 v5, v[3:4]
; %bb.17:
	s_or_b32 exec_lo, exec_lo, s0
	v_mbcnt_lo_u32_b32 v10, -1, 0
	s_mov_b32 s4, exec_lo
	s_waitcnt lgkmcnt(0)
	s_barrier
	buffer_gl0_inv
	v_lshl_or_b32 v6, v10, 2, 64
	v_cmp_gt_u32_e64 s0, 24, v10
	ds_bpermute_b32 v3, v6, v1
	ds_bpermute_b32 v4, v6, v2
	s_waitcnt lgkmcnt(0)
	v_add_f64 v[1:2], v[1:2], v[3:4]
	v_cndmask_b32_e64 v3, 0, 8, s0
	v_cmp_gt_u32_e64 s0, 28, v10
	v_add_lshl_u32 v7, v3, v10, 2
	ds_bpermute_b32 v3, v7, v1
	ds_bpermute_b32 v4, v7, v2
	s_waitcnt lgkmcnt(0)
	v_add_f64 v[1:2], v[1:2], v[3:4]
	v_cndmask_b32_e64 v3, 0, 4, s0
	v_cmp_gt_u32_e64 s0, 30, v10
	v_add_lshl_u32 v8, v3, v10, 2
	ds_bpermute_b32 v3, v8, v1
	ds_bpermute_b32 v4, v8, v2
	s_waitcnt lgkmcnt(0)
	v_add_f64 v[1:2], v[1:2], v[3:4]
	v_cndmask_b32_e64 v3, 0, 2, s0
	v_cmp_ne_u32_e64 s0, 31, v10
	v_add_lshl_u32 v9, v3, v10, 2
	ds_bpermute_b32 v3, v9, v1
	ds_bpermute_b32 v4, v9, v2
	s_waitcnt lgkmcnt(0)
	v_add_f64 v[1:2], v[1:2], v[3:4]
	v_add_co_ci_u32_e64 v3, null, 0, v10, s0
	v_lshlrev_b32_e32 v10, 2, v3
	ds_bpermute_b32 v3, v10, v1
	ds_bpermute_b32 v4, v10, v2
	v_cmpx_eq_u32_e32 0, v11
	s_cbranch_execz .LBB99_19
; %bb.18:
	s_waitcnt lgkmcnt(0)
	v_add_f64 v[1:2], v[1:2], v[3:4]
	v_lshrrev_b32_e32 v3, 2, v0
	v_and_b32_e32 v3, 0xf8, v3
	ds_write_b64 v3, v[1:2]
.LBB99_19:
	s_or_b32 exec_lo, exec_lo, s4
	s_waitcnt lgkmcnt(0)
	v_mov_b32_e32 v3, 0
	v_mov_b32_e32 v4, 0
	s_barrier
	buffer_gl0_inv
	s_and_saveexec_b32 s0, vcc_lo
; %bb.20:
	ds_read_b64 v[3:4], v5
; %bb.21:
	s_or_b32 exec_lo, exec_lo, s0
	s_and_saveexec_b32 s0, vcc_lo
	s_cbranch_execz .LBB99_23
; %bb.22:
	s_waitcnt lgkmcnt(0)
	ds_bpermute_b32 v1, v6, v3
	ds_bpermute_b32 v2, v6, v4
	s_waitcnt lgkmcnt(0)
	v_add_f64 v[1:2], v[3:4], v[1:2]
	ds_bpermute_b32 v3, v7, v1
	ds_bpermute_b32 v4, v7, v2
	s_waitcnt lgkmcnt(0)
	v_add_f64 v[1:2], v[1:2], v[3:4]
	ds_bpermute_b32 v3, v8, v1
	ds_bpermute_b32 v4, v8, v2
	s_waitcnt lgkmcnt(0)
	v_add_f64 v[1:2], v[1:2], v[3:4]
	ds_bpermute_b32 v3, v9, v1
	ds_bpermute_b32 v4, v9, v2
	s_waitcnt lgkmcnt(0)
	v_add_f64 v[1:2], v[1:2], v[3:4]
	ds_bpermute_b32 v3, v10, v1
	ds_bpermute_b32 v4, v10, v2
	s_waitcnt lgkmcnt(0)
	v_add_f64 v[3:4], v[1:2], v[3:4]
.LBB99_23:
	s_or_b32 exec_lo, exec_lo, s0
	s_mov_b32 s0, exec_lo
                                        ; implicit-def: $vgpr1_vgpr2
                                        ; implicit-def: $sgpr14_sgpr15
	v_cmpx_eq_u32_e32 0, v0
	s_cbranch_execz .LBB99_27
; %bb.24:
	v_cmp_eq_f64_e64 s4, s[2:3], 0
	s_waitcnt lgkmcnt(0)
	v_mul_f64 v[1:2], s[12:13], v[3:4]
	s_mul_i32 s5, s20, s18
	s_mul_hi_u32 s7, s20, s6
	s_mul_i32 s14, s20, s6
	s_add_i32 s5, s7, s5
	s_mul_i32 s7, s21, s6
	s_add_i32 s15, s5, s7
	s_and_b32 vcc_lo, exec_lo, s4
	s_cbranch_vccnz .LBB99_26
; %bb.25:
	s_lshl_b64 s[4:5], s[14:15], 3
	s_add_u32 s4, s1, s4
	s_addc_u32 s5, s16, s5
	s_load_dwordx2 s[4:5], s[4:5], 0x0
	s_waitcnt lgkmcnt(0)
	v_fma_f64 v[1:2], s[2:3], s[4:5], v[1:2]
.LBB99_26:
	s_or_b32 s17, s17, exec_lo
.LBB99_27:
	s_or_b32 exec_lo, exec_lo, s0
.LBB99_28:
	s_and_saveexec_b32 s0, s17
	s_cbranch_execz .LBB99_30
; %bb.29:
	s_lshl_b64 s[2:3], s[14:15], 3
	v_mov_b32_e32 v0, 0
	s_add_u32 s0, s1, s2
	s_addc_u32 s1, s16, s3
	global_store_dwordx2 v0, v[1:2], s[0:1]
.LBB99_30:
	s_endpgm
	.section	.rodata,"a",@progbits
	.p2align	6, 0x0
	.amdhsa_kernel _ZL32rocblas_gemvt_warp_reduce_kernelILb1ELi1024EldPKddEviiT3_lPKT2_lT1_lS5_lS6_lS2_lPT4_lS6_li
		.amdhsa_group_segment_fixed_size 256
		.amdhsa_private_segment_fixed_size 0
		.amdhsa_kernarg_size 140
		.amdhsa_user_sgpr_count 6
		.amdhsa_user_sgpr_private_segment_buffer 1
		.amdhsa_user_sgpr_dispatch_ptr 0
		.amdhsa_user_sgpr_queue_ptr 0
		.amdhsa_user_sgpr_kernarg_segment_ptr 1
		.amdhsa_user_sgpr_dispatch_id 0
		.amdhsa_user_sgpr_flat_scratch_init 0
		.amdhsa_user_sgpr_private_segment_size 0
		.amdhsa_wavefront_size32 1
		.amdhsa_uses_dynamic_stack 0
		.amdhsa_system_sgpr_private_segment_wavefront_offset 0
		.amdhsa_system_sgpr_workgroup_id_x 1
		.amdhsa_system_sgpr_workgroup_id_y 0
		.amdhsa_system_sgpr_workgroup_id_z 1
		.amdhsa_system_sgpr_workgroup_info 0
		.amdhsa_system_vgpr_workitem_id 0
		.amdhsa_next_free_vgpr 14
		.amdhsa_next_free_sgpr 52
		.amdhsa_reserve_vcc 1
		.amdhsa_reserve_flat_scratch 0
		.amdhsa_float_round_mode_32 0
		.amdhsa_float_round_mode_16_64 0
		.amdhsa_float_denorm_mode_32 3
		.amdhsa_float_denorm_mode_16_64 3
		.amdhsa_dx10_clamp 1
		.amdhsa_ieee_mode 1
		.amdhsa_fp16_overflow 0
		.amdhsa_workgroup_processor_mode 1
		.amdhsa_memory_ordered 1
		.amdhsa_forward_progress 1
		.amdhsa_shared_vgpr_count 0
		.amdhsa_exception_fp_ieee_invalid_op 0
		.amdhsa_exception_fp_denorm_src 0
		.amdhsa_exception_fp_ieee_div_zero 0
		.amdhsa_exception_fp_ieee_overflow 0
		.amdhsa_exception_fp_ieee_underflow 0
		.amdhsa_exception_fp_ieee_inexact 0
		.amdhsa_exception_int_div_zero 0
	.end_amdhsa_kernel
	.section	.text._ZL32rocblas_gemvt_warp_reduce_kernelILb1ELi1024EldPKddEviiT3_lPKT2_lT1_lS5_lS6_lS2_lPT4_lS6_li,"axG",@progbits,_ZL32rocblas_gemvt_warp_reduce_kernelILb1ELi1024EldPKddEviiT3_lPKT2_lT1_lS5_lS6_lS2_lPT4_lS6_li,comdat
.Lfunc_end99:
	.size	_ZL32rocblas_gemvt_warp_reduce_kernelILb1ELi1024EldPKddEviiT3_lPKT2_lT1_lS5_lS6_lS2_lPT4_lS6_li, .Lfunc_end99-_ZL32rocblas_gemvt_warp_reduce_kernelILb1ELi1024EldPKddEviiT3_lPKT2_lT1_lS5_lS6_lS2_lPT4_lS6_li
                                        ; -- End function
	.set _ZL32rocblas_gemvt_warp_reduce_kernelILb1ELi1024EldPKddEviiT3_lPKT2_lT1_lS5_lS6_lS2_lPT4_lS6_li.num_vgpr, 14
	.set _ZL32rocblas_gemvt_warp_reduce_kernelILb1ELi1024EldPKddEviiT3_lPKT2_lT1_lS5_lS6_lS2_lPT4_lS6_li.num_agpr, 0
	.set _ZL32rocblas_gemvt_warp_reduce_kernelILb1ELi1024EldPKddEviiT3_lPKT2_lT1_lS5_lS6_lS2_lPT4_lS6_li.numbered_sgpr, 52
	.set _ZL32rocblas_gemvt_warp_reduce_kernelILb1ELi1024EldPKddEviiT3_lPKT2_lT1_lS5_lS6_lS2_lPT4_lS6_li.num_named_barrier, 0
	.set _ZL32rocblas_gemvt_warp_reduce_kernelILb1ELi1024EldPKddEviiT3_lPKT2_lT1_lS5_lS6_lS2_lPT4_lS6_li.private_seg_size, 0
	.set _ZL32rocblas_gemvt_warp_reduce_kernelILb1ELi1024EldPKddEviiT3_lPKT2_lT1_lS5_lS6_lS2_lPT4_lS6_li.uses_vcc, 1
	.set _ZL32rocblas_gemvt_warp_reduce_kernelILb1ELi1024EldPKddEviiT3_lPKT2_lT1_lS5_lS6_lS2_lPT4_lS6_li.uses_flat_scratch, 0
	.set _ZL32rocblas_gemvt_warp_reduce_kernelILb1ELi1024EldPKddEviiT3_lPKT2_lT1_lS5_lS6_lS2_lPT4_lS6_li.has_dyn_sized_stack, 0
	.set _ZL32rocblas_gemvt_warp_reduce_kernelILb1ELi1024EldPKddEviiT3_lPKT2_lT1_lS5_lS6_lS2_lPT4_lS6_li.has_recursion, 0
	.set _ZL32rocblas_gemvt_warp_reduce_kernelILb1ELi1024EldPKddEviiT3_lPKT2_lT1_lS5_lS6_lS2_lPT4_lS6_li.has_indirect_call, 0
	.section	.AMDGPU.csdata,"",@progbits
; Kernel info:
; codeLenInByte = 1568
; TotalNumSgprs: 54
; NumVgprs: 14
; ScratchSize: 0
; MemoryBound: 0
; FloatMode: 240
; IeeeMode: 1
; LDSByteSize: 256 bytes/workgroup (compile time only)
; SGPRBlocks: 0
; VGPRBlocks: 1
; NumSGPRsForWavesPerEU: 54
; NumVGPRsForWavesPerEU: 14
; Occupancy: 16
; WaveLimiterHint : 0
; COMPUTE_PGM_RSRC2:SCRATCH_EN: 0
; COMPUTE_PGM_RSRC2:USER_SGPR: 6
; COMPUTE_PGM_RSRC2:TRAP_HANDLER: 0
; COMPUTE_PGM_RSRC2:TGID_X_EN: 1
; COMPUTE_PGM_RSRC2:TGID_Y_EN: 0
; COMPUTE_PGM_RSRC2:TGID_Z_EN: 1
; COMPUTE_PGM_RSRC2:TIDIG_COMP_CNT: 0
	.section	.text._ZL32rocblas_gemvt_warp_reduce_kernelILb1ELi1024EidddEviiT3_lPKT2_lT1_lS3_lS4_lS0_lPT4_lS4_li,"axG",@progbits,_ZL32rocblas_gemvt_warp_reduce_kernelILb1ELi1024EidddEviiT3_lPKT2_lT1_lS3_lS4_lS0_lPT4_lS4_li,comdat
	.globl	_ZL32rocblas_gemvt_warp_reduce_kernelILb1ELi1024EidddEviiT3_lPKT2_lT1_lS3_lS4_lS0_lPT4_lS4_li ; -- Begin function _ZL32rocblas_gemvt_warp_reduce_kernelILb1ELi1024EidddEviiT3_lPKT2_lT1_lS3_lS4_lS0_lPT4_lS4_li
	.p2align	8
	.type	_ZL32rocblas_gemvt_warp_reduce_kernelILb1ELi1024EidddEviiT3_lPKT2_lT1_lS3_lS4_lS0_lPT4_lS4_li,@function
_ZL32rocblas_gemvt_warp_reduce_kernelILb1ELi1024EidddEviiT3_lPKT2_lT1_lS3_lS4_lS0_lPT4_lS4_li: ; @_ZL32rocblas_gemvt_warp_reduce_kernelILb1ELi1024EidddEviiT3_lPKT2_lT1_lS3_lS4_lS0_lPT4_lS4_li
; %bb.0:
	s_clause 0x1
	s_load_dwordx2 s[2:3], s[4:5], 0x8
	s_load_dwordx4 s[8:11], s[4:5], 0x50
	s_waitcnt lgkmcnt(0)
	v_cmp_eq_f64_e64 s0, s[2:3], 0
	v_cmp_eq_f64_e64 s1, s[10:11], 1.0
	s_and_b32 s0, s0, s1
	s_and_b32 vcc_lo, exec_lo, s0
	s_cbranch_vccnz .LBB100_30
; %bb.1:
	s_clause 0x1
	s_load_dwordx2 s[0:1], s[4:5], 0x80
	s_load_dwordx4 s[12:15], s[4:5], 0x68
	v_cmp_neq_f64_e64 s17, s[2:3], 0
	s_load_dword s16, s[4:5], 0x78
	s_waitcnt lgkmcnt(0)
	s_mul_i32 s1, s1, s7
	s_mul_hi_u32 s18, s0, s7
	s_mul_i32 s0, s0, s7
	s_add_i32 s1, s18, s1
	s_lshl_b64 s[0:1], s[0:1], 3
	s_add_u32 s0, s12, s0
	s_addc_u32 s18, s13, s1
	s_lshl_b64 s[12:13], s[14:15], 3
	s_mov_b32 s15, 0
	s_add_u32 s1, s0, s12
	v_cmp_eq_u32_e64 s0, 0, v0
	s_addc_u32 s14, s18, s13
	s_and_b32 vcc_lo, exec_lo, s17
	s_cbranch_vccnz .LBB100_5
; %bb.2:
	s_mov_b32 s17, 0
                                        ; implicit-def: $vgpr1_vgpr2
                                        ; implicit-def: $sgpr12_sgpr13
	s_and_saveexec_b32 s18, s0
	s_cbranch_execz .LBB100_6
; %bb.3:
	v_cmp_eq_f64_e64 s0, s[10:11], 0
	s_mul_i32 s12, s16, s6
	s_ashr_i32 s13, s12, 31
	s_and_b32 vcc_lo, exec_lo, s0
	s_cbranch_vccnz .LBB100_7
; %bb.4:
	s_lshl_b64 s[20:21], s[12:13], 3
	s_add_u32 s20, s1, s20
	s_addc_u32 s21, s14, s21
	s_load_dwordx2 s[20:21], s[20:21], 0x0
	s_waitcnt lgkmcnt(0)
	v_mul_f64 v[1:2], s[10:11], s[20:21]
	s_branch .LBB100_8
.LBB100_5:
                                        ; implicit-def: $vgpr1_vgpr2
                                        ; implicit-def: $sgpr12_sgpr13
	s_cbranch_execnz .LBB100_9
	s_branch .LBB100_28
.LBB100_6:
	s_or_b32 exec_lo, exec_lo, s18
	s_and_b32 vcc_lo, exec_lo, s17
	s_cbranch_vccnz .LBB100_9
	s_branch .LBB100_28
.LBB100_7:
	v_mov_b32_e32 v1, 0
	v_mov_b32_e32 v2, 0
.LBB100_8:
	s_mov_b32 s15, exec_lo
	s_or_b32 exec_lo, exec_lo, s18
	s_and_b32 vcc_lo, exec_lo, s17
	s_cbranch_vccz .LBB100_28
.LBB100_9:
	s_clause 0x4
	s_load_dwordx4 s[20:23], s[4:5], 0x30
	s_load_dwordx2 s[18:19], s[4:5], 0x40
	s_load_dword s12, s[4:5], 0x0
	s_load_dwordx4 s[24:27], s[4:5], 0x18
	s_load_dword s0, s[4:5], 0x28
	s_mul_i32 s9, s9, s7
	s_mul_hi_u32 s13, s8, s7
	s_mul_i32 s8, s8, s7
	s_add_i32 s9, s13, s9
	s_load_dword s5, s[4:5], 0x48
	s_lshl_b64 s[8:9], s[8:9], 3
	s_waitcnt lgkmcnt(0)
	s_add_u32 s4, s22, s8
	s_mul_i32 s13, s21, s7
	v_cmp_gt_i32_e32 vcc_lo, s12, v0
	s_addc_u32 s21, s23, s9
	s_lshl_b64 s[8:9], s[18:19], 3
	s_mul_hi_u32 s17, s20, s7
	s_mul_i32 s18, s20, s7
	s_add_u32 s7, s4, s8
	v_cndmask_b32_e32 v1, 0, v0, vcc_lo
	s_addc_u32 s8, s21, s9
	s_add_i32 s19, s17, s13
	s_mul_i32 s20, s0, s6
	s_lshl_b64 s[18:19], s[18:19], 3
	v_lshlrev_b32_e32 v1, 3, v1
	s_add_u32 s0, s24, s18
	s_addc_u32 s4, s25, s19
	s_lshl_b64 s[18:19], s[26:27], 3
	s_mov_b32 s13, 0
	s_add_u32 s0, s0, s18
	s_addc_u32 s4, s4, s19
	v_add_co_u32 v1, s0, s0, v1
	s_ashr_i32 s21, s20, 31
	v_add_co_ci_u32_e64 v2, null, s4, 0, s0
	s_lshl_b64 s[18:19], s[20:21], 3
	s_ashr_i32 s9, s12, 31
	v_add_co_u32 v3, vcc_lo, v1, s18
	s_lshr_b32 s0, s9, 22
	v_add_co_ci_u32_e64 v4, null, s19, v2, vcc_lo
	v_mov_b32_e32 v1, 0
	v_mov_b32_e32 v2, 0
	s_add_i32 s0, s12, s0
	s_mov_b32 s9, exec_lo
	s_and_b32 s4, s0, 0xfffffc00
	v_cmpx_gt_i32_e64 s4, v0
	s_cbranch_execz .LBB100_13
; %bb.10:
	v_mul_lo_u32 v5, v0, s5
	v_mov_b32_e32 v1, 0
	v_mov_b32_e32 v8, v4
	;; [unrolled: 1-line block ×5, first 2 shown]
	s_lshl_b32 s17, s5, 10
	.p2align	6
.LBB100_11:                             ; =>This Inner Loop Header: Depth=1
	v_ashrrev_i32_e32 v6, 31, v5
	v_add_nc_u32_e32 v9, 0x400, v9
	v_lshlrev_b64 v[10:11], 3, v[5:6]
	v_cmp_le_i32_e64 s0, s4, v9
	v_add_nc_u32_e32 v5, s17, v5
	s_or_b32 s13, s0, s13
	v_add_co_u32 v10, vcc_lo, s7, v10
	v_add_co_ci_u32_e64 v11, null, s8, v11, vcc_lo
	global_load_dwordx2 v[12:13], v[7:8], off
	global_load_dwordx2 v[10:11], v[10:11], off
	v_add_co_u32 v7, vcc_lo, 0x2000, v7
	v_add_co_ci_u32_e64 v8, null, 0, v8, vcc_lo
	s_waitcnt vmcnt(0)
	v_fma_f64 v[1:2], v[12:13], v[10:11], v[1:2]
	s_andn2_b32 exec_lo, exec_lo, s13
	s_cbranch_execnz .LBB100_11
; %bb.12:
	s_or_b32 exec_lo, exec_lo, s13
.LBB100_13:
	s_or_b32 exec_lo, exec_lo, s9
	v_or_b32_e32 v5, s4, v0
	s_mov_b32 s0, exec_lo
	v_cmpx_gt_i32_e64 s12, v5
	s_cbranch_execz .LBB100_15
; %bb.14:
	v_mul_lo_u32 v5, s5, v5
	s_ashr_i32 s5, s4, 31
	s_lshl_b64 s[4:5], s[4:5], 3
	v_add_co_u32 v3, vcc_lo, v3, s4
	v_add_co_ci_u32_e64 v4, null, s5, v4, vcc_lo
	v_ashrrev_i32_e32 v6, 31, v5
	v_lshlrev_b64 v[5:6], 3, v[5:6]
	v_add_co_u32 v5, vcc_lo, s7, v5
	v_add_co_ci_u32_e64 v6, null, s8, v6, vcc_lo
	global_load_dwordx2 v[3:4], v[3:4], off
	global_load_dwordx2 v[5:6], v[5:6], off
	s_waitcnt vmcnt(0)
	v_fma_f64 v[1:2], v[3:4], v[5:6], v[1:2]
.LBB100_15:
	s_or_b32 exec_lo, exec_lo, s0
	v_and_b32_e32 v11, 31, v0
	v_cmp_gt_u32_e32 vcc_lo, 32, v0
	v_lshlrev_b32_e32 v5, 3, v11
	s_and_saveexec_b32 s0, vcc_lo
; %bb.16:
	v_mov_b32_e32 v3, 0
	v_mov_b32_e32 v4, v3
	ds_write_b64 v5, v[3:4]
; %bb.17:
	s_or_b32 exec_lo, exec_lo, s0
	v_mbcnt_lo_u32_b32 v10, -1, 0
	s_mov_b32 s4, exec_lo
	s_waitcnt lgkmcnt(0)
	s_barrier
	buffer_gl0_inv
	v_lshl_or_b32 v6, v10, 2, 64
	v_cmp_gt_u32_e64 s0, 24, v10
	ds_bpermute_b32 v3, v6, v1
	ds_bpermute_b32 v4, v6, v2
	s_waitcnt lgkmcnt(0)
	v_add_f64 v[1:2], v[1:2], v[3:4]
	v_cndmask_b32_e64 v3, 0, 8, s0
	v_cmp_gt_u32_e64 s0, 28, v10
	v_add_lshl_u32 v7, v3, v10, 2
	ds_bpermute_b32 v3, v7, v1
	ds_bpermute_b32 v4, v7, v2
	s_waitcnt lgkmcnt(0)
	v_add_f64 v[1:2], v[1:2], v[3:4]
	v_cndmask_b32_e64 v3, 0, 4, s0
	v_cmp_gt_u32_e64 s0, 30, v10
	v_add_lshl_u32 v8, v3, v10, 2
	ds_bpermute_b32 v3, v8, v1
	ds_bpermute_b32 v4, v8, v2
	s_waitcnt lgkmcnt(0)
	v_add_f64 v[1:2], v[1:2], v[3:4]
	v_cndmask_b32_e64 v3, 0, 2, s0
	v_cmp_ne_u32_e64 s0, 31, v10
	v_add_lshl_u32 v9, v3, v10, 2
	ds_bpermute_b32 v3, v9, v1
	ds_bpermute_b32 v4, v9, v2
	s_waitcnt lgkmcnt(0)
	v_add_f64 v[1:2], v[1:2], v[3:4]
	v_add_co_ci_u32_e64 v3, null, 0, v10, s0
	v_lshlrev_b32_e32 v10, 2, v3
	ds_bpermute_b32 v3, v10, v1
	ds_bpermute_b32 v4, v10, v2
	v_cmpx_eq_u32_e32 0, v11
	s_cbranch_execz .LBB100_19
; %bb.18:
	s_waitcnt lgkmcnt(0)
	v_add_f64 v[1:2], v[1:2], v[3:4]
	v_lshrrev_b32_e32 v3, 2, v0
	v_and_b32_e32 v3, 0xf8, v3
	ds_write_b64 v3, v[1:2]
.LBB100_19:
	s_or_b32 exec_lo, exec_lo, s4
	s_waitcnt lgkmcnt(0)
	v_mov_b32_e32 v3, 0
	v_mov_b32_e32 v4, 0
	s_barrier
	buffer_gl0_inv
	s_and_saveexec_b32 s0, vcc_lo
; %bb.20:
	ds_read_b64 v[3:4], v5
; %bb.21:
	s_or_b32 exec_lo, exec_lo, s0
	s_and_saveexec_b32 s0, vcc_lo
	s_cbranch_execz .LBB100_23
; %bb.22:
	s_waitcnt lgkmcnt(0)
	ds_bpermute_b32 v1, v6, v3
	ds_bpermute_b32 v2, v6, v4
	s_waitcnt lgkmcnt(0)
	v_add_f64 v[1:2], v[3:4], v[1:2]
	ds_bpermute_b32 v3, v7, v1
	ds_bpermute_b32 v4, v7, v2
	s_waitcnt lgkmcnt(0)
	v_add_f64 v[1:2], v[1:2], v[3:4]
	;; [unrolled: 4-line block ×5, first 2 shown]
.LBB100_23:
	s_or_b32 exec_lo, exec_lo, s0
	s_mov_b32 s0, exec_lo
                                        ; implicit-def: $vgpr1_vgpr2
                                        ; implicit-def: $sgpr12_sgpr13
	v_cmpx_eq_u32_e32 0, v0
	s_cbranch_execz .LBB100_27
; %bb.24:
	v_cmp_eq_f64_e64 s4, s[10:11], 0
	s_waitcnt lgkmcnt(0)
	v_mul_f64 v[1:2], s[2:3], v[3:4]
	s_mul_i32 s12, s16, s6
	s_ashr_i32 s13, s12, 31
	s_and_b32 vcc_lo, exec_lo, s4
	s_cbranch_vccnz .LBB100_26
; %bb.25:
	s_lshl_b64 s[2:3], s[12:13], 3
	s_add_u32 s2, s1, s2
	s_addc_u32 s3, s14, s3
	s_load_dwordx2 s[2:3], s[2:3], 0x0
	s_waitcnt lgkmcnt(0)
	v_fma_f64 v[1:2], s[10:11], s[2:3], v[1:2]
.LBB100_26:
	s_or_b32 s15, s15, exec_lo
.LBB100_27:
	s_or_b32 exec_lo, exec_lo, s0
.LBB100_28:
	s_and_saveexec_b32 s0, s15
	s_cbranch_execz .LBB100_30
; %bb.29:
	s_lshl_b64 s[2:3], s[12:13], 3
	v_mov_b32_e32 v0, 0
	s_add_u32 s0, s1, s2
	s_addc_u32 s1, s14, s3
	global_store_dwordx2 v0, v[1:2], s[0:1]
.LBB100_30:
	s_endpgm
	.section	.rodata,"a",@progbits
	.p2align	6, 0x0
	.amdhsa_kernel _ZL32rocblas_gemvt_warp_reduce_kernelILb1ELi1024EidddEviiT3_lPKT2_lT1_lS3_lS4_lS0_lPT4_lS4_li
		.amdhsa_group_segment_fixed_size 256
		.amdhsa_private_segment_fixed_size 0
		.amdhsa_kernarg_size 140
		.amdhsa_user_sgpr_count 6
		.amdhsa_user_sgpr_private_segment_buffer 1
		.amdhsa_user_sgpr_dispatch_ptr 0
		.amdhsa_user_sgpr_queue_ptr 0
		.amdhsa_user_sgpr_kernarg_segment_ptr 1
		.amdhsa_user_sgpr_dispatch_id 0
		.amdhsa_user_sgpr_flat_scratch_init 0
		.amdhsa_user_sgpr_private_segment_size 0
		.amdhsa_wavefront_size32 1
		.amdhsa_uses_dynamic_stack 0
		.amdhsa_system_sgpr_private_segment_wavefront_offset 0
		.amdhsa_system_sgpr_workgroup_id_x 1
		.amdhsa_system_sgpr_workgroup_id_y 0
		.amdhsa_system_sgpr_workgroup_id_z 1
		.amdhsa_system_sgpr_workgroup_info 0
		.amdhsa_system_vgpr_workitem_id 0
		.amdhsa_next_free_vgpr 14
		.amdhsa_next_free_sgpr 28
		.amdhsa_reserve_vcc 1
		.amdhsa_reserve_flat_scratch 0
		.amdhsa_float_round_mode_32 0
		.amdhsa_float_round_mode_16_64 0
		.amdhsa_float_denorm_mode_32 3
		.amdhsa_float_denorm_mode_16_64 3
		.amdhsa_dx10_clamp 1
		.amdhsa_ieee_mode 1
		.amdhsa_fp16_overflow 0
		.amdhsa_workgroup_processor_mode 1
		.amdhsa_memory_ordered 1
		.amdhsa_forward_progress 1
		.amdhsa_shared_vgpr_count 0
		.amdhsa_exception_fp_ieee_invalid_op 0
		.amdhsa_exception_fp_denorm_src 0
		.amdhsa_exception_fp_ieee_div_zero 0
		.amdhsa_exception_fp_ieee_overflow 0
		.amdhsa_exception_fp_ieee_underflow 0
		.amdhsa_exception_fp_ieee_inexact 0
		.amdhsa_exception_int_div_zero 0
	.end_amdhsa_kernel
	.section	.text._ZL32rocblas_gemvt_warp_reduce_kernelILb1ELi1024EidddEviiT3_lPKT2_lT1_lS3_lS4_lS0_lPT4_lS4_li,"axG",@progbits,_ZL32rocblas_gemvt_warp_reduce_kernelILb1ELi1024EidddEviiT3_lPKT2_lT1_lS3_lS4_lS0_lPT4_lS4_li,comdat
.Lfunc_end100:
	.size	_ZL32rocblas_gemvt_warp_reduce_kernelILb1ELi1024EidddEviiT3_lPKT2_lT1_lS3_lS4_lS0_lPT4_lS4_li, .Lfunc_end100-_ZL32rocblas_gemvt_warp_reduce_kernelILb1ELi1024EidddEviiT3_lPKT2_lT1_lS3_lS4_lS0_lPT4_lS4_li
                                        ; -- End function
	.set _ZL32rocblas_gemvt_warp_reduce_kernelILb1ELi1024EidddEviiT3_lPKT2_lT1_lS3_lS4_lS0_lPT4_lS4_li.num_vgpr, 14
	.set _ZL32rocblas_gemvt_warp_reduce_kernelILb1ELi1024EidddEviiT3_lPKT2_lT1_lS3_lS4_lS0_lPT4_lS4_li.num_agpr, 0
	.set _ZL32rocblas_gemvt_warp_reduce_kernelILb1ELi1024EidddEviiT3_lPKT2_lT1_lS3_lS4_lS0_lPT4_lS4_li.numbered_sgpr, 28
	.set _ZL32rocblas_gemvt_warp_reduce_kernelILb1ELi1024EidddEviiT3_lPKT2_lT1_lS3_lS4_lS0_lPT4_lS4_li.num_named_barrier, 0
	.set _ZL32rocblas_gemvt_warp_reduce_kernelILb1ELi1024EidddEviiT3_lPKT2_lT1_lS3_lS4_lS0_lPT4_lS4_li.private_seg_size, 0
	.set _ZL32rocblas_gemvt_warp_reduce_kernelILb1ELi1024EidddEviiT3_lPKT2_lT1_lS3_lS4_lS0_lPT4_lS4_li.uses_vcc, 1
	.set _ZL32rocblas_gemvt_warp_reduce_kernelILb1ELi1024EidddEviiT3_lPKT2_lT1_lS3_lS4_lS0_lPT4_lS4_li.uses_flat_scratch, 0
	.set _ZL32rocblas_gemvt_warp_reduce_kernelILb1ELi1024EidddEviiT3_lPKT2_lT1_lS3_lS4_lS0_lPT4_lS4_li.has_dyn_sized_stack, 0
	.set _ZL32rocblas_gemvt_warp_reduce_kernelILb1ELi1024EidddEviiT3_lPKT2_lT1_lS3_lS4_lS0_lPT4_lS4_li.has_recursion, 0
	.set _ZL32rocblas_gemvt_warp_reduce_kernelILb1ELi1024EidddEviiT3_lPKT2_lT1_lS3_lS4_lS0_lPT4_lS4_li.has_indirect_call, 0
	.section	.AMDGPU.csdata,"",@progbits
; Kernel info:
; codeLenInByte = 1460
; TotalNumSgprs: 30
; NumVgprs: 14
; ScratchSize: 0
; MemoryBound: 0
; FloatMode: 240
; IeeeMode: 1
; LDSByteSize: 256 bytes/workgroup (compile time only)
; SGPRBlocks: 0
; VGPRBlocks: 1
; NumSGPRsForWavesPerEU: 30
; NumVGPRsForWavesPerEU: 14
; Occupancy: 16
; WaveLimiterHint : 1
; COMPUTE_PGM_RSRC2:SCRATCH_EN: 0
; COMPUTE_PGM_RSRC2:USER_SGPR: 6
; COMPUTE_PGM_RSRC2:TRAP_HANDLER: 0
; COMPUTE_PGM_RSRC2:TGID_X_EN: 1
; COMPUTE_PGM_RSRC2:TGID_Y_EN: 0
; COMPUTE_PGM_RSRC2:TGID_Z_EN: 1
; COMPUTE_PGM_RSRC2:TIDIG_COMP_CNT: 0
	.section	.text._ZL32rocblas_gemvt_warp_reduce_kernelILb1ELi1024EldddEviiT3_lPKT2_lT1_lS3_lS4_lS0_lPT4_lS4_li,"axG",@progbits,_ZL32rocblas_gemvt_warp_reduce_kernelILb1ELi1024EldddEviiT3_lPKT2_lT1_lS3_lS4_lS0_lPT4_lS4_li,comdat
	.globl	_ZL32rocblas_gemvt_warp_reduce_kernelILb1ELi1024EldddEviiT3_lPKT2_lT1_lS3_lS4_lS0_lPT4_lS4_li ; -- Begin function _ZL32rocblas_gemvt_warp_reduce_kernelILb1ELi1024EldddEviiT3_lPKT2_lT1_lS3_lS4_lS0_lPT4_lS4_li
	.p2align	8
	.type	_ZL32rocblas_gemvt_warp_reduce_kernelILb1ELi1024EldddEviiT3_lPKT2_lT1_lS3_lS4_lS0_lPT4_lS4_li,@function
_ZL32rocblas_gemvt_warp_reduce_kernelILb1ELi1024EldddEviiT3_lPKT2_lT1_lS3_lS4_lS0_lPT4_lS4_li: ; @_ZL32rocblas_gemvt_warp_reduce_kernelILb1ELi1024EldddEviiT3_lPKT2_lT1_lS3_lS4_lS0_lPT4_lS4_li
; %bb.0:
	s_clause 0x1
	s_load_dwordx2 s[28:29], s[4:5], 0x8
	s_load_dwordx2 s[2:3], s[4:5], 0x58
	s_waitcnt lgkmcnt(0)
	v_cmp_eq_f64_e64 s0, s[28:29], 0
	v_cmp_eq_f64_e64 s1, s[2:3], 1.0
	s_and_b32 s0, s0, s1
	s_and_b32 vcc_lo, exec_lo, s0
	s_cbranch_vccnz .LBB101_30
; %bb.1:
	s_load_dwordx8 s[20:27], s[4:5], 0x68
	v_cmp_neq_f64_e64 s10, s[28:29], 0
	s_waitcnt lgkmcnt(0)
	s_mul_i32 s1, s27, s7
	s_mul_hi_u32 s8, s26, s7
	s_mul_i32 s0, s26, s7
	s_add_i32 s1, s8, s1
	s_mov_b32 s27, 0
	s_lshl_b64 s[0:1], s[0:1], 3
	s_add_u32 s0, s20, s0
	s_addc_u32 s11, s21, s1
	s_lshl_b64 s[8:9], s[22:23], 3
	s_add_u32 s1, s0, s8
	v_cmp_eq_u32_e64 s0, 0, v0
	s_addc_u32 s26, s11, s9
	s_and_b32 vcc_lo, exec_lo, s10
	s_cbranch_vccnz .LBB101_5
; %bb.2:
	s_mov_b32 s10, 0
                                        ; implicit-def: $vgpr1_vgpr2
                                        ; implicit-def: $sgpr8_sgpr9
	s_and_saveexec_b32 s11, s0
	s_cbranch_execz .LBB101_6
; %bb.3:
	v_cmp_eq_f64_e64 s0, s[2:3], 0
	s_ashr_i32 s8, s6, 31
	s_mul_hi_u32 s9, s24, s6
	s_mul_i32 s8, s24, s8
	s_add_i32 s8, s9, s8
	s_mul_i32 s9, s25, s6
	s_add_i32 s9, s8, s9
	s_mul_i32 s8, s24, s6
	s_and_b32 vcc_lo, exec_lo, s0
	s_cbranch_vccnz .LBB101_7
; %bb.4:
	s_lshl_b64 s[12:13], s[8:9], 3
	s_add_u32 s12, s1, s12
	s_addc_u32 s13, s26, s13
	s_load_dwordx2 s[12:13], s[12:13], 0x0
	s_waitcnt lgkmcnt(0)
	v_mul_f64 v[1:2], s[2:3], s[12:13]
	s_branch .LBB101_8
.LBB101_5:
                                        ; implicit-def: $vgpr1_vgpr2
                                        ; implicit-def: $sgpr8_sgpr9
	s_cbranch_execnz .LBB101_9
	s_branch .LBB101_28
.LBB101_6:
	s_or_b32 exec_lo, exec_lo, s11
	s_and_b32 vcc_lo, exec_lo, s10
	s_cbranch_vccnz .LBB101_9
	s_branch .LBB101_28
.LBB101_7:
	v_mov_b32_e32 v1, 0
	v_mov_b32_e32 v2, 0
.LBB101_8:
	s_mov_b32 s27, exec_lo
	s_or_b32 exec_lo, exec_lo, s11
	s_and_b32 vcc_lo, exec_lo, s10
	s_cbranch_vccz .LBB101_28
.LBB101_9:
	s_clause 0x1
	s_load_dwordx16 s[8:23], s[4:5], 0x18
	s_load_dword s30, s[4:5], 0x0
	v_mov_b32_e32 v1, 0
	v_mov_b32_e32 v2, 0
	s_waitcnt lgkmcnt(0)
	s_mul_i32 s5, s15, s7
	v_cmp_gt_i32_e32 vcc_lo, s30, v0
	s_mul_hi_u32 s15, s14, s7
	s_mul_i32 s4, s14, s7
	s_add_i32 s5, s15, s5
	s_mul_i32 s0, s23, s7
	v_cndmask_b32_e32 v3, 0, v0, vcc_lo
	s_mul_hi_u32 s23, s22, s7
	s_lshl_b64 s[34:35], s[4:5], 3
	s_add_i32 s5, s23, s0
	s_add_u32 s0, s8, s34
	v_lshlrev_b32_e32 v3, 3, v3
	s_addc_u32 s4, s9, s35
	s_lshl_b64 s[8:9], s[10:11], 3
	s_mul_i32 s33, s13, s6
	s_add_u32 s0, s0, s8
	s_addc_u32 s4, s4, s9
	s_ashr_i32 s13, s6, 31
	v_add_co_u32 v3, s0, s0, v3
	s_mul_hi_u32 s31, s12, s6
	v_add_co_ci_u32_e64 v4, null, s4, 0, s0
	s_mul_i32 s0, s12, s13
	s_mul_i32 s14, s12, s6
	s_add_i32 s0, s31, s0
	s_ashr_i32 s8, s30, 31
	s_add_i32 s15, s0, s33
	s_lshr_b32 s4, s8, 22
	s_lshl_b64 s[10:11], s[14:15], 3
	s_add_i32 s4, s30, s4
	v_add_co_u32 v3, vcc_lo, v3, s10
	v_add_co_ci_u32_e64 v4, null, s11, v4, vcc_lo
	s_and_b32 s8, s4, 0xfffffc00
	s_mul_i32 s4, s22, s7
	s_mov_b32 s9, 0
	s_mov_b32 s7, exec_lo
	v_cmpx_gt_i32_e64 s8, v0
	s_cbranch_execz .LBB101_13
; %bb.10:
	v_mad_u64_u32 v[7:8], null, s20, v0, 0
	s_lshl_b64 s[14:15], s[18:19], 3
	s_lshl_b64 s[10:11], s[4:5], 3
	s_add_u32 s0, s16, s14
	s_addc_u32 s12, s17, s15
	s_add_u32 s0, s0, s10
	s_addc_u32 s10, s12, s11
	v_mov_b32_e32 v1, v8
	v_mov_b32_e32 v6, v4
	;; [unrolled: 1-line block ×4, first 2 shown]
	v_mad_u64_u32 v[1:2], null, s21, v0, v[1:2]
	v_mov_b32_e32 v8, v1
	v_mov_b32_e32 v1, 0
	;; [unrolled: 1-line block ×3, first 2 shown]
	v_lshlrev_b64 v[7:8], 3, v[7:8]
	v_add_co_u32 v7, vcc_lo, s0, v7
	v_add_co_ci_u32_e64 v8, null, s10, v8, vcc_lo
	s_lshl_b64 s[10:11], s[20:21], 13
	.p2align	6
.LBB101_11:                             ; =>This Inner Loop Header: Depth=1
	global_load_dwordx2 v[10:11], v[5:6], off
	global_load_dwordx2 v[12:13], v[7:8], off
	v_add_nc_u32_e32 v9, 0x400, v9
	v_add_co_u32 v5, vcc_lo, 0x2000, v5
	v_add_co_ci_u32_e64 v6, null, 0, v6, vcc_lo
	v_cmp_le_i32_e32 vcc_lo, s8, v9
	v_add_co_u32 v7, s0, v7, s10
	v_add_co_ci_u32_e64 v8, null, s11, v8, s0
	s_or_b32 s9, vcc_lo, s9
	s_waitcnt vmcnt(0)
	v_fma_f64 v[1:2], v[10:11], v[12:13], v[1:2]
	s_andn2_b32 exec_lo, exec_lo, s9
	s_cbranch_execnz .LBB101_11
; %bb.12:
	s_or_b32 exec_lo, exec_lo, s9
.LBB101_13:
	s_or_b32 exec_lo, exec_lo, s7
	v_or_b32_e32 v5, s8, v0
	s_mov_b32 s0, exec_lo
	v_cmpx_gt_i32_e64 s30, v5
	s_cbranch_execz .LBB101_15
; %bb.14:
	v_ashrrev_i32_e32 v7, 31, v5
	v_mul_lo_u32 v8, s21, v5
	v_mad_u64_u32 v[5:6], null, s20, v5, 0
	s_lshl_b64 s[4:5], s[4:5], 3
	v_mul_lo_u32 v7, s20, v7
	s_add_u32 s7, s16, s4
	s_addc_u32 s9, s17, s5
	s_lshl_b64 s[4:5], s[18:19], 3
	s_add_u32 s7, s7, s4
	s_addc_u32 s10, s9, s5
	s_ashr_i32 s9, s8, 31
	v_add3_u32 v6, v6, v7, v8
	s_lshl_b64 s[4:5], s[8:9], 3
	v_add_co_u32 v3, vcc_lo, v3, s4
	v_lshlrev_b64 v[5:6], 3, v[5:6]
	v_add_co_ci_u32_e64 v4, null, s5, v4, vcc_lo
	v_add_co_u32 v5, vcc_lo, s7, v5
	v_add_co_ci_u32_e64 v6, null, s10, v6, vcc_lo
	global_load_dwordx2 v[3:4], v[3:4], off
	global_load_dwordx2 v[5:6], v[5:6], off
	s_waitcnt vmcnt(0)
	v_fma_f64 v[1:2], v[3:4], v[5:6], v[1:2]
.LBB101_15:
	s_or_b32 exec_lo, exec_lo, s0
	v_and_b32_e32 v11, 31, v0
	v_cmp_gt_u32_e32 vcc_lo, 32, v0
	v_lshlrev_b32_e32 v5, 3, v11
	s_and_saveexec_b32 s0, vcc_lo
; %bb.16:
	v_mov_b32_e32 v3, 0
	v_mov_b32_e32 v4, v3
	ds_write_b64 v5, v[3:4]
; %bb.17:
	s_or_b32 exec_lo, exec_lo, s0
	v_mbcnt_lo_u32_b32 v10, -1, 0
	s_mov_b32 s4, exec_lo
	s_waitcnt lgkmcnt(0)
	s_barrier
	buffer_gl0_inv
	v_lshl_or_b32 v6, v10, 2, 64
	v_cmp_gt_u32_e64 s0, 24, v10
	ds_bpermute_b32 v3, v6, v1
	ds_bpermute_b32 v4, v6, v2
	s_waitcnt lgkmcnt(0)
	v_add_f64 v[1:2], v[1:2], v[3:4]
	v_cndmask_b32_e64 v3, 0, 8, s0
	v_cmp_gt_u32_e64 s0, 28, v10
	v_add_lshl_u32 v7, v3, v10, 2
	ds_bpermute_b32 v3, v7, v1
	ds_bpermute_b32 v4, v7, v2
	s_waitcnt lgkmcnt(0)
	v_add_f64 v[1:2], v[1:2], v[3:4]
	v_cndmask_b32_e64 v3, 0, 4, s0
	v_cmp_gt_u32_e64 s0, 30, v10
	v_add_lshl_u32 v8, v3, v10, 2
	ds_bpermute_b32 v3, v8, v1
	ds_bpermute_b32 v4, v8, v2
	s_waitcnt lgkmcnt(0)
	v_add_f64 v[1:2], v[1:2], v[3:4]
	v_cndmask_b32_e64 v3, 0, 2, s0
	v_cmp_ne_u32_e64 s0, 31, v10
	v_add_lshl_u32 v9, v3, v10, 2
	ds_bpermute_b32 v3, v9, v1
	ds_bpermute_b32 v4, v9, v2
	s_waitcnt lgkmcnt(0)
	v_add_f64 v[1:2], v[1:2], v[3:4]
	v_add_co_ci_u32_e64 v3, null, 0, v10, s0
	v_lshlrev_b32_e32 v10, 2, v3
	ds_bpermute_b32 v3, v10, v1
	ds_bpermute_b32 v4, v10, v2
	v_cmpx_eq_u32_e32 0, v11
	s_cbranch_execz .LBB101_19
; %bb.18:
	s_waitcnt lgkmcnt(0)
	v_add_f64 v[1:2], v[1:2], v[3:4]
	v_lshrrev_b32_e32 v3, 2, v0
	v_and_b32_e32 v3, 0xf8, v3
	ds_write_b64 v3, v[1:2]
.LBB101_19:
	s_or_b32 exec_lo, exec_lo, s4
	s_waitcnt lgkmcnt(0)
	v_mov_b32_e32 v3, 0
	v_mov_b32_e32 v4, 0
	s_barrier
	buffer_gl0_inv
	s_and_saveexec_b32 s0, vcc_lo
; %bb.20:
	ds_read_b64 v[3:4], v5
; %bb.21:
	s_or_b32 exec_lo, exec_lo, s0
	s_and_saveexec_b32 s0, vcc_lo
	s_cbranch_execz .LBB101_23
; %bb.22:
	s_waitcnt lgkmcnt(0)
	ds_bpermute_b32 v1, v6, v3
	ds_bpermute_b32 v2, v6, v4
	s_waitcnt lgkmcnt(0)
	v_add_f64 v[1:2], v[3:4], v[1:2]
	ds_bpermute_b32 v3, v7, v1
	ds_bpermute_b32 v4, v7, v2
	s_waitcnt lgkmcnt(0)
	v_add_f64 v[1:2], v[1:2], v[3:4]
	;; [unrolled: 4-line block ×5, first 2 shown]
.LBB101_23:
	s_or_b32 exec_lo, exec_lo, s0
	s_mov_b32 s0, exec_lo
                                        ; implicit-def: $vgpr1_vgpr2
                                        ; implicit-def: $sgpr8_sgpr9
	v_cmpx_eq_u32_e32 0, v0
	s_cbranch_execz .LBB101_27
; %bb.24:
	v_cmp_eq_f64_e64 s4, s[2:3], 0
	s_waitcnt lgkmcnt(0)
	v_mul_f64 v[1:2], s[28:29], v[3:4]
	s_mul_i32 s5, s24, s13
	s_mul_hi_u32 s7, s24, s6
	s_mul_i32 s8, s24, s6
	s_add_i32 s5, s7, s5
	s_mul_i32 s7, s25, s6
	s_add_i32 s9, s5, s7
	s_and_b32 vcc_lo, exec_lo, s4
	s_cbranch_vccnz .LBB101_26
; %bb.25:
	s_lshl_b64 s[4:5], s[8:9], 3
	s_add_u32 s4, s1, s4
	s_addc_u32 s5, s26, s5
	s_load_dwordx2 s[4:5], s[4:5], 0x0
	s_waitcnt lgkmcnt(0)
	v_fma_f64 v[1:2], s[2:3], s[4:5], v[1:2]
.LBB101_26:
	s_or_b32 s27, s27, exec_lo
.LBB101_27:
	s_or_b32 exec_lo, exec_lo, s0
.LBB101_28:
	s_and_saveexec_b32 s0, s27
	s_cbranch_execz .LBB101_30
; %bb.29:
	s_lshl_b64 s[2:3], s[8:9], 3
	v_mov_b32_e32 v0, 0
	s_add_u32 s0, s1, s2
	s_addc_u32 s1, s26, s3
	global_store_dwordx2 v0, v[1:2], s[0:1]
.LBB101_30:
	s_endpgm
	.section	.rodata,"a",@progbits
	.p2align	6, 0x0
	.amdhsa_kernel _ZL32rocblas_gemvt_warp_reduce_kernelILb1ELi1024EldddEviiT3_lPKT2_lT1_lS3_lS4_lS0_lPT4_lS4_li
		.amdhsa_group_segment_fixed_size 256
		.amdhsa_private_segment_fixed_size 0
		.amdhsa_kernarg_size 140
		.amdhsa_user_sgpr_count 6
		.amdhsa_user_sgpr_private_segment_buffer 1
		.amdhsa_user_sgpr_dispatch_ptr 0
		.amdhsa_user_sgpr_queue_ptr 0
		.amdhsa_user_sgpr_kernarg_segment_ptr 1
		.amdhsa_user_sgpr_dispatch_id 0
		.amdhsa_user_sgpr_flat_scratch_init 0
		.amdhsa_user_sgpr_private_segment_size 0
		.amdhsa_wavefront_size32 1
		.amdhsa_uses_dynamic_stack 0
		.amdhsa_system_sgpr_private_segment_wavefront_offset 0
		.amdhsa_system_sgpr_workgroup_id_x 1
		.amdhsa_system_sgpr_workgroup_id_y 0
		.amdhsa_system_sgpr_workgroup_id_z 1
		.amdhsa_system_sgpr_workgroup_info 0
		.amdhsa_system_vgpr_workitem_id 0
		.amdhsa_next_free_vgpr 14
		.amdhsa_next_free_sgpr 36
		.amdhsa_reserve_vcc 1
		.amdhsa_reserve_flat_scratch 0
		.amdhsa_float_round_mode_32 0
		.amdhsa_float_round_mode_16_64 0
		.amdhsa_float_denorm_mode_32 3
		.amdhsa_float_denorm_mode_16_64 3
		.amdhsa_dx10_clamp 1
		.amdhsa_ieee_mode 1
		.amdhsa_fp16_overflow 0
		.amdhsa_workgroup_processor_mode 1
		.amdhsa_memory_ordered 1
		.amdhsa_forward_progress 1
		.amdhsa_shared_vgpr_count 0
		.amdhsa_exception_fp_ieee_invalid_op 0
		.amdhsa_exception_fp_denorm_src 0
		.amdhsa_exception_fp_ieee_div_zero 0
		.amdhsa_exception_fp_ieee_overflow 0
		.amdhsa_exception_fp_ieee_underflow 0
		.amdhsa_exception_fp_ieee_inexact 0
		.amdhsa_exception_int_div_zero 0
	.end_amdhsa_kernel
	.section	.text._ZL32rocblas_gemvt_warp_reduce_kernelILb1ELi1024EldddEviiT3_lPKT2_lT1_lS3_lS4_lS0_lPT4_lS4_li,"axG",@progbits,_ZL32rocblas_gemvt_warp_reduce_kernelILb1ELi1024EldddEviiT3_lPKT2_lT1_lS3_lS4_lS0_lPT4_lS4_li,comdat
.Lfunc_end101:
	.size	_ZL32rocblas_gemvt_warp_reduce_kernelILb1ELi1024EldddEviiT3_lPKT2_lT1_lS3_lS4_lS0_lPT4_lS4_li, .Lfunc_end101-_ZL32rocblas_gemvt_warp_reduce_kernelILb1ELi1024EldddEviiT3_lPKT2_lT1_lS3_lS4_lS0_lPT4_lS4_li
                                        ; -- End function
	.set _ZL32rocblas_gemvt_warp_reduce_kernelILb1ELi1024EldddEviiT3_lPKT2_lT1_lS3_lS4_lS0_lPT4_lS4_li.num_vgpr, 14
	.set _ZL32rocblas_gemvt_warp_reduce_kernelILb1ELi1024EldddEviiT3_lPKT2_lT1_lS3_lS4_lS0_lPT4_lS4_li.num_agpr, 0
	.set _ZL32rocblas_gemvt_warp_reduce_kernelILb1ELi1024EldddEviiT3_lPKT2_lT1_lS3_lS4_lS0_lPT4_lS4_li.numbered_sgpr, 36
	.set _ZL32rocblas_gemvt_warp_reduce_kernelILb1ELi1024EldddEviiT3_lPKT2_lT1_lS3_lS4_lS0_lPT4_lS4_li.num_named_barrier, 0
	.set _ZL32rocblas_gemvt_warp_reduce_kernelILb1ELi1024EldddEviiT3_lPKT2_lT1_lS3_lS4_lS0_lPT4_lS4_li.private_seg_size, 0
	.set _ZL32rocblas_gemvt_warp_reduce_kernelILb1ELi1024EldddEviiT3_lPKT2_lT1_lS3_lS4_lS0_lPT4_lS4_li.uses_vcc, 1
	.set _ZL32rocblas_gemvt_warp_reduce_kernelILb1ELi1024EldddEviiT3_lPKT2_lT1_lS3_lS4_lS0_lPT4_lS4_li.uses_flat_scratch, 0
	.set _ZL32rocblas_gemvt_warp_reduce_kernelILb1ELi1024EldddEviiT3_lPKT2_lT1_lS3_lS4_lS0_lPT4_lS4_li.has_dyn_sized_stack, 0
	.set _ZL32rocblas_gemvt_warp_reduce_kernelILb1ELi1024EldddEviiT3_lPKT2_lT1_lS3_lS4_lS0_lPT4_lS4_li.has_recursion, 0
	.set _ZL32rocblas_gemvt_warp_reduce_kernelILb1ELi1024EldddEviiT3_lPKT2_lT1_lS3_lS4_lS0_lPT4_lS4_li.has_indirect_call, 0
	.section	.AMDGPU.csdata,"",@progbits
; Kernel info:
; codeLenInByte = 1504
; TotalNumSgprs: 38
; NumVgprs: 14
; ScratchSize: 0
; MemoryBound: 0
; FloatMode: 240
; IeeeMode: 1
; LDSByteSize: 256 bytes/workgroup (compile time only)
; SGPRBlocks: 0
; VGPRBlocks: 1
; NumSGPRsForWavesPerEU: 38
; NumVGPRsForWavesPerEU: 14
; Occupancy: 16
; WaveLimiterHint : 1
; COMPUTE_PGM_RSRC2:SCRATCH_EN: 0
; COMPUTE_PGM_RSRC2:USER_SGPR: 6
; COMPUTE_PGM_RSRC2:TRAP_HANDLER: 0
; COMPUTE_PGM_RSRC2:TGID_X_EN: 1
; COMPUTE_PGM_RSRC2:TGID_Y_EN: 0
; COMPUTE_PGM_RSRC2:TGID_Z_EN: 1
; COMPUTE_PGM_RSRC2:TIDIG_COMP_CNT: 0
	.section	.text._ZL34rocblas_gemvn_sm_mn_batched_kernelILi32ELi24E19rocblas_complex_numIfEPKS1_S1_EviiT2_lPKT1_lilS7_lilS4_lPT3_lili,"axG",@progbits,_ZL34rocblas_gemvn_sm_mn_batched_kernelILi32ELi24E19rocblas_complex_numIfEPKS1_S1_EviiT2_lPKT1_lilS7_lilS4_lPT3_lili,comdat
	.globl	_ZL34rocblas_gemvn_sm_mn_batched_kernelILi32ELi24E19rocblas_complex_numIfEPKS1_S1_EviiT2_lPKT1_lilS7_lilS4_lPT3_lili ; -- Begin function _ZL34rocblas_gemvn_sm_mn_batched_kernelILi32ELi24E19rocblas_complex_numIfEPKS1_S1_EviiT2_lPKT1_lilS7_lilS4_lPT3_lili
	.p2align	8
	.type	_ZL34rocblas_gemvn_sm_mn_batched_kernelILi32ELi24E19rocblas_complex_numIfEPKS1_S1_EviiT2_lPKT1_lilS7_lilS4_lPT3_lili,@function
_ZL34rocblas_gemvn_sm_mn_batched_kernelILi32ELi24E19rocblas_complex_numIfEPKS1_S1_EviiT2_lPKT1_lilS7_lilS4_lPT3_lili: ; @_ZL34rocblas_gemvn_sm_mn_batched_kernelILi32ELi24E19rocblas_complex_numIfEPKS1_S1_EviiT2_lPKT1_lilS7_lilS4_lPT3_lili
; %bb.0:
	s_endpgm
	.section	.rodata,"a",@progbits
	.p2align	6, 0x0
	.amdhsa_kernel _ZL34rocblas_gemvn_sm_mn_batched_kernelILi32ELi24E19rocblas_complex_numIfEPKS1_S1_EviiT2_lPKT1_lilS7_lilS4_lPT3_lili
		.amdhsa_group_segment_fixed_size 0
		.amdhsa_private_segment_fixed_size 0
		.amdhsa_kernarg_size 140
		.amdhsa_user_sgpr_count 6
		.amdhsa_user_sgpr_private_segment_buffer 1
		.amdhsa_user_sgpr_dispatch_ptr 0
		.amdhsa_user_sgpr_queue_ptr 0
		.amdhsa_user_sgpr_kernarg_segment_ptr 1
		.amdhsa_user_sgpr_dispatch_id 0
		.amdhsa_user_sgpr_flat_scratch_init 0
		.amdhsa_user_sgpr_private_segment_size 0
		.amdhsa_wavefront_size32 1
		.amdhsa_uses_dynamic_stack 0
		.amdhsa_system_sgpr_private_segment_wavefront_offset 0
		.amdhsa_system_sgpr_workgroup_id_x 1
		.amdhsa_system_sgpr_workgroup_id_y 0
		.amdhsa_system_sgpr_workgroup_id_z 0
		.amdhsa_system_sgpr_workgroup_info 0
		.amdhsa_system_vgpr_workitem_id 0
		.amdhsa_next_free_vgpr 1
		.amdhsa_next_free_sgpr 1
		.amdhsa_reserve_vcc 0
		.amdhsa_reserve_flat_scratch 0
		.amdhsa_float_round_mode_32 0
		.amdhsa_float_round_mode_16_64 0
		.amdhsa_float_denorm_mode_32 3
		.amdhsa_float_denorm_mode_16_64 3
		.amdhsa_dx10_clamp 1
		.amdhsa_ieee_mode 1
		.amdhsa_fp16_overflow 0
		.amdhsa_workgroup_processor_mode 1
		.amdhsa_memory_ordered 1
		.amdhsa_forward_progress 1
		.amdhsa_shared_vgpr_count 0
		.amdhsa_exception_fp_ieee_invalid_op 0
		.amdhsa_exception_fp_denorm_src 0
		.amdhsa_exception_fp_ieee_div_zero 0
		.amdhsa_exception_fp_ieee_overflow 0
		.amdhsa_exception_fp_ieee_underflow 0
		.amdhsa_exception_fp_ieee_inexact 0
		.amdhsa_exception_int_div_zero 0
	.end_amdhsa_kernel
	.section	.text._ZL34rocblas_gemvn_sm_mn_batched_kernelILi32ELi24E19rocblas_complex_numIfEPKS1_S1_EviiT2_lPKT1_lilS7_lilS4_lPT3_lili,"axG",@progbits,_ZL34rocblas_gemvn_sm_mn_batched_kernelILi32ELi24E19rocblas_complex_numIfEPKS1_S1_EviiT2_lPKT1_lilS7_lilS4_lPT3_lili,comdat
.Lfunc_end102:
	.size	_ZL34rocblas_gemvn_sm_mn_batched_kernelILi32ELi24E19rocblas_complex_numIfEPKS1_S1_EviiT2_lPKT1_lilS7_lilS4_lPT3_lili, .Lfunc_end102-_ZL34rocblas_gemvn_sm_mn_batched_kernelILi32ELi24E19rocblas_complex_numIfEPKS1_S1_EviiT2_lPKT1_lilS7_lilS4_lPT3_lili
                                        ; -- End function
	.set _ZL34rocblas_gemvn_sm_mn_batched_kernelILi32ELi24E19rocblas_complex_numIfEPKS1_S1_EviiT2_lPKT1_lilS7_lilS4_lPT3_lili.num_vgpr, 0
	.set _ZL34rocblas_gemvn_sm_mn_batched_kernelILi32ELi24E19rocblas_complex_numIfEPKS1_S1_EviiT2_lPKT1_lilS7_lilS4_lPT3_lili.num_agpr, 0
	.set _ZL34rocblas_gemvn_sm_mn_batched_kernelILi32ELi24E19rocblas_complex_numIfEPKS1_S1_EviiT2_lPKT1_lilS7_lilS4_lPT3_lili.numbered_sgpr, 0
	.set _ZL34rocblas_gemvn_sm_mn_batched_kernelILi32ELi24E19rocblas_complex_numIfEPKS1_S1_EviiT2_lPKT1_lilS7_lilS4_lPT3_lili.num_named_barrier, 0
	.set _ZL34rocblas_gemvn_sm_mn_batched_kernelILi32ELi24E19rocblas_complex_numIfEPKS1_S1_EviiT2_lPKT1_lilS7_lilS4_lPT3_lili.private_seg_size, 0
	.set _ZL34rocblas_gemvn_sm_mn_batched_kernelILi32ELi24E19rocblas_complex_numIfEPKS1_S1_EviiT2_lPKT1_lilS7_lilS4_lPT3_lili.uses_vcc, 0
	.set _ZL34rocblas_gemvn_sm_mn_batched_kernelILi32ELi24E19rocblas_complex_numIfEPKS1_S1_EviiT2_lPKT1_lilS7_lilS4_lPT3_lili.uses_flat_scratch, 0
	.set _ZL34rocblas_gemvn_sm_mn_batched_kernelILi32ELi24E19rocblas_complex_numIfEPKS1_S1_EviiT2_lPKT1_lilS7_lilS4_lPT3_lili.has_dyn_sized_stack, 0
	.set _ZL34rocblas_gemvn_sm_mn_batched_kernelILi32ELi24E19rocblas_complex_numIfEPKS1_S1_EviiT2_lPKT1_lilS7_lilS4_lPT3_lili.has_recursion, 0
	.set _ZL34rocblas_gemvn_sm_mn_batched_kernelILi32ELi24E19rocblas_complex_numIfEPKS1_S1_EviiT2_lPKT1_lilS7_lilS4_lPT3_lili.has_indirect_call, 0
	.section	.AMDGPU.csdata,"",@progbits
; Kernel info:
; codeLenInByte = 4
; TotalNumSgprs: 0
; NumVgprs: 0
; ScratchSize: 0
; MemoryBound: 0
; FloatMode: 240
; IeeeMode: 1
; LDSByteSize: 0 bytes/workgroup (compile time only)
; SGPRBlocks: 0
; VGPRBlocks: 0
; NumSGPRsForWavesPerEU: 1
; NumVGPRsForWavesPerEU: 1
; Occupancy: 16
; WaveLimiterHint : 0
; COMPUTE_PGM_RSRC2:SCRATCH_EN: 0
; COMPUTE_PGM_RSRC2:USER_SGPR: 6
; COMPUTE_PGM_RSRC2:TRAP_HANDLER: 0
; COMPUTE_PGM_RSRC2:TGID_X_EN: 1
; COMPUTE_PGM_RSRC2:TGID_Y_EN: 0
; COMPUTE_PGM_RSRC2:TGID_Z_EN: 0
; COMPUTE_PGM_RSRC2:TIDIG_COMP_CNT: 0
	.section	.text._ZL34rocblas_gemvn_sm_mn_batched_kernelILi32ELi24E19rocblas_complex_numIfES1_S1_EviiT2_lPKT1_lilS5_lilS2_lPT3_lili,"axG",@progbits,_ZL34rocblas_gemvn_sm_mn_batched_kernelILi32ELi24E19rocblas_complex_numIfES1_S1_EviiT2_lPKT1_lilS5_lilS2_lPT3_lili,comdat
	.globl	_ZL34rocblas_gemvn_sm_mn_batched_kernelILi32ELi24E19rocblas_complex_numIfES1_S1_EviiT2_lPKT1_lilS5_lilS2_lPT3_lili ; -- Begin function _ZL34rocblas_gemvn_sm_mn_batched_kernelILi32ELi24E19rocblas_complex_numIfES1_S1_EviiT2_lPKT1_lilS5_lilS2_lPT3_lili
	.p2align	8
	.type	_ZL34rocblas_gemvn_sm_mn_batched_kernelILi32ELi24E19rocblas_complex_numIfES1_S1_EviiT2_lPKT1_lilS5_lilS2_lPT3_lili,@function
_ZL34rocblas_gemvn_sm_mn_batched_kernelILi32ELi24E19rocblas_complex_numIfES1_S1_EviiT2_lPKT1_lilS5_lilS2_lPT3_lili: ; @_ZL34rocblas_gemvn_sm_mn_batched_kernelILi32ELi24E19rocblas_complex_numIfES1_S1_EviiT2_lPKT1_lilS5_lilS2_lPT3_lili
; %bb.0:
	s_endpgm
	.section	.rodata,"a",@progbits
	.p2align	6, 0x0
	.amdhsa_kernel _ZL34rocblas_gemvn_sm_mn_batched_kernelILi32ELi24E19rocblas_complex_numIfES1_S1_EviiT2_lPKT1_lilS5_lilS2_lPT3_lili
		.amdhsa_group_segment_fixed_size 0
		.amdhsa_private_segment_fixed_size 0
		.amdhsa_kernarg_size 140
		.amdhsa_user_sgpr_count 6
		.amdhsa_user_sgpr_private_segment_buffer 1
		.amdhsa_user_sgpr_dispatch_ptr 0
		.amdhsa_user_sgpr_queue_ptr 0
		.amdhsa_user_sgpr_kernarg_segment_ptr 1
		.amdhsa_user_sgpr_dispatch_id 0
		.amdhsa_user_sgpr_flat_scratch_init 0
		.amdhsa_user_sgpr_private_segment_size 0
		.amdhsa_wavefront_size32 1
		.amdhsa_uses_dynamic_stack 0
		.amdhsa_system_sgpr_private_segment_wavefront_offset 0
		.amdhsa_system_sgpr_workgroup_id_x 1
		.amdhsa_system_sgpr_workgroup_id_y 0
		.amdhsa_system_sgpr_workgroup_id_z 0
		.amdhsa_system_sgpr_workgroup_info 0
		.amdhsa_system_vgpr_workitem_id 0
		.amdhsa_next_free_vgpr 1
		.amdhsa_next_free_sgpr 1
		.amdhsa_reserve_vcc 0
		.amdhsa_reserve_flat_scratch 0
		.amdhsa_float_round_mode_32 0
		.amdhsa_float_round_mode_16_64 0
		.amdhsa_float_denorm_mode_32 3
		.amdhsa_float_denorm_mode_16_64 3
		.amdhsa_dx10_clamp 1
		.amdhsa_ieee_mode 1
		.amdhsa_fp16_overflow 0
		.amdhsa_workgroup_processor_mode 1
		.amdhsa_memory_ordered 1
		.amdhsa_forward_progress 1
		.amdhsa_shared_vgpr_count 0
		.amdhsa_exception_fp_ieee_invalid_op 0
		.amdhsa_exception_fp_denorm_src 0
		.amdhsa_exception_fp_ieee_div_zero 0
		.amdhsa_exception_fp_ieee_overflow 0
		.amdhsa_exception_fp_ieee_underflow 0
		.amdhsa_exception_fp_ieee_inexact 0
		.amdhsa_exception_int_div_zero 0
	.end_amdhsa_kernel
	.section	.text._ZL34rocblas_gemvn_sm_mn_batched_kernelILi32ELi24E19rocblas_complex_numIfES1_S1_EviiT2_lPKT1_lilS5_lilS2_lPT3_lili,"axG",@progbits,_ZL34rocblas_gemvn_sm_mn_batched_kernelILi32ELi24E19rocblas_complex_numIfES1_S1_EviiT2_lPKT1_lilS5_lilS2_lPT3_lili,comdat
.Lfunc_end103:
	.size	_ZL34rocblas_gemvn_sm_mn_batched_kernelILi32ELi24E19rocblas_complex_numIfES1_S1_EviiT2_lPKT1_lilS5_lilS2_lPT3_lili, .Lfunc_end103-_ZL34rocblas_gemvn_sm_mn_batched_kernelILi32ELi24E19rocblas_complex_numIfES1_S1_EviiT2_lPKT1_lilS5_lilS2_lPT3_lili
                                        ; -- End function
	.set _ZL34rocblas_gemvn_sm_mn_batched_kernelILi32ELi24E19rocblas_complex_numIfES1_S1_EviiT2_lPKT1_lilS5_lilS2_lPT3_lili.num_vgpr, 0
	.set _ZL34rocblas_gemvn_sm_mn_batched_kernelILi32ELi24E19rocblas_complex_numIfES1_S1_EviiT2_lPKT1_lilS5_lilS2_lPT3_lili.num_agpr, 0
	.set _ZL34rocblas_gemvn_sm_mn_batched_kernelILi32ELi24E19rocblas_complex_numIfES1_S1_EviiT2_lPKT1_lilS5_lilS2_lPT3_lili.numbered_sgpr, 0
	.set _ZL34rocblas_gemvn_sm_mn_batched_kernelILi32ELi24E19rocblas_complex_numIfES1_S1_EviiT2_lPKT1_lilS5_lilS2_lPT3_lili.num_named_barrier, 0
	.set _ZL34rocblas_gemvn_sm_mn_batched_kernelILi32ELi24E19rocblas_complex_numIfES1_S1_EviiT2_lPKT1_lilS5_lilS2_lPT3_lili.private_seg_size, 0
	.set _ZL34rocblas_gemvn_sm_mn_batched_kernelILi32ELi24E19rocblas_complex_numIfES1_S1_EviiT2_lPKT1_lilS5_lilS2_lPT3_lili.uses_vcc, 0
	.set _ZL34rocblas_gemvn_sm_mn_batched_kernelILi32ELi24E19rocblas_complex_numIfES1_S1_EviiT2_lPKT1_lilS5_lilS2_lPT3_lili.uses_flat_scratch, 0
	.set _ZL34rocblas_gemvn_sm_mn_batched_kernelILi32ELi24E19rocblas_complex_numIfES1_S1_EviiT2_lPKT1_lilS5_lilS2_lPT3_lili.has_dyn_sized_stack, 0
	.set _ZL34rocblas_gemvn_sm_mn_batched_kernelILi32ELi24E19rocblas_complex_numIfES1_S1_EviiT2_lPKT1_lilS5_lilS2_lPT3_lili.has_recursion, 0
	.set _ZL34rocblas_gemvn_sm_mn_batched_kernelILi32ELi24E19rocblas_complex_numIfES1_S1_EviiT2_lPKT1_lilS5_lilS2_lPT3_lili.has_indirect_call, 0
	.section	.AMDGPU.csdata,"",@progbits
; Kernel info:
; codeLenInByte = 4
; TotalNumSgprs: 0
; NumVgprs: 0
; ScratchSize: 0
; MemoryBound: 0
; FloatMode: 240
; IeeeMode: 1
; LDSByteSize: 0 bytes/workgroup (compile time only)
; SGPRBlocks: 0
; VGPRBlocks: 0
; NumSGPRsForWavesPerEU: 1
; NumVGPRsForWavesPerEU: 1
; Occupancy: 16
; WaveLimiterHint : 0
; COMPUTE_PGM_RSRC2:SCRATCH_EN: 0
; COMPUTE_PGM_RSRC2:USER_SGPR: 6
; COMPUTE_PGM_RSRC2:TRAP_HANDLER: 0
; COMPUTE_PGM_RSRC2:TGID_X_EN: 1
; COMPUTE_PGM_RSRC2:TGID_Y_EN: 0
; COMPUTE_PGM_RSRC2:TGID_Z_EN: 0
; COMPUTE_PGM_RSRC2:TIDIG_COMP_CNT: 0
	.section	.text._ZL20rocblas_gemvn_kernelILi64ELi4Ei19rocblas_complex_numIfEPKS1_S1_EviiT3_lPKT2_lT1_lS7_lS8_lS4_lPT4_lS8_li,"axG",@progbits,_ZL20rocblas_gemvn_kernelILi64ELi4Ei19rocblas_complex_numIfEPKS1_S1_EviiT3_lPKT2_lT1_lS7_lS8_lS4_lPT4_lS8_li,comdat
	.globl	_ZL20rocblas_gemvn_kernelILi64ELi4Ei19rocblas_complex_numIfEPKS1_S1_EviiT3_lPKT2_lT1_lS7_lS8_lS4_lPT4_lS8_li ; -- Begin function _ZL20rocblas_gemvn_kernelILi64ELi4Ei19rocblas_complex_numIfEPKS1_S1_EviiT3_lPKT2_lT1_lS7_lS8_lS4_lPT4_lS8_li
	.p2align	8
	.type	_ZL20rocblas_gemvn_kernelILi64ELi4Ei19rocblas_complex_numIfEPKS1_S1_EviiT3_lPKT2_lT1_lS7_lS8_lS4_lPT4_lS8_li,@function
_ZL20rocblas_gemvn_kernelILi64ELi4Ei19rocblas_complex_numIfEPKS1_S1_EviiT3_lPKT2_lT1_lS7_lS8_lS4_lPT4_lS8_li: ; @_ZL20rocblas_gemvn_kernelILi64ELi4Ei19rocblas_complex_numIfEPKS1_S1_EviiT3_lPKT2_lT1_lS7_lS8_lS4_lPT4_lS8_li
; %bb.0:
	s_load_dwordx2 s[0:1], s[4:5], 0x9c
	s_waitcnt lgkmcnt(0)
	s_lshr_b32 s2, s0, 16
	s_and_b32 s0, s0, 0xffff
	s_and_b32 s1, s1, 0xffff
	s_mul_i32 s0, s2, s0
	s_mul_i32 s0, s0, s1
	s_cmpk_lg_i32 s0, 0x100
	s_cbranch_scc1 .LBB104_47
; %bb.1:
	s_clause 0x1
	s_load_dwordx8 s[8:15], s[4:5], 0x8
	s_load_dwordx8 s[16:23], s[4:5], 0x50
	s_waitcnt lgkmcnt(0)
	s_mul_i32 s1, s11, s7
	s_mul_hi_u32 s2, s10, s7
	s_mul_i32 s0, s10, s7
	s_add_i32 s1, s2, s1
	s_mul_hi_u32 s2, s20, s7
	s_lshl_b64 s[0:1], s[0:1], 3
	s_add_u32 s0, s8, s0
	s_addc_u32 s1, s9, s1
	s_load_dwordx2 s[10:11], s[0:1], 0x0
	s_mul_i32 s1, s21, s7
	s_mul_i32 s0, s20, s7
	s_add_i32 s1, s2, s1
	s_lshl_b64 s[0:1], s[0:1], 3
	s_add_u32 s0, s18, s0
	s_addc_u32 s1, s19, s1
	s_load_dwordx2 s[8:9], s[0:1], 0x0
	s_waitcnt lgkmcnt(0)
	v_cmp_neq_f32_e64 s0, s10, 0
	v_cmp_neq_f32_e64 s1, s11, 0
	s_or_b32 s0, s0, s1
	s_and_b32 vcc_lo, exec_lo, s0
	s_mov_b32 s0, -1
	s_cbranch_vccnz .LBB104_3
; %bb.2:
	v_cmp_neq_f32_e64 s0, s8, 1.0
	v_cmp_neq_f32_e64 s1, s9, 0
	s_or_b32 s0, s0, s1
.LBB104_3:
	s_andn2_b32 vcc_lo, exec_lo, s0
	s_cbranch_vccnz .LBB104_47
; %bb.4:
	s_clause 0x3
	s_load_dwordx2 s[0:1], s[4:5], 0x80
	s_load_dwordx2 s[2:3], s[4:5], 0x70
	s_load_dword s24, s[4:5], 0x78
	s_load_dwordx2 s[18:19], s[4:5], 0x0
	v_lshlrev_b32_e32 v54, 6, v1
	v_add_nc_u32_e32 v53, v54, v0
	v_cmp_gt_u32_e32 vcc_lo, 0x100, v53
	s_waitcnt lgkmcnt(0)
	s_mul_i32 s1, s1, s7
	s_mul_hi_u32 s20, s0, s7
	s_mul_i32 s0, s0, s7
	s_add_i32 s1, s20, s1
	s_lshl_b64 s[0:1], s[0:1], 3
	s_add_u32 s20, s22, s0
	s_addc_u32 s21, s23, s1
	s_lshl_b64 s[0:1], s[2:3], 3
	s_add_u32 s20, s20, s0
	s_addc_u32 s21, s21, s1
	s_or_b32 s0, s10, s11
	s_bitset0_b32 s0, 31
	s_cmp_lg_u32 s0, 0
	s_mov_b32 s0, -1
	s_cbranch_scc1 .LBB104_11
; %bb.5:
	s_and_saveexec_b32 s0, vcc_lo
	s_cbranch_execz .LBB104_10
; %bb.6:
	v_lshl_or_b32 v2, s6, 8, v53
	v_mov_b32_e32 v3, 0
	s_ashr_i32 s3, s18, 31
	s_mov_b32 s2, s18
	v_cmp_gt_i64_e32 vcc_lo, s[2:3], v[2:3]
	s_and_b32 exec_lo, exec_lo, vcc_lo
	s_cbranch_execz .LBB104_10
; %bb.7:
	v_mad_u64_u32 v[4:5], null, s24, v2, 0
	s_ashr_i32 s3, s24, 31
	v_cmp_neq_f32_e64 s1, s8, 0
	v_cmp_neq_f32_e64 s2, s9, 0
	v_mad_u64_u32 v[5:6], null, s3, v2, v[5:6]
	v_mov_b32_e32 v6, v3
	s_or_b32 s1, s1, s2
	s_andn2_b32 vcc_lo, exec_lo, s1
	v_lshlrev_b64 v[4:5], 3, v[4:5]
	s_cbranch_vccnz .LBB104_9
; %bb.8:
	v_add_co_u32 v2, vcc_lo, s20, v4
	v_add_co_ci_u32_e64 v3, null, s21, v5, vcc_lo
	global_load_dwordx2 v[2:3], v[2:3], off
	s_waitcnt vmcnt(0)
	v_mul_f32_e32 v7, s9, v3
	v_mul_f32_e32 v6, s8, v3
	v_fma_f32 v3, s8, v2, -v7
	v_fmac_f32_e32 v6, s9, v2
.LBB104_9:
	v_add_co_u32 v7, vcc_lo, s20, v4
	v_add_co_ci_u32_e64 v8, null, s21, v5, vcc_lo
	v_mov_b32_e32 v5, v3
	global_store_dwordx2 v[7:8], v[5:6], off
.LBB104_10:
	s_or_b32 exec_lo, exec_lo, s0
	s_mov_b32 s0, 0
.LBB104_11:
	s_andn2_b32 vcc_lo, exec_lo, s0
	s_cbranch_vccnz .LBB104_47
; %bb.12:
	s_clause 0x3
	s_load_dwordx4 s[0:3], s[4:5], 0x30
	s_load_dword s22, s[4:5], 0x28
	s_load_dwordx2 s[26:27], s[4:5], 0x40
	s_load_dword s4, s[4:5], 0x48
	s_mul_i32 s5, s17, s7
	s_mul_hi_u32 s17, s16, s7
	s_mul_i32 s16, s16, s7
	v_lshlrev_b32_e32 v56, 2, v1
	v_mov_b32_e32 v3, 0
	v_mov_b32_e32 v2, 0
	;; [unrolled: 1-line block ×8, first 2 shown]
	s_waitcnt lgkmcnt(0)
	s_mul_i32 s1, s1, s7
	s_mul_hi_u32 s23, s0, s7
	s_mul_i32 s0, s0, s7
	s_add_i32 s1, s23, s1
	s_lshl_b64 s[0:1], s[0:1], 3
	s_add_u32 s7, s12, s0
	s_addc_u32 s12, s13, s1
	s_lshl_b64 s[0:1], s[14:15], 3
	s_mov_b32 s15, exec_lo
	s_add_u32 s7, s7, s0
	s_addc_u32 s12, s12, s1
	s_add_i32 s17, s17, s5
	s_lshl_b64 s[0:1], s[16:17], 3
	s_add_u32 s2, s2, s0
	s_addc_u32 s3, s3, s1
	s_lshl_b64 s[0:1], s[26:27], 3
	s_add_u32 s13, s2, s0
	s_addc_u32 s14, s3, s1
	s_ashr_i32 s0, s19, 31
	s_lshl_b32 s5, s6, 8
	s_lshr_b32 s0, s0, 28
	v_or_b32_e32 v55, s5, v0
	s_add_i32 s0, s19, s0
	s_and_b32 s6, s0, -16
	v_cmpx_gt_i32_e64 s6, v56
	s_cbranch_execz .LBB104_24
; %bb.13:
	v_mul_lo_u32 v3, s22, v56
	v_add_nc_u32_e32 v2, 64, v55
	v_add_nc_u32_e32 v4, 0x80, v55
	;; [unrolled: 1-line block ×3, first 2 shown]
	s_lshl_b32 s16, s22, 4
	s_lshl_b32 s23, s4, 4
	v_cmp_gt_i32_e64 s0, s18, v2
	v_add_nc_u32_e32 v2, 2, v56
	v_add3_u32 v57, v3, s22, v0
	v_mul_lo_u32 v3, v1, s22
	v_cmp_gt_i32_e64 s1, s18, v4
	v_add_nc_u32_e32 v4, 3, v56
	v_cmp_gt_i32_e64 s2, s18, v5
	v_mul_lo_u32 v5, v1, s4
	v_mad_u64_u32 v[10:11], null, s22, v2, v[0:1]
	v_mad_u64_u32 v[11:12], null, s22, v4, v[0:1]
	v_lshl_add_u32 v58, v3, 2, v0
	v_mov_b32_e32 v3, 0
	v_mad_u64_u32 v[12:13], null, s4, v56, s[4:5]
	v_mul_lo_u32 v59, s4, v2
	v_mul_lo_u32 v60, s4, v4
	v_lshlrev_b32_e32 v61, 2, v5
	v_mov_b32_e32 v2, v3
	v_mov_b32_e32 v5, v3
	;; [unrolled: 1-line block ×7, first 2 shown]
	s_mov_b32 s17, 0
	s_mov_b32 s25, 0
	v_cmp_gt_i32_e32 vcc_lo, s18, v55
	s_branch .LBB104_18
.LBB104_14:                             ;   in Loop: Header=BB104_18 Depth=1
	s_or_b32 exec_lo, exec_lo, s28
	s_waitcnt vmcnt(3)
	v_mul_f32_e32 v45, v26, v44
	v_mul_f32_e32 v44, v25, v44
	s_waitcnt vmcnt(2)
	v_mul_f32_e32 v46, v22, v42
	v_mul_f32_e32 v42, v21, v42
	s_waitcnt vmcnt(1)
	v_mul_f32_e32 v47, v16, v40
	v_fma_f32 v45, v25, v43, -v45
	v_fmac_f32_e32 v44, v26, v43
	v_mul_f32_e32 v40, v15, v40
	v_fma_f32 v46, v21, v41, -v46
	v_fmac_f32_e32 v42, v22, v41
	v_add_f32_e32 v4, v4, v45
	v_add_f32_e32 v5, v5, v44
	s_waitcnt vmcnt(0)
	v_mul_f32_e32 v43, v14, v38
	v_mul_f32_e32 v38, v13, v38
	v_fma_f32 v41, v15, v39, -v47
	v_add_f32_e32 v4, v46, v4
	v_fmac_f32_e32 v40, v16, v39
	v_add_f32_e32 v5, v42, v5
	v_fma_f32 v39, v13, v37, -v43
	v_fmac_f32_e32 v38, v14, v37
	v_add_f32_e32 v4, v41, v4
	v_add_f32_e32 v5, v40, v5
	;; [unrolled: 1-line block ×4, first 2 shown]
.LBB104_15:                             ;   in Loop: Header=BB104_18 Depth=1
	s_or_b32 exec_lo, exec_lo, s27
	s_waitcnt vmcnt(3)
	v_mul_f32_e32 v37, v26, v36
	v_mul_f32_e32 v36, v25, v36
	s_waitcnt vmcnt(2)
	v_mul_f32_e32 v38, v22, v34
	v_mul_f32_e32 v34, v21, v34
	s_waitcnt vmcnt(1)
	v_mul_f32_e32 v39, v16, v32
	v_fma_f32 v37, v25, v35, -v37
	v_fmac_f32_e32 v36, v26, v35
	v_mul_f32_e32 v32, v15, v32
	v_fma_f32 v38, v21, v33, -v38
	v_fmac_f32_e32 v34, v22, v33
	v_add_f32_e32 v6, v6, v37
	v_add_f32_e32 v7, v7, v36
	s_waitcnt vmcnt(0)
	v_mul_f32_e32 v35, v14, v30
	v_mul_f32_e32 v30, v13, v30
	v_fma_f32 v33, v15, v31, -v39
	v_add_f32_e32 v6, v38, v6
	v_fmac_f32_e32 v32, v16, v31
	v_add_f32_e32 v7, v34, v7
	v_fma_f32 v31, v13, v29, -v35
	v_fmac_f32_e32 v30, v14, v29
	v_add_f32_e32 v6, v33, v6
	v_add_f32_e32 v7, v32, v7
	;; [unrolled: 1-line block ×4, first 2 shown]
.LBB104_16:                             ;   in Loop: Header=BB104_18 Depth=1
	s_or_b32 exec_lo, exec_lo, s3
	s_waitcnt vmcnt(3)
	v_mul_f32_e32 v29, v26, v28
	v_mul_f32_e32 v28, v25, v28
	s_waitcnt vmcnt(2)
	v_mul_f32_e32 v30, v22, v24
	v_mul_f32_e32 v24, v21, v24
	s_waitcnt vmcnt(1)
	v_mul_f32_e32 v31, v16, v20
	v_fma_f32 v25, v25, v27, -v29
	v_fmac_f32_e32 v28, v26, v27
	v_mul_f32_e32 v20, v15, v20
	v_fma_f32 v21, v21, v23, -v30
	v_fmac_f32_e32 v24, v22, v23
	v_add_f32_e32 v8, v8, v25
	v_add_f32_e32 v9, v9, v28
	s_waitcnt vmcnt(0)
	v_mul_f32_e32 v26, v14, v18
	v_mul_f32_e32 v18, v13, v18
	v_fma_f32 v15, v15, v19, -v31
	v_add_f32_e32 v8, v21, v8
	v_fmac_f32_e32 v20, v16, v19
	v_add_f32_e32 v9, v24, v9
	v_fma_f32 v13, v13, v17, -v26
	v_fmac_f32_e32 v18, v14, v17
	v_add_f32_e32 v8, v15, v8
	v_add_f32_e32 v9, v20, v9
	;; [unrolled: 1-line block ×4, first 2 shown]
.LBB104_17:                             ;   in Loop: Header=BB104_18 Depth=1
	s_or_b32 exec_lo, exec_lo, s26
	v_add_nc_u32_e32 v56, 16, v56
	v_add_nc_u32_e32 v57, s16, v57
	;; [unrolled: 1-line block ×5, first 2 shown]
	v_cmp_le_i32_e64 s3, s6, v56
	s_add_i32 s25, s25, s23
	s_or_b32 s17, s3, s17
	s_andn2_b32 exec_lo, exec_lo, s17
	s_cbranch_execz .LBB104_23
.LBB104_18:                             ; =>This Inner Loop Header: Depth=1
	s_and_saveexec_b32 s26, vcc_lo
	s_cbranch_execz .LBB104_17
; %bb.19:                               ;   in Loop: Header=BB104_18 Depth=1
	v_add_nc_u32_e32 v13, s25, v61
	v_add_nc_u32_e32 v15, s25, v12
	;; [unrolled: 1-line block ×5, first 2 shown]
	v_ashrrev_i32_e32 v14, 31, v13
	v_ashrrev_i32_e32 v16, 31, v15
	;; [unrolled: 1-line block ×3, first 2 shown]
	v_add_nc_u32_e32 v23, s5, v57
	v_ashrrev_i32_e32 v20, 31, v19
	v_lshlrev_b64 v[13:14], 3, v[13:14]
	v_lshlrev_b64 v[15:16], 3, v[15:16]
	v_ashrrev_i32_e32 v22, 31, v21
	v_lshlrev_b64 v[17:18], 3, v[17:18]
	v_ashrrev_i32_e32 v24, 31, v23
	v_lshlrev_b64 v[19:20], 3, v[19:20]
	v_add_co_u32 v13, s3, s13, v13
	v_add_nc_u32_e32 v25, s5, v10
	v_add_co_ci_u32_e64 v14, null, s14, v14, s3
	v_add_co_u32 v15, s3, s13, v15
	v_lshlrev_b64 v[21:22], 3, v[21:22]
	v_add_nc_u32_e32 v27, s5, v11
	v_add_co_ci_u32_e64 v16, null, s14, v16, s3
	v_add_co_u32 v17, s3, s13, v17
	v_lshlrev_b64 v[23:24], 3, v[23:24]
	v_ashrrev_i32_e32 v26, 31, v25
	v_add_co_ci_u32_e64 v18, null, s14, v18, s3
	v_add_co_u32 v19, s3, s13, v19
	v_ashrrev_i32_e32 v28, 31, v27
	v_add_co_ci_u32_e64 v20, null, s14, v20, s3
	v_add_co_u32 v51, s3, s7, v21
	v_add_co_ci_u32_e64 v52, null, s12, v22, s3
	v_lshlrev_b64 v[21:22], 3, v[25:26]
	v_add_co_u32 v49, s3, s7, v23
	v_add_co_ci_u32_e64 v50, null, s12, v24, s3
	v_lshlrev_b64 v[23:24], 3, v[27:28]
	v_add_co_u32 v47, s3, s7, v21
	v_add_co_ci_u32_e64 v48, null, s12, v22, s3
	v_add_co_u32 v45, s3, s7, v23
	v_add_co_ci_u32_e64 v46, null, s12, v24, s3
	s_clause 0x3
	global_load_dwordx2 v[25:26], v[13:14], off
	global_load_dwordx2 v[21:22], v[15:16], off
	;; [unrolled: 1-line block ×4, first 2 shown]
	s_clause 0x3
	global_load_dwordx2 v[27:28], v[51:52], off
	global_load_dwordx2 v[23:24], v[49:50], off
	;; [unrolled: 1-line block ×4, first 2 shown]
	s_and_saveexec_b32 s3, s0
	s_cbranch_execz .LBB104_16
; %bb.20:                               ;   in Loop: Header=BB104_18 Depth=1
	s_clause 0x3
	global_load_dwordx2 v[35:36], v[51:52], off offset:512
	global_load_dwordx2 v[33:34], v[49:50], off offset:512
	global_load_dwordx2 v[31:32], v[47:48], off offset:512
	global_load_dwordx2 v[29:30], v[45:46], off offset:512
	s_and_saveexec_b32 s27, s1
	s_cbranch_execz .LBB104_15
; %bb.21:                               ;   in Loop: Header=BB104_18 Depth=1
	s_clause 0x3
	global_load_dwordx2 v[43:44], v[51:52], off offset:1024
	global_load_dwordx2 v[41:42], v[49:50], off offset:1024
	global_load_dwordx2 v[39:40], v[47:48], off offset:1024
	global_load_dwordx2 v[37:38], v[45:46], off offset:1024
	s_and_saveexec_b32 s28, s2
	s_cbranch_execz .LBB104_14
; %bb.22:                               ;   in Loop: Header=BB104_18 Depth=1
	s_clause 0x3
	global_load_dwordx2 v[51:52], v[51:52], off offset:1536
	global_load_dwordx2 v[49:50], v[49:50], off offset:1536
	global_load_dwordx2 v[47:48], v[47:48], off offset:1536
	global_load_dwordx2 v[45:46], v[45:46], off offset:1536
	s_waitcnt vmcnt(3)
	v_mul_f32_e32 v62, v26, v52
	v_mul_f32_e32 v52, v25, v52
	s_waitcnt vmcnt(2)
	v_mul_f32_e32 v63, v22, v50
	v_mul_f32_e32 v50, v21, v50
	s_waitcnt vmcnt(1)
	v_mul_f32_e32 v64, v16, v48
	v_fma_f32 v62, v25, v51, -v62
	v_fmac_f32_e32 v52, v26, v51
	v_mul_f32_e32 v48, v15, v48
	v_fma_f32 v63, v21, v49, -v63
	v_fmac_f32_e32 v50, v22, v49
	v_add_f32_e32 v2, v2, v62
	v_add_f32_e32 v3, v3, v52
	s_waitcnt vmcnt(0)
	v_mul_f32_e32 v51, v14, v46
	v_mul_f32_e32 v46, v13, v46
	v_fma_f32 v49, v15, v47, -v64
	v_fmac_f32_e32 v48, v16, v47
	v_add_f32_e32 v2, v63, v2
	v_add_f32_e32 v3, v50, v3
	v_fma_f32 v47, v13, v45, -v51
	v_fmac_f32_e32 v46, v14, v45
	v_add_f32_e32 v2, v49, v2
	v_add_f32_e32 v3, v48, v3
	;; [unrolled: 1-line block ×4, first 2 shown]
	s_branch .LBB104_14
.LBB104_23:
	s_or_b32 exec_lo, exec_lo, s17
.LBB104_24:
	s_or_b32 exec_lo, exec_lo, s15
	s_sub_i32 s0, s19, s6
	s_cmp_lt_i32 s0, 1
	s_cbranch_scc1 .LBB104_42
; %bb.25:
	v_cmp_gt_i32_e32 vcc_lo, s19, v56
	v_mov_b32_e32 v10, 0
	v_or_b32_e32 v18, 1, v56
	v_mov_b32_e32 v11, 0
	v_mov_b32_e32 v12, 0
	;; [unrolled: 1-line block ×7, first 2 shown]
	s_and_saveexec_b32 s1, vcc_lo
	s_cbranch_execz .LBB104_33
; %bb.26:
	v_mul_lo_u32 v10, v56, s4
	v_mov_b32_e32 v17, 0
	v_mov_b32_e32 v16, 0
	;; [unrolled: 1-line block ×6, first 2 shown]
	s_mov_b32 s2, exec_lo
	v_ashrrev_i32_e32 v11, 31, v10
	v_lshlrev_b64 v[10:11], 3, v[10:11]
	v_add_co_u32 v10, s0, s13, v10
	v_add_co_ci_u32_e64 v11, null, s14, v11, s0
	global_load_dwordx2 v[10:11], v[10:11], off
	v_cmpx_gt_i32_e64 s19, v18
	s_cbranch_execz .LBB104_32
; %bb.27:
	v_mul_lo_u32 v12, v18, s4
	v_or_b32_e32 v19, 2, v56
	v_mov_b32_e32 v17, 0
	v_mov_b32_e32 v16, 0
	;; [unrolled: 1-line block ×4, first 2 shown]
	s_mov_b32 s3, exec_lo
	v_ashrrev_i32_e32 v13, 31, v12
	v_lshlrev_b64 v[12:13], 3, v[12:13]
	v_add_co_u32 v12, s0, s13, v12
	v_add_co_ci_u32_e64 v13, null, s14, v13, s0
	global_load_dwordx2 v[12:13], v[12:13], off
	v_cmpx_gt_i32_e64 s19, v19
	s_cbranch_execz .LBB104_31
; %bb.28:
	v_mul_lo_u32 v14, v19, s4
	v_or_b32_e32 v19, 3, v56
	v_mov_b32_e32 v17, 0
	v_mov_b32_e32 v16, 0
	s_mov_b32 s6, exec_lo
	v_ashrrev_i32_e32 v15, 31, v14
	v_lshlrev_b64 v[14:15], 3, v[14:15]
	v_add_co_u32 v14, s0, s13, v14
	v_add_co_ci_u32_e64 v15, null, s14, v15, s0
	global_load_dwordx2 v[14:15], v[14:15], off
	v_cmpx_gt_i32_e64 s19, v19
	s_cbranch_execz .LBB104_30
; %bb.29:
	v_mul_lo_u32 v16, v19, s4
	v_ashrrev_i32_e32 v17, 31, v16
	v_lshlrev_b64 v[16:17], 3, v[16:17]
	v_add_co_u32 v16, s0, s13, v16
	v_add_co_ci_u32_e64 v17, null, s14, v17, s0
	global_load_dwordx2 v[16:17], v[16:17], off
.LBB104_30:
	s_or_b32 exec_lo, exec_lo, s6
.LBB104_31:
	s_or_b32 exec_lo, exec_lo, s3
.LBB104_32:
	s_or_b32 exec_lo, exec_lo, s2
.LBB104_33:
	s_or_b32 exec_lo, exec_lo, s1
	s_mov_b32 s1, exec_lo
	v_cmpx_gt_i32_e64 s18, v55
	s_cbranch_execz .LBB104_41
; %bb.34:
	v_mul_lo_u32 v19, v56, s22
	v_mul_lo_u32 v20, v18, s22
	v_or_b32_e32 v21, 2, v56
	v_or_b32_e32 v22, 3, v56
	s_mov_b32 s0, exec_lo
	v_mul_lo_u32 v23, v21, s22
	v_cndmask_b32_e32 v19, 0, v19, vcc_lo
	v_cmp_gt_i32_e32 vcc_lo, s19, v18
	v_mul_lo_u32 v24, v22, s22
	v_add_nc_u32_e32 v18, v19, v55
	v_cndmask_b32_e32 v20, 0, v20, vcc_lo
	v_cmp_gt_i32_e32 vcc_lo, s19, v21
	v_ashrrev_i32_e32 v19, 31, v18
	v_add_nc_u32_e32 v20, v20, v55
	v_cndmask_b32_e32 v23, 0, v23, vcc_lo
	v_cmp_gt_i32_e32 vcc_lo, s19, v22
	v_lshlrev_b64 v[18:19], 3, v[18:19]
	v_ashrrev_i32_e32 v21, 31, v20
	v_add_nc_u32_e32 v22, v23, v55
	v_cndmask_b32_e32 v24, 0, v24, vcc_lo
	v_lshlrev_b64 v[20:21], 3, v[20:21]
	v_ashrrev_i32_e32 v23, 31, v22
	v_add_nc_u32_e32 v26, v24, v55
	v_add_co_u32 v24, vcc_lo, s7, v18
	v_add_co_ci_u32_e64 v25, null, s12, v19, vcc_lo
	v_ashrrev_i32_e32 v27, 31, v26
	v_add_co_u32 v20, vcc_lo, s7, v20
	v_add_co_ci_u32_e64 v21, null, s12, v21, vcc_lo
	v_lshlrev_b64 v[18:19], 3, v[22:23]
	v_lshlrev_b64 v[26:27], 3, v[26:27]
	s_clause 0x1
	global_load_dwordx2 v[28:29], v[24:25], off
	global_load_dwordx2 v[30:31], v[20:21], off
	v_add_co_u32 v22, vcc_lo, s7, v18
	v_add_co_ci_u32_e64 v23, null, s12, v19, vcc_lo
	v_add_co_u32 v18, vcc_lo, s7, v26
	v_add_co_ci_u32_e64 v19, null, s12, v27, vcc_lo
	s_clause 0x1
	global_load_dwordx2 v[26:27], v[22:23], off
	global_load_dwordx2 v[32:33], v[18:19], off
	s_waitcnt vmcnt(3)
	v_mul_f32_e32 v34, v11, v29
	v_mul_f32_e32 v29, v10, v29
	s_waitcnt vmcnt(2)
	v_mul_f32_e32 v35, v13, v31
	v_mul_f32_e32 v31, v12, v31
	v_fma_f32 v34, v10, v28, -v34
	v_fmac_f32_e32 v29, v11, v28
	v_fma_f32 v28, v12, v30, -v35
	v_fmac_f32_e32 v31, v13, v30
	v_add_f32_e32 v8, v8, v34
	v_add_f32_e32 v29, v9, v29
	s_waitcnt vmcnt(1)
	v_mul_f32_e32 v30, v15, v27
	v_mul_f32_e32 v27, v14, v27
	s_waitcnt vmcnt(0)
	v_mul_f32_e32 v35, v17, v33
	v_mul_f32_e32 v9, v16, v33
	v_fma_f32 v30, v14, v26, -v30
	v_fmac_f32_e32 v27, v15, v26
	v_add_f32_e32 v26, v28, v8
	v_add_f32_e32 v28, v31, v29
	v_add_nc_u32_e32 v29, 64, v55
	v_fma_f32 v8, v16, v32, -v35
	v_fmac_f32_e32 v9, v17, v32
	v_add_f32_e32 v26, v30, v26
	v_add_f32_e32 v27, v27, v28
	v_cmpx_gt_i32_e64 s18, v29
	s_cbranch_execz .LBB104_40
; %bb.35:
	s_clause 0x3
	global_load_dwordx2 v[28:29], v[24:25], off offset:512
	global_load_dwordx2 v[30:31], v[20:21], off offset:512
	;; [unrolled: 1-line block ×4, first 2 shown]
	s_mov_b32 s2, exec_lo
	s_waitcnt vmcnt(3)
	v_mul_f32_e32 v36, v11, v29
	v_mul_f32_e32 v29, v10, v29
	s_waitcnt vmcnt(2)
	v_mul_f32_e32 v37, v13, v31
	v_mul_f32_e32 v31, v12, v31
	s_waitcnt vmcnt(1)
	v_mul_f32_e32 v38, v15, v33
	v_fma_f32 v36, v10, v28, -v36
	v_fmac_f32_e32 v29, v11, v28
	v_mul_f32_e32 v33, v14, v33
	v_fma_f32 v37, v12, v30, -v37
	v_fmac_f32_e32 v31, v13, v30
	v_add_f32_e32 v6, v6, v36
	v_add_f32_e32 v29, v7, v29
	s_waitcnt vmcnt(0)
	v_mul_f32_e32 v28, v17, v35
	v_mul_f32_e32 v7, v16, v35
	v_fma_f32 v30, v14, v32, -v38
	v_fmac_f32_e32 v33, v15, v32
	v_add_f32_e32 v32, v37, v6
	v_add_f32_e32 v29, v31, v29
	v_add_nc_u32_e32 v31, 0x80, v55
	v_fma_f32 v6, v16, v34, -v28
	v_fmac_f32_e32 v7, v17, v34
	v_add_f32_e32 v28, v30, v32
	v_add_f32_e32 v29, v33, v29
	v_cmpx_gt_i32_e64 s18, v31
	s_cbranch_execz .LBB104_39
; %bb.36:
	s_clause 0x3
	global_load_dwordx2 v[30:31], v[24:25], off offset:1024
	global_load_dwordx2 v[32:33], v[20:21], off offset:1024
	;; [unrolled: 1-line block ×4, first 2 shown]
	s_mov_b32 s3, exec_lo
	s_waitcnt vmcnt(3)
	v_mul_f32_e32 v38, v11, v31
	v_mul_f32_e32 v31, v10, v31
	s_waitcnt vmcnt(2)
	v_mul_f32_e32 v39, v13, v33
	v_mul_f32_e32 v33, v12, v33
	s_waitcnt vmcnt(1)
	v_mul_f32_e32 v40, v15, v35
	v_fma_f32 v38, v10, v30, -v38
	v_fmac_f32_e32 v31, v11, v30
	v_mul_f32_e32 v35, v14, v35
	v_fma_f32 v39, v12, v32, -v39
	v_fmac_f32_e32 v33, v13, v32
	v_add_f32_e32 v4, v4, v38
	v_add_f32_e32 v31, v5, v31
	s_waitcnt vmcnt(0)
	v_mul_f32_e32 v30, v17, v37
	v_mul_f32_e32 v5, v16, v37
	v_fma_f32 v32, v14, v34, -v40
	v_fmac_f32_e32 v35, v15, v34
	v_add_f32_e32 v34, v39, v4
	v_add_f32_e32 v31, v33, v31
	v_add_nc_u32_e32 v33, 0xc0, v55
	v_fma_f32 v4, v16, v36, -v30
	v_fmac_f32_e32 v5, v17, v36
	v_add_f32_e32 v30, v32, v34
	v_add_f32_e32 v31, v35, v31
	v_cmpx_gt_i32_e64 s18, v33
	s_cbranch_execz .LBB104_38
; %bb.37:
	s_clause 0x3
	global_load_dwordx2 v[24:25], v[24:25], off offset:1536
	global_load_dwordx2 v[20:21], v[20:21], off offset:1536
	;; [unrolled: 1-line block ×4, first 2 shown]
	s_waitcnt vmcnt(3)
	v_mul_f32_e32 v32, v11, v25
	v_mul_f32_e32 v25, v10, v25
	s_waitcnt vmcnt(2)
	v_mul_f32_e32 v33, v13, v21
	v_mul_f32_e32 v21, v12, v21
	s_waitcnt vmcnt(1)
	v_mul_f32_e32 v34, v15, v23
	v_fma_f32 v10, v10, v24, -v32
	v_fmac_f32_e32 v25, v11, v24
	v_mul_f32_e32 v23, v14, v23
	v_fma_f32 v12, v12, v20, -v33
	v_fmac_f32_e32 v21, v13, v20
	v_add_f32_e32 v2, v2, v10
	v_add_f32_e32 v3, v3, v25
	s_waitcnt vmcnt(0)
	v_mul_f32_e32 v11, v17, v19
	v_mul_f32_e32 v10, v16, v19
	v_fma_f32 v13, v14, v22, -v34
	v_fmac_f32_e32 v23, v15, v22
	v_add_f32_e32 v2, v12, v2
	v_add_f32_e32 v3, v21, v3
	v_fma_f32 v11, v16, v18, -v11
	v_fmac_f32_e32 v10, v17, v18
	v_add_f32_e32 v2, v13, v2
	v_add_f32_e32 v3, v23, v3
	;; [unrolled: 1-line block ×4, first 2 shown]
.LBB104_38:
	s_or_b32 exec_lo, exec_lo, s3
	v_add_f32_e32 v4, v4, v30
	v_add_f32_e32 v5, v5, v31
.LBB104_39:
	s_or_b32 exec_lo, exec_lo, s2
	v_add_f32_e32 v6, v6, v28
	v_add_f32_e32 v7, v7, v29
.LBB104_40:
	s_or_b32 exec_lo, exec_lo, s0
	v_add_f32_e32 v8, v8, v26
	v_add_f32_e32 v9, v9, v27
.LBB104_41:
	s_or_b32 exec_lo, exec_lo, s1
.LBB104_42:
	v_lshlrev_b32_e32 v0, 3, v0
	s_mov_b32 s0, exec_lo
	v_lshl_or_b32 v1, v1, 11, v0
	ds_write2st64_b64 v1, v[8:9], v[6:7] offset1:1
	ds_write2st64_b64 v1, v[4:5], v[2:3] offset0:2 offset1:3
	s_waitcnt vmcnt(0) lgkmcnt(0)
	s_waitcnt_vscnt null, 0x0
	s_barrier
	buffer_gl0_inv
	v_cmpx_gt_u32_e32 0x100, v53
	s_cbranch_execz .LBB104_47
; %bb.43:
	v_lshl_add_u32 v8, v54, 3, v0
	ds_read2st64_b64 v[0:3], v8 offset1:4
	ds_read2st64_b64 v[4:7], v8 offset0:8 offset1:12
	s_waitcnt lgkmcnt(1)
	v_add_f32_e32 v0, v0, v2
	v_add_f32_e32 v1, v1, v3
	s_waitcnt lgkmcnt(0)
	v_add_f32_e32 v2, v0, v4
	v_add_f32_e32 v1, v1, v5
	v_or_b32_e32 v0, s5, v53
	v_add_f32_e32 v2, v2, v6
	v_add_f32_e32 v3, v1, v7
	v_cmp_gt_i32_e32 vcc_lo, s18, v0
	ds_write_b64 v8, v[2:3]
	s_and_b32 exec_lo, exec_lo, vcc_lo
	s_cbranch_execz .LBB104_47
; %bb.44:
	v_mul_lo_u32 v4, s24, v0
	v_mul_f32_e32 v0, s11, v3
	v_mul_f32_e32 v1, s10, v3
	v_cmp_neq_f32_e64 s0, s8, 0
	v_cmp_neq_f32_e64 s1, s9, 0
	v_fma_f32 v0, v2, s10, -v0
	v_fmac_f32_e32 v1, s11, v2
	v_ashrrev_i32_e32 v5, 31, v4
	s_or_b32 s0, s0, s1
	s_andn2_b32 vcc_lo, exec_lo, s0
	v_lshlrev_b64 v[3:4], 3, v[4:5]
	s_cbranch_vccnz .LBB104_46
; %bb.45:
	v_add_co_u32 v5, vcc_lo, s20, v3
	v_add_co_ci_u32_e64 v6, null, s21, v4, vcc_lo
	global_load_dwordx2 v[5:6], v[5:6], off
	s_waitcnt vmcnt(0)
	v_mul_f32_e32 v2, s9, v6
	v_mul_f32_e32 v6, s8, v6
	v_fma_f32 v2, s8, v5, -v2
	v_fmac_f32_e32 v6, s9, v5
	v_add_f32_e32 v0, v0, v2
	v_add_f32_e32 v1, v1, v6
.LBB104_46:
	v_add_co_u32 v2, vcc_lo, s20, v3
	v_add_co_ci_u32_e64 v3, null, s21, v4, vcc_lo
	global_store_dwordx2 v[2:3], v[0:1], off
.LBB104_47:
	s_endpgm
	.section	.rodata,"a",@progbits
	.p2align	6, 0x0
	.amdhsa_kernel _ZL20rocblas_gemvn_kernelILi64ELi4Ei19rocblas_complex_numIfEPKS1_S1_EviiT3_lPKT2_lT1_lS7_lS8_lS4_lPT4_lS8_li
		.amdhsa_group_segment_fixed_size 8192
		.amdhsa_private_segment_fixed_size 0
		.amdhsa_kernarg_size 400
		.amdhsa_user_sgpr_count 6
		.amdhsa_user_sgpr_private_segment_buffer 1
		.amdhsa_user_sgpr_dispatch_ptr 0
		.amdhsa_user_sgpr_queue_ptr 0
		.amdhsa_user_sgpr_kernarg_segment_ptr 1
		.amdhsa_user_sgpr_dispatch_id 0
		.amdhsa_user_sgpr_flat_scratch_init 0
		.amdhsa_user_sgpr_private_segment_size 0
		.amdhsa_wavefront_size32 1
		.amdhsa_uses_dynamic_stack 0
		.amdhsa_system_sgpr_private_segment_wavefront_offset 0
		.amdhsa_system_sgpr_workgroup_id_x 1
		.amdhsa_system_sgpr_workgroup_id_y 0
		.amdhsa_system_sgpr_workgroup_id_z 1
		.amdhsa_system_sgpr_workgroup_info 0
		.amdhsa_system_vgpr_workitem_id 1
		.amdhsa_next_free_vgpr 65
		.amdhsa_next_free_sgpr 29
		.amdhsa_reserve_vcc 1
		.amdhsa_reserve_flat_scratch 0
		.amdhsa_float_round_mode_32 0
		.amdhsa_float_round_mode_16_64 0
		.amdhsa_float_denorm_mode_32 3
		.amdhsa_float_denorm_mode_16_64 3
		.amdhsa_dx10_clamp 1
		.amdhsa_ieee_mode 1
		.amdhsa_fp16_overflow 0
		.amdhsa_workgroup_processor_mode 1
		.amdhsa_memory_ordered 1
		.amdhsa_forward_progress 1
		.amdhsa_shared_vgpr_count 0
		.amdhsa_exception_fp_ieee_invalid_op 0
		.amdhsa_exception_fp_denorm_src 0
		.amdhsa_exception_fp_ieee_div_zero 0
		.amdhsa_exception_fp_ieee_overflow 0
		.amdhsa_exception_fp_ieee_underflow 0
		.amdhsa_exception_fp_ieee_inexact 0
		.amdhsa_exception_int_div_zero 0
	.end_amdhsa_kernel
	.section	.text._ZL20rocblas_gemvn_kernelILi64ELi4Ei19rocblas_complex_numIfEPKS1_S1_EviiT3_lPKT2_lT1_lS7_lS8_lS4_lPT4_lS8_li,"axG",@progbits,_ZL20rocblas_gemvn_kernelILi64ELi4Ei19rocblas_complex_numIfEPKS1_S1_EviiT3_lPKT2_lT1_lS7_lS8_lS4_lPT4_lS8_li,comdat
.Lfunc_end104:
	.size	_ZL20rocblas_gemvn_kernelILi64ELi4Ei19rocblas_complex_numIfEPKS1_S1_EviiT3_lPKT2_lT1_lS7_lS8_lS4_lPT4_lS8_li, .Lfunc_end104-_ZL20rocblas_gemvn_kernelILi64ELi4Ei19rocblas_complex_numIfEPKS1_S1_EviiT3_lPKT2_lT1_lS7_lS8_lS4_lPT4_lS8_li
                                        ; -- End function
	.set _ZL20rocblas_gemvn_kernelILi64ELi4Ei19rocblas_complex_numIfEPKS1_S1_EviiT3_lPKT2_lT1_lS7_lS8_lS4_lPT4_lS8_li.num_vgpr, 65
	.set _ZL20rocblas_gemvn_kernelILi64ELi4Ei19rocblas_complex_numIfEPKS1_S1_EviiT3_lPKT2_lT1_lS7_lS8_lS4_lPT4_lS8_li.num_agpr, 0
	.set _ZL20rocblas_gemvn_kernelILi64ELi4Ei19rocblas_complex_numIfEPKS1_S1_EviiT3_lPKT2_lT1_lS7_lS8_lS4_lPT4_lS8_li.numbered_sgpr, 29
	.set _ZL20rocblas_gemvn_kernelILi64ELi4Ei19rocblas_complex_numIfEPKS1_S1_EviiT3_lPKT2_lT1_lS7_lS8_lS4_lPT4_lS8_li.num_named_barrier, 0
	.set _ZL20rocblas_gemvn_kernelILi64ELi4Ei19rocblas_complex_numIfEPKS1_S1_EviiT3_lPKT2_lT1_lS7_lS8_lS4_lPT4_lS8_li.private_seg_size, 0
	.set _ZL20rocblas_gemvn_kernelILi64ELi4Ei19rocblas_complex_numIfEPKS1_S1_EviiT3_lPKT2_lT1_lS7_lS8_lS4_lPT4_lS8_li.uses_vcc, 1
	.set _ZL20rocblas_gemvn_kernelILi64ELi4Ei19rocblas_complex_numIfEPKS1_S1_EviiT3_lPKT2_lT1_lS7_lS8_lS4_lPT4_lS8_li.uses_flat_scratch, 0
	.set _ZL20rocblas_gemvn_kernelILi64ELi4Ei19rocblas_complex_numIfEPKS1_S1_EviiT3_lPKT2_lT1_lS7_lS8_lS4_lPT4_lS8_li.has_dyn_sized_stack, 0
	.set _ZL20rocblas_gemvn_kernelILi64ELi4Ei19rocblas_complex_numIfEPKS1_S1_EviiT3_lPKT2_lT1_lS7_lS8_lS4_lPT4_lS8_li.has_recursion, 0
	.set _ZL20rocblas_gemvn_kernelILi64ELi4Ei19rocblas_complex_numIfEPKS1_S1_EviiT3_lPKT2_lT1_lS7_lS8_lS4_lPT4_lS8_li.has_indirect_call, 0
	.section	.AMDGPU.csdata,"",@progbits
; Kernel info:
; codeLenInByte = 3564
; TotalNumSgprs: 31
; NumVgprs: 65
; ScratchSize: 0
; MemoryBound: 0
; FloatMode: 240
; IeeeMode: 1
; LDSByteSize: 8192 bytes/workgroup (compile time only)
; SGPRBlocks: 0
; VGPRBlocks: 8
; NumSGPRsForWavesPerEU: 31
; NumVGPRsForWavesPerEU: 65
; Occupancy: 12
; WaveLimiterHint : 1
; COMPUTE_PGM_RSRC2:SCRATCH_EN: 0
; COMPUTE_PGM_RSRC2:USER_SGPR: 6
; COMPUTE_PGM_RSRC2:TRAP_HANDLER: 0
; COMPUTE_PGM_RSRC2:TGID_X_EN: 1
; COMPUTE_PGM_RSRC2:TGID_Y_EN: 0
; COMPUTE_PGM_RSRC2:TGID_Z_EN: 1
; COMPUTE_PGM_RSRC2:TIDIG_COMP_CNT: 1
	.section	.text._ZL20rocblas_gemvn_kernelILi64ELi4El19rocblas_complex_numIfEPKS1_S1_EviiT3_lPKT2_lT1_lS7_lS8_lS4_lPT4_lS8_li,"axG",@progbits,_ZL20rocblas_gemvn_kernelILi64ELi4El19rocblas_complex_numIfEPKS1_S1_EviiT3_lPKT2_lT1_lS7_lS8_lS4_lPT4_lS8_li,comdat
	.globl	_ZL20rocblas_gemvn_kernelILi64ELi4El19rocblas_complex_numIfEPKS1_S1_EviiT3_lPKT2_lT1_lS7_lS8_lS4_lPT4_lS8_li ; -- Begin function _ZL20rocblas_gemvn_kernelILi64ELi4El19rocblas_complex_numIfEPKS1_S1_EviiT3_lPKT2_lT1_lS7_lS8_lS4_lPT4_lS8_li
	.p2align	8
	.type	_ZL20rocblas_gemvn_kernelILi64ELi4El19rocblas_complex_numIfEPKS1_S1_EviiT3_lPKT2_lT1_lS7_lS8_lS4_lPT4_lS8_li,@function
_ZL20rocblas_gemvn_kernelILi64ELi4El19rocblas_complex_numIfEPKS1_S1_EviiT3_lPKT2_lT1_lS7_lS8_lS4_lPT4_lS8_li: ; @_ZL20rocblas_gemvn_kernelILi64ELi4El19rocblas_complex_numIfEPKS1_S1_EviiT3_lPKT2_lT1_lS7_lS8_lS4_lPT4_lS8_li
; %bb.0:
	s_load_dwordx2 s[0:1], s[4:5], 0x9c
	s_waitcnt lgkmcnt(0)
	s_lshr_b32 s2, s0, 16
	s_and_b32 s0, s0, 0xffff
	s_and_b32 s1, s1, 0xffff
	s_mul_i32 s0, s2, s0
	s_mul_i32 s0, s0, s1
	s_cmpk_lg_i32 s0, 0x100
	s_cbranch_scc1 .LBB105_47
; %bb.1:
	s_clause 0x1
	s_load_dwordx16 s[36:51], s[4:5], 0x8
	s_load_dwordx16 s[8:23], s[4:5], 0x48
	s_waitcnt lgkmcnt(0)
	s_mul_i32 s1, s39, s7
	s_mul_hi_u32 s2, s38, s7
	s_mul_i32 s0, s38, s7
	s_add_i32 s1, s2, s1
	s_mul_hi_u32 s2, s14, s7
	s_lshl_b64 s[0:1], s[0:1], 3
	s_add_u32 s0, s36, s0
	s_addc_u32 s1, s37, s1
	s_load_dwordx2 s[24:25], s[0:1], 0x0
	s_mul_i32 s1, s15, s7
	s_mul_i32 s0, s14, s7
	s_add_i32 s1, s2, s1
	s_lshl_b64 s[0:1], s[0:1], 3
	s_add_u32 s0, s12, s0
	s_addc_u32 s1, s13, s1
	s_load_dwordx2 s[12:13], s[0:1], 0x0
	s_waitcnt lgkmcnt(0)
	v_cmp_neq_f32_e64 s0, s24, 0
	v_cmp_neq_f32_e64 s1, s25, 0
	s_or_b32 s0, s0, s1
	s_and_b32 vcc_lo, exec_lo, s0
	s_mov_b32 s0, -1
	s_cbranch_vccnz .LBB105_3
; %bb.2:
	v_cmp_neq_f32_e64 s0, s12, 1.0
	v_cmp_neq_f32_e64 s1, s13, 0
	s_or_b32 s0, s0, s1
.LBB105_3:
	s_andn2_b32 vcc_lo, exec_lo, s0
	s_cbranch_vccnz .LBB105_47
; %bb.4:
	s_load_dwordx2 s[14:15], s[4:5], 0x0
	s_mul_i32 s0, s23, s7
	s_mul_hi_u32 s1, s22, s7
	v_lshlrev_b32_e32 v57, 6, v1
	s_add_i32 s1, s1, s0
	s_mul_i32 s0, s22, s7
	s_lshl_b64 s[0:1], s[0:1], 3
	v_add_nc_u32_e32 v56, v57, v0
	s_add_u32 s2, s16, s0
	s_addc_u32 s3, s17, s1
	s_lshl_b64 s[0:1], s[18:19], 3
	s_add_u32 s5, s2, s0
	s_addc_u32 s26, s3, s1
	s_or_b32 s0, s24, s25
	v_cmp_gt_u32_e32 vcc_lo, 0x100, v56
	s_bitset0_b32 s0, 31
	s_cmp_lg_u32 s0, 0
	s_mov_b32 s0, -1
	s_cbranch_scc1 .LBB105_11
; %bb.5:
	s_and_saveexec_b32 s0, vcc_lo
	s_cbranch_execz .LBB105_10
; %bb.6:
	v_lshl_or_b32 v2, s6, 8, v56
	v_mov_b32_e32 v3, 0
	s_waitcnt lgkmcnt(0)
	s_ashr_i32 s3, s14, 31
	s_mov_b32 s2, s14
	v_cmp_gt_i64_e32 vcc_lo, s[2:3], v[2:3]
	s_and_b32 exec_lo, exec_lo, vcc_lo
	s_cbranch_execz .LBB105_10
; %bb.7:
	v_mad_u64_u32 v[4:5], null, s20, v2, 0
	v_cmp_neq_f32_e64 s1, s12, 0
	v_cmp_neq_f32_e64 s2, s13, 0
	s_or_b32 s1, s1, s2
	v_mad_u64_u32 v[5:6], null, s21, v2, v[5:6]
	v_mov_b32_e32 v6, v3
	s_andn2_b32 vcc_lo, exec_lo, s1
	v_lshlrev_b64 v[4:5], 3, v[4:5]
	s_cbranch_vccnz .LBB105_9
; %bb.8:
	v_add_co_u32 v2, vcc_lo, s5, v4
	v_add_co_ci_u32_e64 v3, null, s26, v5, vcc_lo
	global_load_dwordx2 v[2:3], v[2:3], off
	s_waitcnt vmcnt(0)
	v_mul_f32_e32 v7, s13, v3
	v_mul_f32_e32 v6, s12, v3
	v_fma_f32 v3, s12, v2, -v7
	v_fmac_f32_e32 v6, s13, v2
.LBB105_9:
	v_add_co_u32 v7, vcc_lo, s5, v4
	v_add_co_ci_u32_e64 v8, null, s26, v5, vcc_lo
	v_mov_b32_e32 v5, v3
	global_store_dwordx2 v[7:8], v[5:6], off
.LBB105_10:
	s_or_b32 exec_lo, exec_lo, s0
	s_mov_b32 s0, 0
.LBB105_11:
	s_andn2_b32 vcc_lo, exec_lo, s0
	s_cbranch_vccnz .LBB105_47
; %bb.12:
	s_mul_i32 s0, s47, s7
	s_mul_hi_u32 s1, s46, s7
	s_lshl_b32 s27, s6, 8
	s_add_i32 s17, s1, s0
	s_waitcnt lgkmcnt(0)
	s_ashr_i32 s1, s15, 31
	v_lshlrev_b32_e32 v58, 2, v1
	s_lshr_b32 s1, s1, 28
	v_or_b32_e32 v4, s27, v0
	v_mov_b32_e32 v3, 0
	v_mov_b32_e32 v2, 0
	;; [unrolled: 1-line block ×8, first 2 shown]
	s_mul_i32 s0, s11, s7
	s_mul_hi_u32 s2, s10, s7
	s_add_i32 s1, s15, s1
	s_mul_i32 s16, s46, s7
	s_and_b32 s28, s1, -16
	s_add_i32 s11, s2, s0
	s_mul_i32 s10, s10, s7
	s_mov_b32 s29, exec_lo
	v_cmpx_gt_i32_e64 s28, v58
	s_cbranch_execz .LBB105_24
; %bb.13:
	v_mad_u64_u32 v[2:3], null, s8, v1, 0
	v_lshlrev_b32_e32 v18, 2, v1
	s_lshl_b64 s[0:1], s[50:51], 3
	v_add_nc_u32_e32 v9, 64, v4
	v_add_nc_u32_e32 v12, 0xc0, v4
	s_lshl_b64 s[2:3], s[10:11], 3
	v_or_b32_e32 v11, 3, v18
	v_mad_u64_u32 v[6:7], null, s9, v1, v[3:4]
	s_add_u32 s0, s48, s0
	s_addc_u32 s4, s49, s1
	v_mad_u64_u32 v[7:8], null, s44, v11, 0
	s_add_u32 s6, s0, s2
	v_add_nc_u32_e32 v10, 0x80, v4
	v_mov_b32_e32 v3, v6
	v_cmp_gt_i32_e64 s0, s14, v9
	v_cmp_gt_i32_e64 s2, s14, v12
	s_addc_u32 s4, s4, s3
	v_mov_b32_e32 v6, v8
	v_lshlrev_b64 v[2:3], 5, v[2:3]
	v_ashrrev_i32_e32 v5, 31, v4
	v_cmp_gt_i32_e64 s1, s14, v10
	s_lshl_b64 s[18:19], s[42:43], 3
	v_mad_u64_u32 v[8:9], null, s45, v11, v[6:7]
	v_add_co_u32 v12, s3, s6, v2
	v_or_b32_e32 v11, 2, v18
	v_add_co_ci_u32_e64 v13, null, s4, v3, s3
	v_mad_u64_u32 v[2:3], null, s44, v1, 0
	v_mad_u64_u32 v[9:10], null, s44, v11, 0
	v_lshlrev_b64 v[14:15], 3, v[4:5]
	v_lshlrev_b64 v[5:6], 3, v[7:8]
	v_mad_u64_u32 v[7:8], null, s44, v18, s[44:45]
	v_mad_u64_u32 v[16:17], null, s45, v1, v[3:4]
	v_mov_b32_e32 v3, v10
	s_lshl_b64 s[6:7], s[8:9], 7
	s_lshl_b64 s[22:23], s[16:17], 3
	s_add_u32 s3, s40, s18
	s_addc_u32 s4, s41, s19
	v_mad_u64_u32 v[10:11], null, s45, v11, v[3:4]
	v_mov_b32_e32 v3, v16
	v_mad_u64_u32 v[16:17], null, s45, v18, v[8:9]
	s_add_u32 s18, s3, s22
	s_addc_u32 s4, s4, s23
	v_lshlrev_b64 v[2:3], 5, v[2:3]
	v_add_co_u32 v5, s3, s18, v5
	v_lshlrev_b64 v[9:10], 3, v[9:10]
	v_mov_b32_e32 v8, v16
	v_add_co_ci_u32_e64 v59, null, s4, v6, s3
	v_add_co_u32 v60, s3, s18, v2
	v_lshlrev_b64 v[6:7], 3, v[7:8]
	v_add_co_ci_u32_e64 v61, null, s4, v3, s3
	v_mov_b32_e32 v3, 0
	v_add_co_u32 v62, s3, s18, v9
	v_add_co_ci_u32_e64 v63, null, s4, v10, s3
	v_add_co_u32 v64, s3, s18, v6
	v_add_co_ci_u32_e64 v65, null, s4, v7, s3
	v_mov_b32_e32 v2, v3
	v_mov_b32_e32 v7, v3
	;; [unrolled: 1-line block ×7, first 2 shown]
	s_lshl_b64 s[18:19], s[44:45], 7
	s_lshl_b64 s[22:23], s[8:9], 3
	s_mov_b32 s30, 0
	v_cmp_gt_i32_e32 vcc_lo, s14, v4
	s_branch .LBB105_18
.LBB105_14:                             ;   in Loop: Header=BB105_18 Depth=1
	s_or_b32 exec_lo, exec_lo, s33
	s_waitcnt vmcnt(3)
	v_mul_f32_e32 v48, v29, v47
	v_mul_f32_e32 v47, v28, v47
	s_waitcnt vmcnt(2)
	v_mul_f32_e32 v49, v25, v45
	v_mul_f32_e32 v45, v24, v45
	s_waitcnt vmcnt(1)
	v_mul_f32_e32 v50, v19, v43
	v_fma_f32 v48, v28, v46, -v48
	v_fmac_f32_e32 v47, v29, v46
	v_mul_f32_e32 v43, v18, v43
	v_fma_f32 v49, v24, v44, -v49
	v_fmac_f32_e32 v45, v25, v44
	v_add_f32_e32 v6, v6, v48
	v_add_f32_e32 v7, v7, v47
	s_waitcnt vmcnt(0)
	v_mul_f32_e32 v46, v17, v41
	v_mul_f32_e32 v41, v16, v41
	v_fma_f32 v44, v18, v42, -v50
	v_add_f32_e32 v6, v49, v6
	v_fmac_f32_e32 v43, v19, v42
	v_add_f32_e32 v7, v45, v7
	v_fma_f32 v42, v16, v40, -v46
	v_fmac_f32_e32 v41, v17, v40
	v_add_f32_e32 v6, v44, v6
	v_add_f32_e32 v7, v43, v7
	;; [unrolled: 1-line block ×4, first 2 shown]
.LBB105_15:                             ;   in Loop: Header=BB105_18 Depth=1
	s_or_b32 exec_lo, exec_lo, s31
	s_waitcnt vmcnt(3)
	v_mul_f32_e32 v40, v29, v39
	v_mul_f32_e32 v39, v28, v39
	s_waitcnt vmcnt(2)
	v_mul_f32_e32 v41, v25, v37
	v_mul_f32_e32 v37, v24, v37
	s_waitcnt vmcnt(1)
	v_mul_f32_e32 v42, v19, v35
	v_fma_f32 v40, v28, v38, -v40
	v_fmac_f32_e32 v39, v29, v38
	v_mul_f32_e32 v35, v18, v35
	v_fma_f32 v41, v24, v36, -v41
	v_fmac_f32_e32 v37, v25, v36
	v_add_f32_e32 v8, v8, v40
	v_add_f32_e32 v9, v9, v39
	s_waitcnt vmcnt(0)
	v_mul_f32_e32 v38, v17, v33
	v_mul_f32_e32 v33, v16, v33
	v_fma_f32 v36, v18, v34, -v42
	v_add_f32_e32 v8, v41, v8
	v_fmac_f32_e32 v35, v19, v34
	v_add_f32_e32 v9, v37, v9
	v_fma_f32 v34, v16, v32, -v38
	v_fmac_f32_e32 v33, v17, v32
	v_add_f32_e32 v8, v36, v8
	v_add_f32_e32 v9, v35, v9
	;; [unrolled: 1-line block ×4, first 2 shown]
.LBB105_16:                             ;   in Loop: Header=BB105_18 Depth=1
	s_or_b32 exec_lo, exec_lo, s3
	s_waitcnt vmcnt(3)
	v_mul_f32_e32 v32, v29, v31
	v_mul_f32_e32 v31, v28, v31
	s_waitcnt vmcnt(2)
	v_mul_f32_e32 v33, v25, v27
	v_mul_f32_e32 v27, v24, v27
	s_waitcnt vmcnt(1)
	v_mul_f32_e32 v34, v19, v23
	v_fma_f32 v28, v28, v30, -v32
	v_fmac_f32_e32 v31, v29, v30
	v_mul_f32_e32 v23, v18, v23
	v_fma_f32 v24, v24, v26, -v33
	v_fmac_f32_e32 v27, v25, v26
	v_add_f32_e32 v10, v10, v28
	v_add_f32_e32 v11, v11, v31
	s_waitcnt vmcnt(0)
	v_mul_f32_e32 v29, v17, v21
	v_mul_f32_e32 v21, v16, v21
	v_fma_f32 v18, v18, v22, -v34
	v_add_f32_e32 v10, v24, v10
	v_fmac_f32_e32 v23, v19, v22
	v_add_f32_e32 v11, v27, v11
	v_fma_f32 v16, v16, v20, -v29
	v_fmac_f32_e32 v21, v17, v20
	v_add_f32_e32 v10, v18, v10
	v_add_f32_e32 v11, v23, v11
	;; [unrolled: 1-line block ×4, first 2 shown]
.LBB105_17:                             ;   in Loop: Header=BB105_18 Depth=1
	s_or_b32 exec_lo, exec_lo, s4
	v_add_co_u32 v12, s3, v12, s6
	v_add_co_ci_u32_e64 v13, null, s7, v13, s3
	v_add_co_u32 v5, s3, v5, s18
	v_add_nc_u32_e32 v58, 16, v58
	v_add_co_ci_u32_e64 v59, null, s19, v59, s3
	v_add_co_u32 v60, s3, v60, s18
	v_add_co_ci_u32_e64 v61, null, s19, v61, s3
	v_add_co_u32 v62, s3, v62, s18
	v_add_co_ci_u32_e64 v63, null, s19, v63, s3
	v_cmp_le_i32_e64 s3, s28, v58
	v_add_co_u32 v64, s4, v64, s18
	v_add_co_ci_u32_e64 v65, null, s19, v65, s4
	s_or_b32 s30, s3, s30
	s_andn2_b32 exec_lo, exec_lo, s30
	s_cbranch_execz .LBB105_23
.LBB105_18:                             ; =>This Inner Loop Header: Depth=1
	s_and_saveexec_b32 s4, vcc_lo
	s_cbranch_execz .LBB105_17
; %bb.19:                               ;   in Loop: Header=BB105_18 Depth=1
	v_add_co_u32 v16, s3, v12, s22
	v_add_co_ci_u32_e64 v17, null, s23, v13, s3
	v_add_co_u32 v18, s3, v16, s22
	v_add_co_ci_u32_e64 v19, null, s23, v17, s3
	;; [unrolled: 2-line block ×7, first 2 shown]
	s_clause 0x3
	global_load_dwordx2 v[28:29], v[12:13], off
	global_load_dwordx2 v[24:25], v[16:17], off
	;; [unrolled: 1-line block ×8, first 2 shown]
	s_and_saveexec_b32 s3, s0
	s_cbranch_execz .LBB105_16
; %bb.20:                               ;   in Loop: Header=BB105_18 Depth=1
	global_load_dwordx2 v[38:39], v[54:55], off offset:512
	global_load_dwordx2 v[36:37], v[52:53], off offset:512
	global_load_dwordx2 v[34:35], v[50:51], off offset:512
	global_load_dwordx2 v[32:33], v[48:49], off offset:512
	s_and_saveexec_b32 s31, s1
	s_cbranch_execz .LBB105_15
; %bb.21:                               ;   in Loop: Header=BB105_18 Depth=1
	global_load_dwordx2 v[46:47], v[54:55], off offset:1024
	global_load_dwordx2 v[44:45], v[52:53], off offset:1024
	global_load_dwordx2 v[42:43], v[50:51], off offset:1024
	global_load_dwordx2 v[40:41], v[48:49], off offset:1024
	;; [unrolled: 7-line block ×3, first 2 shown]
	s_waitcnt vmcnt(3)
	v_mul_f32_e32 v66, v29, v55
	v_mul_f32_e32 v55, v28, v55
	s_waitcnt vmcnt(2)
	v_mul_f32_e32 v67, v25, v53
	v_mul_f32_e32 v53, v24, v53
	s_waitcnt vmcnt(1)
	v_mul_f32_e32 v68, v19, v51
	v_fma_f32 v66, v28, v54, -v66
	v_fmac_f32_e32 v55, v29, v54
	v_mul_f32_e32 v51, v18, v51
	v_fma_f32 v67, v24, v52, -v67
	v_fmac_f32_e32 v53, v25, v52
	v_add_f32_e32 v2, v2, v66
	v_add_f32_e32 v3, v3, v55
	s_waitcnt vmcnt(0)
	v_mul_f32_e32 v54, v17, v49
	v_mul_f32_e32 v49, v16, v49
	v_fma_f32 v52, v18, v50, -v68
	v_fmac_f32_e32 v51, v19, v50
	v_add_f32_e32 v2, v67, v2
	v_add_f32_e32 v3, v53, v3
	v_fma_f32 v50, v16, v48, -v54
	v_fmac_f32_e32 v49, v17, v48
	v_add_f32_e32 v2, v52, v2
	v_add_f32_e32 v3, v51, v3
	;; [unrolled: 1-line block ×4, first 2 shown]
	s_branch .LBB105_14
.LBB105_23:
	s_or_b32 exec_lo, exec_lo, s30
.LBB105_24:
	s_or_b32 exec_lo, exec_lo, s29
	s_sub_i32 s0, s15, s28
	s_cmp_lt_i32 s0, 1
	s_cbranch_scc1 .LBB105_42
; %bb.25:
	v_cmp_gt_i32_e32 vcc_lo, s15, v58
	v_mov_b32_e32 v12, 0
	v_or_b32_e32 v20, 1, v58
	v_mov_b32_e32 v13, 0
	v_mov_b32_e32 v14, 0
	;; [unrolled: 1-line block ×7, first 2 shown]
	s_and_saveexec_b32 s1, vcc_lo
	s_cbranch_execz .LBB105_33
; %bb.26:
	v_mad_u64_u32 v[12:13], null, s8, v58, 0
	s_lshl_b64 s[2:3], s[10:11], 3
	v_mov_b32_e32 v19, 0
	s_add_u32 s0, s48, s2
	s_addc_u32 s2, s49, s3
	s_lshl_b64 s[6:7], s[50:51], 3
	v_mov_b32_e32 v18, 0
	v_mov_b32_e32 v5, v13
	s_add_u32 s3, s0, s6
	s_addc_u32 s4, s2, s7
	v_mov_b32_e32 v17, 0
	v_mov_b32_e32 v16, 0
	v_mad_u64_u32 v[13:14], null, s9, v58, v[5:6]
	v_mov_b32_e32 v15, 0
	v_mov_b32_e32 v14, 0
	s_mov_b32 s2, exec_lo
	v_lshlrev_b64 v[12:13], 3, v[12:13]
	v_add_co_u32 v12, s0, s3, v12
	v_add_co_ci_u32_e64 v13, null, s4, v13, s0
	global_load_dwordx2 v[12:13], v[12:13], off
	v_cmpx_gt_i32_e64 s15, v20
	s_cbranch_execz .LBB105_32
; %bb.27:
	v_mad_u64_u32 v[14:15], null, s8, v20, 0
	v_mov_b32_e32 v19, 0
	v_mov_b32_e32 v18, 0
	;; [unrolled: 1-line block ×3, first 2 shown]
	s_mov_b32 s6, exec_lo
	v_mov_b32_e32 v5, v15
	v_mad_u64_u32 v[15:16], null, s9, v20, v[5:6]
	v_or_b32_e32 v5, 2, v58
	v_mov_b32_e32 v16, 0
	v_lshlrev_b64 v[14:15], 3, v[14:15]
	v_add_co_u32 v14, s0, s3, v14
	v_add_co_ci_u32_e64 v15, null, s4, v15, s0
	global_load_dwordx2 v[14:15], v[14:15], off
	v_cmpx_gt_i32_e64 s15, v5
	s_cbranch_execz .LBB105_31
; %bb.28:
	v_mad_u64_u32 v[16:17], null, s8, v5, 0
	v_mov_b32_e32 v19, 0
	s_mov_b32 s7, exec_lo
	v_mad_u64_u32 v[17:18], null, s9, v5, v[17:18]
	v_or_b32_e32 v5, 3, v58
	v_mov_b32_e32 v18, 0
	v_lshlrev_b64 v[16:17], 3, v[16:17]
	v_add_co_u32 v16, s0, s3, v16
	v_add_co_ci_u32_e64 v17, null, s4, v17, s0
	global_load_dwordx2 v[16:17], v[16:17], off
	v_cmpx_gt_i32_e64 s15, v5
	s_cbranch_execz .LBB105_30
; %bb.29:
	v_mad_u64_u32 v[18:19], null, s8, v5, 0
	v_mad_u64_u32 v[21:22], null, s9, v5, v[19:20]
	v_mov_b32_e32 v19, v21
	v_lshlrev_b64 v[18:19], 3, v[18:19]
	v_add_co_u32 v18, s0, s3, v18
	v_add_co_ci_u32_e64 v19, null, s4, v19, s0
	global_load_dwordx2 v[18:19], v[18:19], off
.LBB105_30:
	s_or_b32 exec_lo, exec_lo, s7
.LBB105_31:
	s_or_b32 exec_lo, exec_lo, s6
.LBB105_32:
	s_or_b32 exec_lo, exec_lo, s2
.LBB105_33:
	s_or_b32 exec_lo, exec_lo, s1
	s_mov_b32 s1, exec_lo
	v_cmpx_gt_i32_e64 s14, v4
	s_cbranch_execz .LBB105_41
; %bb.34:
	v_mad_u64_u32 v[21:22], null, s44, v58, 0
	v_mad_u64_u32 v[23:24], null, s44, v20, 0
	v_ashrrev_i32_e32 v5, 31, v4
	v_or_b32_e32 v33, 2, v58
	v_or_b32_e32 v34, 3, v58
	s_lshl_b64 s[2:3], s[16:17], 3
	v_cndmask_b32_e32 v21, 0, v21, vcc_lo
	v_lshlrev_b64 v[28:29], 3, v[4:5]
	v_mad_u64_u32 v[25:26], null, s45, v58, v[22:23]
	v_mov_b32_e32 v5, v24
	v_mad_u64_u32 v[26:27], null, s44, v33, 0
	s_add_u32 s0, s40, s2
	s_addc_u32 s4, s41, s3
	v_mad_u64_u32 v[30:31], null, s45, v20, v[5:6]
	v_cndmask_b32_e32 v22, 0, v25, vcc_lo
	v_cmp_gt_i32_e32 vcc_lo, s15, v20
	s_lshl_b64 s[2:3], s[42:43], 3
	v_mad_u64_u32 v[24:25], null, s44, v34, 0
	v_lshlrev_b64 v[21:22], 3, v[21:22]
	s_add_u32 s2, s0, s2
	v_cndmask_b32_e32 v31, 0, v23, vcc_lo
	v_mov_b32_e32 v5, v27
	v_cndmask_b32_e32 v32, 0, v30, vcc_lo
	s_addc_u32 s3, s4, s3
	v_add_co_u32 v20, s0, s2, v21
	v_add_co_ci_u32_e64 v21, null, s3, v22, s0
	v_lshlrev_b64 v[22:23], 3, v[31:32]
	v_mad_u64_u32 v[30:31], null, s45, v33, v[5:6]
	v_mov_b32_e32 v5, v25
	v_add_co_u32 v20, vcc_lo, v20, v28
	v_add_co_ci_u32_e64 v21, null, v21, v29, vcc_lo
	v_cmp_gt_i32_e32 vcc_lo, s15, v33
	v_mad_u64_u32 v[31:32], null, s45, v34, v[5:6]
	v_add_co_u32 v22, s0, s2, v22
	v_cndmask_b32_e32 v25, 0, v26, vcc_lo
	v_cndmask_b32_e32 v26, 0, v30, vcc_lo
	v_cmp_gt_i32_e32 vcc_lo, s15, v34
	v_add_co_ci_u32_e64 v23, null, s3, v23, s0
	v_add_co_u32 v22, s0, v22, v28
	v_cndmask_b32_e32 v30, 0, v24, vcc_lo
	v_cndmask_b32_e32 v31, 0, v31, vcc_lo
	v_lshlrev_b64 v[24:25], 3, v[25:26]
	v_add_co_ci_u32_e64 v23, null, v23, v29, s0
	s_clause 0x1
	global_load_dwordx2 v[32:33], v[20:21], off
	global_load_dwordx2 v[34:35], v[22:23], off
	v_lshlrev_b64 v[26:27], 3, v[30:31]
	v_add_co_u32 v5, vcc_lo, s2, v24
	v_add_co_ci_u32_e64 v24, null, s3, v25, vcc_lo
	s_mov_b32 s0, exec_lo
	v_add_co_u32 v25, vcc_lo, s2, v26
	v_add_co_ci_u32_e64 v30, null, s3, v27, vcc_lo
	v_add_co_u32 v26, vcc_lo, v5, v28
	v_add_co_ci_u32_e64 v27, null, v24, v29, vcc_lo
	;; [unrolled: 2-line block ×3, first 2 shown]
	s_clause 0x1
	global_load_dwordx2 v[28:29], v[26:27], off
	global_load_dwordx2 v[30:31], v[24:25], off
	s_waitcnt vmcnt(3)
	v_mul_f32_e32 v5, v13, v33
	v_mul_f32_e32 v33, v12, v33
	s_waitcnt vmcnt(2)
	v_mul_f32_e32 v36, v15, v35
	v_mul_f32_e32 v35, v14, v35
	v_fma_f32 v5, v12, v32, -v5
	v_fmac_f32_e32 v33, v13, v32
	v_fma_f32 v32, v14, v34, -v36
	v_fmac_f32_e32 v35, v15, v34
	v_add_f32_e32 v10, v10, v5
	v_add_f32_e32 v11, v11, v33
	v_add_nc_u32_e32 v33, 64, v4
	s_waitcnt vmcnt(1)
	v_mul_f32_e32 v34, v17, v29
	v_mul_f32_e32 v29, v16, v29
	s_waitcnt vmcnt(0)
	v_mul_f32_e32 v36, v19, v31
	v_mul_f32_e32 v5, v18, v31
	v_fma_f32 v31, v16, v28, -v34
	v_fmac_f32_e32 v29, v17, v28
	v_add_f32_e32 v28, v32, v10
	v_add_f32_e32 v32, v35, v11
	v_fma_f32 v10, v18, v30, -v36
	v_fmac_f32_e32 v5, v19, v30
	v_add_f32_e32 v11, v31, v28
	v_add_f32_e32 v28, v29, v32
	v_cmpx_gt_i32_e64 s14, v33
	s_cbranch_execz .LBB105_40
; %bb.35:
	s_clause 0x3
	global_load_dwordx2 v[29:30], v[20:21], off offset:512
	global_load_dwordx2 v[31:32], v[22:23], off offset:512
	;; [unrolled: 1-line block ×4, first 2 shown]
	s_mov_b32 s2, exec_lo
	s_waitcnt vmcnt(3)
	v_mul_f32_e32 v37, v13, v30
	v_mul_f32_e32 v30, v12, v30
	s_waitcnt vmcnt(2)
	v_mul_f32_e32 v38, v15, v32
	v_mul_f32_e32 v32, v14, v32
	s_waitcnt vmcnt(1)
	v_mul_f32_e32 v39, v17, v34
	v_fma_f32 v37, v12, v29, -v37
	v_fmac_f32_e32 v30, v13, v29
	v_mul_f32_e32 v34, v16, v34
	v_fma_f32 v38, v14, v31, -v38
	v_fmac_f32_e32 v32, v15, v31
	v_add_f32_e32 v8, v8, v37
	v_add_f32_e32 v30, v9, v30
	s_waitcnt vmcnt(0)
	v_mul_f32_e32 v29, v19, v36
	v_mul_f32_e32 v9, v18, v36
	v_fma_f32 v31, v16, v33, -v39
	v_fmac_f32_e32 v34, v17, v33
	v_add_f32_e32 v33, v38, v8
	v_add_f32_e32 v30, v32, v30
	v_add_nc_u32_e32 v32, 0x80, v4
	v_fma_f32 v8, v18, v35, -v29
	v_fmac_f32_e32 v9, v19, v35
	v_add_f32_e32 v29, v31, v33
	v_add_f32_e32 v30, v34, v30
	v_cmpx_gt_i32_e64 s14, v32
	s_cbranch_execz .LBB105_39
; %bb.36:
	s_clause 0x3
	global_load_dwordx2 v[31:32], v[20:21], off offset:1024
	global_load_dwordx2 v[33:34], v[22:23], off offset:1024
	;; [unrolled: 1-line block ×4, first 2 shown]
	s_mov_b32 s3, exec_lo
	s_waitcnt vmcnt(3)
	v_mul_f32_e32 v39, v13, v32
	v_mul_f32_e32 v32, v12, v32
	s_waitcnt vmcnt(2)
	v_mul_f32_e32 v40, v15, v34
	v_mul_f32_e32 v34, v14, v34
	s_waitcnt vmcnt(1)
	v_mul_f32_e32 v41, v17, v36
	v_fma_f32 v39, v12, v31, -v39
	v_fmac_f32_e32 v32, v13, v31
	v_mul_f32_e32 v36, v16, v36
	v_fma_f32 v40, v14, v33, -v40
	v_fmac_f32_e32 v34, v15, v33
	v_add_f32_e32 v6, v6, v39
	v_add_f32_e32 v32, v7, v32
	s_waitcnt vmcnt(0)
	v_mul_f32_e32 v31, v19, v38
	v_mul_f32_e32 v7, v18, v38
	v_fma_f32 v33, v16, v35, -v41
	v_fmac_f32_e32 v36, v17, v35
	v_add_f32_e32 v6, v40, v6
	v_add_f32_e32 v32, v34, v32
	v_add_nc_u32_e32 v34, 0xc0, v4
	v_fma_f32 v4, v18, v37, -v31
	v_fmac_f32_e32 v7, v19, v37
	v_add_f32_e32 v6, v33, v6
	v_add_f32_e32 v31, v36, v32
	v_cmpx_gt_i32_e64 s14, v34
	s_cbranch_execz .LBB105_38
; %bb.37:
	s_clause 0x3
	global_load_dwordx2 v[20:21], v[20:21], off offset:1536
	global_load_dwordx2 v[22:23], v[22:23], off offset:1536
	;; [unrolled: 1-line block ×4, first 2 shown]
	s_waitcnt vmcnt(3)
	v_mul_f32_e32 v32, v13, v21
	v_mul_f32_e32 v21, v12, v21
	s_waitcnt vmcnt(2)
	v_mul_f32_e32 v33, v15, v23
	v_mul_f32_e32 v23, v14, v23
	s_waitcnt vmcnt(1)
	v_mul_f32_e32 v34, v17, v27
	v_fma_f32 v12, v12, v20, -v32
	v_fmac_f32_e32 v21, v13, v20
	v_mul_f32_e32 v27, v16, v27
	v_fma_f32 v14, v14, v22, -v33
	v_fmac_f32_e32 v23, v15, v22
	v_add_f32_e32 v2, v2, v12
	v_add_f32_e32 v3, v3, v21
	s_waitcnt vmcnt(0)
	v_mul_f32_e32 v13, v19, v25
	v_mul_f32_e32 v12, v18, v25
	v_fma_f32 v15, v16, v26, -v34
	v_fmac_f32_e32 v27, v17, v26
	v_add_f32_e32 v2, v14, v2
	v_add_f32_e32 v3, v23, v3
	v_fma_f32 v13, v18, v24, -v13
	v_fmac_f32_e32 v12, v19, v24
	v_add_f32_e32 v2, v15, v2
	v_add_f32_e32 v3, v27, v3
	;; [unrolled: 1-line block ×4, first 2 shown]
.LBB105_38:
	s_or_b32 exec_lo, exec_lo, s3
	v_add_f32_e32 v6, v4, v6
	v_add_f32_e32 v7, v7, v31
.LBB105_39:
	s_or_b32 exec_lo, exec_lo, s2
	v_add_f32_e32 v8, v8, v29
	v_add_f32_e32 v9, v9, v30
.LBB105_40:
	s_or_b32 exec_lo, exec_lo, s0
	v_add_f32_e32 v10, v10, v11
	v_add_f32_e32 v11, v5, v28
.LBB105_41:
	s_or_b32 exec_lo, exec_lo, s1
.LBB105_42:
	v_lshlrev_b32_e32 v0, 3, v0
	s_mov_b32 s0, exec_lo
	v_lshl_or_b32 v1, v1, 11, v0
	ds_write2st64_b64 v1, v[10:11], v[8:9] offset1:1
	ds_write2st64_b64 v1, v[6:7], v[2:3] offset0:2 offset1:3
	s_waitcnt vmcnt(0) lgkmcnt(0)
	s_waitcnt_vscnt null, 0x0
	s_barrier
	buffer_gl0_inv
	v_cmpx_gt_u32_e32 0x100, v56
	s_cbranch_execz .LBB105_47
; %bb.43:
	v_lshl_add_u32 v8, v57, 3, v0
	ds_read2st64_b64 v[0:3], v8 offset1:4
	ds_read2st64_b64 v[4:7], v8 offset0:8 offset1:12
	s_waitcnt lgkmcnt(1)
	v_add_f32_e32 v0, v0, v2
	v_add_f32_e32 v1, v1, v3
	s_waitcnt lgkmcnt(0)
	v_add_f32_e32 v2, v0, v4
	v_add_f32_e32 v1, v1, v5
	v_or_b32_e32 v0, s27, v56
	v_add_f32_e32 v2, v2, v6
	v_add_f32_e32 v3, v1, v7
	v_cmp_gt_i32_e32 vcc_lo, s14, v0
	ds_write_b64 v8, v[2:3]
	s_and_b32 exec_lo, exec_lo, vcc_lo
	s_cbranch_execz .LBB105_47
; %bb.44:
	v_ashrrev_i32_e32 v1, 31, v0
	v_mul_lo_u32 v6, s21, v0
	v_mad_u64_u32 v[4:5], null, s20, v0, 0
	v_mul_f32_e32 v0, s25, v3
	v_mul_lo_u32 v1, s20, v1
	v_cmp_neq_f32_e64 s0, s12, 0
	v_cmp_neq_f32_e64 s1, s13, 0
	v_fma_f32 v0, v2, s24, -v0
	s_or_b32 s0, s0, s1
	v_add3_u32 v5, v5, v1, v6
	v_mul_f32_e32 v1, s24, v3
	s_andn2_b32 vcc_lo, exec_lo, s0
	v_lshlrev_b64 v[3:4], 3, v[4:5]
	v_fmac_f32_e32 v1, s25, v2
	s_cbranch_vccnz .LBB105_46
; %bb.45:
	v_add_co_u32 v5, vcc_lo, s5, v3
	v_add_co_ci_u32_e64 v6, null, s26, v4, vcc_lo
	global_load_dwordx2 v[5:6], v[5:6], off
	s_waitcnt vmcnt(0)
	v_mul_f32_e32 v2, s13, v6
	v_mul_f32_e32 v6, s12, v6
	v_fma_f32 v2, s12, v5, -v2
	v_fmac_f32_e32 v6, s13, v5
	v_add_f32_e32 v0, v0, v2
	v_add_f32_e32 v1, v1, v6
.LBB105_46:
	v_add_co_u32 v2, vcc_lo, s5, v3
	v_add_co_ci_u32_e64 v3, null, s26, v4, vcc_lo
	global_store_dwordx2 v[2:3], v[0:1], off
.LBB105_47:
	s_endpgm
	.section	.rodata,"a",@progbits
	.p2align	6, 0x0
	.amdhsa_kernel _ZL20rocblas_gemvn_kernelILi64ELi4El19rocblas_complex_numIfEPKS1_S1_EviiT3_lPKT2_lT1_lS7_lS8_lS4_lPT4_lS8_li
		.amdhsa_group_segment_fixed_size 8192
		.amdhsa_private_segment_fixed_size 0
		.amdhsa_kernarg_size 400
		.amdhsa_user_sgpr_count 6
		.amdhsa_user_sgpr_private_segment_buffer 1
		.amdhsa_user_sgpr_dispatch_ptr 0
		.amdhsa_user_sgpr_queue_ptr 0
		.amdhsa_user_sgpr_kernarg_segment_ptr 1
		.amdhsa_user_sgpr_dispatch_id 0
		.amdhsa_user_sgpr_flat_scratch_init 0
		.amdhsa_user_sgpr_private_segment_size 0
		.amdhsa_wavefront_size32 1
		.amdhsa_uses_dynamic_stack 0
		.amdhsa_system_sgpr_private_segment_wavefront_offset 0
		.amdhsa_system_sgpr_workgroup_id_x 1
		.amdhsa_system_sgpr_workgroup_id_y 0
		.amdhsa_system_sgpr_workgroup_id_z 1
		.amdhsa_system_sgpr_workgroup_info 0
		.amdhsa_system_vgpr_workitem_id 1
		.amdhsa_next_free_vgpr 69
		.amdhsa_next_free_sgpr 52
		.amdhsa_reserve_vcc 1
		.amdhsa_reserve_flat_scratch 0
		.amdhsa_float_round_mode_32 0
		.amdhsa_float_round_mode_16_64 0
		.amdhsa_float_denorm_mode_32 3
		.amdhsa_float_denorm_mode_16_64 3
		.amdhsa_dx10_clamp 1
		.amdhsa_ieee_mode 1
		.amdhsa_fp16_overflow 0
		.amdhsa_workgroup_processor_mode 1
		.amdhsa_memory_ordered 1
		.amdhsa_forward_progress 1
		.amdhsa_shared_vgpr_count 0
		.amdhsa_exception_fp_ieee_invalid_op 0
		.amdhsa_exception_fp_denorm_src 0
		.amdhsa_exception_fp_ieee_div_zero 0
		.amdhsa_exception_fp_ieee_overflow 0
		.amdhsa_exception_fp_ieee_underflow 0
		.amdhsa_exception_fp_ieee_inexact 0
		.amdhsa_exception_int_div_zero 0
	.end_amdhsa_kernel
	.section	.text._ZL20rocblas_gemvn_kernelILi64ELi4El19rocblas_complex_numIfEPKS1_S1_EviiT3_lPKT2_lT1_lS7_lS8_lS4_lPT4_lS8_li,"axG",@progbits,_ZL20rocblas_gemvn_kernelILi64ELi4El19rocblas_complex_numIfEPKS1_S1_EviiT3_lPKT2_lT1_lS7_lS8_lS4_lPT4_lS8_li,comdat
.Lfunc_end105:
	.size	_ZL20rocblas_gemvn_kernelILi64ELi4El19rocblas_complex_numIfEPKS1_S1_EviiT3_lPKT2_lT1_lS7_lS8_lS4_lPT4_lS8_li, .Lfunc_end105-_ZL20rocblas_gemvn_kernelILi64ELi4El19rocblas_complex_numIfEPKS1_S1_EviiT3_lPKT2_lT1_lS7_lS8_lS4_lPT4_lS8_li
                                        ; -- End function
	.set _ZL20rocblas_gemvn_kernelILi64ELi4El19rocblas_complex_numIfEPKS1_S1_EviiT3_lPKT2_lT1_lS7_lS8_lS4_lPT4_lS8_li.num_vgpr, 69
	.set _ZL20rocblas_gemvn_kernelILi64ELi4El19rocblas_complex_numIfEPKS1_S1_EviiT3_lPKT2_lT1_lS7_lS8_lS4_lPT4_lS8_li.num_agpr, 0
	.set _ZL20rocblas_gemvn_kernelILi64ELi4El19rocblas_complex_numIfEPKS1_S1_EviiT3_lPKT2_lT1_lS7_lS8_lS4_lPT4_lS8_li.numbered_sgpr, 52
	.set _ZL20rocblas_gemvn_kernelILi64ELi4El19rocblas_complex_numIfEPKS1_S1_EviiT3_lPKT2_lT1_lS7_lS8_lS4_lPT4_lS8_li.num_named_barrier, 0
	.set _ZL20rocblas_gemvn_kernelILi64ELi4El19rocblas_complex_numIfEPKS1_S1_EviiT3_lPKT2_lT1_lS7_lS8_lS4_lPT4_lS8_li.private_seg_size, 0
	.set _ZL20rocblas_gemvn_kernelILi64ELi4El19rocblas_complex_numIfEPKS1_S1_EviiT3_lPKT2_lT1_lS7_lS8_lS4_lPT4_lS8_li.uses_vcc, 1
	.set _ZL20rocblas_gemvn_kernelILi64ELi4El19rocblas_complex_numIfEPKS1_S1_EviiT3_lPKT2_lT1_lS7_lS8_lS4_lPT4_lS8_li.uses_flat_scratch, 0
	.set _ZL20rocblas_gemvn_kernelILi64ELi4El19rocblas_complex_numIfEPKS1_S1_EviiT3_lPKT2_lT1_lS7_lS8_lS4_lPT4_lS8_li.has_dyn_sized_stack, 0
	.set _ZL20rocblas_gemvn_kernelILi64ELi4El19rocblas_complex_numIfEPKS1_S1_EviiT3_lPKT2_lT1_lS7_lS8_lS4_lPT4_lS8_li.has_recursion, 0
	.set _ZL20rocblas_gemvn_kernelILi64ELi4El19rocblas_complex_numIfEPKS1_S1_EviiT3_lPKT2_lT1_lS7_lS8_lS4_lPT4_lS8_li.has_indirect_call, 0
	.section	.AMDGPU.csdata,"",@progbits
; Kernel info:
; codeLenInByte = 3752
; TotalNumSgprs: 54
; NumVgprs: 69
; ScratchSize: 0
; MemoryBound: 0
; FloatMode: 240
; IeeeMode: 1
; LDSByteSize: 8192 bytes/workgroup (compile time only)
; SGPRBlocks: 0
; VGPRBlocks: 8
; NumSGPRsForWavesPerEU: 54
; NumVGPRsForWavesPerEU: 69
; Occupancy: 12
; WaveLimiterHint : 0
; COMPUTE_PGM_RSRC2:SCRATCH_EN: 0
; COMPUTE_PGM_RSRC2:USER_SGPR: 6
; COMPUTE_PGM_RSRC2:TRAP_HANDLER: 0
; COMPUTE_PGM_RSRC2:TGID_X_EN: 1
; COMPUTE_PGM_RSRC2:TGID_Y_EN: 0
; COMPUTE_PGM_RSRC2:TGID_Z_EN: 1
; COMPUTE_PGM_RSRC2:TIDIG_COMP_CNT: 1
	.section	.text._ZL20rocblas_gemvn_kernelILi64ELi4Ei19rocblas_complex_numIfES1_S1_EviiT3_lPKT2_lT1_lS5_lS6_lS2_lPT4_lS6_li,"axG",@progbits,_ZL20rocblas_gemvn_kernelILi64ELi4Ei19rocblas_complex_numIfES1_S1_EviiT3_lPKT2_lT1_lS5_lS6_lS2_lPT4_lS6_li,comdat
	.globl	_ZL20rocblas_gemvn_kernelILi64ELi4Ei19rocblas_complex_numIfES1_S1_EviiT3_lPKT2_lT1_lS5_lS6_lS2_lPT4_lS6_li ; -- Begin function _ZL20rocblas_gemvn_kernelILi64ELi4Ei19rocblas_complex_numIfES1_S1_EviiT3_lPKT2_lT1_lS5_lS6_lS2_lPT4_lS6_li
	.p2align	8
	.type	_ZL20rocblas_gemvn_kernelILi64ELi4Ei19rocblas_complex_numIfES1_S1_EviiT3_lPKT2_lT1_lS5_lS6_lS2_lPT4_lS6_li,@function
_ZL20rocblas_gemvn_kernelILi64ELi4Ei19rocblas_complex_numIfES1_S1_EviiT3_lPKT2_lT1_lS5_lS6_lS2_lPT4_lS6_li: ; @_ZL20rocblas_gemvn_kernelILi64ELi4Ei19rocblas_complex_numIfES1_S1_EviiT3_lPKT2_lT1_lS5_lS6_lS2_lPT4_lS6_li
; %bb.0:
	s_load_dwordx2 s[0:1], s[4:5], 0x9c
	s_waitcnt lgkmcnt(0)
	s_lshr_b32 s2, s0, 16
	s_and_b32 s0, s0, 0xffff
	s_and_b32 s1, s1, 0xffff
	s_mul_i32 s0, s2, s0
	s_mul_i32 s0, s0, s1
	s_cmpk_lg_i32 s0, 0x100
	s_cbranch_scc1 .LBB106_47
; %bb.1:
	s_clause 0x1
	s_load_dwordx4 s[8:11], s[4:5], 0x0
	s_load_dwordx2 s[16:17], s[4:5], 0x58
	s_waitcnt lgkmcnt(0)
	v_cmp_neq_f32_e64 s0, s10, 0
	v_cmp_neq_f32_e64 s1, s11, 0
	s_or_b32 s0, s0, s1
	s_and_b32 vcc_lo, exec_lo, s0
	s_mov_b32 s0, -1
	s_cbranch_vccnz .LBB106_3
; %bb.2:
	v_cmp_neq_f32_e64 s0, s16, 1.0
	v_cmp_neq_f32_e64 s1, s17, 0
	s_or_b32 s0, s0, s1
.LBB106_3:
	s_andn2_b32 vcc_lo, exec_lo, s0
	s_cbranch_vccnz .LBB106_47
; %bb.4:
	s_clause 0x2
	s_load_dwordx2 s[12:13], s[4:5], 0x80
	s_load_dwordx4 s[0:3], s[4:5], 0x68
	s_load_dword s21, s[4:5], 0x78
	v_lshlrev_b32_e32 v54, 6, v1
	v_add_nc_u32_e32 v53, v54, v0
	v_cmp_gt_u32_e32 vcc_lo, 0x100, v53
	s_waitcnt lgkmcnt(0)
	s_mul_i32 s13, s13, s7
	s_mul_hi_u32 s14, s12, s7
	s_mul_i32 s12, s12, s7
	s_add_i32 s13, s14, s13
	s_lshl_b64 s[12:13], s[12:13], 3
	s_add_u32 s12, s0, s12
	s_addc_u32 s13, s1, s13
	s_lshl_b64 s[0:1], s[2:3], 3
	s_add_u32 s19, s12, s0
	s_addc_u32 s20, s13, s1
	s_or_b32 s0, s10, s11
	s_bitset0_b32 s0, 31
	s_cmp_lg_u32 s0, 0
	s_mov_b32 s0, -1
	s_cbranch_scc1 .LBB106_11
; %bb.5:
	s_and_saveexec_b32 s0, vcc_lo
	s_cbranch_execz .LBB106_10
; %bb.6:
	v_lshl_or_b32 v2, s6, 8, v53
	v_mov_b32_e32 v3, 0
	s_ashr_i32 s3, s8, 31
	s_mov_b32 s2, s8
	v_cmp_gt_i64_e32 vcc_lo, s[2:3], v[2:3]
	s_and_b32 exec_lo, exec_lo, vcc_lo
	s_cbranch_execz .LBB106_10
; %bb.7:
	v_mad_u64_u32 v[4:5], null, s21, v2, 0
	s_ashr_i32 s3, s21, 31
	v_cmp_neq_f32_e64 s1, s16, 0
	v_cmp_neq_f32_e64 s2, s17, 0
	v_mad_u64_u32 v[5:6], null, s3, v2, v[5:6]
	v_mov_b32_e32 v6, v3
	s_or_b32 s1, s1, s2
	s_andn2_b32 vcc_lo, exec_lo, s1
	v_lshlrev_b64 v[4:5], 3, v[4:5]
	s_cbranch_vccnz .LBB106_9
; %bb.8:
	v_add_co_u32 v2, vcc_lo, s19, v4
	v_add_co_ci_u32_e64 v3, null, s20, v5, vcc_lo
	global_load_dwordx2 v[2:3], v[2:3], off
	s_waitcnt vmcnt(0)
	v_mul_f32_e32 v7, s17, v3
	v_mul_f32_e32 v6, s16, v3
	v_fma_f32 v3, s16, v2, -v7
	v_fmac_f32_e32 v6, s17, v2
.LBB106_9:
	v_add_co_u32 v7, vcc_lo, s19, v4
	v_add_co_ci_u32_e64 v8, null, s20, v5, vcc_lo
	v_mov_b32_e32 v5, v3
	global_store_dwordx2 v[7:8], v[5:6], off
.LBB106_10:
	s_or_b32 exec_lo, exec_lo, s0
	s_mov_b32 s0, 0
.LBB106_11:
	s_andn2_b32 vcc_lo, exec_lo, s0
	s_cbranch_vccnz .LBB106_47
; %bb.12:
	s_clause 0x5
	s_load_dwordx4 s[0:3], s[4:5], 0x30
	s_load_dwordx2 s[24:25], s[4:5], 0x50
	s_load_dwordx4 s[12:15], s[4:5], 0x18
	s_load_dword s18, s[4:5], 0x48
	s_load_dword s22, s[4:5], 0x28
	s_load_dwordx2 s[26:27], s[4:5], 0x40
	v_lshlrev_b32_e32 v56, 2, v1
	v_mov_b32_e32 v3, 0
	v_mov_b32_e32 v2, 0
	;; [unrolled: 1-line block ×8, first 2 shown]
	s_waitcnt lgkmcnt(0)
	s_mul_i32 s1, s1, s7
	s_mul_hi_u32 s4, s0, s7
	s_mul_i32 s0, s0, s7
	s_add_i32 s1, s4, s1
	s_mul_i32 s4, s25, s7
	s_lshl_b64 s[0:1], s[0:1], 3
	s_mul_hi_u32 s23, s24, s7
	s_add_u32 s5, s12, s0
	s_addc_u32 s13, s13, s1
	s_lshl_b64 s[0:1], s[14:15], 3
	s_mul_i32 s12, s24, s7
	s_add_u32 s5, s5, s0
	s_addc_u32 s7, s13, s1
	s_add_i32 s13, s23, s4
	s_mov_b32 s14, exec_lo
	s_lshl_b64 s[0:1], s[12:13], 3
	s_add_u32 s2, s2, s0
	s_addc_u32 s3, s3, s1
	s_lshl_b64 s[0:1], s[26:27], 3
	s_add_u32 s12, s2, s0
	s_addc_u32 s13, s3, s1
	s_ashr_i32 s0, s9, 31
	s_lshl_b32 s4, s6, 8
	s_lshr_b32 s0, s0, 28
	v_or_b32_e32 v55, s4, v0
	s_add_i32 s0, s9, s0
	s_and_b32 s6, s0, -16
	v_cmpx_gt_i32_e64 s6, v56
	s_cbranch_execz .LBB106_24
; %bb.13:
	v_mul_lo_u32 v3, s22, v56
	v_add_nc_u32_e32 v2, 64, v55
	v_add_nc_u32_e32 v4, 0x80, v55
	;; [unrolled: 1-line block ×3, first 2 shown]
	s_lshl_b32 s15, s22, 4
	s_lshl_b32 s24, s18, 4
	v_cmp_gt_i32_e64 s0, s8, v2
	v_add_nc_u32_e32 v2, 2, v56
	v_add3_u32 v57, v3, s22, v0
	v_mul_lo_u32 v3, v1, s22
	v_cmp_gt_i32_e64 s1, s8, v4
	v_add_nc_u32_e32 v4, 3, v56
	v_cmp_gt_i32_e64 s2, s8, v5
	v_mul_lo_u32 v5, v1, s18
	v_mad_u64_u32 v[10:11], null, s22, v2, v[0:1]
	v_mad_u64_u32 v[11:12], null, s22, v4, v[0:1]
	v_lshl_add_u32 v58, v3, 2, v0
	v_mov_b32_e32 v3, 0
	v_mad_u64_u32 v[12:13], null, s18, v56, s[18:19]
	v_mul_lo_u32 v59, s18, v2
	v_mul_lo_u32 v60, s18, v4
	v_lshlrev_b32_e32 v61, 2, v5
	v_mov_b32_e32 v2, v3
	v_mov_b32_e32 v5, v3
	;; [unrolled: 1-line block ×7, first 2 shown]
	s_mov_b32 s23, 0
	s_mov_b32 s25, 0
	v_cmp_gt_i32_e32 vcc_lo, s8, v55
	s_branch .LBB106_18
.LBB106_14:                             ;   in Loop: Header=BB106_18 Depth=1
	s_or_b32 exec_lo, exec_lo, s28
	s_waitcnt vmcnt(3)
	v_mul_f32_e32 v45, v26, v44
	v_mul_f32_e32 v44, v25, v44
	s_waitcnt vmcnt(2)
	v_mul_f32_e32 v46, v22, v42
	v_mul_f32_e32 v42, v21, v42
	s_waitcnt vmcnt(1)
	v_mul_f32_e32 v47, v16, v40
	v_fma_f32 v45, v25, v43, -v45
	v_fmac_f32_e32 v44, v26, v43
	v_mul_f32_e32 v40, v15, v40
	v_fma_f32 v46, v21, v41, -v46
	v_fmac_f32_e32 v42, v22, v41
	v_add_f32_e32 v4, v4, v45
	v_add_f32_e32 v5, v5, v44
	s_waitcnt vmcnt(0)
	v_mul_f32_e32 v43, v14, v38
	v_mul_f32_e32 v38, v13, v38
	v_fma_f32 v41, v15, v39, -v47
	v_add_f32_e32 v4, v46, v4
	v_fmac_f32_e32 v40, v16, v39
	v_add_f32_e32 v5, v42, v5
	v_fma_f32 v39, v13, v37, -v43
	v_fmac_f32_e32 v38, v14, v37
	v_add_f32_e32 v4, v41, v4
	v_add_f32_e32 v5, v40, v5
	;; [unrolled: 1-line block ×4, first 2 shown]
.LBB106_15:                             ;   in Loop: Header=BB106_18 Depth=1
	s_or_b32 exec_lo, exec_lo, s27
	s_waitcnt vmcnt(3)
	v_mul_f32_e32 v37, v26, v36
	v_mul_f32_e32 v36, v25, v36
	s_waitcnt vmcnt(2)
	v_mul_f32_e32 v38, v22, v34
	v_mul_f32_e32 v34, v21, v34
	s_waitcnt vmcnt(1)
	v_mul_f32_e32 v39, v16, v32
	v_fma_f32 v37, v25, v35, -v37
	v_fmac_f32_e32 v36, v26, v35
	v_mul_f32_e32 v32, v15, v32
	v_fma_f32 v38, v21, v33, -v38
	v_fmac_f32_e32 v34, v22, v33
	v_add_f32_e32 v6, v6, v37
	v_add_f32_e32 v7, v7, v36
	s_waitcnt vmcnt(0)
	v_mul_f32_e32 v35, v14, v30
	v_mul_f32_e32 v30, v13, v30
	v_fma_f32 v33, v15, v31, -v39
	v_add_f32_e32 v6, v38, v6
	v_fmac_f32_e32 v32, v16, v31
	v_add_f32_e32 v7, v34, v7
	v_fma_f32 v31, v13, v29, -v35
	v_fmac_f32_e32 v30, v14, v29
	v_add_f32_e32 v6, v33, v6
	v_add_f32_e32 v7, v32, v7
	;; [unrolled: 1-line block ×4, first 2 shown]
.LBB106_16:                             ;   in Loop: Header=BB106_18 Depth=1
	s_or_b32 exec_lo, exec_lo, s3
	s_waitcnt vmcnt(3)
	v_mul_f32_e32 v29, v26, v28
	v_mul_f32_e32 v28, v25, v28
	s_waitcnt vmcnt(2)
	v_mul_f32_e32 v30, v22, v24
	v_mul_f32_e32 v24, v21, v24
	s_waitcnt vmcnt(1)
	v_mul_f32_e32 v31, v16, v20
	v_fma_f32 v25, v25, v27, -v29
	v_fmac_f32_e32 v28, v26, v27
	v_mul_f32_e32 v20, v15, v20
	v_fma_f32 v21, v21, v23, -v30
	v_fmac_f32_e32 v24, v22, v23
	v_add_f32_e32 v8, v8, v25
	v_add_f32_e32 v9, v9, v28
	s_waitcnt vmcnt(0)
	v_mul_f32_e32 v26, v14, v18
	v_mul_f32_e32 v18, v13, v18
	v_fma_f32 v15, v15, v19, -v31
	v_add_f32_e32 v8, v21, v8
	v_fmac_f32_e32 v20, v16, v19
	v_add_f32_e32 v9, v24, v9
	v_fma_f32 v13, v13, v17, -v26
	v_fmac_f32_e32 v18, v14, v17
	v_add_f32_e32 v8, v15, v8
	v_add_f32_e32 v9, v20, v9
	;; [unrolled: 1-line block ×4, first 2 shown]
.LBB106_17:                             ;   in Loop: Header=BB106_18 Depth=1
	s_or_b32 exec_lo, exec_lo, s26
	v_add_nc_u32_e32 v56, 16, v56
	v_add_nc_u32_e32 v57, s15, v57
	;; [unrolled: 1-line block ×5, first 2 shown]
	v_cmp_le_i32_e64 s3, s6, v56
	s_add_i32 s25, s25, s24
	s_or_b32 s23, s3, s23
	s_andn2_b32 exec_lo, exec_lo, s23
	s_cbranch_execz .LBB106_23
.LBB106_18:                             ; =>This Inner Loop Header: Depth=1
	s_and_saveexec_b32 s26, vcc_lo
	s_cbranch_execz .LBB106_17
; %bb.19:                               ;   in Loop: Header=BB106_18 Depth=1
	v_add_nc_u32_e32 v13, s25, v61
	v_add_nc_u32_e32 v15, s25, v12
	;; [unrolled: 1-line block ×5, first 2 shown]
	v_ashrrev_i32_e32 v14, 31, v13
	v_ashrrev_i32_e32 v16, 31, v15
	;; [unrolled: 1-line block ×3, first 2 shown]
	v_add_nc_u32_e32 v23, s4, v57
	v_ashrrev_i32_e32 v20, 31, v19
	v_lshlrev_b64 v[13:14], 3, v[13:14]
	v_lshlrev_b64 v[15:16], 3, v[15:16]
	v_ashrrev_i32_e32 v22, 31, v21
	v_lshlrev_b64 v[17:18], 3, v[17:18]
	v_ashrrev_i32_e32 v24, 31, v23
	v_lshlrev_b64 v[19:20], 3, v[19:20]
	v_add_co_u32 v13, s3, s12, v13
	v_add_nc_u32_e32 v25, s4, v10
	v_add_co_ci_u32_e64 v14, null, s13, v14, s3
	v_add_co_u32 v15, s3, s12, v15
	v_lshlrev_b64 v[21:22], 3, v[21:22]
	v_add_nc_u32_e32 v27, s4, v11
	v_add_co_ci_u32_e64 v16, null, s13, v16, s3
	v_add_co_u32 v17, s3, s12, v17
	v_lshlrev_b64 v[23:24], 3, v[23:24]
	v_ashrrev_i32_e32 v26, 31, v25
	v_add_co_ci_u32_e64 v18, null, s13, v18, s3
	v_add_co_u32 v19, s3, s12, v19
	v_ashrrev_i32_e32 v28, 31, v27
	v_add_co_ci_u32_e64 v20, null, s13, v20, s3
	v_add_co_u32 v51, s3, s5, v21
	v_add_co_ci_u32_e64 v52, null, s7, v22, s3
	v_lshlrev_b64 v[21:22], 3, v[25:26]
	v_add_co_u32 v49, s3, s5, v23
	v_add_co_ci_u32_e64 v50, null, s7, v24, s3
	v_lshlrev_b64 v[23:24], 3, v[27:28]
	v_add_co_u32 v47, s3, s5, v21
	v_add_co_ci_u32_e64 v48, null, s7, v22, s3
	v_add_co_u32 v45, s3, s5, v23
	v_add_co_ci_u32_e64 v46, null, s7, v24, s3
	s_clause 0x3
	global_load_dwordx2 v[25:26], v[13:14], off
	global_load_dwordx2 v[21:22], v[15:16], off
	;; [unrolled: 1-line block ×4, first 2 shown]
	s_clause 0x3
	global_load_dwordx2 v[27:28], v[51:52], off
	global_load_dwordx2 v[23:24], v[49:50], off
	;; [unrolled: 1-line block ×4, first 2 shown]
	s_and_saveexec_b32 s3, s0
	s_cbranch_execz .LBB106_16
; %bb.20:                               ;   in Loop: Header=BB106_18 Depth=1
	s_clause 0x3
	global_load_dwordx2 v[35:36], v[51:52], off offset:512
	global_load_dwordx2 v[33:34], v[49:50], off offset:512
	global_load_dwordx2 v[31:32], v[47:48], off offset:512
	global_load_dwordx2 v[29:30], v[45:46], off offset:512
	s_and_saveexec_b32 s27, s1
	s_cbranch_execz .LBB106_15
; %bb.21:                               ;   in Loop: Header=BB106_18 Depth=1
	s_clause 0x3
	global_load_dwordx2 v[43:44], v[51:52], off offset:1024
	global_load_dwordx2 v[41:42], v[49:50], off offset:1024
	global_load_dwordx2 v[39:40], v[47:48], off offset:1024
	global_load_dwordx2 v[37:38], v[45:46], off offset:1024
	;; [unrolled: 8-line block ×3, first 2 shown]
	s_waitcnt vmcnt(3)
	v_mul_f32_e32 v62, v26, v52
	v_mul_f32_e32 v52, v25, v52
	s_waitcnt vmcnt(2)
	v_mul_f32_e32 v63, v22, v50
	v_mul_f32_e32 v50, v21, v50
	s_waitcnt vmcnt(1)
	v_mul_f32_e32 v64, v16, v48
	v_fma_f32 v62, v25, v51, -v62
	v_fmac_f32_e32 v52, v26, v51
	v_mul_f32_e32 v48, v15, v48
	v_fma_f32 v63, v21, v49, -v63
	v_fmac_f32_e32 v50, v22, v49
	v_add_f32_e32 v2, v2, v62
	v_add_f32_e32 v3, v3, v52
	s_waitcnt vmcnt(0)
	v_mul_f32_e32 v51, v14, v46
	v_mul_f32_e32 v46, v13, v46
	v_fma_f32 v49, v15, v47, -v64
	v_fmac_f32_e32 v48, v16, v47
	v_add_f32_e32 v2, v63, v2
	v_add_f32_e32 v3, v50, v3
	v_fma_f32 v47, v13, v45, -v51
	v_fmac_f32_e32 v46, v14, v45
	v_add_f32_e32 v2, v49, v2
	v_add_f32_e32 v3, v48, v3
	;; [unrolled: 1-line block ×4, first 2 shown]
	s_branch .LBB106_14
.LBB106_23:
	s_or_b32 exec_lo, exec_lo, s23
.LBB106_24:
	s_or_b32 exec_lo, exec_lo, s14
	s_sub_i32 s0, s9, s6
	s_cmp_lt_i32 s0, 1
	s_cbranch_scc1 .LBB106_42
; %bb.25:
	v_cmp_gt_i32_e32 vcc_lo, s9, v56
	v_mov_b32_e32 v10, 0
	v_or_b32_e32 v18, 1, v56
	v_mov_b32_e32 v11, 0
	v_mov_b32_e32 v12, 0
	;; [unrolled: 1-line block ×7, first 2 shown]
	s_and_saveexec_b32 s1, vcc_lo
	s_cbranch_execz .LBB106_33
; %bb.26:
	v_mul_lo_u32 v10, v56, s18
	v_mov_b32_e32 v17, 0
	v_mov_b32_e32 v16, 0
	;; [unrolled: 1-line block ×6, first 2 shown]
	s_mov_b32 s2, exec_lo
	v_ashrrev_i32_e32 v11, 31, v10
	v_lshlrev_b64 v[10:11], 3, v[10:11]
	v_add_co_u32 v10, s0, s12, v10
	v_add_co_ci_u32_e64 v11, null, s13, v11, s0
	global_load_dwordx2 v[10:11], v[10:11], off
	v_cmpx_gt_i32_e64 s9, v18
	s_cbranch_execz .LBB106_32
; %bb.27:
	v_mul_lo_u32 v12, v18, s18
	v_or_b32_e32 v19, 2, v56
	v_mov_b32_e32 v17, 0
	v_mov_b32_e32 v16, 0
	;; [unrolled: 1-line block ×4, first 2 shown]
	s_mov_b32 s3, exec_lo
	v_ashrrev_i32_e32 v13, 31, v12
	v_lshlrev_b64 v[12:13], 3, v[12:13]
	v_add_co_u32 v12, s0, s12, v12
	v_add_co_ci_u32_e64 v13, null, s13, v13, s0
	global_load_dwordx2 v[12:13], v[12:13], off
	v_cmpx_gt_i32_e64 s9, v19
	s_cbranch_execz .LBB106_31
; %bb.28:
	v_mul_lo_u32 v14, v19, s18
	v_or_b32_e32 v19, 3, v56
	v_mov_b32_e32 v17, 0
	v_mov_b32_e32 v16, 0
	s_mov_b32 s6, exec_lo
	v_ashrrev_i32_e32 v15, 31, v14
	v_lshlrev_b64 v[14:15], 3, v[14:15]
	v_add_co_u32 v14, s0, s12, v14
	v_add_co_ci_u32_e64 v15, null, s13, v15, s0
	global_load_dwordx2 v[14:15], v[14:15], off
	v_cmpx_gt_i32_e64 s9, v19
	s_cbranch_execz .LBB106_30
; %bb.29:
	v_mul_lo_u32 v16, v19, s18
	v_ashrrev_i32_e32 v17, 31, v16
	v_lshlrev_b64 v[16:17], 3, v[16:17]
	v_add_co_u32 v16, s0, s12, v16
	v_add_co_ci_u32_e64 v17, null, s13, v17, s0
	global_load_dwordx2 v[16:17], v[16:17], off
.LBB106_30:
	s_or_b32 exec_lo, exec_lo, s6
.LBB106_31:
	s_or_b32 exec_lo, exec_lo, s3
.LBB106_32:
	s_or_b32 exec_lo, exec_lo, s2
.LBB106_33:
	s_or_b32 exec_lo, exec_lo, s1
	s_mov_b32 s1, exec_lo
	v_cmpx_gt_i32_e64 s8, v55
	s_cbranch_execz .LBB106_41
; %bb.34:
	v_mul_lo_u32 v19, v56, s22
	v_mul_lo_u32 v20, v18, s22
	v_or_b32_e32 v21, 2, v56
	v_or_b32_e32 v22, 3, v56
	s_mov_b32 s0, exec_lo
	v_mul_lo_u32 v23, v21, s22
	v_cndmask_b32_e32 v19, 0, v19, vcc_lo
	v_cmp_gt_i32_e32 vcc_lo, s9, v18
	v_mul_lo_u32 v24, v22, s22
	v_add_nc_u32_e32 v18, v19, v55
	v_cndmask_b32_e32 v20, 0, v20, vcc_lo
	v_cmp_gt_i32_e32 vcc_lo, s9, v21
	v_ashrrev_i32_e32 v19, 31, v18
	v_add_nc_u32_e32 v20, v20, v55
	v_cndmask_b32_e32 v23, 0, v23, vcc_lo
	v_cmp_gt_i32_e32 vcc_lo, s9, v22
	v_lshlrev_b64 v[18:19], 3, v[18:19]
	v_ashrrev_i32_e32 v21, 31, v20
	v_add_nc_u32_e32 v22, v23, v55
	v_cndmask_b32_e32 v24, 0, v24, vcc_lo
	v_lshlrev_b64 v[20:21], 3, v[20:21]
	v_ashrrev_i32_e32 v23, 31, v22
	v_add_nc_u32_e32 v26, v24, v55
	v_add_co_u32 v24, vcc_lo, s5, v18
	v_add_co_ci_u32_e64 v25, null, s7, v19, vcc_lo
	v_ashrrev_i32_e32 v27, 31, v26
	v_add_co_u32 v20, vcc_lo, s5, v20
	v_add_co_ci_u32_e64 v21, null, s7, v21, vcc_lo
	v_lshlrev_b64 v[18:19], 3, v[22:23]
	v_lshlrev_b64 v[26:27], 3, v[26:27]
	s_clause 0x1
	global_load_dwordx2 v[28:29], v[24:25], off
	global_load_dwordx2 v[30:31], v[20:21], off
	v_add_co_u32 v22, vcc_lo, s5, v18
	v_add_co_ci_u32_e64 v23, null, s7, v19, vcc_lo
	v_add_co_u32 v18, vcc_lo, s5, v26
	v_add_co_ci_u32_e64 v19, null, s7, v27, vcc_lo
	s_clause 0x1
	global_load_dwordx2 v[26:27], v[22:23], off
	global_load_dwordx2 v[32:33], v[18:19], off
	s_waitcnt vmcnt(3)
	v_mul_f32_e32 v34, v11, v29
	v_mul_f32_e32 v29, v10, v29
	s_waitcnt vmcnt(2)
	v_mul_f32_e32 v35, v13, v31
	v_mul_f32_e32 v31, v12, v31
	v_fma_f32 v34, v10, v28, -v34
	v_fmac_f32_e32 v29, v11, v28
	v_fma_f32 v28, v12, v30, -v35
	v_fmac_f32_e32 v31, v13, v30
	v_add_f32_e32 v8, v8, v34
	v_add_f32_e32 v29, v9, v29
	s_waitcnt vmcnt(1)
	v_mul_f32_e32 v30, v15, v27
	v_mul_f32_e32 v27, v14, v27
	s_waitcnt vmcnt(0)
	v_mul_f32_e32 v35, v17, v33
	v_mul_f32_e32 v9, v16, v33
	v_fma_f32 v30, v14, v26, -v30
	v_fmac_f32_e32 v27, v15, v26
	v_add_f32_e32 v26, v28, v8
	v_add_f32_e32 v28, v31, v29
	v_add_nc_u32_e32 v29, 64, v55
	v_fma_f32 v8, v16, v32, -v35
	v_fmac_f32_e32 v9, v17, v32
	v_add_f32_e32 v26, v30, v26
	v_add_f32_e32 v27, v27, v28
	v_cmpx_gt_i32_e64 s8, v29
	s_cbranch_execz .LBB106_40
; %bb.35:
	s_clause 0x3
	global_load_dwordx2 v[28:29], v[24:25], off offset:512
	global_load_dwordx2 v[30:31], v[20:21], off offset:512
	;; [unrolled: 1-line block ×4, first 2 shown]
	s_mov_b32 s2, exec_lo
	s_waitcnt vmcnt(3)
	v_mul_f32_e32 v36, v11, v29
	v_mul_f32_e32 v29, v10, v29
	s_waitcnt vmcnt(2)
	v_mul_f32_e32 v37, v13, v31
	v_mul_f32_e32 v31, v12, v31
	s_waitcnt vmcnt(1)
	v_mul_f32_e32 v38, v15, v33
	v_fma_f32 v36, v10, v28, -v36
	v_fmac_f32_e32 v29, v11, v28
	v_mul_f32_e32 v33, v14, v33
	v_fma_f32 v37, v12, v30, -v37
	v_fmac_f32_e32 v31, v13, v30
	v_add_f32_e32 v6, v6, v36
	v_add_f32_e32 v29, v7, v29
	s_waitcnt vmcnt(0)
	v_mul_f32_e32 v28, v17, v35
	v_mul_f32_e32 v7, v16, v35
	v_fma_f32 v30, v14, v32, -v38
	v_fmac_f32_e32 v33, v15, v32
	v_add_f32_e32 v32, v37, v6
	v_add_f32_e32 v29, v31, v29
	v_add_nc_u32_e32 v31, 0x80, v55
	v_fma_f32 v6, v16, v34, -v28
	v_fmac_f32_e32 v7, v17, v34
	v_add_f32_e32 v28, v30, v32
	v_add_f32_e32 v29, v33, v29
	v_cmpx_gt_i32_e64 s8, v31
	s_cbranch_execz .LBB106_39
; %bb.36:
	s_clause 0x3
	global_load_dwordx2 v[30:31], v[24:25], off offset:1024
	global_load_dwordx2 v[32:33], v[20:21], off offset:1024
	;; [unrolled: 1-line block ×4, first 2 shown]
	s_mov_b32 s3, exec_lo
	s_waitcnt vmcnt(3)
	v_mul_f32_e32 v38, v11, v31
	v_mul_f32_e32 v31, v10, v31
	s_waitcnt vmcnt(2)
	v_mul_f32_e32 v39, v13, v33
	v_mul_f32_e32 v33, v12, v33
	s_waitcnt vmcnt(1)
	v_mul_f32_e32 v40, v15, v35
	v_fma_f32 v38, v10, v30, -v38
	v_fmac_f32_e32 v31, v11, v30
	v_mul_f32_e32 v35, v14, v35
	v_fma_f32 v39, v12, v32, -v39
	v_fmac_f32_e32 v33, v13, v32
	v_add_f32_e32 v4, v4, v38
	v_add_f32_e32 v31, v5, v31
	s_waitcnt vmcnt(0)
	v_mul_f32_e32 v30, v17, v37
	v_mul_f32_e32 v5, v16, v37
	v_fma_f32 v32, v14, v34, -v40
	v_fmac_f32_e32 v35, v15, v34
	v_add_f32_e32 v34, v39, v4
	v_add_f32_e32 v31, v33, v31
	v_add_nc_u32_e32 v33, 0xc0, v55
	v_fma_f32 v4, v16, v36, -v30
	v_fmac_f32_e32 v5, v17, v36
	v_add_f32_e32 v30, v32, v34
	v_add_f32_e32 v31, v35, v31
	v_cmpx_gt_i32_e64 s8, v33
	s_cbranch_execz .LBB106_38
; %bb.37:
	s_clause 0x3
	global_load_dwordx2 v[24:25], v[24:25], off offset:1536
	global_load_dwordx2 v[20:21], v[20:21], off offset:1536
	;; [unrolled: 1-line block ×4, first 2 shown]
	s_waitcnt vmcnt(3)
	v_mul_f32_e32 v32, v11, v25
	v_mul_f32_e32 v25, v10, v25
	s_waitcnt vmcnt(2)
	v_mul_f32_e32 v33, v13, v21
	v_mul_f32_e32 v21, v12, v21
	s_waitcnt vmcnt(1)
	v_mul_f32_e32 v34, v15, v23
	v_fma_f32 v10, v10, v24, -v32
	v_fmac_f32_e32 v25, v11, v24
	v_mul_f32_e32 v23, v14, v23
	v_fma_f32 v12, v12, v20, -v33
	v_fmac_f32_e32 v21, v13, v20
	v_add_f32_e32 v2, v2, v10
	v_add_f32_e32 v3, v3, v25
	s_waitcnt vmcnt(0)
	v_mul_f32_e32 v11, v17, v19
	v_mul_f32_e32 v10, v16, v19
	v_fma_f32 v13, v14, v22, -v34
	v_fmac_f32_e32 v23, v15, v22
	v_add_f32_e32 v2, v12, v2
	v_add_f32_e32 v3, v21, v3
	v_fma_f32 v11, v16, v18, -v11
	v_fmac_f32_e32 v10, v17, v18
	v_add_f32_e32 v2, v13, v2
	v_add_f32_e32 v3, v23, v3
	;; [unrolled: 1-line block ×4, first 2 shown]
.LBB106_38:
	s_or_b32 exec_lo, exec_lo, s3
	v_add_f32_e32 v4, v4, v30
	v_add_f32_e32 v5, v5, v31
.LBB106_39:
	s_or_b32 exec_lo, exec_lo, s2
	v_add_f32_e32 v6, v6, v28
	v_add_f32_e32 v7, v7, v29
.LBB106_40:
	s_or_b32 exec_lo, exec_lo, s0
	v_add_f32_e32 v8, v8, v26
	v_add_f32_e32 v9, v9, v27
.LBB106_41:
	s_or_b32 exec_lo, exec_lo, s1
.LBB106_42:
	v_lshlrev_b32_e32 v0, 3, v0
	s_mov_b32 s0, exec_lo
	v_lshl_or_b32 v1, v1, 11, v0
	ds_write2st64_b64 v1, v[8:9], v[6:7] offset1:1
	ds_write2st64_b64 v1, v[4:5], v[2:3] offset0:2 offset1:3
	s_waitcnt vmcnt(0) lgkmcnt(0)
	s_waitcnt_vscnt null, 0x0
	s_barrier
	buffer_gl0_inv
	v_cmpx_gt_u32_e32 0x100, v53
	s_cbranch_execz .LBB106_47
; %bb.43:
	v_lshl_add_u32 v8, v54, 3, v0
	ds_read2st64_b64 v[0:3], v8 offset1:4
	ds_read2st64_b64 v[4:7], v8 offset0:8 offset1:12
	s_waitcnt lgkmcnt(1)
	v_add_f32_e32 v0, v0, v2
	v_add_f32_e32 v1, v1, v3
	s_waitcnt lgkmcnt(0)
	v_add_f32_e32 v2, v0, v4
	v_add_f32_e32 v1, v1, v5
	v_or_b32_e32 v0, s4, v53
	v_add_f32_e32 v2, v2, v6
	v_add_f32_e32 v3, v1, v7
	v_cmp_gt_i32_e32 vcc_lo, s8, v0
	ds_write_b64 v8, v[2:3]
	s_and_b32 exec_lo, exec_lo, vcc_lo
	s_cbranch_execz .LBB106_47
; %bb.44:
	v_mul_lo_u32 v4, s21, v0
	v_mul_f32_e32 v0, s11, v3
	v_mul_f32_e32 v1, s10, v3
	v_cmp_neq_f32_e64 s0, s16, 0
	v_cmp_neq_f32_e64 s1, s17, 0
	v_fma_f32 v0, v2, s10, -v0
	v_fmac_f32_e32 v1, s11, v2
	v_ashrrev_i32_e32 v5, 31, v4
	s_or_b32 s0, s0, s1
	s_andn2_b32 vcc_lo, exec_lo, s0
	v_lshlrev_b64 v[3:4], 3, v[4:5]
	s_cbranch_vccnz .LBB106_46
; %bb.45:
	v_add_co_u32 v5, vcc_lo, s19, v3
	v_add_co_ci_u32_e64 v6, null, s20, v4, vcc_lo
	global_load_dwordx2 v[5:6], v[5:6], off
	s_waitcnt vmcnt(0)
	v_mul_f32_e32 v2, s17, v6
	v_mul_f32_e32 v6, s16, v6
	v_fma_f32 v2, s16, v5, -v2
	v_fmac_f32_e32 v6, s17, v5
	v_add_f32_e32 v0, v0, v2
	v_add_f32_e32 v1, v1, v6
.LBB106_46:
	v_add_co_u32 v2, vcc_lo, s19, v3
	v_add_co_ci_u32_e64 v3, null, s20, v4, vcc_lo
	global_store_dwordx2 v[2:3], v[0:1], off
.LBB106_47:
	s_endpgm
	.section	.rodata,"a",@progbits
	.p2align	6, 0x0
	.amdhsa_kernel _ZL20rocblas_gemvn_kernelILi64ELi4Ei19rocblas_complex_numIfES1_S1_EviiT3_lPKT2_lT1_lS5_lS6_lS2_lPT4_lS6_li
		.amdhsa_group_segment_fixed_size 8192
		.amdhsa_private_segment_fixed_size 0
		.amdhsa_kernarg_size 400
		.amdhsa_user_sgpr_count 6
		.amdhsa_user_sgpr_private_segment_buffer 1
		.amdhsa_user_sgpr_dispatch_ptr 0
		.amdhsa_user_sgpr_queue_ptr 0
		.amdhsa_user_sgpr_kernarg_segment_ptr 1
		.amdhsa_user_sgpr_dispatch_id 0
		.amdhsa_user_sgpr_flat_scratch_init 0
		.amdhsa_user_sgpr_private_segment_size 0
		.amdhsa_wavefront_size32 1
		.amdhsa_uses_dynamic_stack 0
		.amdhsa_system_sgpr_private_segment_wavefront_offset 0
		.amdhsa_system_sgpr_workgroup_id_x 1
		.amdhsa_system_sgpr_workgroup_id_y 0
		.amdhsa_system_sgpr_workgroup_id_z 1
		.amdhsa_system_sgpr_workgroup_info 0
		.amdhsa_system_vgpr_workitem_id 1
		.amdhsa_next_free_vgpr 65
		.amdhsa_next_free_sgpr 29
		.amdhsa_reserve_vcc 1
		.amdhsa_reserve_flat_scratch 0
		.amdhsa_float_round_mode_32 0
		.amdhsa_float_round_mode_16_64 0
		.amdhsa_float_denorm_mode_32 3
		.amdhsa_float_denorm_mode_16_64 3
		.amdhsa_dx10_clamp 1
		.amdhsa_ieee_mode 1
		.amdhsa_fp16_overflow 0
		.amdhsa_workgroup_processor_mode 1
		.amdhsa_memory_ordered 1
		.amdhsa_forward_progress 1
		.amdhsa_shared_vgpr_count 0
		.amdhsa_exception_fp_ieee_invalid_op 0
		.amdhsa_exception_fp_denorm_src 0
		.amdhsa_exception_fp_ieee_div_zero 0
		.amdhsa_exception_fp_ieee_overflow 0
		.amdhsa_exception_fp_ieee_underflow 0
		.amdhsa_exception_fp_ieee_inexact 0
		.amdhsa_exception_int_div_zero 0
	.end_amdhsa_kernel
	.section	.text._ZL20rocblas_gemvn_kernelILi64ELi4Ei19rocblas_complex_numIfES1_S1_EviiT3_lPKT2_lT1_lS5_lS6_lS2_lPT4_lS6_li,"axG",@progbits,_ZL20rocblas_gemvn_kernelILi64ELi4Ei19rocblas_complex_numIfES1_S1_EviiT3_lPKT2_lT1_lS5_lS6_lS2_lPT4_lS6_li,comdat
.Lfunc_end106:
	.size	_ZL20rocblas_gemvn_kernelILi64ELi4Ei19rocblas_complex_numIfES1_S1_EviiT3_lPKT2_lT1_lS5_lS6_lS2_lPT4_lS6_li, .Lfunc_end106-_ZL20rocblas_gemvn_kernelILi64ELi4Ei19rocblas_complex_numIfES1_S1_EviiT3_lPKT2_lT1_lS5_lS6_lS2_lPT4_lS6_li
                                        ; -- End function
	.set _ZL20rocblas_gemvn_kernelILi64ELi4Ei19rocblas_complex_numIfES1_S1_EviiT3_lPKT2_lT1_lS5_lS6_lS2_lPT4_lS6_li.num_vgpr, 65
	.set _ZL20rocblas_gemvn_kernelILi64ELi4Ei19rocblas_complex_numIfES1_S1_EviiT3_lPKT2_lT1_lS5_lS6_lS2_lPT4_lS6_li.num_agpr, 0
	.set _ZL20rocblas_gemvn_kernelILi64ELi4Ei19rocblas_complex_numIfES1_S1_EviiT3_lPKT2_lT1_lS5_lS6_lS2_lPT4_lS6_li.numbered_sgpr, 29
	.set _ZL20rocblas_gemvn_kernelILi64ELi4Ei19rocblas_complex_numIfES1_S1_EviiT3_lPKT2_lT1_lS5_lS6_lS2_lPT4_lS6_li.num_named_barrier, 0
	.set _ZL20rocblas_gemvn_kernelILi64ELi4Ei19rocblas_complex_numIfES1_S1_EviiT3_lPKT2_lT1_lS5_lS6_lS2_lPT4_lS6_li.private_seg_size, 0
	.set _ZL20rocblas_gemvn_kernelILi64ELi4Ei19rocblas_complex_numIfES1_S1_EviiT3_lPKT2_lT1_lS5_lS6_lS2_lPT4_lS6_li.uses_vcc, 1
	.set _ZL20rocblas_gemvn_kernelILi64ELi4Ei19rocblas_complex_numIfES1_S1_EviiT3_lPKT2_lT1_lS5_lS6_lS2_lPT4_lS6_li.uses_flat_scratch, 0
	.set _ZL20rocblas_gemvn_kernelILi64ELi4Ei19rocblas_complex_numIfES1_S1_EviiT3_lPKT2_lT1_lS5_lS6_lS2_lPT4_lS6_li.has_dyn_sized_stack, 0
	.set _ZL20rocblas_gemvn_kernelILi64ELi4Ei19rocblas_complex_numIfES1_S1_EviiT3_lPKT2_lT1_lS5_lS6_lS2_lPT4_lS6_li.has_recursion, 0
	.set _ZL20rocblas_gemvn_kernelILi64ELi4Ei19rocblas_complex_numIfES1_S1_EviiT3_lPKT2_lT1_lS5_lS6_lS2_lPT4_lS6_li.has_indirect_call, 0
	.section	.AMDGPU.csdata,"",@progbits
; Kernel info:
; codeLenInByte = 3496
; TotalNumSgprs: 31
; NumVgprs: 65
; ScratchSize: 0
; MemoryBound: 0
; FloatMode: 240
; IeeeMode: 1
; LDSByteSize: 8192 bytes/workgroup (compile time only)
; SGPRBlocks: 0
; VGPRBlocks: 8
; NumSGPRsForWavesPerEU: 31
; NumVGPRsForWavesPerEU: 65
; Occupancy: 12
; WaveLimiterHint : 1
; COMPUTE_PGM_RSRC2:SCRATCH_EN: 0
; COMPUTE_PGM_RSRC2:USER_SGPR: 6
; COMPUTE_PGM_RSRC2:TRAP_HANDLER: 0
; COMPUTE_PGM_RSRC2:TGID_X_EN: 1
; COMPUTE_PGM_RSRC2:TGID_Y_EN: 0
; COMPUTE_PGM_RSRC2:TGID_Z_EN: 1
; COMPUTE_PGM_RSRC2:TIDIG_COMP_CNT: 1
	.section	.text._ZL20rocblas_gemvn_kernelILi64ELi4El19rocblas_complex_numIfES1_S1_EviiT3_lPKT2_lT1_lS5_lS6_lS2_lPT4_lS6_li,"axG",@progbits,_ZL20rocblas_gemvn_kernelILi64ELi4El19rocblas_complex_numIfES1_S1_EviiT3_lPKT2_lT1_lS5_lS6_lS2_lPT4_lS6_li,comdat
	.globl	_ZL20rocblas_gemvn_kernelILi64ELi4El19rocblas_complex_numIfES1_S1_EviiT3_lPKT2_lT1_lS5_lS6_lS2_lPT4_lS6_li ; -- Begin function _ZL20rocblas_gemvn_kernelILi64ELi4El19rocblas_complex_numIfES1_S1_EviiT3_lPKT2_lT1_lS5_lS6_lS2_lPT4_lS6_li
	.p2align	8
	.type	_ZL20rocblas_gemvn_kernelILi64ELi4El19rocblas_complex_numIfES1_S1_EviiT3_lPKT2_lT1_lS5_lS6_lS2_lPT4_lS6_li,@function
_ZL20rocblas_gemvn_kernelILi64ELi4El19rocblas_complex_numIfES1_S1_EviiT3_lPKT2_lT1_lS5_lS6_lS2_lPT4_lS6_li: ; @_ZL20rocblas_gemvn_kernelILi64ELi4El19rocblas_complex_numIfES1_S1_EviiT3_lPKT2_lT1_lS5_lS6_lS2_lPT4_lS6_li
; %bb.0:
	s_load_dwordx2 s[0:1], s[4:5], 0x9c
	s_waitcnt lgkmcnt(0)
	s_lshr_b32 s2, s0, 16
	s_and_b32 s0, s0, 0xffff
	s_and_b32 s1, s1, 0xffff
	s_mul_i32 s0, s2, s0
	s_mul_i32 s0, s0, s1
	s_cmpk_lg_i32 s0, 0x100
	s_cbranch_scc1 .LBB107_47
; %bb.1:
	s_clause 0x1
	s_load_dwordx4 s[28:31], s[4:5], 0x0
	s_load_dwordx2 s[34:35], s[4:5], 0x58
	s_waitcnt lgkmcnt(0)
	v_cmp_neq_f32_e64 s0, s30, 0
	v_cmp_neq_f32_e64 s1, s31, 0
	s_or_b32 s0, s0, s1
	s_and_b32 vcc_lo, exec_lo, s0
	s_mov_b32 s0, -1
	s_cbranch_vccnz .LBB107_3
; %bb.2:
	v_cmp_neq_f32_e64 s0, s34, 1.0
	v_cmp_neq_f32_e64 s1, s35, 0
	s_or_b32 s0, s0, s1
.LBB107_3:
	s_andn2_b32 vcc_lo, exec_lo, s0
	s_cbranch_vccnz .LBB107_47
; %bb.4:
	s_load_dwordx8 s[20:27], s[4:5], 0x68
	v_lshlrev_b32_e32 v57, 6, v1
	v_add_nc_u32_e32 v56, v57, v0
	v_cmp_gt_u32_e32 vcc_lo, 0x100, v56
	s_waitcnt lgkmcnt(0)
	s_mul_i32 s1, s27, s7
	s_mul_hi_u32 s2, s26, s7
	s_mul_i32 s0, s26, s7
	s_add_i32 s1, s2, s1
	s_lshl_b64 s[0:1], s[0:1], 3
	s_add_u32 s2, s20, s0
	s_addc_u32 s3, s21, s1
	s_lshl_b64 s[0:1], s[22:23], 3
	s_add_u32 s33, s2, s0
	s_addc_u32 s38, s3, s1
	s_or_b32 s0, s30, s31
	s_bitset0_b32 s0, 31
	s_cmp_lg_u32 s0, 0
	s_mov_b32 s0, -1
	s_cbranch_scc1 .LBB107_11
; %bb.5:
	s_and_saveexec_b32 s0, vcc_lo
	s_cbranch_execz .LBB107_10
; %bb.6:
	v_lshl_or_b32 v2, s6, 8, v56
	v_mov_b32_e32 v3, 0
	s_ashr_i32 s3, s28, 31
	s_mov_b32 s2, s28
	v_cmp_gt_i64_e32 vcc_lo, s[2:3], v[2:3]
	s_and_b32 exec_lo, exec_lo, vcc_lo
	s_cbranch_execz .LBB107_10
; %bb.7:
	v_mad_u64_u32 v[4:5], null, s24, v2, 0
	v_cmp_neq_f32_e64 s1, s34, 0
	v_cmp_neq_f32_e64 s2, s35, 0
	s_or_b32 s1, s1, s2
	v_mad_u64_u32 v[5:6], null, s25, v2, v[5:6]
	v_mov_b32_e32 v6, v3
	s_andn2_b32 vcc_lo, exec_lo, s1
	v_lshlrev_b64 v[4:5], 3, v[4:5]
	s_cbranch_vccnz .LBB107_9
; %bb.8:
	v_add_co_u32 v2, vcc_lo, s33, v4
	v_add_co_ci_u32_e64 v3, null, s38, v5, vcc_lo
	global_load_dwordx2 v[2:3], v[2:3], off
	s_waitcnt vmcnt(0)
	v_mul_f32_e32 v7, s35, v3
	v_mul_f32_e32 v6, s34, v3
	v_fma_f32 v3, s34, v2, -v7
	v_fmac_f32_e32 v6, s35, v2
.LBB107_9:
	v_add_co_u32 v7, vcc_lo, s33, v4
	v_add_co_ci_u32_e64 v8, null, s38, v5, vcc_lo
	v_mov_b32_e32 v5, v3
	global_store_dwordx2 v[7:8], v[5:6], off
.LBB107_10:
	s_or_b32 exec_lo, exec_lo, s0
	s_mov_b32 s0, 0
.LBB107_11:
	s_andn2_b32 vcc_lo, exec_lo, s0
	s_cbranch_vccnz .LBB107_47
; %bb.12:
	s_load_dwordx16 s[8:23], s[4:5], 0x18
	s_ashr_i32 s0, s29, 31
	s_lshl_b32 s5, s6, 8
	s_lshr_b32 s0, s0, 28
	v_lshlrev_b32_e32 v58, 2, v1
	s_add_i32 s0, s29, s0
	v_mov_b32_e32 v3, 0
	v_mov_b32_e32 v2, 0
	;; [unrolled: 1-line block ×8, first 2 shown]
	v_or_b32_e32 v4, s5, v0
	s_and_b32 s39, s0, -16
	s_mov_b32 s40, exec_lo
	s_waitcnt lgkmcnt(0)
	s_mul_i32 s0, s15, s7
	s_mul_hi_u32 s1, s14, s7
	s_mul_i32 s2, s23, s7
	s_mul_hi_u32 s3, s22, s7
	s_mul_i32 s14, s14, s7
	s_add_i32 s15, s1, s0
	s_add_i32 s23, s3, s2
	s_mul_i32 s22, s22, s7
	v_cmpx_gt_i32_e64 s39, v58
	s_cbranch_execz .LBB107_24
; %bb.13:
	v_mad_u64_u32 v[2:3], null, s20, v1, 0
	v_lshlrev_b32_e32 v18, 2, v1
	s_lshl_b64 s[0:1], s[18:19], 3
	v_add_nc_u32_e32 v9, 64, v4
	v_add_nc_u32_e32 v12, 0xc0, v4
	s_lshl_b64 s[2:3], s[22:23], 3
	v_or_b32_e32 v11, 3, v18
	v_mad_u64_u32 v[6:7], null, s21, v1, v[3:4]
	s_add_u32 s0, s16, s0
	s_addc_u32 s4, s17, s1
	v_mad_u64_u32 v[7:8], null, s12, v11, 0
	s_add_u32 s6, s0, s2
	v_add_nc_u32_e32 v10, 0x80, v4
	v_mov_b32_e32 v3, v6
	v_cmp_gt_i32_e64 s0, s28, v9
	v_cmp_gt_i32_e64 s2, s28, v12
	s_addc_u32 s4, s4, s3
	v_mov_b32_e32 v6, v8
	v_lshlrev_b64 v[2:3], 5, v[2:3]
	v_ashrrev_i32_e32 v5, 31, v4
	v_cmp_gt_i32_e64 s1, s28, v10
	s_lshl_b64 s[26:27], s[10:11], 3
	v_mad_u64_u32 v[8:9], null, s13, v11, v[6:7]
	v_add_co_u32 v12, s3, s6, v2
	v_or_b32_e32 v11, 2, v18
	v_add_co_ci_u32_e64 v13, null, s4, v3, s3
	v_mad_u64_u32 v[2:3], null, s12, v1, 0
	v_mad_u64_u32 v[9:10], null, s12, v11, 0
	v_lshlrev_b64 v[14:15], 3, v[4:5]
	v_lshlrev_b64 v[5:6], 3, v[7:8]
	v_mad_u64_u32 v[7:8], null, s12, v18, s[12:13]
	v_mad_u64_u32 v[16:17], null, s13, v1, v[3:4]
	v_mov_b32_e32 v3, v10
	s_lshl_b64 s[6:7], s[20:21], 7
	s_lshl_b64 s[36:37], s[14:15], 3
	s_add_u32 s3, s8, s26
	s_addc_u32 s4, s9, s27
	v_mad_u64_u32 v[10:11], null, s13, v11, v[3:4]
	v_mov_b32_e32 v3, v16
	v_mad_u64_u32 v[16:17], null, s13, v18, v[8:9]
	s_add_u32 s26, s3, s36
	s_addc_u32 s4, s4, s37
	v_lshlrev_b64 v[2:3], 5, v[2:3]
	v_add_co_u32 v5, s3, s26, v5
	v_lshlrev_b64 v[9:10], 3, v[9:10]
	v_mov_b32_e32 v8, v16
	v_add_co_ci_u32_e64 v59, null, s4, v6, s3
	v_add_co_u32 v60, s3, s26, v2
	v_lshlrev_b64 v[6:7], 3, v[7:8]
	v_add_co_ci_u32_e64 v61, null, s4, v3, s3
	v_mov_b32_e32 v3, 0
	v_add_co_u32 v62, s3, s26, v9
	v_add_co_ci_u32_e64 v63, null, s4, v10, s3
	v_add_co_u32 v64, s3, s26, v6
	v_add_co_ci_u32_e64 v65, null, s4, v7, s3
	v_mov_b32_e32 v2, v3
	v_mov_b32_e32 v7, v3
	;; [unrolled: 1-line block ×7, first 2 shown]
	s_lshl_b64 s[26:27], s[12:13], 7
	s_lshl_b64 s[36:37], s[20:21], 3
	s_mov_b32 s41, 0
	v_cmp_gt_i32_e32 vcc_lo, s28, v4
	s_branch .LBB107_18
.LBB107_14:                             ;   in Loop: Header=BB107_18 Depth=1
	s_or_b32 exec_lo, exec_lo, s43
	s_waitcnt vmcnt(3)
	v_mul_f32_e32 v48, v29, v47
	v_mul_f32_e32 v47, v28, v47
	s_waitcnt vmcnt(2)
	v_mul_f32_e32 v49, v25, v45
	v_mul_f32_e32 v45, v24, v45
	s_waitcnt vmcnt(1)
	v_mul_f32_e32 v50, v19, v43
	v_fma_f32 v48, v28, v46, -v48
	v_fmac_f32_e32 v47, v29, v46
	v_mul_f32_e32 v43, v18, v43
	v_fma_f32 v49, v24, v44, -v49
	v_fmac_f32_e32 v45, v25, v44
	v_add_f32_e32 v6, v6, v48
	v_add_f32_e32 v7, v7, v47
	s_waitcnt vmcnt(0)
	v_mul_f32_e32 v46, v17, v41
	v_mul_f32_e32 v41, v16, v41
	v_fma_f32 v44, v18, v42, -v50
	v_add_f32_e32 v6, v49, v6
	v_fmac_f32_e32 v43, v19, v42
	v_add_f32_e32 v7, v45, v7
	v_fma_f32 v42, v16, v40, -v46
	v_fmac_f32_e32 v41, v17, v40
	v_add_f32_e32 v6, v44, v6
	v_add_f32_e32 v7, v43, v7
	;; [unrolled: 1-line block ×4, first 2 shown]
.LBB107_15:                             ;   in Loop: Header=BB107_18 Depth=1
	s_or_b32 exec_lo, exec_lo, s42
	s_waitcnt vmcnt(3)
	v_mul_f32_e32 v40, v29, v39
	v_mul_f32_e32 v39, v28, v39
	s_waitcnt vmcnt(2)
	v_mul_f32_e32 v41, v25, v37
	v_mul_f32_e32 v37, v24, v37
	s_waitcnt vmcnt(1)
	v_mul_f32_e32 v42, v19, v35
	v_fma_f32 v40, v28, v38, -v40
	v_fmac_f32_e32 v39, v29, v38
	v_mul_f32_e32 v35, v18, v35
	v_fma_f32 v41, v24, v36, -v41
	v_fmac_f32_e32 v37, v25, v36
	v_add_f32_e32 v8, v8, v40
	v_add_f32_e32 v9, v9, v39
	s_waitcnt vmcnt(0)
	v_mul_f32_e32 v38, v17, v33
	v_mul_f32_e32 v33, v16, v33
	v_fma_f32 v36, v18, v34, -v42
	v_add_f32_e32 v8, v41, v8
	v_fmac_f32_e32 v35, v19, v34
	v_add_f32_e32 v9, v37, v9
	v_fma_f32 v34, v16, v32, -v38
	v_fmac_f32_e32 v33, v17, v32
	v_add_f32_e32 v8, v36, v8
	v_add_f32_e32 v9, v35, v9
	;; [unrolled: 1-line block ×4, first 2 shown]
.LBB107_16:                             ;   in Loop: Header=BB107_18 Depth=1
	s_or_b32 exec_lo, exec_lo, s3
	s_waitcnt vmcnt(3)
	v_mul_f32_e32 v32, v29, v31
	v_mul_f32_e32 v31, v28, v31
	s_waitcnt vmcnt(2)
	v_mul_f32_e32 v33, v25, v27
	v_mul_f32_e32 v27, v24, v27
	s_waitcnt vmcnt(1)
	v_mul_f32_e32 v34, v19, v23
	v_fma_f32 v28, v28, v30, -v32
	v_fmac_f32_e32 v31, v29, v30
	v_mul_f32_e32 v23, v18, v23
	v_fma_f32 v24, v24, v26, -v33
	v_fmac_f32_e32 v27, v25, v26
	v_add_f32_e32 v10, v10, v28
	v_add_f32_e32 v11, v11, v31
	s_waitcnt vmcnt(0)
	v_mul_f32_e32 v29, v17, v21
	v_mul_f32_e32 v21, v16, v21
	v_fma_f32 v18, v18, v22, -v34
	v_add_f32_e32 v10, v24, v10
	v_fmac_f32_e32 v23, v19, v22
	v_add_f32_e32 v11, v27, v11
	v_fma_f32 v16, v16, v20, -v29
	v_fmac_f32_e32 v21, v17, v20
	v_add_f32_e32 v10, v18, v10
	v_add_f32_e32 v11, v23, v11
	;; [unrolled: 1-line block ×4, first 2 shown]
.LBB107_17:                             ;   in Loop: Header=BB107_18 Depth=1
	s_or_b32 exec_lo, exec_lo, s4
	v_add_co_u32 v12, s3, v12, s6
	v_add_co_ci_u32_e64 v13, null, s7, v13, s3
	v_add_co_u32 v5, s3, v5, s26
	v_add_nc_u32_e32 v58, 16, v58
	v_add_co_ci_u32_e64 v59, null, s27, v59, s3
	v_add_co_u32 v60, s3, v60, s26
	v_add_co_ci_u32_e64 v61, null, s27, v61, s3
	v_add_co_u32 v62, s3, v62, s26
	v_add_co_ci_u32_e64 v63, null, s27, v63, s3
	v_cmp_le_i32_e64 s3, s39, v58
	v_add_co_u32 v64, s4, v64, s26
	v_add_co_ci_u32_e64 v65, null, s27, v65, s4
	s_or_b32 s41, s3, s41
	s_andn2_b32 exec_lo, exec_lo, s41
	s_cbranch_execz .LBB107_23
.LBB107_18:                             ; =>This Inner Loop Header: Depth=1
	s_and_saveexec_b32 s4, vcc_lo
	s_cbranch_execz .LBB107_17
; %bb.19:                               ;   in Loop: Header=BB107_18 Depth=1
	v_add_co_u32 v16, s3, v12, s36
	v_add_co_ci_u32_e64 v17, null, s37, v13, s3
	v_add_co_u32 v18, s3, v16, s36
	v_add_co_ci_u32_e64 v19, null, s37, v17, s3
	;; [unrolled: 2-line block ×7, first 2 shown]
	s_clause 0x3
	global_load_dwordx2 v[28:29], v[12:13], off
	global_load_dwordx2 v[24:25], v[16:17], off
	;; [unrolled: 1-line block ×8, first 2 shown]
	s_and_saveexec_b32 s3, s0
	s_cbranch_execz .LBB107_16
; %bb.20:                               ;   in Loop: Header=BB107_18 Depth=1
	global_load_dwordx2 v[38:39], v[54:55], off offset:512
	global_load_dwordx2 v[36:37], v[52:53], off offset:512
	global_load_dwordx2 v[34:35], v[50:51], off offset:512
	global_load_dwordx2 v[32:33], v[48:49], off offset:512
	s_and_saveexec_b32 s42, s1
	s_cbranch_execz .LBB107_15
; %bb.21:                               ;   in Loop: Header=BB107_18 Depth=1
	global_load_dwordx2 v[46:47], v[54:55], off offset:1024
	global_load_dwordx2 v[44:45], v[52:53], off offset:1024
	global_load_dwordx2 v[42:43], v[50:51], off offset:1024
	global_load_dwordx2 v[40:41], v[48:49], off offset:1024
	;; [unrolled: 7-line block ×3, first 2 shown]
	s_waitcnt vmcnt(3)
	v_mul_f32_e32 v66, v29, v55
	v_mul_f32_e32 v55, v28, v55
	s_waitcnt vmcnt(2)
	v_mul_f32_e32 v67, v25, v53
	v_mul_f32_e32 v53, v24, v53
	s_waitcnt vmcnt(1)
	v_mul_f32_e32 v68, v19, v51
	v_fma_f32 v66, v28, v54, -v66
	v_fmac_f32_e32 v55, v29, v54
	v_mul_f32_e32 v51, v18, v51
	v_fma_f32 v67, v24, v52, -v67
	v_fmac_f32_e32 v53, v25, v52
	v_add_f32_e32 v2, v2, v66
	v_add_f32_e32 v3, v3, v55
	s_waitcnt vmcnt(0)
	v_mul_f32_e32 v54, v17, v49
	v_mul_f32_e32 v49, v16, v49
	v_fma_f32 v52, v18, v50, -v68
	v_fmac_f32_e32 v51, v19, v50
	v_add_f32_e32 v2, v67, v2
	v_add_f32_e32 v3, v53, v3
	v_fma_f32 v50, v16, v48, -v54
	v_fmac_f32_e32 v49, v17, v48
	v_add_f32_e32 v2, v52, v2
	v_add_f32_e32 v3, v51, v3
	;; [unrolled: 1-line block ×4, first 2 shown]
	s_branch .LBB107_14
.LBB107_23:
	s_or_b32 exec_lo, exec_lo, s41
.LBB107_24:
	s_or_b32 exec_lo, exec_lo, s40
	s_sub_i32 s0, s29, s39
	s_cmp_lt_i32 s0, 1
	s_cbranch_scc1 .LBB107_42
; %bb.25:
	v_cmp_gt_i32_e32 vcc_lo, s29, v58
	v_mov_b32_e32 v12, 0
	v_or_b32_e32 v20, 1, v58
	v_mov_b32_e32 v13, 0
	v_mov_b32_e32 v14, 0
	;; [unrolled: 1-line block ×7, first 2 shown]
	s_and_saveexec_b32 s1, vcc_lo
	s_cbranch_execz .LBB107_33
; %bb.26:
	v_mad_u64_u32 v[12:13], null, s20, v58, 0
	s_lshl_b64 s[2:3], s[22:23], 3
	v_mov_b32_e32 v19, 0
	s_add_u32 s0, s16, s2
	s_addc_u32 s2, s17, s3
	s_lshl_b64 s[6:7], s[18:19], 3
	v_mov_b32_e32 v18, 0
	v_mov_b32_e32 v5, v13
	s_add_u32 s3, s0, s6
	s_addc_u32 s4, s2, s7
	v_mov_b32_e32 v17, 0
	v_mov_b32_e32 v16, 0
	v_mad_u64_u32 v[13:14], null, s21, v58, v[5:6]
	v_mov_b32_e32 v15, 0
	v_mov_b32_e32 v14, 0
	s_mov_b32 s2, exec_lo
	v_lshlrev_b64 v[12:13], 3, v[12:13]
	v_add_co_u32 v12, s0, s3, v12
	v_add_co_ci_u32_e64 v13, null, s4, v13, s0
	global_load_dwordx2 v[12:13], v[12:13], off
	v_cmpx_gt_i32_e64 s29, v20
	s_cbranch_execz .LBB107_32
; %bb.27:
	v_mad_u64_u32 v[14:15], null, s20, v20, 0
	v_mov_b32_e32 v19, 0
	v_mov_b32_e32 v18, 0
	;; [unrolled: 1-line block ×3, first 2 shown]
	s_mov_b32 s6, exec_lo
	v_mov_b32_e32 v5, v15
	v_mad_u64_u32 v[15:16], null, s21, v20, v[5:6]
	v_or_b32_e32 v5, 2, v58
	v_mov_b32_e32 v16, 0
	v_lshlrev_b64 v[14:15], 3, v[14:15]
	v_add_co_u32 v14, s0, s3, v14
	v_add_co_ci_u32_e64 v15, null, s4, v15, s0
	global_load_dwordx2 v[14:15], v[14:15], off
	v_cmpx_gt_i32_e64 s29, v5
	s_cbranch_execz .LBB107_31
; %bb.28:
	v_mad_u64_u32 v[16:17], null, s20, v5, 0
	v_mov_b32_e32 v19, 0
	s_mov_b32 s7, exec_lo
	v_mad_u64_u32 v[17:18], null, s21, v5, v[17:18]
	v_or_b32_e32 v5, 3, v58
	v_mov_b32_e32 v18, 0
	v_lshlrev_b64 v[16:17], 3, v[16:17]
	v_add_co_u32 v16, s0, s3, v16
	v_add_co_ci_u32_e64 v17, null, s4, v17, s0
	global_load_dwordx2 v[16:17], v[16:17], off
	v_cmpx_gt_i32_e64 s29, v5
	s_cbranch_execz .LBB107_30
; %bb.29:
	v_mad_u64_u32 v[18:19], null, s20, v5, 0
	v_mad_u64_u32 v[21:22], null, s21, v5, v[19:20]
	v_mov_b32_e32 v19, v21
	v_lshlrev_b64 v[18:19], 3, v[18:19]
	v_add_co_u32 v18, s0, s3, v18
	v_add_co_ci_u32_e64 v19, null, s4, v19, s0
	global_load_dwordx2 v[18:19], v[18:19], off
.LBB107_30:
	s_or_b32 exec_lo, exec_lo, s7
.LBB107_31:
	s_or_b32 exec_lo, exec_lo, s6
.LBB107_32:
	s_or_b32 exec_lo, exec_lo, s2
.LBB107_33:
	s_or_b32 exec_lo, exec_lo, s1
	s_mov_b32 s1, exec_lo
	v_cmpx_gt_i32_e64 s28, v4
	s_cbranch_execz .LBB107_41
; %bb.34:
	v_mad_u64_u32 v[21:22], null, s12, v58, 0
	v_mad_u64_u32 v[23:24], null, s12, v20, 0
	v_ashrrev_i32_e32 v5, 31, v4
	v_or_b32_e32 v33, 2, v58
	v_or_b32_e32 v34, 3, v58
	s_lshl_b64 s[2:3], s[14:15], 3
	v_cndmask_b32_e32 v21, 0, v21, vcc_lo
	v_lshlrev_b64 v[28:29], 3, v[4:5]
	v_mad_u64_u32 v[25:26], null, s13, v58, v[22:23]
	v_mov_b32_e32 v5, v24
	v_mad_u64_u32 v[26:27], null, s12, v33, 0
	s_add_u32 s0, s8, s2
	s_addc_u32 s4, s9, s3
	v_mad_u64_u32 v[30:31], null, s13, v20, v[5:6]
	v_cndmask_b32_e32 v22, 0, v25, vcc_lo
	v_cmp_gt_i32_e32 vcc_lo, s29, v20
	s_lshl_b64 s[2:3], s[10:11], 3
	v_mad_u64_u32 v[24:25], null, s12, v34, 0
	v_lshlrev_b64 v[21:22], 3, v[21:22]
	s_add_u32 s2, s0, s2
	v_cndmask_b32_e32 v31, 0, v23, vcc_lo
	v_mov_b32_e32 v5, v27
	v_cndmask_b32_e32 v32, 0, v30, vcc_lo
	s_addc_u32 s3, s4, s3
	v_add_co_u32 v20, s0, s2, v21
	v_add_co_ci_u32_e64 v21, null, s3, v22, s0
	v_lshlrev_b64 v[22:23], 3, v[31:32]
	v_mad_u64_u32 v[30:31], null, s13, v33, v[5:6]
	v_mov_b32_e32 v5, v25
	v_add_co_u32 v20, vcc_lo, v20, v28
	v_add_co_ci_u32_e64 v21, null, v21, v29, vcc_lo
	v_cmp_gt_i32_e32 vcc_lo, s29, v33
	v_mad_u64_u32 v[31:32], null, s13, v34, v[5:6]
	v_add_co_u32 v22, s0, s2, v22
	v_cndmask_b32_e32 v25, 0, v26, vcc_lo
	v_cndmask_b32_e32 v26, 0, v30, vcc_lo
	v_cmp_gt_i32_e32 vcc_lo, s29, v34
	v_add_co_ci_u32_e64 v23, null, s3, v23, s0
	v_add_co_u32 v22, s0, v22, v28
	v_cndmask_b32_e32 v30, 0, v24, vcc_lo
	v_cndmask_b32_e32 v31, 0, v31, vcc_lo
	v_lshlrev_b64 v[24:25], 3, v[25:26]
	v_add_co_ci_u32_e64 v23, null, v23, v29, s0
	s_clause 0x1
	global_load_dwordx2 v[32:33], v[20:21], off
	global_load_dwordx2 v[34:35], v[22:23], off
	v_lshlrev_b64 v[26:27], 3, v[30:31]
	v_add_co_u32 v5, vcc_lo, s2, v24
	v_add_co_ci_u32_e64 v24, null, s3, v25, vcc_lo
	s_mov_b32 s0, exec_lo
	v_add_co_u32 v25, vcc_lo, s2, v26
	v_add_co_ci_u32_e64 v30, null, s3, v27, vcc_lo
	v_add_co_u32 v26, vcc_lo, v5, v28
	v_add_co_ci_u32_e64 v27, null, v24, v29, vcc_lo
	;; [unrolled: 2-line block ×3, first 2 shown]
	s_clause 0x1
	global_load_dwordx2 v[28:29], v[26:27], off
	global_load_dwordx2 v[30:31], v[24:25], off
	s_waitcnt vmcnt(3)
	v_mul_f32_e32 v5, v13, v33
	v_mul_f32_e32 v33, v12, v33
	s_waitcnt vmcnt(2)
	v_mul_f32_e32 v36, v15, v35
	v_mul_f32_e32 v35, v14, v35
	v_fma_f32 v5, v12, v32, -v5
	v_fmac_f32_e32 v33, v13, v32
	v_fma_f32 v32, v14, v34, -v36
	v_fmac_f32_e32 v35, v15, v34
	v_add_f32_e32 v10, v10, v5
	v_add_f32_e32 v11, v11, v33
	v_add_nc_u32_e32 v33, 64, v4
	s_waitcnt vmcnt(1)
	v_mul_f32_e32 v34, v17, v29
	v_mul_f32_e32 v29, v16, v29
	s_waitcnt vmcnt(0)
	v_mul_f32_e32 v36, v19, v31
	v_mul_f32_e32 v5, v18, v31
	v_fma_f32 v31, v16, v28, -v34
	v_fmac_f32_e32 v29, v17, v28
	v_add_f32_e32 v28, v32, v10
	v_add_f32_e32 v32, v35, v11
	v_fma_f32 v10, v18, v30, -v36
	v_fmac_f32_e32 v5, v19, v30
	v_add_f32_e32 v11, v31, v28
	v_add_f32_e32 v28, v29, v32
	v_cmpx_gt_i32_e64 s28, v33
	s_cbranch_execz .LBB107_40
; %bb.35:
	s_clause 0x3
	global_load_dwordx2 v[29:30], v[20:21], off offset:512
	global_load_dwordx2 v[31:32], v[22:23], off offset:512
	global_load_dwordx2 v[33:34], v[26:27], off offset:512
	global_load_dwordx2 v[35:36], v[24:25], off offset:512
	s_mov_b32 s2, exec_lo
	s_waitcnt vmcnt(3)
	v_mul_f32_e32 v37, v13, v30
	v_mul_f32_e32 v30, v12, v30
	s_waitcnt vmcnt(2)
	v_mul_f32_e32 v38, v15, v32
	v_mul_f32_e32 v32, v14, v32
	s_waitcnt vmcnt(1)
	v_mul_f32_e32 v39, v17, v34
	v_fma_f32 v37, v12, v29, -v37
	v_fmac_f32_e32 v30, v13, v29
	v_mul_f32_e32 v34, v16, v34
	v_fma_f32 v38, v14, v31, -v38
	v_fmac_f32_e32 v32, v15, v31
	v_add_f32_e32 v8, v8, v37
	v_add_f32_e32 v30, v9, v30
	s_waitcnt vmcnt(0)
	v_mul_f32_e32 v29, v19, v36
	v_mul_f32_e32 v9, v18, v36
	v_fma_f32 v31, v16, v33, -v39
	v_fmac_f32_e32 v34, v17, v33
	v_add_f32_e32 v33, v38, v8
	v_add_f32_e32 v30, v32, v30
	v_add_nc_u32_e32 v32, 0x80, v4
	v_fma_f32 v8, v18, v35, -v29
	v_fmac_f32_e32 v9, v19, v35
	v_add_f32_e32 v29, v31, v33
	v_add_f32_e32 v30, v34, v30
	v_cmpx_gt_i32_e64 s28, v32
	s_cbranch_execz .LBB107_39
; %bb.36:
	s_clause 0x3
	global_load_dwordx2 v[31:32], v[20:21], off offset:1024
	global_load_dwordx2 v[33:34], v[22:23], off offset:1024
	;; [unrolled: 1-line block ×4, first 2 shown]
	s_mov_b32 s3, exec_lo
	s_waitcnt vmcnt(3)
	v_mul_f32_e32 v39, v13, v32
	v_mul_f32_e32 v32, v12, v32
	s_waitcnt vmcnt(2)
	v_mul_f32_e32 v40, v15, v34
	v_mul_f32_e32 v34, v14, v34
	s_waitcnt vmcnt(1)
	v_mul_f32_e32 v41, v17, v36
	v_fma_f32 v39, v12, v31, -v39
	v_fmac_f32_e32 v32, v13, v31
	v_mul_f32_e32 v36, v16, v36
	v_fma_f32 v40, v14, v33, -v40
	v_fmac_f32_e32 v34, v15, v33
	v_add_f32_e32 v6, v6, v39
	v_add_f32_e32 v32, v7, v32
	s_waitcnt vmcnt(0)
	v_mul_f32_e32 v31, v19, v38
	v_mul_f32_e32 v7, v18, v38
	v_fma_f32 v33, v16, v35, -v41
	v_fmac_f32_e32 v36, v17, v35
	v_add_f32_e32 v6, v40, v6
	v_add_f32_e32 v32, v34, v32
	v_add_nc_u32_e32 v34, 0xc0, v4
	v_fma_f32 v4, v18, v37, -v31
	v_fmac_f32_e32 v7, v19, v37
	v_add_f32_e32 v6, v33, v6
	v_add_f32_e32 v31, v36, v32
	v_cmpx_gt_i32_e64 s28, v34
	s_cbranch_execz .LBB107_38
; %bb.37:
	s_clause 0x3
	global_load_dwordx2 v[20:21], v[20:21], off offset:1536
	global_load_dwordx2 v[22:23], v[22:23], off offset:1536
	;; [unrolled: 1-line block ×4, first 2 shown]
	s_waitcnt vmcnt(3)
	v_mul_f32_e32 v32, v13, v21
	v_mul_f32_e32 v21, v12, v21
	s_waitcnt vmcnt(2)
	v_mul_f32_e32 v33, v15, v23
	v_mul_f32_e32 v23, v14, v23
	s_waitcnt vmcnt(1)
	v_mul_f32_e32 v34, v17, v27
	v_fma_f32 v12, v12, v20, -v32
	v_fmac_f32_e32 v21, v13, v20
	v_mul_f32_e32 v27, v16, v27
	v_fma_f32 v14, v14, v22, -v33
	v_fmac_f32_e32 v23, v15, v22
	v_add_f32_e32 v2, v2, v12
	v_add_f32_e32 v3, v3, v21
	s_waitcnt vmcnt(0)
	v_mul_f32_e32 v13, v19, v25
	v_mul_f32_e32 v12, v18, v25
	v_fma_f32 v15, v16, v26, -v34
	v_fmac_f32_e32 v27, v17, v26
	v_add_f32_e32 v2, v14, v2
	v_add_f32_e32 v3, v23, v3
	v_fma_f32 v13, v18, v24, -v13
	v_fmac_f32_e32 v12, v19, v24
	v_add_f32_e32 v2, v15, v2
	v_add_f32_e32 v3, v27, v3
	;; [unrolled: 1-line block ×4, first 2 shown]
.LBB107_38:
	s_or_b32 exec_lo, exec_lo, s3
	v_add_f32_e32 v6, v4, v6
	v_add_f32_e32 v7, v7, v31
.LBB107_39:
	s_or_b32 exec_lo, exec_lo, s2
	v_add_f32_e32 v8, v8, v29
	v_add_f32_e32 v9, v9, v30
.LBB107_40:
	s_or_b32 exec_lo, exec_lo, s0
	v_add_f32_e32 v10, v10, v11
	v_add_f32_e32 v11, v5, v28
.LBB107_41:
	s_or_b32 exec_lo, exec_lo, s1
.LBB107_42:
	v_lshlrev_b32_e32 v0, 3, v0
	s_mov_b32 s0, exec_lo
	v_lshl_or_b32 v1, v1, 11, v0
	ds_write2st64_b64 v1, v[10:11], v[8:9] offset1:1
	ds_write2st64_b64 v1, v[6:7], v[2:3] offset0:2 offset1:3
	s_waitcnt vmcnt(0) lgkmcnt(0)
	s_waitcnt_vscnt null, 0x0
	s_barrier
	buffer_gl0_inv
	v_cmpx_gt_u32_e32 0x100, v56
	s_cbranch_execz .LBB107_47
; %bb.43:
	v_lshl_add_u32 v8, v57, 3, v0
	ds_read2st64_b64 v[0:3], v8 offset1:4
	ds_read2st64_b64 v[4:7], v8 offset0:8 offset1:12
	s_waitcnt lgkmcnt(1)
	v_add_f32_e32 v0, v0, v2
	v_add_f32_e32 v1, v1, v3
	s_waitcnt lgkmcnt(0)
	v_add_f32_e32 v2, v0, v4
	v_add_f32_e32 v1, v1, v5
	v_or_b32_e32 v0, s5, v56
	v_add_f32_e32 v2, v2, v6
	v_add_f32_e32 v3, v1, v7
	v_cmp_gt_i32_e32 vcc_lo, s28, v0
	ds_write_b64 v8, v[2:3]
	s_and_b32 exec_lo, exec_lo, vcc_lo
	s_cbranch_execz .LBB107_47
; %bb.44:
	v_ashrrev_i32_e32 v1, 31, v0
	v_mul_lo_u32 v6, s25, v0
	v_mad_u64_u32 v[4:5], null, s24, v0, 0
	v_mul_f32_e32 v0, s31, v3
	v_mul_lo_u32 v1, s24, v1
	v_cmp_neq_f32_e64 s0, s34, 0
	v_cmp_neq_f32_e64 s1, s35, 0
	v_fma_f32 v0, v2, s30, -v0
	s_or_b32 s0, s0, s1
	v_add3_u32 v5, v5, v1, v6
	v_mul_f32_e32 v1, s30, v3
	s_andn2_b32 vcc_lo, exec_lo, s0
	v_lshlrev_b64 v[3:4], 3, v[4:5]
	v_fmac_f32_e32 v1, s31, v2
	s_cbranch_vccnz .LBB107_46
; %bb.45:
	v_add_co_u32 v5, vcc_lo, s33, v3
	v_add_co_ci_u32_e64 v6, null, s38, v4, vcc_lo
	global_load_dwordx2 v[5:6], v[5:6], off
	s_waitcnt vmcnt(0)
	v_mul_f32_e32 v2, s35, v6
	v_mul_f32_e32 v6, s34, v6
	v_fma_f32 v2, s34, v5, -v2
	v_fmac_f32_e32 v6, s35, v5
	v_add_f32_e32 v0, v0, v2
	v_add_f32_e32 v1, v1, v6
.LBB107_46:
	v_add_co_u32 v2, vcc_lo, s33, v3
	v_add_co_ci_u32_e64 v3, null, s38, v4, vcc_lo
	global_store_dwordx2 v[2:3], v[0:1], off
.LBB107_47:
	s_endpgm
	.section	.rodata,"a",@progbits
	.p2align	6, 0x0
	.amdhsa_kernel _ZL20rocblas_gemvn_kernelILi64ELi4El19rocblas_complex_numIfES1_S1_EviiT3_lPKT2_lT1_lS5_lS6_lS2_lPT4_lS6_li
		.amdhsa_group_segment_fixed_size 8192
		.amdhsa_private_segment_fixed_size 0
		.amdhsa_kernarg_size 400
		.amdhsa_user_sgpr_count 6
		.amdhsa_user_sgpr_private_segment_buffer 1
		.amdhsa_user_sgpr_dispatch_ptr 0
		.amdhsa_user_sgpr_queue_ptr 0
		.amdhsa_user_sgpr_kernarg_segment_ptr 1
		.amdhsa_user_sgpr_dispatch_id 0
		.amdhsa_user_sgpr_flat_scratch_init 0
		.amdhsa_user_sgpr_private_segment_size 0
		.amdhsa_wavefront_size32 1
		.amdhsa_uses_dynamic_stack 0
		.amdhsa_system_sgpr_private_segment_wavefront_offset 0
		.amdhsa_system_sgpr_workgroup_id_x 1
		.amdhsa_system_sgpr_workgroup_id_y 0
		.amdhsa_system_sgpr_workgroup_id_z 1
		.amdhsa_system_sgpr_workgroup_info 0
		.amdhsa_system_vgpr_workitem_id 1
		.amdhsa_next_free_vgpr 69
		.amdhsa_next_free_sgpr 44
		.amdhsa_reserve_vcc 1
		.amdhsa_reserve_flat_scratch 0
		.amdhsa_float_round_mode_32 0
		.amdhsa_float_round_mode_16_64 0
		.amdhsa_float_denorm_mode_32 3
		.amdhsa_float_denorm_mode_16_64 3
		.amdhsa_dx10_clamp 1
		.amdhsa_ieee_mode 1
		.amdhsa_fp16_overflow 0
		.amdhsa_workgroup_processor_mode 1
		.amdhsa_memory_ordered 1
		.amdhsa_forward_progress 1
		.amdhsa_shared_vgpr_count 0
		.amdhsa_exception_fp_ieee_invalid_op 0
		.amdhsa_exception_fp_denorm_src 0
		.amdhsa_exception_fp_ieee_div_zero 0
		.amdhsa_exception_fp_ieee_overflow 0
		.amdhsa_exception_fp_ieee_underflow 0
		.amdhsa_exception_fp_ieee_inexact 0
		.amdhsa_exception_int_div_zero 0
	.end_amdhsa_kernel
	.section	.text._ZL20rocblas_gemvn_kernelILi64ELi4El19rocblas_complex_numIfES1_S1_EviiT3_lPKT2_lT1_lS5_lS6_lS2_lPT4_lS6_li,"axG",@progbits,_ZL20rocblas_gemvn_kernelILi64ELi4El19rocblas_complex_numIfES1_S1_EviiT3_lPKT2_lT1_lS5_lS6_lS2_lPT4_lS6_li,comdat
.Lfunc_end107:
	.size	_ZL20rocblas_gemvn_kernelILi64ELi4El19rocblas_complex_numIfES1_S1_EviiT3_lPKT2_lT1_lS5_lS6_lS2_lPT4_lS6_li, .Lfunc_end107-_ZL20rocblas_gemvn_kernelILi64ELi4El19rocblas_complex_numIfES1_S1_EviiT3_lPKT2_lT1_lS5_lS6_lS2_lPT4_lS6_li
                                        ; -- End function
	.set _ZL20rocblas_gemvn_kernelILi64ELi4El19rocblas_complex_numIfES1_S1_EviiT3_lPKT2_lT1_lS5_lS6_lS2_lPT4_lS6_li.num_vgpr, 69
	.set _ZL20rocblas_gemvn_kernelILi64ELi4El19rocblas_complex_numIfES1_S1_EviiT3_lPKT2_lT1_lS5_lS6_lS2_lPT4_lS6_li.num_agpr, 0
	.set _ZL20rocblas_gemvn_kernelILi64ELi4El19rocblas_complex_numIfES1_S1_EviiT3_lPKT2_lT1_lS5_lS6_lS2_lPT4_lS6_li.numbered_sgpr, 44
	.set _ZL20rocblas_gemvn_kernelILi64ELi4El19rocblas_complex_numIfES1_S1_EviiT3_lPKT2_lT1_lS5_lS6_lS2_lPT4_lS6_li.num_named_barrier, 0
	.set _ZL20rocblas_gemvn_kernelILi64ELi4El19rocblas_complex_numIfES1_S1_EviiT3_lPKT2_lT1_lS5_lS6_lS2_lPT4_lS6_li.private_seg_size, 0
	.set _ZL20rocblas_gemvn_kernelILi64ELi4El19rocblas_complex_numIfES1_S1_EviiT3_lPKT2_lT1_lS5_lS6_lS2_lPT4_lS6_li.uses_vcc, 1
	.set _ZL20rocblas_gemvn_kernelILi64ELi4El19rocblas_complex_numIfES1_S1_EviiT3_lPKT2_lT1_lS5_lS6_lS2_lPT4_lS6_li.uses_flat_scratch, 0
	.set _ZL20rocblas_gemvn_kernelILi64ELi4El19rocblas_complex_numIfES1_S1_EviiT3_lPKT2_lT1_lS5_lS6_lS2_lPT4_lS6_li.has_dyn_sized_stack, 0
	.set _ZL20rocblas_gemvn_kernelILi64ELi4El19rocblas_complex_numIfES1_S1_EviiT3_lPKT2_lT1_lS5_lS6_lS2_lPT4_lS6_li.has_recursion, 0
	.set _ZL20rocblas_gemvn_kernelILi64ELi4El19rocblas_complex_numIfES1_S1_EviiT3_lPKT2_lT1_lS5_lS6_lS2_lPT4_lS6_li.has_indirect_call, 0
	.section	.AMDGPU.csdata,"",@progbits
; Kernel info:
; codeLenInByte = 3684
; TotalNumSgprs: 46
; NumVgprs: 69
; ScratchSize: 0
; MemoryBound: 0
; FloatMode: 240
; IeeeMode: 1
; LDSByteSize: 8192 bytes/workgroup (compile time only)
; SGPRBlocks: 0
; VGPRBlocks: 8
; NumSGPRsForWavesPerEU: 46
; NumVGPRsForWavesPerEU: 69
; Occupancy: 12
; WaveLimiterHint : 1
; COMPUTE_PGM_RSRC2:SCRATCH_EN: 0
; COMPUTE_PGM_RSRC2:USER_SGPR: 6
; COMPUTE_PGM_RSRC2:TRAP_HANDLER: 0
; COMPUTE_PGM_RSRC2:TGID_X_EN: 1
; COMPUTE_PGM_RSRC2:TGID_Y_EN: 0
; COMPUTE_PGM_RSRC2:TGID_Z_EN: 1
; COMPUTE_PGM_RSRC2:TIDIG_COMP_CNT: 1
	.section	.text._ZL20rocblas_gemvn_kernelILi32ELi16Ei19rocblas_complex_numIfEPKS1_S1_EviiT3_lPKT2_lT1_lS7_lS8_lS4_lPT4_lS8_li,"axG",@progbits,_ZL20rocblas_gemvn_kernelILi32ELi16Ei19rocblas_complex_numIfEPKS1_S1_EviiT3_lPKT2_lT1_lS7_lS8_lS4_lPT4_lS8_li,comdat
	.globl	_ZL20rocblas_gemvn_kernelILi32ELi16Ei19rocblas_complex_numIfEPKS1_S1_EviiT3_lPKT2_lT1_lS7_lS8_lS4_lPT4_lS8_li ; -- Begin function _ZL20rocblas_gemvn_kernelILi32ELi16Ei19rocblas_complex_numIfEPKS1_S1_EviiT3_lPKT2_lT1_lS7_lS8_lS4_lPT4_lS8_li
	.p2align	8
	.type	_ZL20rocblas_gemvn_kernelILi32ELi16Ei19rocblas_complex_numIfEPKS1_S1_EviiT3_lPKT2_lT1_lS7_lS8_lS4_lPT4_lS8_li,@function
_ZL20rocblas_gemvn_kernelILi32ELi16Ei19rocblas_complex_numIfEPKS1_S1_EviiT3_lPKT2_lT1_lS7_lS8_lS4_lPT4_lS8_li: ; @_ZL20rocblas_gemvn_kernelILi32ELi16Ei19rocblas_complex_numIfEPKS1_S1_EviiT3_lPKT2_lT1_lS7_lS8_lS4_lPT4_lS8_li
; %bb.0:
	s_load_dwordx2 s[0:1], s[4:5], 0x9c
	s_waitcnt lgkmcnt(0)
	s_lshr_b32 s2, s0, 16
	s_and_b32 s0, s0, 0xffff
	s_and_b32 s1, s1, 0xffff
	s_mul_i32 s0, s2, s0
	s_mul_i32 s0, s0, s1
	s_cmpk_lg_i32 s0, 0x200
	s_cbranch_scc1 .LBB108_47
; %bb.1:
	s_clause 0x1
	s_load_dwordx8 s[8:15], s[4:5], 0x8
	s_load_dwordx8 s[16:23], s[4:5], 0x50
	s_waitcnt lgkmcnt(0)
	s_mul_i32 s1, s11, s7
	s_mul_hi_u32 s2, s10, s7
	s_mul_i32 s0, s10, s7
	s_add_i32 s1, s2, s1
	s_mul_hi_u32 s2, s20, s7
	s_lshl_b64 s[0:1], s[0:1], 3
	s_add_u32 s0, s8, s0
	s_addc_u32 s1, s9, s1
	s_load_dwordx2 s[10:11], s[0:1], 0x0
	s_mul_i32 s1, s21, s7
	s_mul_i32 s0, s20, s7
	s_add_i32 s1, s2, s1
	s_lshl_b64 s[0:1], s[0:1], 3
	s_add_u32 s0, s18, s0
	s_addc_u32 s1, s19, s1
	s_load_dwordx2 s[8:9], s[0:1], 0x0
	s_waitcnt lgkmcnt(0)
	v_cmp_neq_f32_e64 s0, s10, 0
	v_cmp_neq_f32_e64 s1, s11, 0
	s_or_b32 s0, s0, s1
	s_and_b32 vcc_lo, exec_lo, s0
	s_mov_b32 s0, -1
	s_cbranch_vccnz .LBB108_3
; %bb.2:
	v_cmp_neq_f32_e64 s0, s8, 1.0
	v_cmp_neq_f32_e64 s1, s9, 0
	s_or_b32 s0, s0, s1
.LBB108_3:
	s_andn2_b32 vcc_lo, exec_lo, s0
	s_cbranch_vccnz .LBB108_47
; %bb.4:
	s_clause 0x3
	s_load_dwordx2 s[0:1], s[4:5], 0x80
	s_load_dwordx2 s[2:3], s[4:5], 0x70
	s_load_dword s24, s[4:5], 0x78
	s_load_dwordx2 s[18:19], s[4:5], 0x0
	v_lshlrev_b32_e32 v54, 5, v1
	v_add_nc_u32_e32 v53, v54, v0
	v_cmp_gt_u32_e32 vcc_lo, 0x80, v53
	s_waitcnt lgkmcnt(0)
	s_mul_i32 s1, s1, s7
	s_mul_hi_u32 s20, s0, s7
	s_mul_i32 s0, s0, s7
	s_add_i32 s1, s20, s1
	s_lshl_b64 s[0:1], s[0:1], 3
	s_add_u32 s20, s22, s0
	s_addc_u32 s21, s23, s1
	s_lshl_b64 s[0:1], s[2:3], 3
	s_add_u32 s20, s20, s0
	s_addc_u32 s21, s21, s1
	s_or_b32 s0, s10, s11
	s_bitset0_b32 s0, 31
	s_cmp_lg_u32 s0, 0
	s_mov_b32 s0, -1
	s_cbranch_scc1 .LBB108_11
; %bb.5:
	s_and_saveexec_b32 s0, vcc_lo
	s_cbranch_execz .LBB108_10
; %bb.6:
	v_lshl_or_b32 v2, s6, 7, v53
	v_mov_b32_e32 v3, 0
	s_ashr_i32 s3, s18, 31
	s_mov_b32 s2, s18
	v_cmp_gt_i64_e32 vcc_lo, s[2:3], v[2:3]
	s_and_b32 exec_lo, exec_lo, vcc_lo
	s_cbranch_execz .LBB108_10
; %bb.7:
	v_mad_u64_u32 v[4:5], null, s24, v2, 0
	s_ashr_i32 s3, s24, 31
	v_cmp_neq_f32_e64 s1, s8, 0
	v_cmp_neq_f32_e64 s2, s9, 0
	v_mad_u64_u32 v[5:6], null, s3, v2, v[5:6]
	v_mov_b32_e32 v6, v3
	s_or_b32 s1, s1, s2
	s_andn2_b32 vcc_lo, exec_lo, s1
	v_lshlrev_b64 v[4:5], 3, v[4:5]
	s_cbranch_vccnz .LBB108_9
; %bb.8:
	v_add_co_u32 v2, vcc_lo, s20, v4
	v_add_co_ci_u32_e64 v3, null, s21, v5, vcc_lo
	global_load_dwordx2 v[2:3], v[2:3], off
	s_waitcnt vmcnt(0)
	v_mul_f32_e32 v7, s9, v3
	v_mul_f32_e32 v6, s8, v3
	v_fma_f32 v3, s8, v2, -v7
	v_fmac_f32_e32 v6, s9, v2
.LBB108_9:
	v_add_co_u32 v7, vcc_lo, s20, v4
	v_add_co_ci_u32_e64 v8, null, s21, v5, vcc_lo
	v_mov_b32_e32 v5, v3
	global_store_dwordx2 v[7:8], v[5:6], off
.LBB108_10:
	s_or_b32 exec_lo, exec_lo, s0
	s_mov_b32 s0, 0
.LBB108_11:
	s_andn2_b32 vcc_lo, exec_lo, s0
	s_cbranch_vccnz .LBB108_47
; %bb.12:
	s_clause 0x3
	s_load_dwordx4 s[0:3], s[4:5], 0x30
	s_load_dword s22, s[4:5], 0x28
	s_load_dwordx2 s[26:27], s[4:5], 0x40
	s_load_dword s4, s[4:5], 0x48
	s_mul_i32 s5, s17, s7
	s_mul_hi_u32 s17, s16, s7
	s_mul_i32 s16, s16, s7
	v_lshlrev_b32_e32 v56, 2, v1
	v_mov_b32_e32 v3, 0
	v_mov_b32_e32 v2, 0
	;; [unrolled: 1-line block ×8, first 2 shown]
	s_waitcnt lgkmcnt(0)
	s_mul_i32 s1, s1, s7
	s_mul_hi_u32 s23, s0, s7
	s_mul_i32 s0, s0, s7
	s_add_i32 s1, s23, s1
	s_lshl_b64 s[0:1], s[0:1], 3
	s_add_u32 s7, s12, s0
	s_addc_u32 s12, s13, s1
	s_lshl_b64 s[0:1], s[14:15], 3
	s_mov_b32 s15, exec_lo
	s_add_u32 s7, s7, s0
	s_addc_u32 s12, s12, s1
	s_add_i32 s17, s17, s5
	s_lshl_b64 s[0:1], s[16:17], 3
	s_add_u32 s2, s2, s0
	s_addc_u32 s3, s3, s1
	s_lshl_b64 s[0:1], s[26:27], 3
	s_add_u32 s13, s2, s0
	s_addc_u32 s14, s3, s1
	s_ashr_i32 s0, s19, 31
	s_lshl_b32 s5, s6, 7
	s_lshr_b32 s0, s0, 26
	v_add_nc_u32_e32 v55, s5, v0
	s_add_i32 s0, s19, s0
	s_and_b32 s6, s0, 0xffffffc0
	v_cmpx_gt_i32_e64 s6, v56
	s_cbranch_execz .LBB108_24
; %bb.13:
	v_mul_lo_u32 v3, s22, v56
	v_add_nc_u32_e32 v2, 32, v55
	v_add_nc_u32_e32 v4, 64, v55
	;; [unrolled: 1-line block ×3, first 2 shown]
	s_lshl_b32 s16, s22, 6
	s_lshl_b32 s23, s4, 6
	v_cmp_gt_i32_e64 s0, s18, v2
	v_add_nc_u32_e32 v2, 2, v56
	v_add3_u32 v57, v3, s22, v0
	v_mul_lo_u32 v3, v1, s22
	v_cmp_gt_i32_e64 s1, s18, v4
	v_add_nc_u32_e32 v4, 3, v56
	v_cmp_gt_i32_e64 s2, s18, v5
	v_mul_lo_u32 v5, v1, s4
	v_mad_u64_u32 v[10:11], null, s22, v2, v[0:1]
	v_mad_u64_u32 v[11:12], null, s22, v4, v[0:1]
	v_lshl_add_u32 v58, v3, 2, v0
	v_mov_b32_e32 v3, 0
	v_mad_u64_u32 v[12:13], null, s4, v56, s[4:5]
	v_mul_lo_u32 v59, s4, v2
	v_mul_lo_u32 v60, s4, v4
	v_lshlrev_b32_e32 v61, 2, v5
	v_mov_b32_e32 v2, v3
	v_mov_b32_e32 v5, v3
	;; [unrolled: 1-line block ×7, first 2 shown]
	s_mov_b32 s17, 0
	s_mov_b32 s25, 0
	v_cmp_gt_i32_e32 vcc_lo, s18, v55
	s_branch .LBB108_18
.LBB108_14:                             ;   in Loop: Header=BB108_18 Depth=1
	s_or_b32 exec_lo, exec_lo, s28
	s_waitcnt vmcnt(3)
	v_mul_f32_e32 v45, v26, v44
	v_mul_f32_e32 v44, v25, v44
	s_waitcnt vmcnt(2)
	v_mul_f32_e32 v46, v22, v42
	v_mul_f32_e32 v42, v21, v42
	s_waitcnt vmcnt(1)
	v_mul_f32_e32 v47, v16, v40
	v_fma_f32 v45, v25, v43, -v45
	v_fmac_f32_e32 v44, v26, v43
	v_mul_f32_e32 v40, v15, v40
	v_fma_f32 v46, v21, v41, -v46
	v_fmac_f32_e32 v42, v22, v41
	v_add_f32_e32 v4, v4, v45
	v_add_f32_e32 v5, v5, v44
	s_waitcnt vmcnt(0)
	v_mul_f32_e32 v43, v14, v38
	v_mul_f32_e32 v38, v13, v38
	v_fma_f32 v41, v15, v39, -v47
	v_add_f32_e32 v4, v46, v4
	v_fmac_f32_e32 v40, v16, v39
	v_add_f32_e32 v5, v42, v5
	v_fma_f32 v39, v13, v37, -v43
	v_fmac_f32_e32 v38, v14, v37
	v_add_f32_e32 v4, v41, v4
	v_add_f32_e32 v5, v40, v5
	;; [unrolled: 1-line block ×4, first 2 shown]
.LBB108_15:                             ;   in Loop: Header=BB108_18 Depth=1
	s_or_b32 exec_lo, exec_lo, s27
	s_waitcnt vmcnt(3)
	v_mul_f32_e32 v37, v26, v36
	v_mul_f32_e32 v36, v25, v36
	s_waitcnt vmcnt(2)
	v_mul_f32_e32 v38, v22, v34
	v_mul_f32_e32 v34, v21, v34
	s_waitcnt vmcnt(1)
	v_mul_f32_e32 v39, v16, v32
	v_fma_f32 v37, v25, v35, -v37
	v_fmac_f32_e32 v36, v26, v35
	v_mul_f32_e32 v32, v15, v32
	v_fma_f32 v38, v21, v33, -v38
	v_fmac_f32_e32 v34, v22, v33
	v_add_f32_e32 v6, v6, v37
	v_add_f32_e32 v7, v7, v36
	s_waitcnt vmcnt(0)
	v_mul_f32_e32 v35, v14, v30
	v_mul_f32_e32 v30, v13, v30
	v_fma_f32 v33, v15, v31, -v39
	v_add_f32_e32 v6, v38, v6
	v_fmac_f32_e32 v32, v16, v31
	v_add_f32_e32 v7, v34, v7
	v_fma_f32 v31, v13, v29, -v35
	v_fmac_f32_e32 v30, v14, v29
	v_add_f32_e32 v6, v33, v6
	v_add_f32_e32 v7, v32, v7
	;; [unrolled: 1-line block ×4, first 2 shown]
.LBB108_16:                             ;   in Loop: Header=BB108_18 Depth=1
	s_or_b32 exec_lo, exec_lo, s3
	s_waitcnt vmcnt(3)
	v_mul_f32_e32 v29, v26, v28
	v_mul_f32_e32 v28, v25, v28
	s_waitcnt vmcnt(2)
	v_mul_f32_e32 v30, v22, v24
	v_mul_f32_e32 v24, v21, v24
	s_waitcnt vmcnt(1)
	v_mul_f32_e32 v31, v16, v20
	v_fma_f32 v25, v25, v27, -v29
	v_fmac_f32_e32 v28, v26, v27
	v_mul_f32_e32 v20, v15, v20
	v_fma_f32 v21, v21, v23, -v30
	v_fmac_f32_e32 v24, v22, v23
	v_add_f32_e32 v8, v8, v25
	v_add_f32_e32 v9, v9, v28
	s_waitcnt vmcnt(0)
	v_mul_f32_e32 v26, v14, v18
	v_mul_f32_e32 v18, v13, v18
	v_fma_f32 v15, v15, v19, -v31
	v_add_f32_e32 v8, v21, v8
	v_fmac_f32_e32 v20, v16, v19
	v_add_f32_e32 v9, v24, v9
	v_fma_f32 v13, v13, v17, -v26
	v_fmac_f32_e32 v18, v14, v17
	v_add_f32_e32 v8, v15, v8
	v_add_f32_e32 v9, v20, v9
	;; [unrolled: 1-line block ×4, first 2 shown]
.LBB108_17:                             ;   in Loop: Header=BB108_18 Depth=1
	s_or_b32 exec_lo, exec_lo, s26
	v_add_nc_u32_e32 v56, 64, v56
	v_add_nc_u32_e32 v57, s16, v57
	;; [unrolled: 1-line block ×5, first 2 shown]
	v_cmp_le_i32_e64 s3, s6, v56
	s_add_i32 s25, s25, s23
	s_or_b32 s17, s3, s17
	s_andn2_b32 exec_lo, exec_lo, s17
	s_cbranch_execz .LBB108_23
.LBB108_18:                             ; =>This Inner Loop Header: Depth=1
	s_and_saveexec_b32 s26, vcc_lo
	s_cbranch_execz .LBB108_17
; %bb.19:                               ;   in Loop: Header=BB108_18 Depth=1
	v_add_nc_u32_e32 v13, s25, v61
	v_add_nc_u32_e32 v15, s25, v12
	;; [unrolled: 1-line block ×5, first 2 shown]
	v_ashrrev_i32_e32 v14, 31, v13
	v_ashrrev_i32_e32 v16, 31, v15
	;; [unrolled: 1-line block ×3, first 2 shown]
	v_add_nc_u32_e32 v23, s5, v57
	v_ashrrev_i32_e32 v20, 31, v19
	v_lshlrev_b64 v[13:14], 3, v[13:14]
	v_lshlrev_b64 v[15:16], 3, v[15:16]
	v_ashrrev_i32_e32 v22, 31, v21
	v_lshlrev_b64 v[17:18], 3, v[17:18]
	v_ashrrev_i32_e32 v24, 31, v23
	v_lshlrev_b64 v[19:20], 3, v[19:20]
	v_add_co_u32 v13, s3, s13, v13
	v_add_nc_u32_e32 v25, s5, v10
	v_add_co_ci_u32_e64 v14, null, s14, v14, s3
	v_add_co_u32 v15, s3, s13, v15
	v_lshlrev_b64 v[21:22], 3, v[21:22]
	v_add_nc_u32_e32 v27, s5, v11
	v_add_co_ci_u32_e64 v16, null, s14, v16, s3
	v_add_co_u32 v17, s3, s13, v17
	v_lshlrev_b64 v[23:24], 3, v[23:24]
	v_ashrrev_i32_e32 v26, 31, v25
	v_add_co_ci_u32_e64 v18, null, s14, v18, s3
	v_add_co_u32 v19, s3, s13, v19
	v_ashrrev_i32_e32 v28, 31, v27
	v_add_co_ci_u32_e64 v20, null, s14, v20, s3
	v_add_co_u32 v51, s3, s7, v21
	v_add_co_ci_u32_e64 v52, null, s12, v22, s3
	v_lshlrev_b64 v[21:22], 3, v[25:26]
	v_add_co_u32 v49, s3, s7, v23
	v_add_co_ci_u32_e64 v50, null, s12, v24, s3
	v_lshlrev_b64 v[23:24], 3, v[27:28]
	v_add_co_u32 v47, s3, s7, v21
	v_add_co_ci_u32_e64 v48, null, s12, v22, s3
	v_add_co_u32 v45, s3, s7, v23
	v_add_co_ci_u32_e64 v46, null, s12, v24, s3
	s_clause 0x3
	global_load_dwordx2 v[25:26], v[13:14], off
	global_load_dwordx2 v[21:22], v[15:16], off
	;; [unrolled: 1-line block ×4, first 2 shown]
	s_clause 0x3
	global_load_dwordx2 v[27:28], v[51:52], off
	global_load_dwordx2 v[23:24], v[49:50], off
	;; [unrolled: 1-line block ×4, first 2 shown]
	s_and_saveexec_b32 s3, s0
	s_cbranch_execz .LBB108_16
; %bb.20:                               ;   in Loop: Header=BB108_18 Depth=1
	s_clause 0x3
	global_load_dwordx2 v[35:36], v[51:52], off offset:256
	global_load_dwordx2 v[33:34], v[49:50], off offset:256
	global_load_dwordx2 v[31:32], v[47:48], off offset:256
	global_load_dwordx2 v[29:30], v[45:46], off offset:256
	s_and_saveexec_b32 s27, s1
	s_cbranch_execz .LBB108_15
; %bb.21:                               ;   in Loop: Header=BB108_18 Depth=1
	s_clause 0x3
	global_load_dwordx2 v[43:44], v[51:52], off offset:512
	global_load_dwordx2 v[41:42], v[49:50], off offset:512
	global_load_dwordx2 v[39:40], v[47:48], off offset:512
	global_load_dwordx2 v[37:38], v[45:46], off offset:512
	;; [unrolled: 8-line block ×3, first 2 shown]
	s_waitcnt vmcnt(3)
	v_mul_f32_e32 v62, v26, v52
	v_mul_f32_e32 v52, v25, v52
	s_waitcnt vmcnt(2)
	v_mul_f32_e32 v63, v22, v50
	v_mul_f32_e32 v50, v21, v50
	s_waitcnt vmcnt(1)
	v_mul_f32_e32 v64, v16, v48
	v_fma_f32 v62, v25, v51, -v62
	v_fmac_f32_e32 v52, v26, v51
	v_mul_f32_e32 v48, v15, v48
	v_fma_f32 v63, v21, v49, -v63
	v_fmac_f32_e32 v50, v22, v49
	v_add_f32_e32 v2, v2, v62
	v_add_f32_e32 v3, v3, v52
	s_waitcnt vmcnt(0)
	v_mul_f32_e32 v51, v14, v46
	v_mul_f32_e32 v46, v13, v46
	v_fma_f32 v49, v15, v47, -v64
	v_fmac_f32_e32 v48, v16, v47
	v_add_f32_e32 v2, v63, v2
	v_add_f32_e32 v3, v50, v3
	v_fma_f32 v47, v13, v45, -v51
	v_fmac_f32_e32 v46, v14, v45
	v_add_f32_e32 v2, v49, v2
	v_add_f32_e32 v3, v48, v3
	;; [unrolled: 1-line block ×4, first 2 shown]
	s_branch .LBB108_14
.LBB108_23:
	s_or_b32 exec_lo, exec_lo, s17
.LBB108_24:
	s_or_b32 exec_lo, exec_lo, s15
	s_sub_i32 s0, s19, s6
	s_cmp_lt_i32 s0, 1
	s_cbranch_scc1 .LBB108_42
; %bb.25:
	v_cmp_gt_i32_e32 vcc_lo, s19, v56
	v_mov_b32_e32 v10, 0
	v_or_b32_e32 v18, 1, v56
	v_mov_b32_e32 v11, 0
	v_mov_b32_e32 v12, 0
	;; [unrolled: 1-line block ×7, first 2 shown]
	s_and_saveexec_b32 s1, vcc_lo
	s_cbranch_execz .LBB108_33
; %bb.26:
	v_mul_lo_u32 v10, v56, s4
	v_mov_b32_e32 v17, 0
	v_mov_b32_e32 v16, 0
	;; [unrolled: 1-line block ×6, first 2 shown]
	s_mov_b32 s2, exec_lo
	v_ashrrev_i32_e32 v11, 31, v10
	v_lshlrev_b64 v[10:11], 3, v[10:11]
	v_add_co_u32 v10, s0, s13, v10
	v_add_co_ci_u32_e64 v11, null, s14, v11, s0
	global_load_dwordx2 v[10:11], v[10:11], off
	v_cmpx_gt_i32_e64 s19, v18
	s_cbranch_execz .LBB108_32
; %bb.27:
	v_mul_lo_u32 v12, v18, s4
	v_or_b32_e32 v19, 2, v56
	v_mov_b32_e32 v17, 0
	v_mov_b32_e32 v16, 0
	;; [unrolled: 1-line block ×4, first 2 shown]
	s_mov_b32 s3, exec_lo
	v_ashrrev_i32_e32 v13, 31, v12
	v_lshlrev_b64 v[12:13], 3, v[12:13]
	v_add_co_u32 v12, s0, s13, v12
	v_add_co_ci_u32_e64 v13, null, s14, v13, s0
	global_load_dwordx2 v[12:13], v[12:13], off
	v_cmpx_gt_i32_e64 s19, v19
	s_cbranch_execz .LBB108_31
; %bb.28:
	v_mul_lo_u32 v14, v19, s4
	v_or_b32_e32 v19, 3, v56
	v_mov_b32_e32 v17, 0
	v_mov_b32_e32 v16, 0
	s_mov_b32 s6, exec_lo
	v_ashrrev_i32_e32 v15, 31, v14
	v_lshlrev_b64 v[14:15], 3, v[14:15]
	v_add_co_u32 v14, s0, s13, v14
	v_add_co_ci_u32_e64 v15, null, s14, v15, s0
	global_load_dwordx2 v[14:15], v[14:15], off
	v_cmpx_gt_i32_e64 s19, v19
	s_cbranch_execz .LBB108_30
; %bb.29:
	v_mul_lo_u32 v16, v19, s4
	v_ashrrev_i32_e32 v17, 31, v16
	v_lshlrev_b64 v[16:17], 3, v[16:17]
	v_add_co_u32 v16, s0, s13, v16
	v_add_co_ci_u32_e64 v17, null, s14, v17, s0
	global_load_dwordx2 v[16:17], v[16:17], off
.LBB108_30:
	s_or_b32 exec_lo, exec_lo, s6
.LBB108_31:
	s_or_b32 exec_lo, exec_lo, s3
.LBB108_32:
	s_or_b32 exec_lo, exec_lo, s2
.LBB108_33:
	s_or_b32 exec_lo, exec_lo, s1
	s_mov_b32 s1, exec_lo
	v_cmpx_gt_i32_e64 s18, v55
	s_cbranch_execz .LBB108_41
; %bb.34:
	v_mul_lo_u32 v19, v56, s22
	v_mul_lo_u32 v20, v18, s22
	v_or_b32_e32 v21, 2, v56
	v_or_b32_e32 v22, 3, v56
	s_mov_b32 s0, exec_lo
	v_mul_lo_u32 v23, v21, s22
	v_cndmask_b32_e32 v19, 0, v19, vcc_lo
	v_cmp_gt_i32_e32 vcc_lo, s19, v18
	v_mul_lo_u32 v24, v22, s22
	v_add_nc_u32_e32 v18, v19, v55
	v_cndmask_b32_e32 v20, 0, v20, vcc_lo
	v_cmp_gt_i32_e32 vcc_lo, s19, v21
	v_ashrrev_i32_e32 v19, 31, v18
	v_add_nc_u32_e32 v20, v20, v55
	v_cndmask_b32_e32 v23, 0, v23, vcc_lo
	v_cmp_gt_i32_e32 vcc_lo, s19, v22
	v_lshlrev_b64 v[18:19], 3, v[18:19]
	v_ashrrev_i32_e32 v21, 31, v20
	v_add_nc_u32_e32 v22, v23, v55
	v_cndmask_b32_e32 v24, 0, v24, vcc_lo
	v_lshlrev_b64 v[20:21], 3, v[20:21]
	v_ashrrev_i32_e32 v23, 31, v22
	v_add_nc_u32_e32 v26, v24, v55
	v_add_co_u32 v24, vcc_lo, s7, v18
	v_add_co_ci_u32_e64 v25, null, s12, v19, vcc_lo
	v_ashrrev_i32_e32 v27, 31, v26
	v_add_co_u32 v20, vcc_lo, s7, v20
	v_add_co_ci_u32_e64 v21, null, s12, v21, vcc_lo
	v_lshlrev_b64 v[18:19], 3, v[22:23]
	v_lshlrev_b64 v[26:27], 3, v[26:27]
	s_clause 0x1
	global_load_dwordx2 v[28:29], v[24:25], off
	global_load_dwordx2 v[30:31], v[20:21], off
	v_add_co_u32 v22, vcc_lo, s7, v18
	v_add_co_ci_u32_e64 v23, null, s12, v19, vcc_lo
	v_add_co_u32 v18, vcc_lo, s7, v26
	v_add_co_ci_u32_e64 v19, null, s12, v27, vcc_lo
	s_clause 0x1
	global_load_dwordx2 v[26:27], v[22:23], off
	global_load_dwordx2 v[32:33], v[18:19], off
	s_waitcnt vmcnt(3)
	v_mul_f32_e32 v34, v11, v29
	v_mul_f32_e32 v29, v10, v29
	s_waitcnt vmcnt(2)
	v_mul_f32_e32 v35, v13, v31
	v_mul_f32_e32 v31, v12, v31
	v_fma_f32 v34, v10, v28, -v34
	v_fmac_f32_e32 v29, v11, v28
	v_fma_f32 v28, v12, v30, -v35
	v_fmac_f32_e32 v31, v13, v30
	v_add_f32_e32 v8, v8, v34
	v_add_f32_e32 v29, v9, v29
	s_waitcnt vmcnt(1)
	v_mul_f32_e32 v30, v15, v27
	v_mul_f32_e32 v27, v14, v27
	s_waitcnt vmcnt(0)
	v_mul_f32_e32 v35, v17, v33
	v_mul_f32_e32 v9, v16, v33
	v_fma_f32 v30, v14, v26, -v30
	v_fmac_f32_e32 v27, v15, v26
	v_add_f32_e32 v26, v28, v8
	v_add_f32_e32 v28, v31, v29
	v_add_nc_u32_e32 v29, 32, v55
	v_fma_f32 v8, v16, v32, -v35
	v_fmac_f32_e32 v9, v17, v32
	v_add_f32_e32 v26, v30, v26
	v_add_f32_e32 v27, v27, v28
	v_cmpx_gt_i32_e64 s18, v29
	s_cbranch_execz .LBB108_40
; %bb.35:
	s_clause 0x3
	global_load_dwordx2 v[28:29], v[24:25], off offset:256
	global_load_dwordx2 v[30:31], v[20:21], off offset:256
	;; [unrolled: 1-line block ×4, first 2 shown]
	s_mov_b32 s2, exec_lo
	s_waitcnt vmcnt(3)
	v_mul_f32_e32 v36, v11, v29
	v_mul_f32_e32 v29, v10, v29
	s_waitcnt vmcnt(2)
	v_mul_f32_e32 v37, v13, v31
	v_mul_f32_e32 v31, v12, v31
	s_waitcnt vmcnt(1)
	v_mul_f32_e32 v38, v15, v33
	v_fma_f32 v36, v10, v28, -v36
	v_fmac_f32_e32 v29, v11, v28
	v_mul_f32_e32 v33, v14, v33
	v_fma_f32 v37, v12, v30, -v37
	v_fmac_f32_e32 v31, v13, v30
	v_add_f32_e32 v6, v6, v36
	v_add_f32_e32 v29, v7, v29
	s_waitcnt vmcnt(0)
	v_mul_f32_e32 v28, v17, v35
	v_mul_f32_e32 v7, v16, v35
	v_fma_f32 v30, v14, v32, -v38
	v_fmac_f32_e32 v33, v15, v32
	v_add_f32_e32 v32, v37, v6
	v_add_f32_e32 v29, v31, v29
	v_add_nc_u32_e32 v31, 64, v55
	v_fma_f32 v6, v16, v34, -v28
	v_fmac_f32_e32 v7, v17, v34
	v_add_f32_e32 v28, v30, v32
	v_add_f32_e32 v29, v33, v29
	v_cmpx_gt_i32_e64 s18, v31
	s_cbranch_execz .LBB108_39
; %bb.36:
	s_clause 0x3
	global_load_dwordx2 v[30:31], v[24:25], off offset:512
	global_load_dwordx2 v[32:33], v[20:21], off offset:512
	;; [unrolled: 1-line block ×4, first 2 shown]
	s_mov_b32 s3, exec_lo
	s_waitcnt vmcnt(3)
	v_mul_f32_e32 v38, v11, v31
	v_mul_f32_e32 v31, v10, v31
	s_waitcnt vmcnt(2)
	v_mul_f32_e32 v39, v13, v33
	v_mul_f32_e32 v33, v12, v33
	s_waitcnt vmcnt(1)
	v_mul_f32_e32 v40, v15, v35
	v_fma_f32 v38, v10, v30, -v38
	v_fmac_f32_e32 v31, v11, v30
	v_mul_f32_e32 v35, v14, v35
	v_fma_f32 v39, v12, v32, -v39
	v_fmac_f32_e32 v33, v13, v32
	v_add_f32_e32 v4, v4, v38
	v_add_f32_e32 v31, v5, v31
	s_waitcnt vmcnt(0)
	v_mul_f32_e32 v30, v17, v37
	v_mul_f32_e32 v5, v16, v37
	v_fma_f32 v32, v14, v34, -v40
	v_fmac_f32_e32 v35, v15, v34
	v_add_f32_e32 v34, v39, v4
	v_add_f32_e32 v31, v33, v31
	v_add_nc_u32_e32 v33, 0x60, v55
	v_fma_f32 v4, v16, v36, -v30
	v_fmac_f32_e32 v5, v17, v36
	v_add_f32_e32 v30, v32, v34
	v_add_f32_e32 v31, v35, v31
	v_cmpx_gt_i32_e64 s18, v33
	s_cbranch_execz .LBB108_38
; %bb.37:
	s_clause 0x3
	global_load_dwordx2 v[24:25], v[24:25], off offset:768
	global_load_dwordx2 v[20:21], v[20:21], off offset:768
	;; [unrolled: 1-line block ×4, first 2 shown]
	s_waitcnt vmcnt(3)
	v_mul_f32_e32 v32, v11, v25
	v_mul_f32_e32 v25, v10, v25
	s_waitcnt vmcnt(2)
	v_mul_f32_e32 v33, v13, v21
	v_mul_f32_e32 v21, v12, v21
	s_waitcnt vmcnt(1)
	v_mul_f32_e32 v34, v15, v23
	v_fma_f32 v10, v10, v24, -v32
	v_fmac_f32_e32 v25, v11, v24
	v_mul_f32_e32 v23, v14, v23
	v_fma_f32 v12, v12, v20, -v33
	v_fmac_f32_e32 v21, v13, v20
	v_add_f32_e32 v2, v2, v10
	v_add_f32_e32 v3, v3, v25
	s_waitcnt vmcnt(0)
	v_mul_f32_e32 v11, v17, v19
	v_mul_f32_e32 v10, v16, v19
	v_fma_f32 v13, v14, v22, -v34
	v_fmac_f32_e32 v23, v15, v22
	v_add_f32_e32 v2, v12, v2
	v_add_f32_e32 v3, v21, v3
	v_fma_f32 v11, v16, v18, -v11
	v_fmac_f32_e32 v10, v17, v18
	v_add_f32_e32 v2, v13, v2
	v_add_f32_e32 v3, v23, v3
	;; [unrolled: 1-line block ×4, first 2 shown]
.LBB108_38:
	s_or_b32 exec_lo, exec_lo, s3
	v_add_f32_e32 v4, v4, v30
	v_add_f32_e32 v5, v5, v31
.LBB108_39:
	s_or_b32 exec_lo, exec_lo, s2
	v_add_f32_e32 v6, v6, v28
	v_add_f32_e32 v7, v7, v29
.LBB108_40:
	s_or_b32 exec_lo, exec_lo, s0
	v_add_f32_e32 v8, v8, v26
	v_add_f32_e32 v9, v9, v27
.LBB108_41:
	s_or_b32 exec_lo, exec_lo, s1
.LBB108_42:
	v_lshlrev_b32_e32 v0, 3, v0
	s_mov_b32 s0, exec_lo
	v_lshl_add_u32 v1, v1, 10, v0
	ds_write2_b64 v1, v[8:9], v[6:7] offset1:32
	ds_write2_b64 v1, v[4:5], v[2:3] offset0:64 offset1:96
	s_waitcnt vmcnt(0) lgkmcnt(0)
	s_waitcnt_vscnt null, 0x0
	s_barrier
	buffer_gl0_inv
	v_cmpx_gt_u32_e32 0x80, v53
	s_cbranch_execz .LBB108_47
; %bb.43:
	v_lshl_add_u32 v12, v54, 3, v0
	ds_read2st64_b64 v[0:3], v12 offset1:2
	ds_read2st64_b64 v[4:7], v12 offset0:4 offset1:6
	ds_read2st64_b64 v[8:11], v12 offset0:8 offset1:10
	s_waitcnt lgkmcnt(2)
	v_add_f32_e32 v13, v0, v2
	v_add_f32_e32 v14, v1, v3
	ds_read2st64_b64 v[0:3], v12 offset0:12 offset1:14
	s_waitcnt lgkmcnt(2)
	v_add_f32_e32 v4, v13, v4
	v_add_f32_e32 v5, v14, v5
	v_add_f32_e32 v13, v4, v6
	v_add_f32_e32 v14, v5, v7
	ds_read2st64_b64 v[4:7], v12 offset0:16 offset1:18
	s_waitcnt lgkmcnt(2)
	v_add_f32_e32 v8, v13, v8
	v_add_f32_e32 v9, v14, v9
	;; [unrolled: 6-line block ×5, first 2 shown]
	v_add_f32_e32 v8, v8, v10
	v_add_f32_e32 v9, v9, v11
	s_waitcnt lgkmcnt(1)
	v_add_f32_e32 v0, v8, v0
	v_add_f32_e32 v1, v9, v1
	;; [unrolled: 1-line block ×4, first 2 shown]
	s_waitcnt lgkmcnt(0)
	v_add_f32_e32 v2, v0, v4
	v_add_f32_e32 v1, v1, v5
	v_or_b32_e32 v0, s5, v53
	v_add_f32_e32 v2, v2, v6
	v_add_f32_e32 v3, v1, v7
	v_cmp_gt_i32_e32 vcc_lo, s18, v0
	ds_write_b64 v12, v[2:3]
	s_and_b32 exec_lo, exec_lo, vcc_lo
	s_cbranch_execz .LBB108_47
; %bb.44:
	v_mul_lo_u32 v4, s24, v0
	v_mul_f32_e32 v0, s11, v3
	v_mul_f32_e32 v1, s10, v3
	v_cmp_neq_f32_e64 s0, s8, 0
	v_cmp_neq_f32_e64 s1, s9, 0
	v_fma_f32 v0, v2, s10, -v0
	v_fmac_f32_e32 v1, s11, v2
	v_ashrrev_i32_e32 v5, 31, v4
	s_or_b32 s0, s0, s1
	s_andn2_b32 vcc_lo, exec_lo, s0
	v_lshlrev_b64 v[3:4], 3, v[4:5]
	s_cbranch_vccnz .LBB108_46
; %bb.45:
	v_add_co_u32 v5, vcc_lo, s20, v3
	v_add_co_ci_u32_e64 v6, null, s21, v4, vcc_lo
	global_load_dwordx2 v[5:6], v[5:6], off
	s_waitcnt vmcnt(0)
	v_mul_f32_e32 v2, s9, v6
	v_mul_f32_e32 v6, s8, v6
	v_fma_f32 v2, s8, v5, -v2
	v_fmac_f32_e32 v6, s9, v5
	v_add_f32_e32 v0, v0, v2
	v_add_f32_e32 v1, v1, v6
.LBB108_46:
	v_add_co_u32 v2, vcc_lo, s20, v3
	v_add_co_ci_u32_e64 v3, null, s21, v4, vcc_lo
	global_store_dwordx2 v[2:3], v[0:1], off
.LBB108_47:
	s_endpgm
	.section	.rodata,"a",@progbits
	.p2align	6, 0x0
	.amdhsa_kernel _ZL20rocblas_gemvn_kernelILi32ELi16Ei19rocblas_complex_numIfEPKS1_S1_EviiT3_lPKT2_lT1_lS7_lS8_lS4_lPT4_lS8_li
		.amdhsa_group_segment_fixed_size 16384
		.amdhsa_private_segment_fixed_size 0
		.amdhsa_kernarg_size 400
		.amdhsa_user_sgpr_count 6
		.amdhsa_user_sgpr_private_segment_buffer 1
		.amdhsa_user_sgpr_dispatch_ptr 0
		.amdhsa_user_sgpr_queue_ptr 0
		.amdhsa_user_sgpr_kernarg_segment_ptr 1
		.amdhsa_user_sgpr_dispatch_id 0
		.amdhsa_user_sgpr_flat_scratch_init 0
		.amdhsa_user_sgpr_private_segment_size 0
		.amdhsa_wavefront_size32 1
		.amdhsa_uses_dynamic_stack 0
		.amdhsa_system_sgpr_private_segment_wavefront_offset 0
		.amdhsa_system_sgpr_workgroup_id_x 1
		.amdhsa_system_sgpr_workgroup_id_y 0
		.amdhsa_system_sgpr_workgroup_id_z 1
		.amdhsa_system_sgpr_workgroup_info 0
		.amdhsa_system_vgpr_workitem_id 1
		.amdhsa_next_free_vgpr 65
		.amdhsa_next_free_sgpr 29
		.amdhsa_reserve_vcc 1
		.amdhsa_reserve_flat_scratch 0
		.amdhsa_float_round_mode_32 0
		.amdhsa_float_round_mode_16_64 0
		.amdhsa_float_denorm_mode_32 3
		.amdhsa_float_denorm_mode_16_64 3
		.amdhsa_dx10_clamp 1
		.amdhsa_ieee_mode 1
		.amdhsa_fp16_overflow 0
		.amdhsa_workgroup_processor_mode 1
		.amdhsa_memory_ordered 1
		.amdhsa_forward_progress 1
		.amdhsa_shared_vgpr_count 0
		.amdhsa_exception_fp_ieee_invalid_op 0
		.amdhsa_exception_fp_denorm_src 0
		.amdhsa_exception_fp_ieee_div_zero 0
		.amdhsa_exception_fp_ieee_overflow 0
		.amdhsa_exception_fp_ieee_underflow 0
		.amdhsa_exception_fp_ieee_inexact 0
		.amdhsa_exception_int_div_zero 0
	.end_amdhsa_kernel
	.section	.text._ZL20rocblas_gemvn_kernelILi32ELi16Ei19rocblas_complex_numIfEPKS1_S1_EviiT3_lPKT2_lT1_lS7_lS8_lS4_lPT4_lS8_li,"axG",@progbits,_ZL20rocblas_gemvn_kernelILi32ELi16Ei19rocblas_complex_numIfEPKS1_S1_EviiT3_lPKT2_lT1_lS7_lS8_lS4_lPT4_lS8_li,comdat
.Lfunc_end108:
	.size	_ZL20rocblas_gemvn_kernelILi32ELi16Ei19rocblas_complex_numIfEPKS1_S1_EviiT3_lPKT2_lT1_lS7_lS8_lS4_lPT4_lS8_li, .Lfunc_end108-_ZL20rocblas_gemvn_kernelILi32ELi16Ei19rocblas_complex_numIfEPKS1_S1_EviiT3_lPKT2_lT1_lS7_lS8_lS4_lPT4_lS8_li
                                        ; -- End function
	.set _ZL20rocblas_gemvn_kernelILi32ELi16Ei19rocblas_complex_numIfEPKS1_S1_EviiT3_lPKT2_lT1_lS7_lS8_lS4_lPT4_lS8_li.num_vgpr, 65
	.set _ZL20rocblas_gemvn_kernelILi32ELi16Ei19rocblas_complex_numIfEPKS1_S1_EviiT3_lPKT2_lT1_lS7_lS8_lS4_lPT4_lS8_li.num_agpr, 0
	.set _ZL20rocblas_gemvn_kernelILi32ELi16Ei19rocblas_complex_numIfEPKS1_S1_EviiT3_lPKT2_lT1_lS7_lS8_lS4_lPT4_lS8_li.numbered_sgpr, 29
	.set _ZL20rocblas_gemvn_kernelILi32ELi16Ei19rocblas_complex_numIfEPKS1_S1_EviiT3_lPKT2_lT1_lS7_lS8_lS4_lPT4_lS8_li.num_named_barrier, 0
	.set _ZL20rocblas_gemvn_kernelILi32ELi16Ei19rocblas_complex_numIfEPKS1_S1_EviiT3_lPKT2_lT1_lS7_lS8_lS4_lPT4_lS8_li.private_seg_size, 0
	.set _ZL20rocblas_gemvn_kernelILi32ELi16Ei19rocblas_complex_numIfEPKS1_S1_EviiT3_lPKT2_lT1_lS7_lS8_lS4_lPT4_lS8_li.uses_vcc, 1
	.set _ZL20rocblas_gemvn_kernelILi32ELi16Ei19rocblas_complex_numIfEPKS1_S1_EviiT3_lPKT2_lT1_lS7_lS8_lS4_lPT4_lS8_li.uses_flat_scratch, 0
	.set _ZL20rocblas_gemvn_kernelILi32ELi16Ei19rocblas_complex_numIfEPKS1_S1_EviiT3_lPKT2_lT1_lS7_lS8_lS4_lPT4_lS8_li.has_dyn_sized_stack, 0
	.set _ZL20rocblas_gemvn_kernelILi32ELi16Ei19rocblas_complex_numIfEPKS1_S1_EviiT3_lPKT2_lT1_lS7_lS8_lS4_lPT4_lS8_li.has_recursion, 0
	.set _ZL20rocblas_gemvn_kernelILi32ELi16Ei19rocblas_complex_numIfEPKS1_S1_EviiT3_lPKT2_lT1_lS7_lS8_lS4_lPT4_lS8_li.has_indirect_call, 0
	.section	.AMDGPU.csdata,"",@progbits
; Kernel info:
; codeLenInByte = 3728
; TotalNumSgprs: 31
; NumVgprs: 65
; ScratchSize: 0
; MemoryBound: 0
; FloatMode: 240
; IeeeMode: 1
; LDSByteSize: 16384 bytes/workgroup (compile time only)
; SGPRBlocks: 0
; VGPRBlocks: 8
; NumSGPRsForWavesPerEU: 31
; NumVGPRsForWavesPerEU: 65
; Occupancy: 12
; WaveLimiterHint : 1
; COMPUTE_PGM_RSRC2:SCRATCH_EN: 0
; COMPUTE_PGM_RSRC2:USER_SGPR: 6
; COMPUTE_PGM_RSRC2:TRAP_HANDLER: 0
; COMPUTE_PGM_RSRC2:TGID_X_EN: 1
; COMPUTE_PGM_RSRC2:TGID_Y_EN: 0
; COMPUTE_PGM_RSRC2:TGID_Z_EN: 1
; COMPUTE_PGM_RSRC2:TIDIG_COMP_CNT: 1
	.section	.text._ZL20rocblas_gemvn_kernelILi32ELi16El19rocblas_complex_numIfEPKS1_S1_EviiT3_lPKT2_lT1_lS7_lS8_lS4_lPT4_lS8_li,"axG",@progbits,_ZL20rocblas_gemvn_kernelILi32ELi16El19rocblas_complex_numIfEPKS1_S1_EviiT3_lPKT2_lT1_lS7_lS8_lS4_lPT4_lS8_li,comdat
	.globl	_ZL20rocblas_gemvn_kernelILi32ELi16El19rocblas_complex_numIfEPKS1_S1_EviiT3_lPKT2_lT1_lS7_lS8_lS4_lPT4_lS8_li ; -- Begin function _ZL20rocblas_gemvn_kernelILi32ELi16El19rocblas_complex_numIfEPKS1_S1_EviiT3_lPKT2_lT1_lS7_lS8_lS4_lPT4_lS8_li
	.p2align	8
	.type	_ZL20rocblas_gemvn_kernelILi32ELi16El19rocblas_complex_numIfEPKS1_S1_EviiT3_lPKT2_lT1_lS7_lS8_lS4_lPT4_lS8_li,@function
_ZL20rocblas_gemvn_kernelILi32ELi16El19rocblas_complex_numIfEPKS1_S1_EviiT3_lPKT2_lT1_lS7_lS8_lS4_lPT4_lS8_li: ; @_ZL20rocblas_gemvn_kernelILi32ELi16El19rocblas_complex_numIfEPKS1_S1_EviiT3_lPKT2_lT1_lS7_lS8_lS4_lPT4_lS8_li
; %bb.0:
	s_load_dwordx2 s[0:1], s[4:5], 0x9c
	s_waitcnt lgkmcnt(0)
	s_lshr_b32 s2, s0, 16
	s_and_b32 s0, s0, 0xffff
	s_and_b32 s1, s1, 0xffff
	s_mul_i32 s0, s2, s0
	s_mul_i32 s0, s0, s1
	s_cmpk_lg_i32 s0, 0x200
	s_cbranch_scc1 .LBB109_47
; %bb.1:
	s_clause 0x1
	s_load_dwordx16 s[36:51], s[4:5], 0x8
	s_load_dwordx16 s[8:23], s[4:5], 0x48
	s_waitcnt lgkmcnt(0)
	s_mul_i32 s1, s39, s7
	s_mul_hi_u32 s2, s38, s7
	s_mul_i32 s0, s38, s7
	s_add_i32 s1, s2, s1
	s_mul_hi_u32 s2, s14, s7
	s_lshl_b64 s[0:1], s[0:1], 3
	s_add_u32 s0, s36, s0
	s_addc_u32 s1, s37, s1
	s_load_dwordx2 s[24:25], s[0:1], 0x0
	s_mul_i32 s1, s15, s7
	s_mul_i32 s0, s14, s7
	s_add_i32 s1, s2, s1
	s_lshl_b64 s[0:1], s[0:1], 3
	s_add_u32 s0, s12, s0
	s_addc_u32 s1, s13, s1
	s_load_dwordx2 s[12:13], s[0:1], 0x0
	s_waitcnt lgkmcnt(0)
	v_cmp_neq_f32_e64 s0, s24, 0
	v_cmp_neq_f32_e64 s1, s25, 0
	s_or_b32 s0, s0, s1
	s_and_b32 vcc_lo, exec_lo, s0
	s_mov_b32 s0, -1
	s_cbranch_vccnz .LBB109_3
; %bb.2:
	v_cmp_neq_f32_e64 s0, s12, 1.0
	v_cmp_neq_f32_e64 s1, s13, 0
	s_or_b32 s0, s0, s1
.LBB109_3:
	s_andn2_b32 vcc_lo, exec_lo, s0
	s_cbranch_vccnz .LBB109_47
; %bb.4:
	s_load_dwordx2 s[14:15], s[4:5], 0x0
	s_mul_i32 s0, s23, s7
	s_mul_hi_u32 s1, s22, s7
	v_lshlrev_b32_e32 v57, 5, v1
	s_add_i32 s1, s1, s0
	s_mul_i32 s0, s22, s7
	s_lshl_b64 s[0:1], s[0:1], 3
	v_add_nc_u32_e32 v56, v57, v0
	s_add_u32 s2, s16, s0
	s_addc_u32 s3, s17, s1
	s_lshl_b64 s[0:1], s[18:19], 3
	s_add_u32 s5, s2, s0
	s_addc_u32 s26, s3, s1
	s_or_b32 s0, s24, s25
	v_cmp_gt_u32_e32 vcc_lo, 0x80, v56
	s_bitset0_b32 s0, 31
	s_cmp_lg_u32 s0, 0
	s_mov_b32 s0, -1
	s_cbranch_scc1 .LBB109_11
; %bb.5:
	s_and_saveexec_b32 s0, vcc_lo
	s_cbranch_execz .LBB109_10
; %bb.6:
	v_lshl_or_b32 v2, s6, 7, v56
	v_mov_b32_e32 v3, 0
	s_waitcnt lgkmcnt(0)
	s_ashr_i32 s3, s14, 31
	s_mov_b32 s2, s14
	v_cmp_gt_i64_e32 vcc_lo, s[2:3], v[2:3]
	s_and_b32 exec_lo, exec_lo, vcc_lo
	s_cbranch_execz .LBB109_10
; %bb.7:
	v_mad_u64_u32 v[4:5], null, s20, v2, 0
	v_cmp_neq_f32_e64 s1, s12, 0
	v_cmp_neq_f32_e64 s2, s13, 0
	s_or_b32 s1, s1, s2
	v_mad_u64_u32 v[5:6], null, s21, v2, v[5:6]
	v_mov_b32_e32 v6, v3
	s_andn2_b32 vcc_lo, exec_lo, s1
	v_lshlrev_b64 v[4:5], 3, v[4:5]
	s_cbranch_vccnz .LBB109_9
; %bb.8:
	v_add_co_u32 v2, vcc_lo, s5, v4
	v_add_co_ci_u32_e64 v3, null, s26, v5, vcc_lo
	global_load_dwordx2 v[2:3], v[2:3], off
	s_waitcnt vmcnt(0)
	v_mul_f32_e32 v7, s13, v3
	v_mul_f32_e32 v6, s12, v3
	v_fma_f32 v3, s12, v2, -v7
	v_fmac_f32_e32 v6, s13, v2
.LBB109_9:
	v_add_co_u32 v7, vcc_lo, s5, v4
	v_add_co_ci_u32_e64 v8, null, s26, v5, vcc_lo
	v_mov_b32_e32 v5, v3
	global_store_dwordx2 v[7:8], v[5:6], off
.LBB109_10:
	s_or_b32 exec_lo, exec_lo, s0
	s_mov_b32 s0, 0
.LBB109_11:
	s_andn2_b32 vcc_lo, exec_lo, s0
	s_cbranch_vccnz .LBB109_47
; %bb.12:
	s_mul_i32 s0, s47, s7
	s_mul_hi_u32 s1, s46, s7
	s_lshl_b32 s27, s6, 7
	s_add_i32 s17, s1, s0
	s_waitcnt lgkmcnt(0)
	s_ashr_i32 s1, s15, 31
	v_lshlrev_b32_e32 v58, 2, v1
	s_lshr_b32 s1, s1, 26
	v_add_nc_u32_e32 v4, s27, v0
	v_mov_b32_e32 v3, 0
	v_mov_b32_e32 v2, 0
	;; [unrolled: 1-line block ×8, first 2 shown]
	s_mul_i32 s0, s11, s7
	s_mul_hi_u32 s2, s10, s7
	s_add_i32 s28, s15, s1
	s_mul_i32 s16, s46, s7
	s_andn2_b32 s28, s28, 63
	s_add_i32 s11, s2, s0
	s_mul_i32 s10, s10, s7
	s_mov_b32 s29, exec_lo
	v_cmpx_gt_i32_e64 s28, v58
	s_cbranch_execz .LBB109_24
; %bb.13:
	v_mad_u64_u32 v[2:3], null, s8, v1, 0
	v_lshlrev_b32_e32 v18, 2, v1
	s_lshl_b64 s[0:1], s[50:51], 3
	v_add_nc_u32_e32 v9, 32, v4
	v_add_nc_u32_e32 v12, 0x60, v4
	s_lshl_b64 s[2:3], s[10:11], 3
	v_or_b32_e32 v11, 3, v18
	v_mad_u64_u32 v[6:7], null, s9, v1, v[3:4]
	s_add_u32 s0, s48, s0
	s_addc_u32 s4, s49, s1
	v_mad_u64_u32 v[7:8], null, s44, v11, 0
	s_add_u32 s6, s0, s2
	v_add_nc_u32_e32 v10, 64, v4
	v_mov_b32_e32 v3, v6
	v_cmp_gt_i32_e64 s0, s14, v9
	v_cmp_gt_i32_e64 s2, s14, v12
	s_addc_u32 s4, s4, s3
	v_mov_b32_e32 v6, v8
	v_lshlrev_b64 v[2:3], 5, v[2:3]
	v_ashrrev_i32_e32 v5, 31, v4
	v_cmp_gt_i32_e64 s1, s14, v10
	s_lshl_b64 s[18:19], s[42:43], 3
	v_mad_u64_u32 v[8:9], null, s45, v11, v[6:7]
	v_add_co_u32 v12, s3, s6, v2
	v_or_b32_e32 v11, 2, v18
	v_add_co_ci_u32_e64 v13, null, s4, v3, s3
	v_mad_u64_u32 v[2:3], null, s44, v1, 0
	v_mad_u64_u32 v[9:10], null, s44, v11, 0
	v_lshlrev_b64 v[14:15], 3, v[4:5]
	v_lshlrev_b64 v[5:6], 3, v[7:8]
	v_mad_u64_u32 v[7:8], null, s44, v18, s[44:45]
	v_mad_u64_u32 v[16:17], null, s45, v1, v[3:4]
	v_mov_b32_e32 v3, v10
	s_lshl_b64 s[6:7], s[8:9], 9
	s_lshl_b64 s[22:23], s[16:17], 3
	s_add_u32 s3, s40, s18
	s_addc_u32 s4, s41, s19
	v_mad_u64_u32 v[10:11], null, s45, v11, v[3:4]
	v_mov_b32_e32 v3, v16
	v_mad_u64_u32 v[16:17], null, s45, v18, v[8:9]
	s_add_u32 s18, s3, s22
	s_addc_u32 s4, s4, s23
	v_lshlrev_b64 v[2:3], 5, v[2:3]
	v_add_co_u32 v5, s3, s18, v5
	v_lshlrev_b64 v[9:10], 3, v[9:10]
	v_mov_b32_e32 v8, v16
	v_add_co_ci_u32_e64 v59, null, s4, v6, s3
	v_add_co_u32 v60, s3, s18, v2
	v_lshlrev_b64 v[6:7], 3, v[7:8]
	v_add_co_ci_u32_e64 v61, null, s4, v3, s3
	v_mov_b32_e32 v3, 0
	v_add_co_u32 v62, s3, s18, v9
	v_add_co_ci_u32_e64 v63, null, s4, v10, s3
	v_add_co_u32 v64, s3, s18, v6
	v_add_co_ci_u32_e64 v65, null, s4, v7, s3
	v_mov_b32_e32 v2, v3
	v_mov_b32_e32 v7, v3
	;; [unrolled: 1-line block ×7, first 2 shown]
	s_lshl_b64 s[18:19], s[44:45], 9
	s_lshl_b64 s[22:23], s[8:9], 3
	s_mov_b32 s30, 0
	v_cmp_gt_i32_e32 vcc_lo, s14, v4
	s_branch .LBB109_18
.LBB109_14:                             ;   in Loop: Header=BB109_18 Depth=1
	s_or_b32 exec_lo, exec_lo, s33
	s_waitcnt vmcnt(3)
	v_mul_f32_e32 v48, v29, v47
	v_mul_f32_e32 v47, v28, v47
	s_waitcnt vmcnt(2)
	v_mul_f32_e32 v49, v25, v45
	v_mul_f32_e32 v45, v24, v45
	s_waitcnt vmcnt(1)
	v_mul_f32_e32 v50, v19, v43
	v_fma_f32 v48, v28, v46, -v48
	v_fmac_f32_e32 v47, v29, v46
	v_mul_f32_e32 v43, v18, v43
	v_fma_f32 v49, v24, v44, -v49
	v_fmac_f32_e32 v45, v25, v44
	v_add_f32_e32 v6, v6, v48
	v_add_f32_e32 v7, v7, v47
	s_waitcnt vmcnt(0)
	v_mul_f32_e32 v46, v17, v41
	v_mul_f32_e32 v41, v16, v41
	v_fma_f32 v44, v18, v42, -v50
	v_add_f32_e32 v6, v49, v6
	v_fmac_f32_e32 v43, v19, v42
	v_add_f32_e32 v7, v45, v7
	v_fma_f32 v42, v16, v40, -v46
	v_fmac_f32_e32 v41, v17, v40
	v_add_f32_e32 v6, v44, v6
	v_add_f32_e32 v7, v43, v7
	;; [unrolled: 1-line block ×4, first 2 shown]
.LBB109_15:                             ;   in Loop: Header=BB109_18 Depth=1
	s_or_b32 exec_lo, exec_lo, s31
	s_waitcnt vmcnt(3)
	v_mul_f32_e32 v40, v29, v39
	v_mul_f32_e32 v39, v28, v39
	s_waitcnt vmcnt(2)
	v_mul_f32_e32 v41, v25, v37
	v_mul_f32_e32 v37, v24, v37
	s_waitcnt vmcnt(1)
	v_mul_f32_e32 v42, v19, v35
	v_fma_f32 v40, v28, v38, -v40
	v_fmac_f32_e32 v39, v29, v38
	v_mul_f32_e32 v35, v18, v35
	v_fma_f32 v41, v24, v36, -v41
	v_fmac_f32_e32 v37, v25, v36
	v_add_f32_e32 v8, v8, v40
	v_add_f32_e32 v9, v9, v39
	s_waitcnt vmcnt(0)
	v_mul_f32_e32 v38, v17, v33
	v_mul_f32_e32 v33, v16, v33
	v_fma_f32 v36, v18, v34, -v42
	v_add_f32_e32 v8, v41, v8
	v_fmac_f32_e32 v35, v19, v34
	v_add_f32_e32 v9, v37, v9
	v_fma_f32 v34, v16, v32, -v38
	v_fmac_f32_e32 v33, v17, v32
	v_add_f32_e32 v8, v36, v8
	v_add_f32_e32 v9, v35, v9
	;; [unrolled: 1-line block ×4, first 2 shown]
.LBB109_16:                             ;   in Loop: Header=BB109_18 Depth=1
	s_or_b32 exec_lo, exec_lo, s3
	s_waitcnt vmcnt(3)
	v_mul_f32_e32 v32, v29, v31
	v_mul_f32_e32 v31, v28, v31
	s_waitcnt vmcnt(2)
	v_mul_f32_e32 v33, v25, v27
	v_mul_f32_e32 v27, v24, v27
	s_waitcnt vmcnt(1)
	v_mul_f32_e32 v34, v19, v23
	v_fma_f32 v28, v28, v30, -v32
	v_fmac_f32_e32 v31, v29, v30
	v_mul_f32_e32 v23, v18, v23
	v_fma_f32 v24, v24, v26, -v33
	v_fmac_f32_e32 v27, v25, v26
	v_add_f32_e32 v10, v10, v28
	v_add_f32_e32 v11, v11, v31
	s_waitcnt vmcnt(0)
	v_mul_f32_e32 v29, v17, v21
	v_mul_f32_e32 v21, v16, v21
	v_fma_f32 v18, v18, v22, -v34
	v_add_f32_e32 v10, v24, v10
	v_fmac_f32_e32 v23, v19, v22
	v_add_f32_e32 v11, v27, v11
	v_fma_f32 v16, v16, v20, -v29
	v_fmac_f32_e32 v21, v17, v20
	v_add_f32_e32 v10, v18, v10
	v_add_f32_e32 v11, v23, v11
	;; [unrolled: 1-line block ×4, first 2 shown]
.LBB109_17:                             ;   in Loop: Header=BB109_18 Depth=1
	s_or_b32 exec_lo, exec_lo, s4
	v_add_co_u32 v12, s3, v12, s6
	v_add_co_ci_u32_e64 v13, null, s7, v13, s3
	v_add_co_u32 v5, s3, v5, s18
	v_add_nc_u32_e32 v58, 64, v58
	v_add_co_ci_u32_e64 v59, null, s19, v59, s3
	v_add_co_u32 v60, s3, v60, s18
	v_add_co_ci_u32_e64 v61, null, s19, v61, s3
	v_add_co_u32 v62, s3, v62, s18
	v_add_co_ci_u32_e64 v63, null, s19, v63, s3
	v_cmp_le_i32_e64 s3, s28, v58
	v_add_co_u32 v64, s4, v64, s18
	v_add_co_ci_u32_e64 v65, null, s19, v65, s4
	s_or_b32 s30, s3, s30
	s_andn2_b32 exec_lo, exec_lo, s30
	s_cbranch_execz .LBB109_23
.LBB109_18:                             ; =>This Inner Loop Header: Depth=1
	s_and_saveexec_b32 s4, vcc_lo
	s_cbranch_execz .LBB109_17
; %bb.19:                               ;   in Loop: Header=BB109_18 Depth=1
	v_add_co_u32 v16, s3, v12, s22
	v_add_co_ci_u32_e64 v17, null, s23, v13, s3
	v_add_co_u32 v18, s3, v16, s22
	v_add_co_ci_u32_e64 v19, null, s23, v17, s3
	;; [unrolled: 2-line block ×7, first 2 shown]
	s_clause 0x3
	global_load_dwordx2 v[28:29], v[12:13], off
	global_load_dwordx2 v[24:25], v[16:17], off
	;; [unrolled: 1-line block ×8, first 2 shown]
	s_and_saveexec_b32 s3, s0
	s_cbranch_execz .LBB109_16
; %bb.20:                               ;   in Loop: Header=BB109_18 Depth=1
	global_load_dwordx2 v[38:39], v[54:55], off offset:256
	global_load_dwordx2 v[36:37], v[52:53], off offset:256
	global_load_dwordx2 v[34:35], v[50:51], off offset:256
	global_load_dwordx2 v[32:33], v[48:49], off offset:256
	s_and_saveexec_b32 s31, s1
	s_cbranch_execz .LBB109_15
; %bb.21:                               ;   in Loop: Header=BB109_18 Depth=1
	global_load_dwordx2 v[46:47], v[54:55], off offset:512
	global_load_dwordx2 v[44:45], v[52:53], off offset:512
	global_load_dwordx2 v[42:43], v[50:51], off offset:512
	global_load_dwordx2 v[40:41], v[48:49], off offset:512
	s_and_saveexec_b32 s33, s2
	s_cbranch_execz .LBB109_14
; %bb.22:                               ;   in Loop: Header=BB109_18 Depth=1
	global_load_dwordx2 v[54:55], v[54:55], off offset:768
	global_load_dwordx2 v[52:53], v[52:53], off offset:768
	global_load_dwordx2 v[50:51], v[50:51], off offset:768
	global_load_dwordx2 v[48:49], v[48:49], off offset:768
	s_waitcnt vmcnt(3)
	v_mul_f32_e32 v66, v29, v55
	v_mul_f32_e32 v55, v28, v55
	s_waitcnt vmcnt(2)
	v_mul_f32_e32 v67, v25, v53
	v_mul_f32_e32 v53, v24, v53
	s_waitcnt vmcnt(1)
	v_mul_f32_e32 v68, v19, v51
	v_fma_f32 v66, v28, v54, -v66
	v_fmac_f32_e32 v55, v29, v54
	v_mul_f32_e32 v51, v18, v51
	v_fma_f32 v67, v24, v52, -v67
	v_fmac_f32_e32 v53, v25, v52
	v_add_f32_e32 v2, v2, v66
	v_add_f32_e32 v3, v3, v55
	s_waitcnt vmcnt(0)
	v_mul_f32_e32 v54, v17, v49
	v_mul_f32_e32 v49, v16, v49
	v_fma_f32 v52, v18, v50, -v68
	v_fmac_f32_e32 v51, v19, v50
	v_add_f32_e32 v2, v67, v2
	v_add_f32_e32 v3, v53, v3
	v_fma_f32 v50, v16, v48, -v54
	v_fmac_f32_e32 v49, v17, v48
	v_add_f32_e32 v2, v52, v2
	v_add_f32_e32 v3, v51, v3
	;; [unrolled: 1-line block ×4, first 2 shown]
	s_branch .LBB109_14
.LBB109_23:
	s_or_b32 exec_lo, exec_lo, s30
.LBB109_24:
	s_or_b32 exec_lo, exec_lo, s29
	s_sub_i32 s0, s15, s28
	s_cmp_lt_i32 s0, 1
	s_cbranch_scc1 .LBB109_42
; %bb.25:
	v_cmp_gt_i32_e32 vcc_lo, s15, v58
	v_mov_b32_e32 v12, 0
	v_or_b32_e32 v20, 1, v58
	v_mov_b32_e32 v13, 0
	v_mov_b32_e32 v14, 0
	v_mov_b32_e32 v15, 0
	v_mov_b32_e32 v16, 0
	v_mov_b32_e32 v17, 0
	v_mov_b32_e32 v18, 0
	v_mov_b32_e32 v19, 0
	s_and_saveexec_b32 s1, vcc_lo
	s_cbranch_execz .LBB109_33
; %bb.26:
	v_mad_u64_u32 v[12:13], null, s8, v58, 0
	s_lshl_b64 s[2:3], s[10:11], 3
	v_mov_b32_e32 v19, 0
	s_add_u32 s0, s48, s2
	s_addc_u32 s2, s49, s3
	s_lshl_b64 s[6:7], s[50:51], 3
	v_mov_b32_e32 v18, 0
	v_mov_b32_e32 v5, v13
	s_add_u32 s3, s0, s6
	s_addc_u32 s4, s2, s7
	v_mov_b32_e32 v17, 0
	v_mov_b32_e32 v16, 0
	v_mad_u64_u32 v[13:14], null, s9, v58, v[5:6]
	v_mov_b32_e32 v15, 0
	v_mov_b32_e32 v14, 0
	s_mov_b32 s2, exec_lo
	v_lshlrev_b64 v[12:13], 3, v[12:13]
	v_add_co_u32 v12, s0, s3, v12
	v_add_co_ci_u32_e64 v13, null, s4, v13, s0
	global_load_dwordx2 v[12:13], v[12:13], off
	v_cmpx_gt_i32_e64 s15, v20
	s_cbranch_execz .LBB109_32
; %bb.27:
	v_mad_u64_u32 v[14:15], null, s8, v20, 0
	v_mov_b32_e32 v19, 0
	v_mov_b32_e32 v18, 0
	;; [unrolled: 1-line block ×3, first 2 shown]
	s_mov_b32 s6, exec_lo
	v_mov_b32_e32 v5, v15
	v_mad_u64_u32 v[15:16], null, s9, v20, v[5:6]
	v_or_b32_e32 v5, 2, v58
	v_mov_b32_e32 v16, 0
	v_lshlrev_b64 v[14:15], 3, v[14:15]
	v_add_co_u32 v14, s0, s3, v14
	v_add_co_ci_u32_e64 v15, null, s4, v15, s0
	global_load_dwordx2 v[14:15], v[14:15], off
	v_cmpx_gt_i32_e64 s15, v5
	s_cbranch_execz .LBB109_31
; %bb.28:
	v_mad_u64_u32 v[16:17], null, s8, v5, 0
	v_mov_b32_e32 v19, 0
	s_mov_b32 s7, exec_lo
	v_mad_u64_u32 v[17:18], null, s9, v5, v[17:18]
	v_or_b32_e32 v5, 3, v58
	v_mov_b32_e32 v18, 0
	v_lshlrev_b64 v[16:17], 3, v[16:17]
	v_add_co_u32 v16, s0, s3, v16
	v_add_co_ci_u32_e64 v17, null, s4, v17, s0
	global_load_dwordx2 v[16:17], v[16:17], off
	v_cmpx_gt_i32_e64 s15, v5
	s_cbranch_execz .LBB109_30
; %bb.29:
	v_mad_u64_u32 v[18:19], null, s8, v5, 0
	v_mad_u64_u32 v[21:22], null, s9, v5, v[19:20]
	v_mov_b32_e32 v19, v21
	v_lshlrev_b64 v[18:19], 3, v[18:19]
	v_add_co_u32 v18, s0, s3, v18
	v_add_co_ci_u32_e64 v19, null, s4, v19, s0
	global_load_dwordx2 v[18:19], v[18:19], off
.LBB109_30:
	s_or_b32 exec_lo, exec_lo, s7
.LBB109_31:
	s_or_b32 exec_lo, exec_lo, s6
.LBB109_32:
	s_or_b32 exec_lo, exec_lo, s2
.LBB109_33:
	s_or_b32 exec_lo, exec_lo, s1
	s_mov_b32 s1, exec_lo
	v_cmpx_gt_i32_e64 s14, v4
	s_cbranch_execz .LBB109_41
; %bb.34:
	v_mad_u64_u32 v[21:22], null, s44, v58, 0
	v_mad_u64_u32 v[23:24], null, s44, v20, 0
	v_ashrrev_i32_e32 v5, 31, v4
	v_or_b32_e32 v33, 2, v58
	v_or_b32_e32 v34, 3, v58
	s_lshl_b64 s[2:3], s[16:17], 3
	v_cndmask_b32_e32 v21, 0, v21, vcc_lo
	v_lshlrev_b64 v[28:29], 3, v[4:5]
	v_mad_u64_u32 v[25:26], null, s45, v58, v[22:23]
	v_mov_b32_e32 v5, v24
	v_mad_u64_u32 v[26:27], null, s44, v33, 0
	s_add_u32 s0, s40, s2
	s_addc_u32 s4, s41, s3
	v_mad_u64_u32 v[30:31], null, s45, v20, v[5:6]
	v_cndmask_b32_e32 v22, 0, v25, vcc_lo
	v_cmp_gt_i32_e32 vcc_lo, s15, v20
	s_lshl_b64 s[2:3], s[42:43], 3
	v_mad_u64_u32 v[24:25], null, s44, v34, 0
	v_lshlrev_b64 v[21:22], 3, v[21:22]
	s_add_u32 s2, s0, s2
	v_cndmask_b32_e32 v31, 0, v23, vcc_lo
	v_mov_b32_e32 v5, v27
	v_cndmask_b32_e32 v32, 0, v30, vcc_lo
	s_addc_u32 s3, s4, s3
	v_add_co_u32 v20, s0, s2, v21
	v_add_co_ci_u32_e64 v21, null, s3, v22, s0
	v_lshlrev_b64 v[22:23], 3, v[31:32]
	v_mad_u64_u32 v[30:31], null, s45, v33, v[5:6]
	v_mov_b32_e32 v5, v25
	v_add_co_u32 v20, vcc_lo, v20, v28
	v_add_co_ci_u32_e64 v21, null, v21, v29, vcc_lo
	v_cmp_gt_i32_e32 vcc_lo, s15, v33
	v_mad_u64_u32 v[31:32], null, s45, v34, v[5:6]
	v_add_co_u32 v22, s0, s2, v22
	v_cndmask_b32_e32 v25, 0, v26, vcc_lo
	v_cndmask_b32_e32 v26, 0, v30, vcc_lo
	v_cmp_gt_i32_e32 vcc_lo, s15, v34
	v_add_co_ci_u32_e64 v23, null, s3, v23, s0
	v_add_co_u32 v22, s0, v22, v28
	v_cndmask_b32_e32 v30, 0, v24, vcc_lo
	v_cndmask_b32_e32 v31, 0, v31, vcc_lo
	v_lshlrev_b64 v[24:25], 3, v[25:26]
	v_add_co_ci_u32_e64 v23, null, v23, v29, s0
	s_clause 0x1
	global_load_dwordx2 v[32:33], v[20:21], off
	global_load_dwordx2 v[34:35], v[22:23], off
	v_lshlrev_b64 v[26:27], 3, v[30:31]
	v_add_co_u32 v5, vcc_lo, s2, v24
	v_add_co_ci_u32_e64 v24, null, s3, v25, vcc_lo
	s_mov_b32 s0, exec_lo
	v_add_co_u32 v25, vcc_lo, s2, v26
	v_add_co_ci_u32_e64 v30, null, s3, v27, vcc_lo
	v_add_co_u32 v26, vcc_lo, v5, v28
	v_add_co_ci_u32_e64 v27, null, v24, v29, vcc_lo
	v_add_co_u32 v24, vcc_lo, v25, v28
	v_add_co_ci_u32_e64 v25, null, v30, v29, vcc_lo
	s_clause 0x1
	global_load_dwordx2 v[28:29], v[26:27], off
	global_load_dwordx2 v[30:31], v[24:25], off
	s_waitcnt vmcnt(3)
	v_mul_f32_e32 v5, v13, v33
	v_mul_f32_e32 v33, v12, v33
	s_waitcnt vmcnt(2)
	v_mul_f32_e32 v36, v15, v35
	v_mul_f32_e32 v35, v14, v35
	v_fma_f32 v5, v12, v32, -v5
	v_fmac_f32_e32 v33, v13, v32
	v_fma_f32 v32, v14, v34, -v36
	v_fmac_f32_e32 v35, v15, v34
	v_add_f32_e32 v10, v10, v5
	v_add_f32_e32 v11, v11, v33
	v_add_nc_u32_e32 v33, 32, v4
	s_waitcnt vmcnt(1)
	v_mul_f32_e32 v34, v17, v29
	v_mul_f32_e32 v29, v16, v29
	s_waitcnt vmcnt(0)
	v_mul_f32_e32 v36, v19, v31
	v_mul_f32_e32 v5, v18, v31
	v_fma_f32 v31, v16, v28, -v34
	v_fmac_f32_e32 v29, v17, v28
	v_add_f32_e32 v28, v32, v10
	v_add_f32_e32 v32, v35, v11
	v_fma_f32 v10, v18, v30, -v36
	v_fmac_f32_e32 v5, v19, v30
	v_add_f32_e32 v11, v31, v28
	v_add_f32_e32 v28, v29, v32
	v_cmpx_gt_i32_e64 s14, v33
	s_cbranch_execz .LBB109_40
; %bb.35:
	s_clause 0x3
	global_load_dwordx2 v[29:30], v[20:21], off offset:256
	global_load_dwordx2 v[31:32], v[22:23], off offset:256
	;; [unrolled: 1-line block ×4, first 2 shown]
	s_mov_b32 s2, exec_lo
	s_waitcnt vmcnt(3)
	v_mul_f32_e32 v37, v13, v30
	v_mul_f32_e32 v30, v12, v30
	s_waitcnt vmcnt(2)
	v_mul_f32_e32 v38, v15, v32
	v_mul_f32_e32 v32, v14, v32
	s_waitcnt vmcnt(1)
	v_mul_f32_e32 v39, v17, v34
	v_fma_f32 v37, v12, v29, -v37
	v_fmac_f32_e32 v30, v13, v29
	v_mul_f32_e32 v34, v16, v34
	v_fma_f32 v38, v14, v31, -v38
	v_fmac_f32_e32 v32, v15, v31
	v_add_f32_e32 v8, v8, v37
	v_add_f32_e32 v30, v9, v30
	s_waitcnt vmcnt(0)
	v_mul_f32_e32 v29, v19, v36
	v_mul_f32_e32 v9, v18, v36
	v_fma_f32 v31, v16, v33, -v39
	v_fmac_f32_e32 v34, v17, v33
	v_add_f32_e32 v33, v38, v8
	v_add_f32_e32 v30, v32, v30
	v_add_nc_u32_e32 v32, 64, v4
	v_fma_f32 v8, v18, v35, -v29
	v_fmac_f32_e32 v9, v19, v35
	v_add_f32_e32 v29, v31, v33
	v_add_f32_e32 v30, v34, v30
	v_cmpx_gt_i32_e64 s14, v32
	s_cbranch_execz .LBB109_39
; %bb.36:
	s_clause 0x3
	global_load_dwordx2 v[31:32], v[20:21], off offset:512
	global_load_dwordx2 v[33:34], v[22:23], off offset:512
	;; [unrolled: 1-line block ×4, first 2 shown]
	s_mov_b32 s3, exec_lo
	s_waitcnt vmcnt(3)
	v_mul_f32_e32 v39, v13, v32
	v_mul_f32_e32 v32, v12, v32
	s_waitcnt vmcnt(2)
	v_mul_f32_e32 v40, v15, v34
	v_mul_f32_e32 v34, v14, v34
	s_waitcnt vmcnt(1)
	v_mul_f32_e32 v41, v17, v36
	v_fma_f32 v39, v12, v31, -v39
	v_fmac_f32_e32 v32, v13, v31
	v_mul_f32_e32 v36, v16, v36
	v_fma_f32 v40, v14, v33, -v40
	v_fmac_f32_e32 v34, v15, v33
	v_add_f32_e32 v6, v6, v39
	v_add_f32_e32 v32, v7, v32
	s_waitcnt vmcnt(0)
	v_mul_f32_e32 v31, v19, v38
	v_mul_f32_e32 v7, v18, v38
	v_fma_f32 v33, v16, v35, -v41
	v_fmac_f32_e32 v36, v17, v35
	v_add_f32_e32 v6, v40, v6
	v_add_f32_e32 v32, v34, v32
	v_add_nc_u32_e32 v34, 0x60, v4
	v_fma_f32 v4, v18, v37, -v31
	v_fmac_f32_e32 v7, v19, v37
	v_add_f32_e32 v6, v33, v6
	v_add_f32_e32 v31, v36, v32
	v_cmpx_gt_i32_e64 s14, v34
	s_cbranch_execz .LBB109_38
; %bb.37:
	s_clause 0x3
	global_load_dwordx2 v[20:21], v[20:21], off offset:768
	global_load_dwordx2 v[22:23], v[22:23], off offset:768
	;; [unrolled: 1-line block ×4, first 2 shown]
	s_waitcnt vmcnt(3)
	v_mul_f32_e32 v32, v13, v21
	v_mul_f32_e32 v21, v12, v21
	s_waitcnt vmcnt(2)
	v_mul_f32_e32 v33, v15, v23
	v_mul_f32_e32 v23, v14, v23
	s_waitcnt vmcnt(1)
	v_mul_f32_e32 v34, v17, v27
	v_fma_f32 v12, v12, v20, -v32
	v_fmac_f32_e32 v21, v13, v20
	v_mul_f32_e32 v27, v16, v27
	v_fma_f32 v14, v14, v22, -v33
	v_fmac_f32_e32 v23, v15, v22
	v_add_f32_e32 v2, v2, v12
	v_add_f32_e32 v3, v3, v21
	s_waitcnt vmcnt(0)
	v_mul_f32_e32 v13, v19, v25
	v_mul_f32_e32 v12, v18, v25
	v_fma_f32 v15, v16, v26, -v34
	v_fmac_f32_e32 v27, v17, v26
	v_add_f32_e32 v2, v14, v2
	v_add_f32_e32 v3, v23, v3
	v_fma_f32 v13, v18, v24, -v13
	v_fmac_f32_e32 v12, v19, v24
	v_add_f32_e32 v2, v15, v2
	v_add_f32_e32 v3, v27, v3
	;; [unrolled: 1-line block ×4, first 2 shown]
.LBB109_38:
	s_or_b32 exec_lo, exec_lo, s3
	v_add_f32_e32 v6, v4, v6
	v_add_f32_e32 v7, v7, v31
.LBB109_39:
	s_or_b32 exec_lo, exec_lo, s2
	v_add_f32_e32 v8, v8, v29
	v_add_f32_e32 v9, v9, v30
.LBB109_40:
	s_or_b32 exec_lo, exec_lo, s0
	v_add_f32_e32 v10, v10, v11
	v_add_f32_e32 v11, v5, v28
.LBB109_41:
	s_or_b32 exec_lo, exec_lo, s1
.LBB109_42:
	v_lshlrev_b32_e32 v0, 3, v0
	s_mov_b32 s0, exec_lo
	v_lshl_add_u32 v1, v1, 10, v0
	ds_write2_b64 v1, v[10:11], v[8:9] offset1:32
	ds_write2_b64 v1, v[6:7], v[2:3] offset0:64 offset1:96
	s_waitcnt vmcnt(0) lgkmcnt(0)
	s_waitcnt_vscnt null, 0x0
	s_barrier
	buffer_gl0_inv
	v_cmpx_gt_u32_e32 0x80, v56
	s_cbranch_execz .LBB109_47
; %bb.43:
	v_lshl_add_u32 v12, v57, 3, v0
	ds_read2st64_b64 v[0:3], v12 offset1:2
	ds_read2st64_b64 v[4:7], v12 offset0:4 offset1:6
	ds_read2st64_b64 v[8:11], v12 offset0:8 offset1:10
	s_waitcnt lgkmcnt(2)
	v_add_f32_e32 v13, v0, v2
	v_add_f32_e32 v14, v1, v3
	ds_read2st64_b64 v[0:3], v12 offset0:12 offset1:14
	s_waitcnt lgkmcnt(2)
	v_add_f32_e32 v4, v13, v4
	v_add_f32_e32 v5, v14, v5
	v_add_f32_e32 v13, v4, v6
	v_add_f32_e32 v14, v5, v7
	ds_read2st64_b64 v[4:7], v12 offset0:16 offset1:18
	s_waitcnt lgkmcnt(2)
	v_add_f32_e32 v8, v13, v8
	v_add_f32_e32 v9, v14, v9
	;; [unrolled: 6-line block ×5, first 2 shown]
	v_add_f32_e32 v8, v8, v10
	v_add_f32_e32 v9, v9, v11
	s_waitcnt lgkmcnt(1)
	v_add_f32_e32 v0, v8, v0
	v_add_f32_e32 v1, v9, v1
	;; [unrolled: 1-line block ×4, first 2 shown]
	s_waitcnt lgkmcnt(0)
	v_add_f32_e32 v2, v0, v4
	v_add_f32_e32 v1, v1, v5
	v_or_b32_e32 v0, s27, v56
	v_add_f32_e32 v2, v2, v6
	v_add_f32_e32 v3, v1, v7
	v_cmp_gt_i32_e32 vcc_lo, s14, v0
	ds_write_b64 v12, v[2:3]
	s_and_b32 exec_lo, exec_lo, vcc_lo
	s_cbranch_execz .LBB109_47
; %bb.44:
	v_ashrrev_i32_e32 v1, 31, v0
	v_mul_lo_u32 v6, s21, v0
	v_mad_u64_u32 v[4:5], null, s20, v0, 0
	v_mul_f32_e32 v0, s25, v3
	v_mul_lo_u32 v1, s20, v1
	v_cmp_neq_f32_e64 s0, s12, 0
	v_cmp_neq_f32_e64 s1, s13, 0
	v_fma_f32 v0, v2, s24, -v0
	s_or_b32 s0, s0, s1
	v_add3_u32 v5, v5, v1, v6
	v_mul_f32_e32 v1, s24, v3
	s_andn2_b32 vcc_lo, exec_lo, s0
	v_lshlrev_b64 v[3:4], 3, v[4:5]
	v_fmac_f32_e32 v1, s25, v2
	s_cbranch_vccnz .LBB109_46
; %bb.45:
	v_add_co_u32 v5, vcc_lo, s5, v3
	v_add_co_ci_u32_e64 v6, null, s26, v4, vcc_lo
	global_load_dwordx2 v[5:6], v[5:6], off
	s_waitcnt vmcnt(0)
	v_mul_f32_e32 v2, s13, v6
	v_mul_f32_e32 v6, s12, v6
	v_fma_f32 v2, s12, v5, -v2
	v_fmac_f32_e32 v6, s13, v5
	v_add_f32_e32 v0, v0, v2
	v_add_f32_e32 v1, v1, v6
.LBB109_46:
	v_add_co_u32 v2, vcc_lo, s5, v3
	v_add_co_ci_u32_e64 v3, null, s26, v4, vcc_lo
	global_store_dwordx2 v[2:3], v[0:1], off
.LBB109_47:
	s_endpgm
	.section	.rodata,"a",@progbits
	.p2align	6, 0x0
	.amdhsa_kernel _ZL20rocblas_gemvn_kernelILi32ELi16El19rocblas_complex_numIfEPKS1_S1_EviiT3_lPKT2_lT1_lS7_lS8_lS4_lPT4_lS8_li
		.amdhsa_group_segment_fixed_size 16384
		.amdhsa_private_segment_fixed_size 0
		.amdhsa_kernarg_size 400
		.amdhsa_user_sgpr_count 6
		.amdhsa_user_sgpr_private_segment_buffer 1
		.amdhsa_user_sgpr_dispatch_ptr 0
		.amdhsa_user_sgpr_queue_ptr 0
		.amdhsa_user_sgpr_kernarg_segment_ptr 1
		.amdhsa_user_sgpr_dispatch_id 0
		.amdhsa_user_sgpr_flat_scratch_init 0
		.amdhsa_user_sgpr_private_segment_size 0
		.amdhsa_wavefront_size32 1
		.amdhsa_uses_dynamic_stack 0
		.amdhsa_system_sgpr_private_segment_wavefront_offset 0
		.amdhsa_system_sgpr_workgroup_id_x 1
		.amdhsa_system_sgpr_workgroup_id_y 0
		.amdhsa_system_sgpr_workgroup_id_z 1
		.amdhsa_system_sgpr_workgroup_info 0
		.amdhsa_system_vgpr_workitem_id 1
		.amdhsa_next_free_vgpr 69
		.amdhsa_next_free_sgpr 52
		.amdhsa_reserve_vcc 1
		.amdhsa_reserve_flat_scratch 0
		.amdhsa_float_round_mode_32 0
		.amdhsa_float_round_mode_16_64 0
		.amdhsa_float_denorm_mode_32 3
		.amdhsa_float_denorm_mode_16_64 3
		.amdhsa_dx10_clamp 1
		.amdhsa_ieee_mode 1
		.amdhsa_fp16_overflow 0
		.amdhsa_workgroup_processor_mode 1
		.amdhsa_memory_ordered 1
		.amdhsa_forward_progress 1
		.amdhsa_shared_vgpr_count 0
		.amdhsa_exception_fp_ieee_invalid_op 0
		.amdhsa_exception_fp_denorm_src 0
		.amdhsa_exception_fp_ieee_div_zero 0
		.amdhsa_exception_fp_ieee_overflow 0
		.amdhsa_exception_fp_ieee_underflow 0
		.amdhsa_exception_fp_ieee_inexact 0
		.amdhsa_exception_int_div_zero 0
	.end_amdhsa_kernel
	.section	.text._ZL20rocblas_gemvn_kernelILi32ELi16El19rocblas_complex_numIfEPKS1_S1_EviiT3_lPKT2_lT1_lS7_lS8_lS4_lPT4_lS8_li,"axG",@progbits,_ZL20rocblas_gemvn_kernelILi32ELi16El19rocblas_complex_numIfEPKS1_S1_EviiT3_lPKT2_lT1_lS7_lS8_lS4_lPT4_lS8_li,comdat
.Lfunc_end109:
	.size	_ZL20rocblas_gemvn_kernelILi32ELi16El19rocblas_complex_numIfEPKS1_S1_EviiT3_lPKT2_lT1_lS7_lS8_lS4_lPT4_lS8_li, .Lfunc_end109-_ZL20rocblas_gemvn_kernelILi32ELi16El19rocblas_complex_numIfEPKS1_S1_EviiT3_lPKT2_lT1_lS7_lS8_lS4_lPT4_lS8_li
                                        ; -- End function
	.set _ZL20rocblas_gemvn_kernelILi32ELi16El19rocblas_complex_numIfEPKS1_S1_EviiT3_lPKT2_lT1_lS7_lS8_lS4_lPT4_lS8_li.num_vgpr, 69
	.set _ZL20rocblas_gemvn_kernelILi32ELi16El19rocblas_complex_numIfEPKS1_S1_EviiT3_lPKT2_lT1_lS7_lS8_lS4_lPT4_lS8_li.num_agpr, 0
	.set _ZL20rocblas_gemvn_kernelILi32ELi16El19rocblas_complex_numIfEPKS1_S1_EviiT3_lPKT2_lT1_lS7_lS8_lS4_lPT4_lS8_li.numbered_sgpr, 52
	.set _ZL20rocblas_gemvn_kernelILi32ELi16El19rocblas_complex_numIfEPKS1_S1_EviiT3_lPKT2_lT1_lS7_lS8_lS4_lPT4_lS8_li.num_named_barrier, 0
	.set _ZL20rocblas_gemvn_kernelILi32ELi16El19rocblas_complex_numIfEPKS1_S1_EviiT3_lPKT2_lT1_lS7_lS8_lS4_lPT4_lS8_li.private_seg_size, 0
	.set _ZL20rocblas_gemvn_kernelILi32ELi16El19rocblas_complex_numIfEPKS1_S1_EviiT3_lPKT2_lT1_lS7_lS8_lS4_lPT4_lS8_li.uses_vcc, 1
	.set _ZL20rocblas_gemvn_kernelILi32ELi16El19rocblas_complex_numIfEPKS1_S1_EviiT3_lPKT2_lT1_lS7_lS8_lS4_lPT4_lS8_li.uses_flat_scratch, 0
	.set _ZL20rocblas_gemvn_kernelILi32ELi16El19rocblas_complex_numIfEPKS1_S1_EviiT3_lPKT2_lT1_lS7_lS8_lS4_lPT4_lS8_li.has_dyn_sized_stack, 0
	.set _ZL20rocblas_gemvn_kernelILi32ELi16El19rocblas_complex_numIfEPKS1_S1_EviiT3_lPKT2_lT1_lS7_lS8_lS4_lPT4_lS8_li.has_recursion, 0
	.set _ZL20rocblas_gemvn_kernelILi32ELi16El19rocblas_complex_numIfEPKS1_S1_EviiT3_lPKT2_lT1_lS7_lS8_lS4_lPT4_lS8_li.has_indirect_call, 0
	.section	.AMDGPU.csdata,"",@progbits
; Kernel info:
; codeLenInByte = 3912
; TotalNumSgprs: 54
; NumVgprs: 69
; ScratchSize: 0
; MemoryBound: 0
; FloatMode: 240
; IeeeMode: 1
; LDSByteSize: 16384 bytes/workgroup (compile time only)
; SGPRBlocks: 0
; VGPRBlocks: 8
; NumSGPRsForWavesPerEU: 54
; NumVGPRsForWavesPerEU: 69
; Occupancy: 12
; WaveLimiterHint : 0
; COMPUTE_PGM_RSRC2:SCRATCH_EN: 0
; COMPUTE_PGM_RSRC2:USER_SGPR: 6
; COMPUTE_PGM_RSRC2:TRAP_HANDLER: 0
; COMPUTE_PGM_RSRC2:TGID_X_EN: 1
; COMPUTE_PGM_RSRC2:TGID_Y_EN: 0
; COMPUTE_PGM_RSRC2:TGID_Z_EN: 1
; COMPUTE_PGM_RSRC2:TIDIG_COMP_CNT: 1
	.section	.text._ZL20rocblas_gemvn_kernelILi32ELi16Ei19rocblas_complex_numIfES1_S1_EviiT3_lPKT2_lT1_lS5_lS6_lS2_lPT4_lS6_li,"axG",@progbits,_ZL20rocblas_gemvn_kernelILi32ELi16Ei19rocblas_complex_numIfES1_S1_EviiT3_lPKT2_lT1_lS5_lS6_lS2_lPT4_lS6_li,comdat
	.globl	_ZL20rocblas_gemvn_kernelILi32ELi16Ei19rocblas_complex_numIfES1_S1_EviiT3_lPKT2_lT1_lS5_lS6_lS2_lPT4_lS6_li ; -- Begin function _ZL20rocblas_gemvn_kernelILi32ELi16Ei19rocblas_complex_numIfES1_S1_EviiT3_lPKT2_lT1_lS5_lS6_lS2_lPT4_lS6_li
	.p2align	8
	.type	_ZL20rocblas_gemvn_kernelILi32ELi16Ei19rocblas_complex_numIfES1_S1_EviiT3_lPKT2_lT1_lS5_lS6_lS2_lPT4_lS6_li,@function
_ZL20rocblas_gemvn_kernelILi32ELi16Ei19rocblas_complex_numIfES1_S1_EviiT3_lPKT2_lT1_lS5_lS6_lS2_lPT4_lS6_li: ; @_ZL20rocblas_gemvn_kernelILi32ELi16Ei19rocblas_complex_numIfES1_S1_EviiT3_lPKT2_lT1_lS5_lS6_lS2_lPT4_lS6_li
; %bb.0:
	s_load_dwordx2 s[0:1], s[4:5], 0x9c
	s_waitcnt lgkmcnt(0)
	s_lshr_b32 s2, s0, 16
	s_and_b32 s0, s0, 0xffff
	s_and_b32 s1, s1, 0xffff
	s_mul_i32 s0, s2, s0
	s_mul_i32 s0, s0, s1
	s_cmpk_lg_i32 s0, 0x200
	s_cbranch_scc1 .LBB110_47
; %bb.1:
	s_clause 0x1
	s_load_dwordx4 s[8:11], s[4:5], 0x0
	s_load_dwordx2 s[16:17], s[4:5], 0x58
	s_waitcnt lgkmcnt(0)
	v_cmp_neq_f32_e64 s0, s10, 0
	v_cmp_neq_f32_e64 s1, s11, 0
	s_or_b32 s0, s0, s1
	s_and_b32 vcc_lo, exec_lo, s0
	s_mov_b32 s0, -1
	s_cbranch_vccnz .LBB110_3
; %bb.2:
	v_cmp_neq_f32_e64 s0, s16, 1.0
	v_cmp_neq_f32_e64 s1, s17, 0
	s_or_b32 s0, s0, s1
.LBB110_3:
	s_andn2_b32 vcc_lo, exec_lo, s0
	s_cbranch_vccnz .LBB110_47
; %bb.4:
	s_clause 0x2
	s_load_dwordx2 s[12:13], s[4:5], 0x80
	s_load_dwordx4 s[0:3], s[4:5], 0x68
	s_load_dword s21, s[4:5], 0x78
	v_lshlrev_b32_e32 v54, 5, v1
	v_add_nc_u32_e32 v53, v54, v0
	v_cmp_gt_u32_e32 vcc_lo, 0x80, v53
	s_waitcnt lgkmcnt(0)
	s_mul_i32 s13, s13, s7
	s_mul_hi_u32 s14, s12, s7
	s_mul_i32 s12, s12, s7
	s_add_i32 s13, s14, s13
	s_lshl_b64 s[12:13], s[12:13], 3
	s_add_u32 s12, s0, s12
	s_addc_u32 s13, s1, s13
	s_lshl_b64 s[0:1], s[2:3], 3
	s_add_u32 s19, s12, s0
	s_addc_u32 s20, s13, s1
	s_or_b32 s0, s10, s11
	s_bitset0_b32 s0, 31
	s_cmp_lg_u32 s0, 0
	s_mov_b32 s0, -1
	s_cbranch_scc1 .LBB110_11
; %bb.5:
	s_and_saveexec_b32 s0, vcc_lo
	s_cbranch_execz .LBB110_10
; %bb.6:
	v_lshl_or_b32 v2, s6, 7, v53
	v_mov_b32_e32 v3, 0
	s_ashr_i32 s3, s8, 31
	s_mov_b32 s2, s8
	v_cmp_gt_i64_e32 vcc_lo, s[2:3], v[2:3]
	s_and_b32 exec_lo, exec_lo, vcc_lo
	s_cbranch_execz .LBB110_10
; %bb.7:
	v_mad_u64_u32 v[4:5], null, s21, v2, 0
	s_ashr_i32 s3, s21, 31
	v_cmp_neq_f32_e64 s1, s16, 0
	v_cmp_neq_f32_e64 s2, s17, 0
	v_mad_u64_u32 v[5:6], null, s3, v2, v[5:6]
	v_mov_b32_e32 v6, v3
	s_or_b32 s1, s1, s2
	s_andn2_b32 vcc_lo, exec_lo, s1
	v_lshlrev_b64 v[4:5], 3, v[4:5]
	s_cbranch_vccnz .LBB110_9
; %bb.8:
	v_add_co_u32 v2, vcc_lo, s19, v4
	v_add_co_ci_u32_e64 v3, null, s20, v5, vcc_lo
	global_load_dwordx2 v[2:3], v[2:3], off
	s_waitcnt vmcnt(0)
	v_mul_f32_e32 v7, s17, v3
	v_mul_f32_e32 v6, s16, v3
	v_fma_f32 v3, s16, v2, -v7
	v_fmac_f32_e32 v6, s17, v2
.LBB110_9:
	v_add_co_u32 v7, vcc_lo, s19, v4
	v_add_co_ci_u32_e64 v8, null, s20, v5, vcc_lo
	v_mov_b32_e32 v5, v3
	global_store_dwordx2 v[7:8], v[5:6], off
.LBB110_10:
	s_or_b32 exec_lo, exec_lo, s0
	s_mov_b32 s0, 0
.LBB110_11:
	s_andn2_b32 vcc_lo, exec_lo, s0
	s_cbranch_vccnz .LBB110_47
; %bb.12:
	s_clause 0x5
	s_load_dwordx4 s[0:3], s[4:5], 0x30
	s_load_dwordx2 s[24:25], s[4:5], 0x50
	s_load_dwordx4 s[12:15], s[4:5], 0x18
	s_load_dword s18, s[4:5], 0x48
	s_load_dword s22, s[4:5], 0x28
	s_load_dwordx2 s[26:27], s[4:5], 0x40
	v_lshlrev_b32_e32 v56, 2, v1
	v_mov_b32_e32 v3, 0
	v_mov_b32_e32 v2, 0
	;; [unrolled: 1-line block ×8, first 2 shown]
	s_waitcnt lgkmcnt(0)
	s_mul_i32 s1, s1, s7
	s_mul_hi_u32 s4, s0, s7
	s_mul_i32 s0, s0, s7
	s_add_i32 s1, s4, s1
	s_mul_i32 s4, s25, s7
	s_lshl_b64 s[0:1], s[0:1], 3
	s_mul_hi_u32 s23, s24, s7
	s_add_u32 s5, s12, s0
	s_addc_u32 s13, s13, s1
	s_lshl_b64 s[0:1], s[14:15], 3
	s_mul_i32 s12, s24, s7
	s_add_u32 s5, s5, s0
	s_addc_u32 s7, s13, s1
	s_add_i32 s13, s23, s4
	s_mov_b32 s14, exec_lo
	s_lshl_b64 s[0:1], s[12:13], 3
	s_add_u32 s2, s2, s0
	s_addc_u32 s3, s3, s1
	s_lshl_b64 s[0:1], s[26:27], 3
	s_add_u32 s12, s2, s0
	s_addc_u32 s13, s3, s1
	s_ashr_i32 s0, s9, 31
	s_lshl_b32 s4, s6, 7
	s_lshr_b32 s0, s0, 26
	v_add_nc_u32_e32 v55, s4, v0
	s_add_i32 s0, s9, s0
	s_and_b32 s6, s0, 0xffffffc0
	v_cmpx_gt_i32_e64 s6, v56
	s_cbranch_execz .LBB110_24
; %bb.13:
	v_mul_lo_u32 v3, s22, v56
	v_add_nc_u32_e32 v2, 32, v55
	v_add_nc_u32_e32 v4, 64, v55
	;; [unrolled: 1-line block ×3, first 2 shown]
	s_lshl_b32 s15, s22, 6
	s_lshl_b32 s24, s18, 6
	v_cmp_gt_i32_e64 s0, s8, v2
	v_add_nc_u32_e32 v2, 2, v56
	v_add3_u32 v57, v3, s22, v0
	v_mul_lo_u32 v3, v1, s22
	v_cmp_gt_i32_e64 s1, s8, v4
	v_add_nc_u32_e32 v4, 3, v56
	v_cmp_gt_i32_e64 s2, s8, v5
	v_mul_lo_u32 v5, v1, s18
	v_mad_u64_u32 v[10:11], null, s22, v2, v[0:1]
	v_mad_u64_u32 v[11:12], null, s22, v4, v[0:1]
	v_lshl_add_u32 v58, v3, 2, v0
	v_mov_b32_e32 v3, 0
	v_mad_u64_u32 v[12:13], null, s18, v56, s[18:19]
	v_mul_lo_u32 v59, s18, v2
	v_mul_lo_u32 v60, s18, v4
	v_lshlrev_b32_e32 v61, 2, v5
	v_mov_b32_e32 v2, v3
	v_mov_b32_e32 v5, v3
	;; [unrolled: 1-line block ×7, first 2 shown]
	s_mov_b32 s23, 0
	s_mov_b32 s25, 0
	v_cmp_gt_i32_e32 vcc_lo, s8, v55
	s_branch .LBB110_18
.LBB110_14:                             ;   in Loop: Header=BB110_18 Depth=1
	s_or_b32 exec_lo, exec_lo, s28
	s_waitcnt vmcnt(3)
	v_mul_f32_e32 v45, v26, v44
	v_mul_f32_e32 v44, v25, v44
	s_waitcnt vmcnt(2)
	v_mul_f32_e32 v46, v22, v42
	v_mul_f32_e32 v42, v21, v42
	s_waitcnt vmcnt(1)
	v_mul_f32_e32 v47, v16, v40
	v_fma_f32 v45, v25, v43, -v45
	v_fmac_f32_e32 v44, v26, v43
	v_mul_f32_e32 v40, v15, v40
	v_fma_f32 v46, v21, v41, -v46
	v_fmac_f32_e32 v42, v22, v41
	v_add_f32_e32 v4, v4, v45
	v_add_f32_e32 v5, v5, v44
	s_waitcnt vmcnt(0)
	v_mul_f32_e32 v43, v14, v38
	v_mul_f32_e32 v38, v13, v38
	v_fma_f32 v41, v15, v39, -v47
	v_add_f32_e32 v4, v46, v4
	v_fmac_f32_e32 v40, v16, v39
	v_add_f32_e32 v5, v42, v5
	v_fma_f32 v39, v13, v37, -v43
	v_fmac_f32_e32 v38, v14, v37
	v_add_f32_e32 v4, v41, v4
	v_add_f32_e32 v5, v40, v5
	;; [unrolled: 1-line block ×4, first 2 shown]
.LBB110_15:                             ;   in Loop: Header=BB110_18 Depth=1
	s_or_b32 exec_lo, exec_lo, s27
	s_waitcnt vmcnt(3)
	v_mul_f32_e32 v37, v26, v36
	v_mul_f32_e32 v36, v25, v36
	s_waitcnt vmcnt(2)
	v_mul_f32_e32 v38, v22, v34
	v_mul_f32_e32 v34, v21, v34
	s_waitcnt vmcnt(1)
	v_mul_f32_e32 v39, v16, v32
	v_fma_f32 v37, v25, v35, -v37
	v_fmac_f32_e32 v36, v26, v35
	v_mul_f32_e32 v32, v15, v32
	v_fma_f32 v38, v21, v33, -v38
	v_fmac_f32_e32 v34, v22, v33
	v_add_f32_e32 v6, v6, v37
	v_add_f32_e32 v7, v7, v36
	s_waitcnt vmcnt(0)
	v_mul_f32_e32 v35, v14, v30
	v_mul_f32_e32 v30, v13, v30
	v_fma_f32 v33, v15, v31, -v39
	v_add_f32_e32 v6, v38, v6
	v_fmac_f32_e32 v32, v16, v31
	v_add_f32_e32 v7, v34, v7
	v_fma_f32 v31, v13, v29, -v35
	v_fmac_f32_e32 v30, v14, v29
	v_add_f32_e32 v6, v33, v6
	v_add_f32_e32 v7, v32, v7
	;; [unrolled: 1-line block ×4, first 2 shown]
.LBB110_16:                             ;   in Loop: Header=BB110_18 Depth=1
	s_or_b32 exec_lo, exec_lo, s3
	s_waitcnt vmcnt(3)
	v_mul_f32_e32 v29, v26, v28
	v_mul_f32_e32 v28, v25, v28
	s_waitcnt vmcnt(2)
	v_mul_f32_e32 v30, v22, v24
	v_mul_f32_e32 v24, v21, v24
	s_waitcnt vmcnt(1)
	v_mul_f32_e32 v31, v16, v20
	v_fma_f32 v25, v25, v27, -v29
	v_fmac_f32_e32 v28, v26, v27
	v_mul_f32_e32 v20, v15, v20
	v_fma_f32 v21, v21, v23, -v30
	v_fmac_f32_e32 v24, v22, v23
	v_add_f32_e32 v8, v8, v25
	v_add_f32_e32 v9, v9, v28
	s_waitcnt vmcnt(0)
	v_mul_f32_e32 v26, v14, v18
	v_mul_f32_e32 v18, v13, v18
	v_fma_f32 v15, v15, v19, -v31
	v_add_f32_e32 v8, v21, v8
	v_fmac_f32_e32 v20, v16, v19
	v_add_f32_e32 v9, v24, v9
	v_fma_f32 v13, v13, v17, -v26
	v_fmac_f32_e32 v18, v14, v17
	v_add_f32_e32 v8, v15, v8
	v_add_f32_e32 v9, v20, v9
	;; [unrolled: 1-line block ×4, first 2 shown]
.LBB110_17:                             ;   in Loop: Header=BB110_18 Depth=1
	s_or_b32 exec_lo, exec_lo, s26
	v_add_nc_u32_e32 v56, 64, v56
	v_add_nc_u32_e32 v57, s15, v57
	;; [unrolled: 1-line block ×5, first 2 shown]
	v_cmp_le_i32_e64 s3, s6, v56
	s_add_i32 s25, s25, s24
	s_or_b32 s23, s3, s23
	s_andn2_b32 exec_lo, exec_lo, s23
	s_cbranch_execz .LBB110_23
.LBB110_18:                             ; =>This Inner Loop Header: Depth=1
	s_and_saveexec_b32 s26, vcc_lo
	s_cbranch_execz .LBB110_17
; %bb.19:                               ;   in Loop: Header=BB110_18 Depth=1
	v_add_nc_u32_e32 v13, s25, v61
	v_add_nc_u32_e32 v15, s25, v12
	;; [unrolled: 1-line block ×5, first 2 shown]
	v_ashrrev_i32_e32 v14, 31, v13
	v_ashrrev_i32_e32 v16, 31, v15
	;; [unrolled: 1-line block ×3, first 2 shown]
	v_add_nc_u32_e32 v23, s4, v57
	v_ashrrev_i32_e32 v20, 31, v19
	v_lshlrev_b64 v[13:14], 3, v[13:14]
	v_lshlrev_b64 v[15:16], 3, v[15:16]
	v_ashrrev_i32_e32 v22, 31, v21
	v_lshlrev_b64 v[17:18], 3, v[17:18]
	v_ashrrev_i32_e32 v24, 31, v23
	v_lshlrev_b64 v[19:20], 3, v[19:20]
	v_add_co_u32 v13, s3, s12, v13
	v_add_nc_u32_e32 v25, s4, v10
	v_add_co_ci_u32_e64 v14, null, s13, v14, s3
	v_add_co_u32 v15, s3, s12, v15
	v_lshlrev_b64 v[21:22], 3, v[21:22]
	v_add_nc_u32_e32 v27, s4, v11
	v_add_co_ci_u32_e64 v16, null, s13, v16, s3
	v_add_co_u32 v17, s3, s12, v17
	v_lshlrev_b64 v[23:24], 3, v[23:24]
	v_ashrrev_i32_e32 v26, 31, v25
	v_add_co_ci_u32_e64 v18, null, s13, v18, s3
	v_add_co_u32 v19, s3, s12, v19
	v_ashrrev_i32_e32 v28, 31, v27
	v_add_co_ci_u32_e64 v20, null, s13, v20, s3
	v_add_co_u32 v51, s3, s5, v21
	v_add_co_ci_u32_e64 v52, null, s7, v22, s3
	v_lshlrev_b64 v[21:22], 3, v[25:26]
	v_add_co_u32 v49, s3, s5, v23
	v_add_co_ci_u32_e64 v50, null, s7, v24, s3
	v_lshlrev_b64 v[23:24], 3, v[27:28]
	v_add_co_u32 v47, s3, s5, v21
	v_add_co_ci_u32_e64 v48, null, s7, v22, s3
	v_add_co_u32 v45, s3, s5, v23
	v_add_co_ci_u32_e64 v46, null, s7, v24, s3
	s_clause 0x3
	global_load_dwordx2 v[25:26], v[13:14], off
	global_load_dwordx2 v[21:22], v[15:16], off
	;; [unrolled: 1-line block ×4, first 2 shown]
	s_clause 0x3
	global_load_dwordx2 v[27:28], v[51:52], off
	global_load_dwordx2 v[23:24], v[49:50], off
	;; [unrolled: 1-line block ×4, first 2 shown]
	s_and_saveexec_b32 s3, s0
	s_cbranch_execz .LBB110_16
; %bb.20:                               ;   in Loop: Header=BB110_18 Depth=1
	s_clause 0x3
	global_load_dwordx2 v[35:36], v[51:52], off offset:256
	global_load_dwordx2 v[33:34], v[49:50], off offset:256
	global_load_dwordx2 v[31:32], v[47:48], off offset:256
	global_load_dwordx2 v[29:30], v[45:46], off offset:256
	s_and_saveexec_b32 s27, s1
	s_cbranch_execz .LBB110_15
; %bb.21:                               ;   in Loop: Header=BB110_18 Depth=1
	s_clause 0x3
	global_load_dwordx2 v[43:44], v[51:52], off offset:512
	global_load_dwordx2 v[41:42], v[49:50], off offset:512
	global_load_dwordx2 v[39:40], v[47:48], off offset:512
	global_load_dwordx2 v[37:38], v[45:46], off offset:512
	;; [unrolled: 8-line block ×3, first 2 shown]
	s_waitcnt vmcnt(3)
	v_mul_f32_e32 v62, v26, v52
	v_mul_f32_e32 v52, v25, v52
	s_waitcnt vmcnt(2)
	v_mul_f32_e32 v63, v22, v50
	v_mul_f32_e32 v50, v21, v50
	s_waitcnt vmcnt(1)
	v_mul_f32_e32 v64, v16, v48
	v_fma_f32 v62, v25, v51, -v62
	v_fmac_f32_e32 v52, v26, v51
	v_mul_f32_e32 v48, v15, v48
	v_fma_f32 v63, v21, v49, -v63
	v_fmac_f32_e32 v50, v22, v49
	v_add_f32_e32 v2, v2, v62
	v_add_f32_e32 v3, v3, v52
	s_waitcnt vmcnt(0)
	v_mul_f32_e32 v51, v14, v46
	v_mul_f32_e32 v46, v13, v46
	v_fma_f32 v49, v15, v47, -v64
	v_fmac_f32_e32 v48, v16, v47
	v_add_f32_e32 v2, v63, v2
	v_add_f32_e32 v3, v50, v3
	v_fma_f32 v47, v13, v45, -v51
	v_fmac_f32_e32 v46, v14, v45
	v_add_f32_e32 v2, v49, v2
	v_add_f32_e32 v3, v48, v3
	;; [unrolled: 1-line block ×4, first 2 shown]
	s_branch .LBB110_14
.LBB110_23:
	s_or_b32 exec_lo, exec_lo, s23
.LBB110_24:
	s_or_b32 exec_lo, exec_lo, s14
	s_sub_i32 s0, s9, s6
	s_cmp_lt_i32 s0, 1
	s_cbranch_scc1 .LBB110_42
; %bb.25:
	v_cmp_gt_i32_e32 vcc_lo, s9, v56
	v_mov_b32_e32 v10, 0
	v_or_b32_e32 v18, 1, v56
	v_mov_b32_e32 v11, 0
	v_mov_b32_e32 v12, 0
	;; [unrolled: 1-line block ×7, first 2 shown]
	s_and_saveexec_b32 s1, vcc_lo
	s_cbranch_execz .LBB110_33
; %bb.26:
	v_mul_lo_u32 v10, v56, s18
	v_mov_b32_e32 v17, 0
	v_mov_b32_e32 v16, 0
	;; [unrolled: 1-line block ×6, first 2 shown]
	s_mov_b32 s2, exec_lo
	v_ashrrev_i32_e32 v11, 31, v10
	v_lshlrev_b64 v[10:11], 3, v[10:11]
	v_add_co_u32 v10, s0, s12, v10
	v_add_co_ci_u32_e64 v11, null, s13, v11, s0
	global_load_dwordx2 v[10:11], v[10:11], off
	v_cmpx_gt_i32_e64 s9, v18
	s_cbranch_execz .LBB110_32
; %bb.27:
	v_mul_lo_u32 v12, v18, s18
	v_or_b32_e32 v19, 2, v56
	v_mov_b32_e32 v17, 0
	v_mov_b32_e32 v16, 0
	;; [unrolled: 1-line block ×4, first 2 shown]
	s_mov_b32 s3, exec_lo
	v_ashrrev_i32_e32 v13, 31, v12
	v_lshlrev_b64 v[12:13], 3, v[12:13]
	v_add_co_u32 v12, s0, s12, v12
	v_add_co_ci_u32_e64 v13, null, s13, v13, s0
	global_load_dwordx2 v[12:13], v[12:13], off
	v_cmpx_gt_i32_e64 s9, v19
	s_cbranch_execz .LBB110_31
; %bb.28:
	v_mul_lo_u32 v14, v19, s18
	v_or_b32_e32 v19, 3, v56
	v_mov_b32_e32 v17, 0
	v_mov_b32_e32 v16, 0
	s_mov_b32 s6, exec_lo
	v_ashrrev_i32_e32 v15, 31, v14
	v_lshlrev_b64 v[14:15], 3, v[14:15]
	v_add_co_u32 v14, s0, s12, v14
	v_add_co_ci_u32_e64 v15, null, s13, v15, s0
	global_load_dwordx2 v[14:15], v[14:15], off
	v_cmpx_gt_i32_e64 s9, v19
	s_cbranch_execz .LBB110_30
; %bb.29:
	v_mul_lo_u32 v16, v19, s18
	v_ashrrev_i32_e32 v17, 31, v16
	v_lshlrev_b64 v[16:17], 3, v[16:17]
	v_add_co_u32 v16, s0, s12, v16
	v_add_co_ci_u32_e64 v17, null, s13, v17, s0
	global_load_dwordx2 v[16:17], v[16:17], off
.LBB110_30:
	s_or_b32 exec_lo, exec_lo, s6
.LBB110_31:
	s_or_b32 exec_lo, exec_lo, s3
.LBB110_32:
	s_or_b32 exec_lo, exec_lo, s2
.LBB110_33:
	s_or_b32 exec_lo, exec_lo, s1
	s_mov_b32 s1, exec_lo
	v_cmpx_gt_i32_e64 s8, v55
	s_cbranch_execz .LBB110_41
; %bb.34:
	v_mul_lo_u32 v19, v56, s22
	v_mul_lo_u32 v20, v18, s22
	v_or_b32_e32 v21, 2, v56
	v_or_b32_e32 v22, 3, v56
	s_mov_b32 s0, exec_lo
	v_mul_lo_u32 v23, v21, s22
	v_cndmask_b32_e32 v19, 0, v19, vcc_lo
	v_cmp_gt_i32_e32 vcc_lo, s9, v18
	v_mul_lo_u32 v24, v22, s22
	v_add_nc_u32_e32 v18, v19, v55
	v_cndmask_b32_e32 v20, 0, v20, vcc_lo
	v_cmp_gt_i32_e32 vcc_lo, s9, v21
	v_ashrrev_i32_e32 v19, 31, v18
	v_add_nc_u32_e32 v20, v20, v55
	v_cndmask_b32_e32 v23, 0, v23, vcc_lo
	v_cmp_gt_i32_e32 vcc_lo, s9, v22
	v_lshlrev_b64 v[18:19], 3, v[18:19]
	v_ashrrev_i32_e32 v21, 31, v20
	v_add_nc_u32_e32 v22, v23, v55
	v_cndmask_b32_e32 v24, 0, v24, vcc_lo
	v_lshlrev_b64 v[20:21], 3, v[20:21]
	v_ashrrev_i32_e32 v23, 31, v22
	v_add_nc_u32_e32 v26, v24, v55
	v_add_co_u32 v24, vcc_lo, s5, v18
	v_add_co_ci_u32_e64 v25, null, s7, v19, vcc_lo
	v_ashrrev_i32_e32 v27, 31, v26
	v_add_co_u32 v20, vcc_lo, s5, v20
	v_add_co_ci_u32_e64 v21, null, s7, v21, vcc_lo
	v_lshlrev_b64 v[18:19], 3, v[22:23]
	v_lshlrev_b64 v[26:27], 3, v[26:27]
	s_clause 0x1
	global_load_dwordx2 v[28:29], v[24:25], off
	global_load_dwordx2 v[30:31], v[20:21], off
	v_add_co_u32 v22, vcc_lo, s5, v18
	v_add_co_ci_u32_e64 v23, null, s7, v19, vcc_lo
	v_add_co_u32 v18, vcc_lo, s5, v26
	v_add_co_ci_u32_e64 v19, null, s7, v27, vcc_lo
	s_clause 0x1
	global_load_dwordx2 v[26:27], v[22:23], off
	global_load_dwordx2 v[32:33], v[18:19], off
	s_waitcnt vmcnt(3)
	v_mul_f32_e32 v34, v11, v29
	v_mul_f32_e32 v29, v10, v29
	s_waitcnt vmcnt(2)
	v_mul_f32_e32 v35, v13, v31
	v_mul_f32_e32 v31, v12, v31
	v_fma_f32 v34, v10, v28, -v34
	v_fmac_f32_e32 v29, v11, v28
	v_fma_f32 v28, v12, v30, -v35
	v_fmac_f32_e32 v31, v13, v30
	v_add_f32_e32 v8, v8, v34
	v_add_f32_e32 v29, v9, v29
	s_waitcnt vmcnt(1)
	v_mul_f32_e32 v30, v15, v27
	v_mul_f32_e32 v27, v14, v27
	s_waitcnt vmcnt(0)
	v_mul_f32_e32 v35, v17, v33
	v_mul_f32_e32 v9, v16, v33
	v_fma_f32 v30, v14, v26, -v30
	v_fmac_f32_e32 v27, v15, v26
	v_add_f32_e32 v26, v28, v8
	v_add_f32_e32 v28, v31, v29
	v_add_nc_u32_e32 v29, 32, v55
	v_fma_f32 v8, v16, v32, -v35
	v_fmac_f32_e32 v9, v17, v32
	v_add_f32_e32 v26, v30, v26
	v_add_f32_e32 v27, v27, v28
	v_cmpx_gt_i32_e64 s8, v29
	s_cbranch_execz .LBB110_40
; %bb.35:
	s_clause 0x3
	global_load_dwordx2 v[28:29], v[24:25], off offset:256
	global_load_dwordx2 v[30:31], v[20:21], off offset:256
	global_load_dwordx2 v[32:33], v[22:23], off offset:256
	global_load_dwordx2 v[34:35], v[18:19], off offset:256
	s_mov_b32 s2, exec_lo
	s_waitcnt vmcnt(3)
	v_mul_f32_e32 v36, v11, v29
	v_mul_f32_e32 v29, v10, v29
	s_waitcnt vmcnt(2)
	v_mul_f32_e32 v37, v13, v31
	v_mul_f32_e32 v31, v12, v31
	s_waitcnt vmcnt(1)
	v_mul_f32_e32 v38, v15, v33
	v_fma_f32 v36, v10, v28, -v36
	v_fmac_f32_e32 v29, v11, v28
	v_mul_f32_e32 v33, v14, v33
	v_fma_f32 v37, v12, v30, -v37
	v_fmac_f32_e32 v31, v13, v30
	v_add_f32_e32 v6, v6, v36
	v_add_f32_e32 v29, v7, v29
	s_waitcnt vmcnt(0)
	v_mul_f32_e32 v28, v17, v35
	v_mul_f32_e32 v7, v16, v35
	v_fma_f32 v30, v14, v32, -v38
	v_fmac_f32_e32 v33, v15, v32
	v_add_f32_e32 v32, v37, v6
	v_add_f32_e32 v29, v31, v29
	v_add_nc_u32_e32 v31, 64, v55
	v_fma_f32 v6, v16, v34, -v28
	v_fmac_f32_e32 v7, v17, v34
	v_add_f32_e32 v28, v30, v32
	v_add_f32_e32 v29, v33, v29
	v_cmpx_gt_i32_e64 s8, v31
	s_cbranch_execz .LBB110_39
; %bb.36:
	s_clause 0x3
	global_load_dwordx2 v[30:31], v[24:25], off offset:512
	global_load_dwordx2 v[32:33], v[20:21], off offset:512
	;; [unrolled: 1-line block ×4, first 2 shown]
	s_mov_b32 s3, exec_lo
	s_waitcnt vmcnt(3)
	v_mul_f32_e32 v38, v11, v31
	v_mul_f32_e32 v31, v10, v31
	s_waitcnt vmcnt(2)
	v_mul_f32_e32 v39, v13, v33
	v_mul_f32_e32 v33, v12, v33
	s_waitcnt vmcnt(1)
	v_mul_f32_e32 v40, v15, v35
	v_fma_f32 v38, v10, v30, -v38
	v_fmac_f32_e32 v31, v11, v30
	v_mul_f32_e32 v35, v14, v35
	v_fma_f32 v39, v12, v32, -v39
	v_fmac_f32_e32 v33, v13, v32
	v_add_f32_e32 v4, v4, v38
	v_add_f32_e32 v31, v5, v31
	s_waitcnt vmcnt(0)
	v_mul_f32_e32 v30, v17, v37
	v_mul_f32_e32 v5, v16, v37
	v_fma_f32 v32, v14, v34, -v40
	v_fmac_f32_e32 v35, v15, v34
	v_add_f32_e32 v34, v39, v4
	v_add_f32_e32 v31, v33, v31
	v_add_nc_u32_e32 v33, 0x60, v55
	v_fma_f32 v4, v16, v36, -v30
	v_fmac_f32_e32 v5, v17, v36
	v_add_f32_e32 v30, v32, v34
	v_add_f32_e32 v31, v35, v31
	v_cmpx_gt_i32_e64 s8, v33
	s_cbranch_execz .LBB110_38
; %bb.37:
	s_clause 0x3
	global_load_dwordx2 v[24:25], v[24:25], off offset:768
	global_load_dwordx2 v[20:21], v[20:21], off offset:768
	;; [unrolled: 1-line block ×4, first 2 shown]
	s_waitcnt vmcnt(3)
	v_mul_f32_e32 v32, v11, v25
	v_mul_f32_e32 v25, v10, v25
	s_waitcnt vmcnt(2)
	v_mul_f32_e32 v33, v13, v21
	v_mul_f32_e32 v21, v12, v21
	s_waitcnt vmcnt(1)
	v_mul_f32_e32 v34, v15, v23
	v_fma_f32 v10, v10, v24, -v32
	v_fmac_f32_e32 v25, v11, v24
	v_mul_f32_e32 v23, v14, v23
	v_fma_f32 v12, v12, v20, -v33
	v_fmac_f32_e32 v21, v13, v20
	v_add_f32_e32 v2, v2, v10
	v_add_f32_e32 v3, v3, v25
	s_waitcnt vmcnt(0)
	v_mul_f32_e32 v11, v17, v19
	v_mul_f32_e32 v10, v16, v19
	v_fma_f32 v13, v14, v22, -v34
	v_fmac_f32_e32 v23, v15, v22
	v_add_f32_e32 v2, v12, v2
	v_add_f32_e32 v3, v21, v3
	v_fma_f32 v11, v16, v18, -v11
	v_fmac_f32_e32 v10, v17, v18
	v_add_f32_e32 v2, v13, v2
	v_add_f32_e32 v3, v23, v3
	;; [unrolled: 1-line block ×4, first 2 shown]
.LBB110_38:
	s_or_b32 exec_lo, exec_lo, s3
	v_add_f32_e32 v4, v4, v30
	v_add_f32_e32 v5, v5, v31
.LBB110_39:
	s_or_b32 exec_lo, exec_lo, s2
	v_add_f32_e32 v6, v6, v28
	v_add_f32_e32 v7, v7, v29
.LBB110_40:
	s_or_b32 exec_lo, exec_lo, s0
	v_add_f32_e32 v8, v8, v26
	v_add_f32_e32 v9, v9, v27
.LBB110_41:
	s_or_b32 exec_lo, exec_lo, s1
.LBB110_42:
	v_lshlrev_b32_e32 v0, 3, v0
	s_mov_b32 s0, exec_lo
	v_lshl_add_u32 v1, v1, 10, v0
	ds_write2_b64 v1, v[8:9], v[6:7] offset1:32
	ds_write2_b64 v1, v[4:5], v[2:3] offset0:64 offset1:96
	s_waitcnt vmcnt(0) lgkmcnt(0)
	s_waitcnt_vscnt null, 0x0
	s_barrier
	buffer_gl0_inv
	v_cmpx_gt_u32_e32 0x80, v53
	s_cbranch_execz .LBB110_47
; %bb.43:
	v_lshl_add_u32 v12, v54, 3, v0
	ds_read2st64_b64 v[0:3], v12 offset1:2
	ds_read2st64_b64 v[4:7], v12 offset0:4 offset1:6
	ds_read2st64_b64 v[8:11], v12 offset0:8 offset1:10
	s_waitcnt lgkmcnt(2)
	v_add_f32_e32 v13, v0, v2
	v_add_f32_e32 v14, v1, v3
	ds_read2st64_b64 v[0:3], v12 offset0:12 offset1:14
	s_waitcnt lgkmcnt(2)
	v_add_f32_e32 v4, v13, v4
	v_add_f32_e32 v5, v14, v5
	v_add_f32_e32 v13, v4, v6
	v_add_f32_e32 v14, v5, v7
	ds_read2st64_b64 v[4:7], v12 offset0:16 offset1:18
	s_waitcnt lgkmcnt(2)
	v_add_f32_e32 v8, v13, v8
	v_add_f32_e32 v9, v14, v9
	;; [unrolled: 6-line block ×5, first 2 shown]
	v_add_f32_e32 v8, v8, v10
	v_add_f32_e32 v9, v9, v11
	s_waitcnt lgkmcnt(1)
	v_add_f32_e32 v0, v8, v0
	v_add_f32_e32 v1, v9, v1
	;; [unrolled: 1-line block ×4, first 2 shown]
	s_waitcnt lgkmcnt(0)
	v_add_f32_e32 v2, v0, v4
	v_add_f32_e32 v1, v1, v5
	v_or_b32_e32 v0, s4, v53
	v_add_f32_e32 v2, v2, v6
	v_add_f32_e32 v3, v1, v7
	v_cmp_gt_i32_e32 vcc_lo, s8, v0
	ds_write_b64 v12, v[2:3]
	s_and_b32 exec_lo, exec_lo, vcc_lo
	s_cbranch_execz .LBB110_47
; %bb.44:
	v_mul_lo_u32 v4, s21, v0
	v_mul_f32_e32 v0, s11, v3
	v_mul_f32_e32 v1, s10, v3
	v_cmp_neq_f32_e64 s0, s16, 0
	v_cmp_neq_f32_e64 s1, s17, 0
	v_fma_f32 v0, v2, s10, -v0
	v_fmac_f32_e32 v1, s11, v2
	v_ashrrev_i32_e32 v5, 31, v4
	s_or_b32 s0, s0, s1
	s_andn2_b32 vcc_lo, exec_lo, s0
	v_lshlrev_b64 v[3:4], 3, v[4:5]
	s_cbranch_vccnz .LBB110_46
; %bb.45:
	v_add_co_u32 v5, vcc_lo, s19, v3
	v_add_co_ci_u32_e64 v6, null, s20, v4, vcc_lo
	global_load_dwordx2 v[5:6], v[5:6], off
	s_waitcnt vmcnt(0)
	v_mul_f32_e32 v2, s17, v6
	v_mul_f32_e32 v6, s16, v6
	v_fma_f32 v2, s16, v5, -v2
	v_fmac_f32_e32 v6, s17, v5
	v_add_f32_e32 v0, v0, v2
	v_add_f32_e32 v1, v1, v6
.LBB110_46:
	v_add_co_u32 v2, vcc_lo, s19, v3
	v_add_co_ci_u32_e64 v3, null, s20, v4, vcc_lo
	global_store_dwordx2 v[2:3], v[0:1], off
.LBB110_47:
	s_endpgm
	.section	.rodata,"a",@progbits
	.p2align	6, 0x0
	.amdhsa_kernel _ZL20rocblas_gemvn_kernelILi32ELi16Ei19rocblas_complex_numIfES1_S1_EviiT3_lPKT2_lT1_lS5_lS6_lS2_lPT4_lS6_li
		.amdhsa_group_segment_fixed_size 16384
		.amdhsa_private_segment_fixed_size 0
		.amdhsa_kernarg_size 400
		.amdhsa_user_sgpr_count 6
		.amdhsa_user_sgpr_private_segment_buffer 1
		.amdhsa_user_sgpr_dispatch_ptr 0
		.amdhsa_user_sgpr_queue_ptr 0
		.amdhsa_user_sgpr_kernarg_segment_ptr 1
		.amdhsa_user_sgpr_dispatch_id 0
		.amdhsa_user_sgpr_flat_scratch_init 0
		.amdhsa_user_sgpr_private_segment_size 0
		.amdhsa_wavefront_size32 1
		.amdhsa_uses_dynamic_stack 0
		.amdhsa_system_sgpr_private_segment_wavefront_offset 0
		.amdhsa_system_sgpr_workgroup_id_x 1
		.amdhsa_system_sgpr_workgroup_id_y 0
		.amdhsa_system_sgpr_workgroup_id_z 1
		.amdhsa_system_sgpr_workgroup_info 0
		.amdhsa_system_vgpr_workitem_id 1
		.amdhsa_next_free_vgpr 65
		.amdhsa_next_free_sgpr 29
		.amdhsa_reserve_vcc 1
		.amdhsa_reserve_flat_scratch 0
		.amdhsa_float_round_mode_32 0
		.amdhsa_float_round_mode_16_64 0
		.amdhsa_float_denorm_mode_32 3
		.amdhsa_float_denorm_mode_16_64 3
		.amdhsa_dx10_clamp 1
		.amdhsa_ieee_mode 1
		.amdhsa_fp16_overflow 0
		.amdhsa_workgroup_processor_mode 1
		.amdhsa_memory_ordered 1
		.amdhsa_forward_progress 1
		.amdhsa_shared_vgpr_count 0
		.amdhsa_exception_fp_ieee_invalid_op 0
		.amdhsa_exception_fp_denorm_src 0
		.amdhsa_exception_fp_ieee_div_zero 0
		.amdhsa_exception_fp_ieee_overflow 0
		.amdhsa_exception_fp_ieee_underflow 0
		.amdhsa_exception_fp_ieee_inexact 0
		.amdhsa_exception_int_div_zero 0
	.end_amdhsa_kernel
	.section	.text._ZL20rocblas_gemvn_kernelILi32ELi16Ei19rocblas_complex_numIfES1_S1_EviiT3_lPKT2_lT1_lS5_lS6_lS2_lPT4_lS6_li,"axG",@progbits,_ZL20rocblas_gemvn_kernelILi32ELi16Ei19rocblas_complex_numIfES1_S1_EviiT3_lPKT2_lT1_lS5_lS6_lS2_lPT4_lS6_li,comdat
.Lfunc_end110:
	.size	_ZL20rocblas_gemvn_kernelILi32ELi16Ei19rocblas_complex_numIfES1_S1_EviiT3_lPKT2_lT1_lS5_lS6_lS2_lPT4_lS6_li, .Lfunc_end110-_ZL20rocblas_gemvn_kernelILi32ELi16Ei19rocblas_complex_numIfES1_S1_EviiT3_lPKT2_lT1_lS5_lS6_lS2_lPT4_lS6_li
                                        ; -- End function
	.set _ZL20rocblas_gemvn_kernelILi32ELi16Ei19rocblas_complex_numIfES1_S1_EviiT3_lPKT2_lT1_lS5_lS6_lS2_lPT4_lS6_li.num_vgpr, 65
	.set _ZL20rocblas_gemvn_kernelILi32ELi16Ei19rocblas_complex_numIfES1_S1_EviiT3_lPKT2_lT1_lS5_lS6_lS2_lPT4_lS6_li.num_agpr, 0
	.set _ZL20rocblas_gemvn_kernelILi32ELi16Ei19rocblas_complex_numIfES1_S1_EviiT3_lPKT2_lT1_lS5_lS6_lS2_lPT4_lS6_li.numbered_sgpr, 29
	.set _ZL20rocblas_gemvn_kernelILi32ELi16Ei19rocblas_complex_numIfES1_S1_EviiT3_lPKT2_lT1_lS5_lS6_lS2_lPT4_lS6_li.num_named_barrier, 0
	.set _ZL20rocblas_gemvn_kernelILi32ELi16Ei19rocblas_complex_numIfES1_S1_EviiT3_lPKT2_lT1_lS5_lS6_lS2_lPT4_lS6_li.private_seg_size, 0
	.set _ZL20rocblas_gemvn_kernelILi32ELi16Ei19rocblas_complex_numIfES1_S1_EviiT3_lPKT2_lT1_lS5_lS6_lS2_lPT4_lS6_li.uses_vcc, 1
	.set _ZL20rocblas_gemvn_kernelILi32ELi16Ei19rocblas_complex_numIfES1_S1_EviiT3_lPKT2_lT1_lS5_lS6_lS2_lPT4_lS6_li.uses_flat_scratch, 0
	.set _ZL20rocblas_gemvn_kernelILi32ELi16Ei19rocblas_complex_numIfES1_S1_EviiT3_lPKT2_lT1_lS5_lS6_lS2_lPT4_lS6_li.has_dyn_sized_stack, 0
	.set _ZL20rocblas_gemvn_kernelILi32ELi16Ei19rocblas_complex_numIfES1_S1_EviiT3_lPKT2_lT1_lS5_lS6_lS2_lPT4_lS6_li.has_recursion, 0
	.set _ZL20rocblas_gemvn_kernelILi32ELi16Ei19rocblas_complex_numIfES1_S1_EviiT3_lPKT2_lT1_lS5_lS6_lS2_lPT4_lS6_li.has_indirect_call, 0
	.section	.AMDGPU.csdata,"",@progbits
; Kernel info:
; codeLenInByte = 3660
; TotalNumSgprs: 31
; NumVgprs: 65
; ScratchSize: 0
; MemoryBound: 0
; FloatMode: 240
; IeeeMode: 1
; LDSByteSize: 16384 bytes/workgroup (compile time only)
; SGPRBlocks: 0
; VGPRBlocks: 8
; NumSGPRsForWavesPerEU: 31
; NumVGPRsForWavesPerEU: 65
; Occupancy: 12
; WaveLimiterHint : 1
; COMPUTE_PGM_RSRC2:SCRATCH_EN: 0
; COMPUTE_PGM_RSRC2:USER_SGPR: 6
; COMPUTE_PGM_RSRC2:TRAP_HANDLER: 0
; COMPUTE_PGM_RSRC2:TGID_X_EN: 1
; COMPUTE_PGM_RSRC2:TGID_Y_EN: 0
; COMPUTE_PGM_RSRC2:TGID_Z_EN: 1
; COMPUTE_PGM_RSRC2:TIDIG_COMP_CNT: 1
	.section	.text._ZL20rocblas_gemvn_kernelILi32ELi16El19rocblas_complex_numIfES1_S1_EviiT3_lPKT2_lT1_lS5_lS6_lS2_lPT4_lS6_li,"axG",@progbits,_ZL20rocblas_gemvn_kernelILi32ELi16El19rocblas_complex_numIfES1_S1_EviiT3_lPKT2_lT1_lS5_lS6_lS2_lPT4_lS6_li,comdat
	.globl	_ZL20rocblas_gemvn_kernelILi32ELi16El19rocblas_complex_numIfES1_S1_EviiT3_lPKT2_lT1_lS5_lS6_lS2_lPT4_lS6_li ; -- Begin function _ZL20rocblas_gemvn_kernelILi32ELi16El19rocblas_complex_numIfES1_S1_EviiT3_lPKT2_lT1_lS5_lS6_lS2_lPT4_lS6_li
	.p2align	8
	.type	_ZL20rocblas_gemvn_kernelILi32ELi16El19rocblas_complex_numIfES1_S1_EviiT3_lPKT2_lT1_lS5_lS6_lS2_lPT4_lS6_li,@function
_ZL20rocblas_gemvn_kernelILi32ELi16El19rocblas_complex_numIfES1_S1_EviiT3_lPKT2_lT1_lS5_lS6_lS2_lPT4_lS6_li: ; @_ZL20rocblas_gemvn_kernelILi32ELi16El19rocblas_complex_numIfES1_S1_EviiT3_lPKT2_lT1_lS5_lS6_lS2_lPT4_lS6_li
; %bb.0:
	s_load_dwordx2 s[0:1], s[4:5], 0x9c
	s_waitcnt lgkmcnt(0)
	s_lshr_b32 s2, s0, 16
	s_and_b32 s0, s0, 0xffff
	s_and_b32 s1, s1, 0xffff
	s_mul_i32 s0, s2, s0
	s_mul_i32 s0, s0, s1
	s_cmpk_lg_i32 s0, 0x200
	s_cbranch_scc1 .LBB111_47
; %bb.1:
	s_clause 0x1
	s_load_dwordx4 s[28:31], s[4:5], 0x0
	s_load_dwordx2 s[34:35], s[4:5], 0x58
	s_waitcnt lgkmcnt(0)
	v_cmp_neq_f32_e64 s0, s30, 0
	v_cmp_neq_f32_e64 s1, s31, 0
	s_or_b32 s0, s0, s1
	s_and_b32 vcc_lo, exec_lo, s0
	s_mov_b32 s0, -1
	s_cbranch_vccnz .LBB111_3
; %bb.2:
	v_cmp_neq_f32_e64 s0, s34, 1.0
	v_cmp_neq_f32_e64 s1, s35, 0
	s_or_b32 s0, s0, s1
.LBB111_3:
	s_andn2_b32 vcc_lo, exec_lo, s0
	s_cbranch_vccnz .LBB111_47
; %bb.4:
	s_load_dwordx8 s[20:27], s[4:5], 0x68
	v_lshlrev_b32_e32 v57, 5, v1
	v_add_nc_u32_e32 v56, v57, v0
	v_cmp_gt_u32_e32 vcc_lo, 0x80, v56
	s_waitcnt lgkmcnt(0)
	s_mul_i32 s1, s27, s7
	s_mul_hi_u32 s2, s26, s7
	s_mul_i32 s0, s26, s7
	s_add_i32 s1, s2, s1
	s_lshl_b64 s[0:1], s[0:1], 3
	s_add_u32 s2, s20, s0
	s_addc_u32 s3, s21, s1
	s_lshl_b64 s[0:1], s[22:23], 3
	s_add_u32 s33, s2, s0
	s_addc_u32 s38, s3, s1
	s_or_b32 s0, s30, s31
	s_bitset0_b32 s0, 31
	s_cmp_lg_u32 s0, 0
	s_mov_b32 s0, -1
	s_cbranch_scc1 .LBB111_11
; %bb.5:
	s_and_saveexec_b32 s0, vcc_lo
	s_cbranch_execz .LBB111_10
; %bb.6:
	v_lshl_or_b32 v2, s6, 7, v56
	v_mov_b32_e32 v3, 0
	s_ashr_i32 s3, s28, 31
	s_mov_b32 s2, s28
	v_cmp_gt_i64_e32 vcc_lo, s[2:3], v[2:3]
	s_and_b32 exec_lo, exec_lo, vcc_lo
	s_cbranch_execz .LBB111_10
; %bb.7:
	v_mad_u64_u32 v[4:5], null, s24, v2, 0
	v_cmp_neq_f32_e64 s1, s34, 0
	v_cmp_neq_f32_e64 s2, s35, 0
	s_or_b32 s1, s1, s2
	v_mad_u64_u32 v[5:6], null, s25, v2, v[5:6]
	v_mov_b32_e32 v6, v3
	s_andn2_b32 vcc_lo, exec_lo, s1
	v_lshlrev_b64 v[4:5], 3, v[4:5]
	s_cbranch_vccnz .LBB111_9
; %bb.8:
	v_add_co_u32 v2, vcc_lo, s33, v4
	v_add_co_ci_u32_e64 v3, null, s38, v5, vcc_lo
	global_load_dwordx2 v[2:3], v[2:3], off
	s_waitcnt vmcnt(0)
	v_mul_f32_e32 v7, s35, v3
	v_mul_f32_e32 v6, s34, v3
	v_fma_f32 v3, s34, v2, -v7
	v_fmac_f32_e32 v6, s35, v2
.LBB111_9:
	v_add_co_u32 v7, vcc_lo, s33, v4
	v_add_co_ci_u32_e64 v8, null, s38, v5, vcc_lo
	v_mov_b32_e32 v5, v3
	global_store_dwordx2 v[7:8], v[5:6], off
.LBB111_10:
	s_or_b32 exec_lo, exec_lo, s0
	s_mov_b32 s0, 0
.LBB111_11:
	s_andn2_b32 vcc_lo, exec_lo, s0
	s_cbranch_vccnz .LBB111_47
; %bb.12:
	s_load_dwordx16 s[8:23], s[4:5], 0x18
	s_ashr_i32 s0, s29, 31
	s_lshl_b32 s5, s6, 7
	s_lshr_b32 s0, s0, 26
	v_lshlrev_b32_e32 v58, 2, v1
	v_mov_b32_e32 v3, 0
	v_mov_b32_e32 v2, 0
	;; [unrolled: 1-line block ×8, first 2 shown]
	v_add_nc_u32_e32 v4, s5, v0
	s_add_i32 s39, s29, s0
	s_mov_b32 s40, exec_lo
	s_andn2_b32 s39, s39, 63
	s_waitcnt lgkmcnt(0)
	s_mul_i32 s0, s15, s7
	s_mul_hi_u32 s1, s14, s7
	s_mul_i32 s2, s23, s7
	s_mul_hi_u32 s3, s22, s7
	s_mul_i32 s14, s14, s7
	s_add_i32 s15, s1, s0
	s_add_i32 s23, s3, s2
	s_mul_i32 s22, s22, s7
	v_cmpx_gt_i32_e64 s39, v58
	s_cbranch_execz .LBB111_24
; %bb.13:
	v_mad_u64_u32 v[2:3], null, s20, v1, 0
	v_lshlrev_b32_e32 v18, 2, v1
	s_lshl_b64 s[0:1], s[18:19], 3
	v_add_nc_u32_e32 v9, 32, v4
	v_add_nc_u32_e32 v12, 0x60, v4
	s_lshl_b64 s[2:3], s[22:23], 3
	v_or_b32_e32 v11, 3, v18
	v_mad_u64_u32 v[6:7], null, s21, v1, v[3:4]
	s_add_u32 s0, s16, s0
	s_addc_u32 s4, s17, s1
	v_mad_u64_u32 v[7:8], null, s12, v11, 0
	s_add_u32 s6, s0, s2
	v_add_nc_u32_e32 v10, 64, v4
	v_mov_b32_e32 v3, v6
	v_cmp_gt_i32_e64 s0, s28, v9
	v_cmp_gt_i32_e64 s2, s28, v12
	s_addc_u32 s4, s4, s3
	v_mov_b32_e32 v6, v8
	v_lshlrev_b64 v[2:3], 5, v[2:3]
	v_ashrrev_i32_e32 v5, 31, v4
	v_cmp_gt_i32_e64 s1, s28, v10
	s_lshl_b64 s[26:27], s[10:11], 3
	v_mad_u64_u32 v[8:9], null, s13, v11, v[6:7]
	v_add_co_u32 v12, s3, s6, v2
	v_or_b32_e32 v11, 2, v18
	v_add_co_ci_u32_e64 v13, null, s4, v3, s3
	v_mad_u64_u32 v[2:3], null, s12, v1, 0
	v_mad_u64_u32 v[9:10], null, s12, v11, 0
	v_lshlrev_b64 v[14:15], 3, v[4:5]
	v_lshlrev_b64 v[5:6], 3, v[7:8]
	v_mad_u64_u32 v[7:8], null, s12, v18, s[12:13]
	v_mad_u64_u32 v[16:17], null, s13, v1, v[3:4]
	v_mov_b32_e32 v3, v10
	s_lshl_b64 s[6:7], s[20:21], 9
	s_lshl_b64 s[36:37], s[14:15], 3
	s_add_u32 s3, s8, s26
	s_addc_u32 s4, s9, s27
	v_mad_u64_u32 v[10:11], null, s13, v11, v[3:4]
	v_mov_b32_e32 v3, v16
	v_mad_u64_u32 v[16:17], null, s13, v18, v[8:9]
	s_add_u32 s26, s3, s36
	s_addc_u32 s4, s4, s37
	v_lshlrev_b64 v[2:3], 5, v[2:3]
	v_add_co_u32 v5, s3, s26, v5
	v_lshlrev_b64 v[9:10], 3, v[9:10]
	v_mov_b32_e32 v8, v16
	v_add_co_ci_u32_e64 v59, null, s4, v6, s3
	v_add_co_u32 v60, s3, s26, v2
	v_lshlrev_b64 v[6:7], 3, v[7:8]
	v_add_co_ci_u32_e64 v61, null, s4, v3, s3
	v_mov_b32_e32 v3, 0
	v_add_co_u32 v62, s3, s26, v9
	v_add_co_ci_u32_e64 v63, null, s4, v10, s3
	v_add_co_u32 v64, s3, s26, v6
	v_add_co_ci_u32_e64 v65, null, s4, v7, s3
	v_mov_b32_e32 v2, v3
	v_mov_b32_e32 v7, v3
	;; [unrolled: 1-line block ×7, first 2 shown]
	s_lshl_b64 s[26:27], s[12:13], 9
	s_lshl_b64 s[36:37], s[20:21], 3
	s_mov_b32 s41, 0
	v_cmp_gt_i32_e32 vcc_lo, s28, v4
	s_branch .LBB111_18
.LBB111_14:                             ;   in Loop: Header=BB111_18 Depth=1
	s_or_b32 exec_lo, exec_lo, s43
	s_waitcnt vmcnt(3)
	v_mul_f32_e32 v48, v29, v47
	v_mul_f32_e32 v47, v28, v47
	s_waitcnt vmcnt(2)
	v_mul_f32_e32 v49, v25, v45
	v_mul_f32_e32 v45, v24, v45
	s_waitcnt vmcnt(1)
	v_mul_f32_e32 v50, v19, v43
	v_fma_f32 v48, v28, v46, -v48
	v_fmac_f32_e32 v47, v29, v46
	v_mul_f32_e32 v43, v18, v43
	v_fma_f32 v49, v24, v44, -v49
	v_fmac_f32_e32 v45, v25, v44
	v_add_f32_e32 v6, v6, v48
	v_add_f32_e32 v7, v7, v47
	s_waitcnt vmcnt(0)
	v_mul_f32_e32 v46, v17, v41
	v_mul_f32_e32 v41, v16, v41
	v_fma_f32 v44, v18, v42, -v50
	v_add_f32_e32 v6, v49, v6
	v_fmac_f32_e32 v43, v19, v42
	v_add_f32_e32 v7, v45, v7
	v_fma_f32 v42, v16, v40, -v46
	v_fmac_f32_e32 v41, v17, v40
	v_add_f32_e32 v6, v44, v6
	v_add_f32_e32 v7, v43, v7
	;; [unrolled: 1-line block ×4, first 2 shown]
.LBB111_15:                             ;   in Loop: Header=BB111_18 Depth=1
	s_or_b32 exec_lo, exec_lo, s42
	s_waitcnt vmcnt(3)
	v_mul_f32_e32 v40, v29, v39
	v_mul_f32_e32 v39, v28, v39
	s_waitcnt vmcnt(2)
	v_mul_f32_e32 v41, v25, v37
	v_mul_f32_e32 v37, v24, v37
	s_waitcnt vmcnt(1)
	v_mul_f32_e32 v42, v19, v35
	v_fma_f32 v40, v28, v38, -v40
	v_fmac_f32_e32 v39, v29, v38
	v_mul_f32_e32 v35, v18, v35
	v_fma_f32 v41, v24, v36, -v41
	v_fmac_f32_e32 v37, v25, v36
	v_add_f32_e32 v8, v8, v40
	v_add_f32_e32 v9, v9, v39
	s_waitcnt vmcnt(0)
	v_mul_f32_e32 v38, v17, v33
	v_mul_f32_e32 v33, v16, v33
	v_fma_f32 v36, v18, v34, -v42
	v_add_f32_e32 v8, v41, v8
	v_fmac_f32_e32 v35, v19, v34
	v_add_f32_e32 v9, v37, v9
	v_fma_f32 v34, v16, v32, -v38
	v_fmac_f32_e32 v33, v17, v32
	v_add_f32_e32 v8, v36, v8
	v_add_f32_e32 v9, v35, v9
	;; [unrolled: 1-line block ×4, first 2 shown]
.LBB111_16:                             ;   in Loop: Header=BB111_18 Depth=1
	s_or_b32 exec_lo, exec_lo, s3
	s_waitcnt vmcnt(3)
	v_mul_f32_e32 v32, v29, v31
	v_mul_f32_e32 v31, v28, v31
	s_waitcnt vmcnt(2)
	v_mul_f32_e32 v33, v25, v27
	v_mul_f32_e32 v27, v24, v27
	s_waitcnt vmcnt(1)
	v_mul_f32_e32 v34, v19, v23
	v_fma_f32 v28, v28, v30, -v32
	v_fmac_f32_e32 v31, v29, v30
	v_mul_f32_e32 v23, v18, v23
	v_fma_f32 v24, v24, v26, -v33
	v_fmac_f32_e32 v27, v25, v26
	v_add_f32_e32 v10, v10, v28
	v_add_f32_e32 v11, v11, v31
	s_waitcnt vmcnt(0)
	v_mul_f32_e32 v29, v17, v21
	v_mul_f32_e32 v21, v16, v21
	v_fma_f32 v18, v18, v22, -v34
	v_add_f32_e32 v10, v24, v10
	v_fmac_f32_e32 v23, v19, v22
	v_add_f32_e32 v11, v27, v11
	v_fma_f32 v16, v16, v20, -v29
	v_fmac_f32_e32 v21, v17, v20
	v_add_f32_e32 v10, v18, v10
	v_add_f32_e32 v11, v23, v11
	;; [unrolled: 1-line block ×4, first 2 shown]
.LBB111_17:                             ;   in Loop: Header=BB111_18 Depth=1
	s_or_b32 exec_lo, exec_lo, s4
	v_add_co_u32 v12, s3, v12, s6
	v_add_co_ci_u32_e64 v13, null, s7, v13, s3
	v_add_co_u32 v5, s3, v5, s26
	v_add_nc_u32_e32 v58, 64, v58
	v_add_co_ci_u32_e64 v59, null, s27, v59, s3
	v_add_co_u32 v60, s3, v60, s26
	v_add_co_ci_u32_e64 v61, null, s27, v61, s3
	v_add_co_u32 v62, s3, v62, s26
	v_add_co_ci_u32_e64 v63, null, s27, v63, s3
	v_cmp_le_i32_e64 s3, s39, v58
	v_add_co_u32 v64, s4, v64, s26
	v_add_co_ci_u32_e64 v65, null, s27, v65, s4
	s_or_b32 s41, s3, s41
	s_andn2_b32 exec_lo, exec_lo, s41
	s_cbranch_execz .LBB111_23
.LBB111_18:                             ; =>This Inner Loop Header: Depth=1
	s_and_saveexec_b32 s4, vcc_lo
	s_cbranch_execz .LBB111_17
; %bb.19:                               ;   in Loop: Header=BB111_18 Depth=1
	v_add_co_u32 v16, s3, v12, s36
	v_add_co_ci_u32_e64 v17, null, s37, v13, s3
	v_add_co_u32 v18, s3, v16, s36
	v_add_co_ci_u32_e64 v19, null, s37, v17, s3
	;; [unrolled: 2-line block ×7, first 2 shown]
	s_clause 0x3
	global_load_dwordx2 v[28:29], v[12:13], off
	global_load_dwordx2 v[24:25], v[16:17], off
	;; [unrolled: 1-line block ×8, first 2 shown]
	s_and_saveexec_b32 s3, s0
	s_cbranch_execz .LBB111_16
; %bb.20:                               ;   in Loop: Header=BB111_18 Depth=1
	global_load_dwordx2 v[38:39], v[54:55], off offset:256
	global_load_dwordx2 v[36:37], v[52:53], off offset:256
	global_load_dwordx2 v[34:35], v[50:51], off offset:256
	global_load_dwordx2 v[32:33], v[48:49], off offset:256
	s_and_saveexec_b32 s42, s1
	s_cbranch_execz .LBB111_15
; %bb.21:                               ;   in Loop: Header=BB111_18 Depth=1
	global_load_dwordx2 v[46:47], v[54:55], off offset:512
	global_load_dwordx2 v[44:45], v[52:53], off offset:512
	global_load_dwordx2 v[42:43], v[50:51], off offset:512
	global_load_dwordx2 v[40:41], v[48:49], off offset:512
	;; [unrolled: 7-line block ×3, first 2 shown]
	s_waitcnt vmcnt(3)
	v_mul_f32_e32 v66, v29, v55
	v_mul_f32_e32 v55, v28, v55
	s_waitcnt vmcnt(2)
	v_mul_f32_e32 v67, v25, v53
	v_mul_f32_e32 v53, v24, v53
	s_waitcnt vmcnt(1)
	v_mul_f32_e32 v68, v19, v51
	v_fma_f32 v66, v28, v54, -v66
	v_fmac_f32_e32 v55, v29, v54
	v_mul_f32_e32 v51, v18, v51
	v_fma_f32 v67, v24, v52, -v67
	v_fmac_f32_e32 v53, v25, v52
	v_add_f32_e32 v2, v2, v66
	v_add_f32_e32 v3, v3, v55
	s_waitcnt vmcnt(0)
	v_mul_f32_e32 v54, v17, v49
	v_mul_f32_e32 v49, v16, v49
	v_fma_f32 v52, v18, v50, -v68
	v_fmac_f32_e32 v51, v19, v50
	v_add_f32_e32 v2, v67, v2
	v_add_f32_e32 v3, v53, v3
	v_fma_f32 v50, v16, v48, -v54
	v_fmac_f32_e32 v49, v17, v48
	v_add_f32_e32 v2, v52, v2
	v_add_f32_e32 v3, v51, v3
	;; [unrolled: 1-line block ×4, first 2 shown]
	s_branch .LBB111_14
.LBB111_23:
	s_or_b32 exec_lo, exec_lo, s41
.LBB111_24:
	s_or_b32 exec_lo, exec_lo, s40
	s_sub_i32 s0, s29, s39
	s_cmp_lt_i32 s0, 1
	s_cbranch_scc1 .LBB111_42
; %bb.25:
	v_cmp_gt_i32_e32 vcc_lo, s29, v58
	v_mov_b32_e32 v12, 0
	v_or_b32_e32 v20, 1, v58
	v_mov_b32_e32 v13, 0
	v_mov_b32_e32 v14, 0
	;; [unrolled: 1-line block ×7, first 2 shown]
	s_and_saveexec_b32 s1, vcc_lo
	s_cbranch_execz .LBB111_33
; %bb.26:
	v_mad_u64_u32 v[12:13], null, s20, v58, 0
	s_lshl_b64 s[2:3], s[22:23], 3
	v_mov_b32_e32 v19, 0
	s_add_u32 s0, s16, s2
	s_addc_u32 s2, s17, s3
	s_lshl_b64 s[6:7], s[18:19], 3
	v_mov_b32_e32 v18, 0
	v_mov_b32_e32 v5, v13
	s_add_u32 s3, s0, s6
	s_addc_u32 s4, s2, s7
	v_mov_b32_e32 v17, 0
	v_mov_b32_e32 v16, 0
	v_mad_u64_u32 v[13:14], null, s21, v58, v[5:6]
	v_mov_b32_e32 v15, 0
	v_mov_b32_e32 v14, 0
	s_mov_b32 s2, exec_lo
	v_lshlrev_b64 v[12:13], 3, v[12:13]
	v_add_co_u32 v12, s0, s3, v12
	v_add_co_ci_u32_e64 v13, null, s4, v13, s0
	global_load_dwordx2 v[12:13], v[12:13], off
	v_cmpx_gt_i32_e64 s29, v20
	s_cbranch_execz .LBB111_32
; %bb.27:
	v_mad_u64_u32 v[14:15], null, s20, v20, 0
	v_mov_b32_e32 v19, 0
	v_mov_b32_e32 v18, 0
	;; [unrolled: 1-line block ×3, first 2 shown]
	s_mov_b32 s6, exec_lo
	v_mov_b32_e32 v5, v15
	v_mad_u64_u32 v[15:16], null, s21, v20, v[5:6]
	v_or_b32_e32 v5, 2, v58
	v_mov_b32_e32 v16, 0
	v_lshlrev_b64 v[14:15], 3, v[14:15]
	v_add_co_u32 v14, s0, s3, v14
	v_add_co_ci_u32_e64 v15, null, s4, v15, s0
	global_load_dwordx2 v[14:15], v[14:15], off
	v_cmpx_gt_i32_e64 s29, v5
	s_cbranch_execz .LBB111_31
; %bb.28:
	v_mad_u64_u32 v[16:17], null, s20, v5, 0
	v_mov_b32_e32 v19, 0
	s_mov_b32 s7, exec_lo
	v_mad_u64_u32 v[17:18], null, s21, v5, v[17:18]
	v_or_b32_e32 v5, 3, v58
	v_mov_b32_e32 v18, 0
	v_lshlrev_b64 v[16:17], 3, v[16:17]
	v_add_co_u32 v16, s0, s3, v16
	v_add_co_ci_u32_e64 v17, null, s4, v17, s0
	global_load_dwordx2 v[16:17], v[16:17], off
	v_cmpx_gt_i32_e64 s29, v5
	s_cbranch_execz .LBB111_30
; %bb.29:
	v_mad_u64_u32 v[18:19], null, s20, v5, 0
	v_mad_u64_u32 v[21:22], null, s21, v5, v[19:20]
	v_mov_b32_e32 v19, v21
	v_lshlrev_b64 v[18:19], 3, v[18:19]
	v_add_co_u32 v18, s0, s3, v18
	v_add_co_ci_u32_e64 v19, null, s4, v19, s0
	global_load_dwordx2 v[18:19], v[18:19], off
.LBB111_30:
	s_or_b32 exec_lo, exec_lo, s7
.LBB111_31:
	s_or_b32 exec_lo, exec_lo, s6
.LBB111_32:
	s_or_b32 exec_lo, exec_lo, s2
.LBB111_33:
	s_or_b32 exec_lo, exec_lo, s1
	s_mov_b32 s1, exec_lo
	v_cmpx_gt_i32_e64 s28, v4
	s_cbranch_execz .LBB111_41
; %bb.34:
	v_mad_u64_u32 v[21:22], null, s12, v58, 0
	v_mad_u64_u32 v[23:24], null, s12, v20, 0
	v_ashrrev_i32_e32 v5, 31, v4
	v_or_b32_e32 v33, 2, v58
	v_or_b32_e32 v34, 3, v58
	s_lshl_b64 s[2:3], s[14:15], 3
	v_cndmask_b32_e32 v21, 0, v21, vcc_lo
	v_lshlrev_b64 v[28:29], 3, v[4:5]
	v_mad_u64_u32 v[25:26], null, s13, v58, v[22:23]
	v_mov_b32_e32 v5, v24
	v_mad_u64_u32 v[26:27], null, s12, v33, 0
	s_add_u32 s0, s8, s2
	s_addc_u32 s4, s9, s3
	v_mad_u64_u32 v[30:31], null, s13, v20, v[5:6]
	v_cndmask_b32_e32 v22, 0, v25, vcc_lo
	v_cmp_gt_i32_e32 vcc_lo, s29, v20
	s_lshl_b64 s[2:3], s[10:11], 3
	v_mad_u64_u32 v[24:25], null, s12, v34, 0
	v_lshlrev_b64 v[21:22], 3, v[21:22]
	s_add_u32 s2, s0, s2
	v_cndmask_b32_e32 v31, 0, v23, vcc_lo
	v_mov_b32_e32 v5, v27
	v_cndmask_b32_e32 v32, 0, v30, vcc_lo
	s_addc_u32 s3, s4, s3
	v_add_co_u32 v20, s0, s2, v21
	v_add_co_ci_u32_e64 v21, null, s3, v22, s0
	v_lshlrev_b64 v[22:23], 3, v[31:32]
	v_mad_u64_u32 v[30:31], null, s13, v33, v[5:6]
	v_mov_b32_e32 v5, v25
	v_add_co_u32 v20, vcc_lo, v20, v28
	v_add_co_ci_u32_e64 v21, null, v21, v29, vcc_lo
	v_cmp_gt_i32_e32 vcc_lo, s29, v33
	v_mad_u64_u32 v[31:32], null, s13, v34, v[5:6]
	v_add_co_u32 v22, s0, s2, v22
	v_cndmask_b32_e32 v25, 0, v26, vcc_lo
	v_cndmask_b32_e32 v26, 0, v30, vcc_lo
	v_cmp_gt_i32_e32 vcc_lo, s29, v34
	v_add_co_ci_u32_e64 v23, null, s3, v23, s0
	v_add_co_u32 v22, s0, v22, v28
	v_cndmask_b32_e32 v30, 0, v24, vcc_lo
	v_cndmask_b32_e32 v31, 0, v31, vcc_lo
	v_lshlrev_b64 v[24:25], 3, v[25:26]
	v_add_co_ci_u32_e64 v23, null, v23, v29, s0
	s_clause 0x1
	global_load_dwordx2 v[32:33], v[20:21], off
	global_load_dwordx2 v[34:35], v[22:23], off
	v_lshlrev_b64 v[26:27], 3, v[30:31]
	v_add_co_u32 v5, vcc_lo, s2, v24
	v_add_co_ci_u32_e64 v24, null, s3, v25, vcc_lo
	s_mov_b32 s0, exec_lo
	v_add_co_u32 v25, vcc_lo, s2, v26
	v_add_co_ci_u32_e64 v30, null, s3, v27, vcc_lo
	v_add_co_u32 v26, vcc_lo, v5, v28
	v_add_co_ci_u32_e64 v27, null, v24, v29, vcc_lo
	;; [unrolled: 2-line block ×3, first 2 shown]
	s_clause 0x1
	global_load_dwordx2 v[28:29], v[26:27], off
	global_load_dwordx2 v[30:31], v[24:25], off
	s_waitcnt vmcnt(3)
	v_mul_f32_e32 v5, v13, v33
	v_mul_f32_e32 v33, v12, v33
	s_waitcnt vmcnt(2)
	v_mul_f32_e32 v36, v15, v35
	v_mul_f32_e32 v35, v14, v35
	v_fma_f32 v5, v12, v32, -v5
	v_fmac_f32_e32 v33, v13, v32
	v_fma_f32 v32, v14, v34, -v36
	v_fmac_f32_e32 v35, v15, v34
	v_add_f32_e32 v10, v10, v5
	v_add_f32_e32 v11, v11, v33
	v_add_nc_u32_e32 v33, 32, v4
	s_waitcnt vmcnt(1)
	v_mul_f32_e32 v34, v17, v29
	v_mul_f32_e32 v29, v16, v29
	s_waitcnt vmcnt(0)
	v_mul_f32_e32 v36, v19, v31
	v_mul_f32_e32 v5, v18, v31
	v_fma_f32 v31, v16, v28, -v34
	v_fmac_f32_e32 v29, v17, v28
	v_add_f32_e32 v28, v32, v10
	v_add_f32_e32 v32, v35, v11
	v_fma_f32 v10, v18, v30, -v36
	v_fmac_f32_e32 v5, v19, v30
	v_add_f32_e32 v11, v31, v28
	v_add_f32_e32 v28, v29, v32
	v_cmpx_gt_i32_e64 s28, v33
	s_cbranch_execz .LBB111_40
; %bb.35:
	s_clause 0x3
	global_load_dwordx2 v[29:30], v[20:21], off offset:256
	global_load_dwordx2 v[31:32], v[22:23], off offset:256
	;; [unrolled: 1-line block ×4, first 2 shown]
	s_mov_b32 s2, exec_lo
	s_waitcnt vmcnt(3)
	v_mul_f32_e32 v37, v13, v30
	v_mul_f32_e32 v30, v12, v30
	s_waitcnt vmcnt(2)
	v_mul_f32_e32 v38, v15, v32
	v_mul_f32_e32 v32, v14, v32
	s_waitcnt vmcnt(1)
	v_mul_f32_e32 v39, v17, v34
	v_fma_f32 v37, v12, v29, -v37
	v_fmac_f32_e32 v30, v13, v29
	v_mul_f32_e32 v34, v16, v34
	v_fma_f32 v38, v14, v31, -v38
	v_fmac_f32_e32 v32, v15, v31
	v_add_f32_e32 v8, v8, v37
	v_add_f32_e32 v30, v9, v30
	s_waitcnt vmcnt(0)
	v_mul_f32_e32 v29, v19, v36
	v_mul_f32_e32 v9, v18, v36
	v_fma_f32 v31, v16, v33, -v39
	v_fmac_f32_e32 v34, v17, v33
	v_add_f32_e32 v33, v38, v8
	v_add_f32_e32 v30, v32, v30
	v_add_nc_u32_e32 v32, 64, v4
	v_fma_f32 v8, v18, v35, -v29
	v_fmac_f32_e32 v9, v19, v35
	v_add_f32_e32 v29, v31, v33
	v_add_f32_e32 v30, v34, v30
	v_cmpx_gt_i32_e64 s28, v32
	s_cbranch_execz .LBB111_39
; %bb.36:
	s_clause 0x3
	global_load_dwordx2 v[31:32], v[20:21], off offset:512
	global_load_dwordx2 v[33:34], v[22:23], off offset:512
	;; [unrolled: 1-line block ×4, first 2 shown]
	s_mov_b32 s3, exec_lo
	s_waitcnt vmcnt(3)
	v_mul_f32_e32 v39, v13, v32
	v_mul_f32_e32 v32, v12, v32
	s_waitcnt vmcnt(2)
	v_mul_f32_e32 v40, v15, v34
	v_mul_f32_e32 v34, v14, v34
	s_waitcnt vmcnt(1)
	v_mul_f32_e32 v41, v17, v36
	v_fma_f32 v39, v12, v31, -v39
	v_fmac_f32_e32 v32, v13, v31
	v_mul_f32_e32 v36, v16, v36
	v_fma_f32 v40, v14, v33, -v40
	v_fmac_f32_e32 v34, v15, v33
	v_add_f32_e32 v6, v6, v39
	v_add_f32_e32 v32, v7, v32
	s_waitcnt vmcnt(0)
	v_mul_f32_e32 v31, v19, v38
	v_mul_f32_e32 v7, v18, v38
	v_fma_f32 v33, v16, v35, -v41
	v_fmac_f32_e32 v36, v17, v35
	v_add_f32_e32 v6, v40, v6
	v_add_f32_e32 v32, v34, v32
	v_add_nc_u32_e32 v34, 0x60, v4
	v_fma_f32 v4, v18, v37, -v31
	v_fmac_f32_e32 v7, v19, v37
	v_add_f32_e32 v6, v33, v6
	v_add_f32_e32 v31, v36, v32
	v_cmpx_gt_i32_e64 s28, v34
	s_cbranch_execz .LBB111_38
; %bb.37:
	s_clause 0x3
	global_load_dwordx2 v[20:21], v[20:21], off offset:768
	global_load_dwordx2 v[22:23], v[22:23], off offset:768
	;; [unrolled: 1-line block ×4, first 2 shown]
	s_waitcnt vmcnt(3)
	v_mul_f32_e32 v32, v13, v21
	v_mul_f32_e32 v21, v12, v21
	s_waitcnt vmcnt(2)
	v_mul_f32_e32 v33, v15, v23
	v_mul_f32_e32 v23, v14, v23
	s_waitcnt vmcnt(1)
	v_mul_f32_e32 v34, v17, v27
	v_fma_f32 v12, v12, v20, -v32
	v_fmac_f32_e32 v21, v13, v20
	v_mul_f32_e32 v27, v16, v27
	v_fma_f32 v14, v14, v22, -v33
	v_fmac_f32_e32 v23, v15, v22
	v_add_f32_e32 v2, v2, v12
	v_add_f32_e32 v3, v3, v21
	s_waitcnt vmcnt(0)
	v_mul_f32_e32 v13, v19, v25
	v_mul_f32_e32 v12, v18, v25
	v_fma_f32 v15, v16, v26, -v34
	v_fmac_f32_e32 v27, v17, v26
	v_add_f32_e32 v2, v14, v2
	v_add_f32_e32 v3, v23, v3
	v_fma_f32 v13, v18, v24, -v13
	v_fmac_f32_e32 v12, v19, v24
	v_add_f32_e32 v2, v15, v2
	v_add_f32_e32 v3, v27, v3
	;; [unrolled: 1-line block ×4, first 2 shown]
.LBB111_38:
	s_or_b32 exec_lo, exec_lo, s3
	v_add_f32_e32 v6, v4, v6
	v_add_f32_e32 v7, v7, v31
.LBB111_39:
	s_or_b32 exec_lo, exec_lo, s2
	v_add_f32_e32 v8, v8, v29
	v_add_f32_e32 v9, v9, v30
.LBB111_40:
	s_or_b32 exec_lo, exec_lo, s0
	v_add_f32_e32 v10, v10, v11
	v_add_f32_e32 v11, v5, v28
.LBB111_41:
	s_or_b32 exec_lo, exec_lo, s1
.LBB111_42:
	v_lshlrev_b32_e32 v0, 3, v0
	s_mov_b32 s0, exec_lo
	v_lshl_add_u32 v1, v1, 10, v0
	ds_write2_b64 v1, v[10:11], v[8:9] offset1:32
	ds_write2_b64 v1, v[6:7], v[2:3] offset0:64 offset1:96
	s_waitcnt vmcnt(0) lgkmcnt(0)
	s_waitcnt_vscnt null, 0x0
	s_barrier
	buffer_gl0_inv
	v_cmpx_gt_u32_e32 0x80, v56
	s_cbranch_execz .LBB111_47
; %bb.43:
	v_lshl_add_u32 v12, v57, 3, v0
	ds_read2st64_b64 v[0:3], v12 offset1:2
	ds_read2st64_b64 v[4:7], v12 offset0:4 offset1:6
	ds_read2st64_b64 v[8:11], v12 offset0:8 offset1:10
	s_waitcnt lgkmcnt(2)
	v_add_f32_e32 v13, v0, v2
	v_add_f32_e32 v14, v1, v3
	ds_read2st64_b64 v[0:3], v12 offset0:12 offset1:14
	s_waitcnt lgkmcnt(2)
	v_add_f32_e32 v4, v13, v4
	v_add_f32_e32 v5, v14, v5
	v_add_f32_e32 v13, v4, v6
	v_add_f32_e32 v14, v5, v7
	ds_read2st64_b64 v[4:7], v12 offset0:16 offset1:18
	s_waitcnt lgkmcnt(2)
	v_add_f32_e32 v8, v13, v8
	v_add_f32_e32 v9, v14, v9
	;; [unrolled: 6-line block ×5, first 2 shown]
	v_add_f32_e32 v8, v8, v10
	v_add_f32_e32 v9, v9, v11
	s_waitcnt lgkmcnt(1)
	v_add_f32_e32 v0, v8, v0
	v_add_f32_e32 v1, v9, v1
	v_add_f32_e32 v0, v0, v2
	v_add_f32_e32 v1, v1, v3
	s_waitcnt lgkmcnt(0)
	v_add_f32_e32 v2, v0, v4
	v_add_f32_e32 v1, v1, v5
	v_or_b32_e32 v0, s5, v56
	v_add_f32_e32 v2, v2, v6
	v_add_f32_e32 v3, v1, v7
	v_cmp_gt_i32_e32 vcc_lo, s28, v0
	ds_write_b64 v12, v[2:3]
	s_and_b32 exec_lo, exec_lo, vcc_lo
	s_cbranch_execz .LBB111_47
; %bb.44:
	v_ashrrev_i32_e32 v1, 31, v0
	v_mul_lo_u32 v6, s25, v0
	v_mad_u64_u32 v[4:5], null, s24, v0, 0
	v_mul_f32_e32 v0, s31, v3
	v_mul_lo_u32 v1, s24, v1
	v_cmp_neq_f32_e64 s0, s34, 0
	v_cmp_neq_f32_e64 s1, s35, 0
	v_fma_f32 v0, v2, s30, -v0
	s_or_b32 s0, s0, s1
	v_add3_u32 v5, v5, v1, v6
	v_mul_f32_e32 v1, s30, v3
	s_andn2_b32 vcc_lo, exec_lo, s0
	v_lshlrev_b64 v[3:4], 3, v[4:5]
	v_fmac_f32_e32 v1, s31, v2
	s_cbranch_vccnz .LBB111_46
; %bb.45:
	v_add_co_u32 v5, vcc_lo, s33, v3
	v_add_co_ci_u32_e64 v6, null, s38, v4, vcc_lo
	global_load_dwordx2 v[5:6], v[5:6], off
	s_waitcnt vmcnt(0)
	v_mul_f32_e32 v2, s35, v6
	v_mul_f32_e32 v6, s34, v6
	v_fma_f32 v2, s34, v5, -v2
	v_fmac_f32_e32 v6, s35, v5
	v_add_f32_e32 v0, v0, v2
	v_add_f32_e32 v1, v1, v6
.LBB111_46:
	v_add_co_u32 v2, vcc_lo, s33, v3
	v_add_co_ci_u32_e64 v3, null, s38, v4, vcc_lo
	global_store_dwordx2 v[2:3], v[0:1], off
.LBB111_47:
	s_endpgm
	.section	.rodata,"a",@progbits
	.p2align	6, 0x0
	.amdhsa_kernel _ZL20rocblas_gemvn_kernelILi32ELi16El19rocblas_complex_numIfES1_S1_EviiT3_lPKT2_lT1_lS5_lS6_lS2_lPT4_lS6_li
		.amdhsa_group_segment_fixed_size 16384
		.amdhsa_private_segment_fixed_size 0
		.amdhsa_kernarg_size 400
		.amdhsa_user_sgpr_count 6
		.amdhsa_user_sgpr_private_segment_buffer 1
		.amdhsa_user_sgpr_dispatch_ptr 0
		.amdhsa_user_sgpr_queue_ptr 0
		.amdhsa_user_sgpr_kernarg_segment_ptr 1
		.amdhsa_user_sgpr_dispatch_id 0
		.amdhsa_user_sgpr_flat_scratch_init 0
		.amdhsa_user_sgpr_private_segment_size 0
		.amdhsa_wavefront_size32 1
		.amdhsa_uses_dynamic_stack 0
		.amdhsa_system_sgpr_private_segment_wavefront_offset 0
		.amdhsa_system_sgpr_workgroup_id_x 1
		.amdhsa_system_sgpr_workgroup_id_y 0
		.amdhsa_system_sgpr_workgroup_id_z 1
		.amdhsa_system_sgpr_workgroup_info 0
		.amdhsa_system_vgpr_workitem_id 1
		.amdhsa_next_free_vgpr 69
		.amdhsa_next_free_sgpr 44
		.amdhsa_reserve_vcc 1
		.amdhsa_reserve_flat_scratch 0
		.amdhsa_float_round_mode_32 0
		.amdhsa_float_round_mode_16_64 0
		.amdhsa_float_denorm_mode_32 3
		.amdhsa_float_denorm_mode_16_64 3
		.amdhsa_dx10_clamp 1
		.amdhsa_ieee_mode 1
		.amdhsa_fp16_overflow 0
		.amdhsa_workgroup_processor_mode 1
		.amdhsa_memory_ordered 1
		.amdhsa_forward_progress 1
		.amdhsa_shared_vgpr_count 0
		.amdhsa_exception_fp_ieee_invalid_op 0
		.amdhsa_exception_fp_denorm_src 0
		.amdhsa_exception_fp_ieee_div_zero 0
		.amdhsa_exception_fp_ieee_overflow 0
		.amdhsa_exception_fp_ieee_underflow 0
		.amdhsa_exception_fp_ieee_inexact 0
		.amdhsa_exception_int_div_zero 0
	.end_amdhsa_kernel
	.section	.text._ZL20rocblas_gemvn_kernelILi32ELi16El19rocblas_complex_numIfES1_S1_EviiT3_lPKT2_lT1_lS5_lS6_lS2_lPT4_lS6_li,"axG",@progbits,_ZL20rocblas_gemvn_kernelILi32ELi16El19rocblas_complex_numIfES1_S1_EviiT3_lPKT2_lT1_lS5_lS6_lS2_lPT4_lS6_li,comdat
.Lfunc_end111:
	.size	_ZL20rocblas_gemvn_kernelILi32ELi16El19rocblas_complex_numIfES1_S1_EviiT3_lPKT2_lT1_lS5_lS6_lS2_lPT4_lS6_li, .Lfunc_end111-_ZL20rocblas_gemvn_kernelILi32ELi16El19rocblas_complex_numIfES1_S1_EviiT3_lPKT2_lT1_lS5_lS6_lS2_lPT4_lS6_li
                                        ; -- End function
	.set _ZL20rocblas_gemvn_kernelILi32ELi16El19rocblas_complex_numIfES1_S1_EviiT3_lPKT2_lT1_lS5_lS6_lS2_lPT4_lS6_li.num_vgpr, 69
	.set _ZL20rocblas_gemvn_kernelILi32ELi16El19rocblas_complex_numIfES1_S1_EviiT3_lPKT2_lT1_lS5_lS6_lS2_lPT4_lS6_li.num_agpr, 0
	.set _ZL20rocblas_gemvn_kernelILi32ELi16El19rocblas_complex_numIfES1_S1_EviiT3_lPKT2_lT1_lS5_lS6_lS2_lPT4_lS6_li.numbered_sgpr, 44
	.set _ZL20rocblas_gemvn_kernelILi32ELi16El19rocblas_complex_numIfES1_S1_EviiT3_lPKT2_lT1_lS5_lS6_lS2_lPT4_lS6_li.num_named_barrier, 0
	.set _ZL20rocblas_gemvn_kernelILi32ELi16El19rocblas_complex_numIfES1_S1_EviiT3_lPKT2_lT1_lS5_lS6_lS2_lPT4_lS6_li.private_seg_size, 0
	.set _ZL20rocblas_gemvn_kernelILi32ELi16El19rocblas_complex_numIfES1_S1_EviiT3_lPKT2_lT1_lS5_lS6_lS2_lPT4_lS6_li.uses_vcc, 1
	.set _ZL20rocblas_gemvn_kernelILi32ELi16El19rocblas_complex_numIfES1_S1_EviiT3_lPKT2_lT1_lS5_lS6_lS2_lPT4_lS6_li.uses_flat_scratch, 0
	.set _ZL20rocblas_gemvn_kernelILi32ELi16El19rocblas_complex_numIfES1_S1_EviiT3_lPKT2_lT1_lS5_lS6_lS2_lPT4_lS6_li.has_dyn_sized_stack, 0
	.set _ZL20rocblas_gemvn_kernelILi32ELi16El19rocblas_complex_numIfES1_S1_EviiT3_lPKT2_lT1_lS5_lS6_lS2_lPT4_lS6_li.has_recursion, 0
	.set _ZL20rocblas_gemvn_kernelILi32ELi16El19rocblas_complex_numIfES1_S1_EviiT3_lPKT2_lT1_lS5_lS6_lS2_lPT4_lS6_li.has_indirect_call, 0
	.section	.AMDGPU.csdata,"",@progbits
; Kernel info:
; codeLenInByte = 3844
; TotalNumSgprs: 46
; NumVgprs: 69
; ScratchSize: 0
; MemoryBound: 0
; FloatMode: 240
; IeeeMode: 1
; LDSByteSize: 16384 bytes/workgroup (compile time only)
; SGPRBlocks: 0
; VGPRBlocks: 8
; NumSGPRsForWavesPerEU: 46
; NumVGPRsForWavesPerEU: 69
; Occupancy: 12
; WaveLimiterHint : 1
; COMPUTE_PGM_RSRC2:SCRATCH_EN: 0
; COMPUTE_PGM_RSRC2:USER_SGPR: 6
; COMPUTE_PGM_RSRC2:TRAP_HANDLER: 0
; COMPUTE_PGM_RSRC2:TGID_X_EN: 1
; COMPUTE_PGM_RSRC2:TGID_Y_EN: 0
; COMPUTE_PGM_RSRC2:TGID_Z_EN: 1
; COMPUTE_PGM_RSRC2:TIDIG_COMP_CNT: 1
	.section	.text._ZL20rocblas_gemvn_kernelILi64ELi16Ei19rocblas_complex_numIfEPKS1_S1_EviiT3_lPKT2_lT1_lS7_lS8_lS4_lPT4_lS8_li,"axG",@progbits,_ZL20rocblas_gemvn_kernelILi64ELi16Ei19rocblas_complex_numIfEPKS1_S1_EviiT3_lPKT2_lT1_lS7_lS8_lS4_lPT4_lS8_li,comdat
	.globl	_ZL20rocblas_gemvn_kernelILi64ELi16Ei19rocblas_complex_numIfEPKS1_S1_EviiT3_lPKT2_lT1_lS7_lS8_lS4_lPT4_lS8_li ; -- Begin function _ZL20rocblas_gemvn_kernelILi64ELi16Ei19rocblas_complex_numIfEPKS1_S1_EviiT3_lPKT2_lT1_lS7_lS8_lS4_lPT4_lS8_li
	.p2align	8
	.type	_ZL20rocblas_gemvn_kernelILi64ELi16Ei19rocblas_complex_numIfEPKS1_S1_EviiT3_lPKT2_lT1_lS7_lS8_lS4_lPT4_lS8_li,@function
_ZL20rocblas_gemvn_kernelILi64ELi16Ei19rocblas_complex_numIfEPKS1_S1_EviiT3_lPKT2_lT1_lS7_lS8_lS4_lPT4_lS8_li: ; @_ZL20rocblas_gemvn_kernelILi64ELi16Ei19rocblas_complex_numIfEPKS1_S1_EviiT3_lPKT2_lT1_lS7_lS8_lS4_lPT4_lS8_li
; %bb.0:
	s_load_dwordx2 s[0:1], s[4:5], 0x9c
	s_waitcnt lgkmcnt(0)
	s_lshr_b32 s2, s0, 16
	s_and_b32 s0, s0, 0xffff
	s_and_b32 s1, s1, 0xffff
	s_mul_i32 s0, s2, s0
	s_mul_i32 s0, s0, s1
	s_cmpk_lg_i32 s0, 0x400
	s_cbranch_scc1 .LBB112_47
; %bb.1:
	s_clause 0x1
	s_load_dwordx8 s[8:15], s[4:5], 0x8
	s_load_dwordx8 s[16:23], s[4:5], 0x50
	s_waitcnt lgkmcnt(0)
	s_mul_i32 s1, s11, s7
	s_mul_hi_u32 s2, s10, s7
	s_mul_i32 s0, s10, s7
	s_add_i32 s1, s2, s1
	s_mul_hi_u32 s2, s20, s7
	s_lshl_b64 s[0:1], s[0:1], 3
	s_add_u32 s0, s8, s0
	s_addc_u32 s1, s9, s1
	s_load_dwordx2 s[10:11], s[0:1], 0x0
	s_mul_i32 s1, s21, s7
	s_mul_i32 s0, s20, s7
	s_add_i32 s1, s2, s1
	s_lshl_b64 s[0:1], s[0:1], 3
	s_add_u32 s0, s18, s0
	s_addc_u32 s1, s19, s1
	s_load_dwordx2 s[8:9], s[0:1], 0x0
	s_waitcnt lgkmcnt(0)
	v_cmp_neq_f32_e64 s0, s10, 0
	v_cmp_neq_f32_e64 s1, s11, 0
	s_or_b32 s0, s0, s1
	s_and_b32 vcc_lo, exec_lo, s0
	s_mov_b32 s0, -1
	s_cbranch_vccnz .LBB112_3
; %bb.2:
	v_cmp_neq_f32_e64 s0, s8, 1.0
	v_cmp_neq_f32_e64 s1, s9, 0
	s_or_b32 s0, s0, s1
.LBB112_3:
	s_andn2_b32 vcc_lo, exec_lo, s0
	s_cbranch_vccnz .LBB112_47
; %bb.4:
	s_clause 0x3
	s_load_dwordx2 s[0:1], s[4:5], 0x80
	s_load_dwordx2 s[2:3], s[4:5], 0x70
	s_load_dword s24, s[4:5], 0x78
	s_load_dwordx2 s[18:19], s[4:5], 0x0
	v_lshlrev_b32_e32 v54, 6, v1
	v_add_nc_u32_e32 v53, v54, v0
	v_cmp_gt_u32_e32 vcc_lo, 0x100, v53
	s_waitcnt lgkmcnt(0)
	s_mul_i32 s1, s1, s7
	s_mul_hi_u32 s20, s0, s7
	s_mul_i32 s0, s0, s7
	s_add_i32 s1, s20, s1
	s_lshl_b64 s[0:1], s[0:1], 3
	s_add_u32 s20, s22, s0
	s_addc_u32 s21, s23, s1
	s_lshl_b64 s[0:1], s[2:3], 3
	s_add_u32 s20, s20, s0
	s_addc_u32 s21, s21, s1
	s_or_b32 s0, s10, s11
	s_bitset0_b32 s0, 31
	s_cmp_lg_u32 s0, 0
	s_mov_b32 s0, -1
	s_cbranch_scc1 .LBB112_11
; %bb.5:
	s_and_saveexec_b32 s0, vcc_lo
	s_cbranch_execz .LBB112_10
; %bb.6:
	v_lshl_or_b32 v2, s6, 8, v53
	v_mov_b32_e32 v3, 0
	s_ashr_i32 s3, s18, 31
	s_mov_b32 s2, s18
	v_cmp_gt_i64_e32 vcc_lo, s[2:3], v[2:3]
	s_and_b32 exec_lo, exec_lo, vcc_lo
	s_cbranch_execz .LBB112_10
; %bb.7:
	v_mad_u64_u32 v[4:5], null, s24, v2, 0
	s_ashr_i32 s3, s24, 31
	v_cmp_neq_f32_e64 s1, s8, 0
	v_cmp_neq_f32_e64 s2, s9, 0
	v_mad_u64_u32 v[5:6], null, s3, v2, v[5:6]
	v_mov_b32_e32 v6, v3
	s_or_b32 s1, s1, s2
	s_andn2_b32 vcc_lo, exec_lo, s1
	v_lshlrev_b64 v[4:5], 3, v[4:5]
	s_cbranch_vccnz .LBB112_9
; %bb.8:
	v_add_co_u32 v2, vcc_lo, s20, v4
	v_add_co_ci_u32_e64 v3, null, s21, v5, vcc_lo
	global_load_dwordx2 v[2:3], v[2:3], off
	s_waitcnt vmcnt(0)
	v_mul_f32_e32 v7, s9, v3
	v_mul_f32_e32 v6, s8, v3
	v_fma_f32 v3, s8, v2, -v7
	v_fmac_f32_e32 v6, s9, v2
.LBB112_9:
	v_add_co_u32 v7, vcc_lo, s20, v4
	v_add_co_ci_u32_e64 v8, null, s21, v5, vcc_lo
	v_mov_b32_e32 v5, v3
	global_store_dwordx2 v[7:8], v[5:6], off
.LBB112_10:
	s_or_b32 exec_lo, exec_lo, s0
	s_mov_b32 s0, 0
.LBB112_11:
	s_andn2_b32 vcc_lo, exec_lo, s0
	s_cbranch_vccnz .LBB112_47
; %bb.12:
	s_clause 0x3
	s_load_dwordx4 s[0:3], s[4:5], 0x30
	s_load_dword s22, s[4:5], 0x28
	s_load_dwordx2 s[26:27], s[4:5], 0x40
	s_load_dword s4, s[4:5], 0x48
	s_mul_i32 s5, s17, s7
	s_mul_hi_u32 s17, s16, s7
	s_mul_i32 s16, s16, s7
	v_lshlrev_b32_e32 v56, 2, v1
	v_mov_b32_e32 v3, 0
	v_mov_b32_e32 v2, 0
	;; [unrolled: 1-line block ×8, first 2 shown]
	s_waitcnt lgkmcnt(0)
	s_mul_i32 s1, s1, s7
	s_mul_hi_u32 s23, s0, s7
	s_mul_i32 s0, s0, s7
	s_add_i32 s1, s23, s1
	s_lshl_b64 s[0:1], s[0:1], 3
	s_add_u32 s7, s12, s0
	s_addc_u32 s12, s13, s1
	s_lshl_b64 s[0:1], s[14:15], 3
	s_mov_b32 s15, exec_lo
	s_add_u32 s7, s7, s0
	s_addc_u32 s12, s12, s1
	s_add_i32 s17, s17, s5
	s_lshl_b64 s[0:1], s[16:17], 3
	s_add_u32 s2, s2, s0
	s_addc_u32 s3, s3, s1
	s_lshl_b64 s[0:1], s[26:27], 3
	s_add_u32 s13, s2, s0
	s_addc_u32 s14, s3, s1
	s_ashr_i32 s0, s19, 31
	s_lshl_b32 s5, s6, 8
	s_lshr_b32 s0, s0, 26
	v_add_nc_u32_e32 v55, s5, v0
	s_add_i32 s0, s19, s0
	s_and_b32 s6, s0, 0xffffffc0
	v_cmpx_gt_i32_e64 s6, v56
	s_cbranch_execz .LBB112_24
; %bb.13:
	v_mul_lo_u32 v3, s22, v56
	v_add_nc_u32_e32 v2, 64, v55
	v_add_nc_u32_e32 v4, 0x80, v55
	;; [unrolled: 1-line block ×3, first 2 shown]
	s_lshl_b32 s16, s22, 6
	s_lshl_b32 s23, s4, 6
	v_cmp_gt_i32_e64 s0, s18, v2
	v_add_nc_u32_e32 v2, 2, v56
	v_add3_u32 v57, v3, s22, v0
	v_mul_lo_u32 v3, v1, s22
	v_cmp_gt_i32_e64 s1, s18, v4
	v_add_nc_u32_e32 v4, 3, v56
	v_cmp_gt_i32_e64 s2, s18, v5
	v_mul_lo_u32 v5, v1, s4
	v_mad_u64_u32 v[10:11], null, s22, v2, v[0:1]
	v_mad_u64_u32 v[11:12], null, s22, v4, v[0:1]
	v_lshl_add_u32 v58, v3, 2, v0
	v_mov_b32_e32 v3, 0
	v_mad_u64_u32 v[12:13], null, s4, v56, s[4:5]
	v_mul_lo_u32 v59, s4, v2
	v_mul_lo_u32 v60, s4, v4
	v_lshlrev_b32_e32 v61, 2, v5
	v_mov_b32_e32 v2, v3
	v_mov_b32_e32 v5, v3
	v_mov_b32_e32 v4, v3
	v_mov_b32_e32 v7, v3
	v_mov_b32_e32 v6, v3
	v_mov_b32_e32 v9, v3
	v_mov_b32_e32 v8, v3
	s_mov_b32 s17, 0
	s_mov_b32 s25, 0
	v_cmp_gt_i32_e32 vcc_lo, s18, v55
	s_branch .LBB112_18
.LBB112_14:                             ;   in Loop: Header=BB112_18 Depth=1
	s_or_b32 exec_lo, exec_lo, s28
	s_waitcnt vmcnt(3)
	v_mul_f32_e32 v45, v26, v44
	v_mul_f32_e32 v44, v25, v44
	s_waitcnt vmcnt(2)
	v_mul_f32_e32 v46, v22, v42
	v_mul_f32_e32 v42, v21, v42
	s_waitcnt vmcnt(1)
	v_mul_f32_e32 v47, v16, v40
	v_fma_f32 v45, v25, v43, -v45
	v_fmac_f32_e32 v44, v26, v43
	v_mul_f32_e32 v40, v15, v40
	v_fma_f32 v46, v21, v41, -v46
	v_fmac_f32_e32 v42, v22, v41
	v_add_f32_e32 v4, v4, v45
	v_add_f32_e32 v5, v5, v44
	s_waitcnt vmcnt(0)
	v_mul_f32_e32 v43, v14, v38
	v_mul_f32_e32 v38, v13, v38
	v_fma_f32 v41, v15, v39, -v47
	v_add_f32_e32 v4, v46, v4
	v_fmac_f32_e32 v40, v16, v39
	v_add_f32_e32 v5, v42, v5
	v_fma_f32 v39, v13, v37, -v43
	v_fmac_f32_e32 v38, v14, v37
	v_add_f32_e32 v4, v41, v4
	v_add_f32_e32 v5, v40, v5
	;; [unrolled: 1-line block ×4, first 2 shown]
.LBB112_15:                             ;   in Loop: Header=BB112_18 Depth=1
	s_or_b32 exec_lo, exec_lo, s27
	s_waitcnt vmcnt(3)
	v_mul_f32_e32 v37, v26, v36
	v_mul_f32_e32 v36, v25, v36
	s_waitcnt vmcnt(2)
	v_mul_f32_e32 v38, v22, v34
	v_mul_f32_e32 v34, v21, v34
	s_waitcnt vmcnt(1)
	v_mul_f32_e32 v39, v16, v32
	v_fma_f32 v37, v25, v35, -v37
	v_fmac_f32_e32 v36, v26, v35
	v_mul_f32_e32 v32, v15, v32
	v_fma_f32 v38, v21, v33, -v38
	v_fmac_f32_e32 v34, v22, v33
	v_add_f32_e32 v6, v6, v37
	v_add_f32_e32 v7, v7, v36
	s_waitcnt vmcnt(0)
	v_mul_f32_e32 v35, v14, v30
	v_mul_f32_e32 v30, v13, v30
	v_fma_f32 v33, v15, v31, -v39
	v_add_f32_e32 v6, v38, v6
	v_fmac_f32_e32 v32, v16, v31
	v_add_f32_e32 v7, v34, v7
	v_fma_f32 v31, v13, v29, -v35
	v_fmac_f32_e32 v30, v14, v29
	v_add_f32_e32 v6, v33, v6
	v_add_f32_e32 v7, v32, v7
	;; [unrolled: 1-line block ×4, first 2 shown]
.LBB112_16:                             ;   in Loop: Header=BB112_18 Depth=1
	s_or_b32 exec_lo, exec_lo, s3
	s_waitcnt vmcnt(3)
	v_mul_f32_e32 v29, v26, v28
	v_mul_f32_e32 v28, v25, v28
	s_waitcnt vmcnt(2)
	v_mul_f32_e32 v30, v22, v24
	v_mul_f32_e32 v24, v21, v24
	s_waitcnt vmcnt(1)
	v_mul_f32_e32 v31, v16, v20
	v_fma_f32 v25, v25, v27, -v29
	v_fmac_f32_e32 v28, v26, v27
	v_mul_f32_e32 v20, v15, v20
	v_fma_f32 v21, v21, v23, -v30
	v_fmac_f32_e32 v24, v22, v23
	v_add_f32_e32 v8, v8, v25
	v_add_f32_e32 v9, v9, v28
	s_waitcnt vmcnt(0)
	v_mul_f32_e32 v26, v14, v18
	v_mul_f32_e32 v18, v13, v18
	v_fma_f32 v15, v15, v19, -v31
	v_add_f32_e32 v8, v21, v8
	v_fmac_f32_e32 v20, v16, v19
	v_add_f32_e32 v9, v24, v9
	v_fma_f32 v13, v13, v17, -v26
	v_fmac_f32_e32 v18, v14, v17
	v_add_f32_e32 v8, v15, v8
	v_add_f32_e32 v9, v20, v9
	;; [unrolled: 1-line block ×4, first 2 shown]
.LBB112_17:                             ;   in Loop: Header=BB112_18 Depth=1
	s_or_b32 exec_lo, exec_lo, s26
	v_add_nc_u32_e32 v56, 64, v56
	v_add_nc_u32_e32 v57, s16, v57
	;; [unrolled: 1-line block ×5, first 2 shown]
	v_cmp_le_i32_e64 s3, s6, v56
	s_add_i32 s25, s25, s23
	s_or_b32 s17, s3, s17
	s_andn2_b32 exec_lo, exec_lo, s17
	s_cbranch_execz .LBB112_23
.LBB112_18:                             ; =>This Inner Loop Header: Depth=1
	s_and_saveexec_b32 s26, vcc_lo
	s_cbranch_execz .LBB112_17
; %bb.19:                               ;   in Loop: Header=BB112_18 Depth=1
	v_add_nc_u32_e32 v13, s25, v61
	v_add_nc_u32_e32 v15, s25, v12
	;; [unrolled: 1-line block ×5, first 2 shown]
	v_ashrrev_i32_e32 v14, 31, v13
	v_ashrrev_i32_e32 v16, 31, v15
	;; [unrolled: 1-line block ×3, first 2 shown]
	v_add_nc_u32_e32 v23, s5, v57
	v_ashrrev_i32_e32 v20, 31, v19
	v_lshlrev_b64 v[13:14], 3, v[13:14]
	v_lshlrev_b64 v[15:16], 3, v[15:16]
	v_ashrrev_i32_e32 v22, 31, v21
	v_lshlrev_b64 v[17:18], 3, v[17:18]
	v_ashrrev_i32_e32 v24, 31, v23
	v_lshlrev_b64 v[19:20], 3, v[19:20]
	v_add_co_u32 v13, s3, s13, v13
	v_add_nc_u32_e32 v25, s5, v10
	v_add_co_ci_u32_e64 v14, null, s14, v14, s3
	v_add_co_u32 v15, s3, s13, v15
	v_lshlrev_b64 v[21:22], 3, v[21:22]
	v_add_nc_u32_e32 v27, s5, v11
	v_add_co_ci_u32_e64 v16, null, s14, v16, s3
	v_add_co_u32 v17, s3, s13, v17
	v_lshlrev_b64 v[23:24], 3, v[23:24]
	v_ashrrev_i32_e32 v26, 31, v25
	v_add_co_ci_u32_e64 v18, null, s14, v18, s3
	v_add_co_u32 v19, s3, s13, v19
	v_ashrrev_i32_e32 v28, 31, v27
	v_add_co_ci_u32_e64 v20, null, s14, v20, s3
	v_add_co_u32 v51, s3, s7, v21
	v_add_co_ci_u32_e64 v52, null, s12, v22, s3
	v_lshlrev_b64 v[21:22], 3, v[25:26]
	v_add_co_u32 v49, s3, s7, v23
	v_add_co_ci_u32_e64 v50, null, s12, v24, s3
	v_lshlrev_b64 v[23:24], 3, v[27:28]
	v_add_co_u32 v47, s3, s7, v21
	v_add_co_ci_u32_e64 v48, null, s12, v22, s3
	v_add_co_u32 v45, s3, s7, v23
	v_add_co_ci_u32_e64 v46, null, s12, v24, s3
	s_clause 0x3
	global_load_dwordx2 v[25:26], v[13:14], off
	global_load_dwordx2 v[21:22], v[15:16], off
	;; [unrolled: 1-line block ×4, first 2 shown]
	s_clause 0x3
	global_load_dwordx2 v[27:28], v[51:52], off
	global_load_dwordx2 v[23:24], v[49:50], off
	;; [unrolled: 1-line block ×4, first 2 shown]
	s_and_saveexec_b32 s3, s0
	s_cbranch_execz .LBB112_16
; %bb.20:                               ;   in Loop: Header=BB112_18 Depth=1
	s_clause 0x3
	global_load_dwordx2 v[35:36], v[51:52], off offset:512
	global_load_dwordx2 v[33:34], v[49:50], off offset:512
	global_load_dwordx2 v[31:32], v[47:48], off offset:512
	global_load_dwordx2 v[29:30], v[45:46], off offset:512
	s_and_saveexec_b32 s27, s1
	s_cbranch_execz .LBB112_15
; %bb.21:                               ;   in Loop: Header=BB112_18 Depth=1
	s_clause 0x3
	global_load_dwordx2 v[43:44], v[51:52], off offset:1024
	global_load_dwordx2 v[41:42], v[49:50], off offset:1024
	global_load_dwordx2 v[39:40], v[47:48], off offset:1024
	global_load_dwordx2 v[37:38], v[45:46], off offset:1024
	;; [unrolled: 8-line block ×3, first 2 shown]
	s_waitcnt vmcnt(3)
	v_mul_f32_e32 v62, v26, v52
	v_mul_f32_e32 v52, v25, v52
	s_waitcnt vmcnt(2)
	v_mul_f32_e32 v63, v22, v50
	v_mul_f32_e32 v50, v21, v50
	s_waitcnt vmcnt(1)
	v_mul_f32_e32 v64, v16, v48
	v_fma_f32 v62, v25, v51, -v62
	v_fmac_f32_e32 v52, v26, v51
	v_mul_f32_e32 v48, v15, v48
	v_fma_f32 v63, v21, v49, -v63
	v_fmac_f32_e32 v50, v22, v49
	v_add_f32_e32 v2, v2, v62
	v_add_f32_e32 v3, v3, v52
	s_waitcnt vmcnt(0)
	v_mul_f32_e32 v51, v14, v46
	v_mul_f32_e32 v46, v13, v46
	v_fma_f32 v49, v15, v47, -v64
	v_fmac_f32_e32 v48, v16, v47
	v_add_f32_e32 v2, v63, v2
	v_add_f32_e32 v3, v50, v3
	v_fma_f32 v47, v13, v45, -v51
	v_fmac_f32_e32 v46, v14, v45
	v_add_f32_e32 v2, v49, v2
	v_add_f32_e32 v3, v48, v3
	;; [unrolled: 1-line block ×4, first 2 shown]
	s_branch .LBB112_14
.LBB112_23:
	s_or_b32 exec_lo, exec_lo, s17
.LBB112_24:
	s_or_b32 exec_lo, exec_lo, s15
	s_sub_i32 s0, s19, s6
	s_cmp_lt_i32 s0, 1
	s_cbranch_scc1 .LBB112_42
; %bb.25:
	v_cmp_gt_i32_e32 vcc_lo, s19, v56
	v_mov_b32_e32 v10, 0
	v_or_b32_e32 v18, 1, v56
	v_mov_b32_e32 v11, 0
	v_mov_b32_e32 v12, 0
	;; [unrolled: 1-line block ×7, first 2 shown]
	s_and_saveexec_b32 s1, vcc_lo
	s_cbranch_execz .LBB112_33
; %bb.26:
	v_mul_lo_u32 v10, v56, s4
	v_mov_b32_e32 v17, 0
	v_mov_b32_e32 v16, 0
	v_mov_b32_e32 v15, 0
	v_mov_b32_e32 v14, 0
	v_mov_b32_e32 v13, 0
	v_mov_b32_e32 v12, 0
	s_mov_b32 s2, exec_lo
	v_ashrrev_i32_e32 v11, 31, v10
	v_lshlrev_b64 v[10:11], 3, v[10:11]
	v_add_co_u32 v10, s0, s13, v10
	v_add_co_ci_u32_e64 v11, null, s14, v11, s0
	global_load_dwordx2 v[10:11], v[10:11], off
	v_cmpx_gt_i32_e64 s19, v18
	s_cbranch_execz .LBB112_32
; %bb.27:
	v_mul_lo_u32 v12, v18, s4
	v_or_b32_e32 v19, 2, v56
	v_mov_b32_e32 v17, 0
	v_mov_b32_e32 v16, 0
	;; [unrolled: 1-line block ×4, first 2 shown]
	s_mov_b32 s3, exec_lo
	v_ashrrev_i32_e32 v13, 31, v12
	v_lshlrev_b64 v[12:13], 3, v[12:13]
	v_add_co_u32 v12, s0, s13, v12
	v_add_co_ci_u32_e64 v13, null, s14, v13, s0
	global_load_dwordx2 v[12:13], v[12:13], off
	v_cmpx_gt_i32_e64 s19, v19
	s_cbranch_execz .LBB112_31
; %bb.28:
	v_mul_lo_u32 v14, v19, s4
	v_or_b32_e32 v19, 3, v56
	v_mov_b32_e32 v17, 0
	v_mov_b32_e32 v16, 0
	s_mov_b32 s6, exec_lo
	v_ashrrev_i32_e32 v15, 31, v14
	v_lshlrev_b64 v[14:15], 3, v[14:15]
	v_add_co_u32 v14, s0, s13, v14
	v_add_co_ci_u32_e64 v15, null, s14, v15, s0
	global_load_dwordx2 v[14:15], v[14:15], off
	v_cmpx_gt_i32_e64 s19, v19
	s_cbranch_execz .LBB112_30
; %bb.29:
	v_mul_lo_u32 v16, v19, s4
	v_ashrrev_i32_e32 v17, 31, v16
	v_lshlrev_b64 v[16:17], 3, v[16:17]
	v_add_co_u32 v16, s0, s13, v16
	v_add_co_ci_u32_e64 v17, null, s14, v17, s0
	global_load_dwordx2 v[16:17], v[16:17], off
.LBB112_30:
	s_or_b32 exec_lo, exec_lo, s6
.LBB112_31:
	s_or_b32 exec_lo, exec_lo, s3
.LBB112_32:
	s_or_b32 exec_lo, exec_lo, s2
.LBB112_33:
	s_or_b32 exec_lo, exec_lo, s1
	s_mov_b32 s1, exec_lo
	v_cmpx_gt_i32_e64 s18, v55
	s_cbranch_execz .LBB112_41
; %bb.34:
	v_mul_lo_u32 v19, v56, s22
	v_mul_lo_u32 v20, v18, s22
	v_or_b32_e32 v21, 2, v56
	v_or_b32_e32 v22, 3, v56
	s_mov_b32 s0, exec_lo
	v_mul_lo_u32 v23, v21, s22
	v_cndmask_b32_e32 v19, 0, v19, vcc_lo
	v_cmp_gt_i32_e32 vcc_lo, s19, v18
	v_mul_lo_u32 v24, v22, s22
	v_add_nc_u32_e32 v18, v19, v55
	v_cndmask_b32_e32 v20, 0, v20, vcc_lo
	v_cmp_gt_i32_e32 vcc_lo, s19, v21
	v_ashrrev_i32_e32 v19, 31, v18
	v_add_nc_u32_e32 v20, v20, v55
	v_cndmask_b32_e32 v23, 0, v23, vcc_lo
	v_cmp_gt_i32_e32 vcc_lo, s19, v22
	v_lshlrev_b64 v[18:19], 3, v[18:19]
	v_ashrrev_i32_e32 v21, 31, v20
	v_add_nc_u32_e32 v22, v23, v55
	v_cndmask_b32_e32 v24, 0, v24, vcc_lo
	v_lshlrev_b64 v[20:21], 3, v[20:21]
	v_ashrrev_i32_e32 v23, 31, v22
	v_add_nc_u32_e32 v26, v24, v55
	v_add_co_u32 v24, vcc_lo, s7, v18
	v_add_co_ci_u32_e64 v25, null, s12, v19, vcc_lo
	v_ashrrev_i32_e32 v27, 31, v26
	v_add_co_u32 v20, vcc_lo, s7, v20
	v_add_co_ci_u32_e64 v21, null, s12, v21, vcc_lo
	v_lshlrev_b64 v[18:19], 3, v[22:23]
	v_lshlrev_b64 v[26:27], 3, v[26:27]
	s_clause 0x1
	global_load_dwordx2 v[28:29], v[24:25], off
	global_load_dwordx2 v[30:31], v[20:21], off
	v_add_co_u32 v22, vcc_lo, s7, v18
	v_add_co_ci_u32_e64 v23, null, s12, v19, vcc_lo
	v_add_co_u32 v18, vcc_lo, s7, v26
	v_add_co_ci_u32_e64 v19, null, s12, v27, vcc_lo
	s_clause 0x1
	global_load_dwordx2 v[26:27], v[22:23], off
	global_load_dwordx2 v[32:33], v[18:19], off
	s_waitcnt vmcnt(3)
	v_mul_f32_e32 v34, v11, v29
	v_mul_f32_e32 v29, v10, v29
	s_waitcnt vmcnt(2)
	v_mul_f32_e32 v35, v13, v31
	v_mul_f32_e32 v31, v12, v31
	v_fma_f32 v34, v10, v28, -v34
	v_fmac_f32_e32 v29, v11, v28
	v_fma_f32 v28, v12, v30, -v35
	v_fmac_f32_e32 v31, v13, v30
	v_add_f32_e32 v8, v8, v34
	v_add_f32_e32 v29, v9, v29
	s_waitcnt vmcnt(1)
	v_mul_f32_e32 v30, v15, v27
	v_mul_f32_e32 v27, v14, v27
	s_waitcnt vmcnt(0)
	v_mul_f32_e32 v35, v17, v33
	v_mul_f32_e32 v9, v16, v33
	v_fma_f32 v30, v14, v26, -v30
	v_fmac_f32_e32 v27, v15, v26
	v_add_f32_e32 v26, v28, v8
	v_add_f32_e32 v28, v31, v29
	v_add_nc_u32_e32 v29, 64, v55
	v_fma_f32 v8, v16, v32, -v35
	v_fmac_f32_e32 v9, v17, v32
	v_add_f32_e32 v26, v30, v26
	v_add_f32_e32 v27, v27, v28
	v_cmpx_gt_i32_e64 s18, v29
	s_cbranch_execz .LBB112_40
; %bb.35:
	s_clause 0x3
	global_load_dwordx2 v[28:29], v[24:25], off offset:512
	global_load_dwordx2 v[30:31], v[20:21], off offset:512
	;; [unrolled: 1-line block ×4, first 2 shown]
	s_mov_b32 s2, exec_lo
	s_waitcnt vmcnt(3)
	v_mul_f32_e32 v36, v11, v29
	v_mul_f32_e32 v29, v10, v29
	s_waitcnt vmcnt(2)
	v_mul_f32_e32 v37, v13, v31
	v_mul_f32_e32 v31, v12, v31
	s_waitcnt vmcnt(1)
	v_mul_f32_e32 v38, v15, v33
	v_fma_f32 v36, v10, v28, -v36
	v_fmac_f32_e32 v29, v11, v28
	v_mul_f32_e32 v33, v14, v33
	v_fma_f32 v37, v12, v30, -v37
	v_fmac_f32_e32 v31, v13, v30
	v_add_f32_e32 v6, v6, v36
	v_add_f32_e32 v29, v7, v29
	s_waitcnt vmcnt(0)
	v_mul_f32_e32 v28, v17, v35
	v_mul_f32_e32 v7, v16, v35
	v_fma_f32 v30, v14, v32, -v38
	v_fmac_f32_e32 v33, v15, v32
	v_add_f32_e32 v32, v37, v6
	v_add_f32_e32 v29, v31, v29
	v_add_nc_u32_e32 v31, 0x80, v55
	v_fma_f32 v6, v16, v34, -v28
	v_fmac_f32_e32 v7, v17, v34
	v_add_f32_e32 v28, v30, v32
	v_add_f32_e32 v29, v33, v29
	v_cmpx_gt_i32_e64 s18, v31
	s_cbranch_execz .LBB112_39
; %bb.36:
	s_clause 0x3
	global_load_dwordx2 v[30:31], v[24:25], off offset:1024
	global_load_dwordx2 v[32:33], v[20:21], off offset:1024
	;; [unrolled: 1-line block ×4, first 2 shown]
	s_mov_b32 s3, exec_lo
	s_waitcnt vmcnt(3)
	v_mul_f32_e32 v38, v11, v31
	v_mul_f32_e32 v31, v10, v31
	s_waitcnt vmcnt(2)
	v_mul_f32_e32 v39, v13, v33
	v_mul_f32_e32 v33, v12, v33
	s_waitcnt vmcnt(1)
	v_mul_f32_e32 v40, v15, v35
	v_fma_f32 v38, v10, v30, -v38
	v_fmac_f32_e32 v31, v11, v30
	v_mul_f32_e32 v35, v14, v35
	v_fma_f32 v39, v12, v32, -v39
	v_fmac_f32_e32 v33, v13, v32
	v_add_f32_e32 v4, v4, v38
	v_add_f32_e32 v31, v5, v31
	s_waitcnt vmcnt(0)
	v_mul_f32_e32 v30, v17, v37
	v_mul_f32_e32 v5, v16, v37
	v_fma_f32 v32, v14, v34, -v40
	v_fmac_f32_e32 v35, v15, v34
	v_add_f32_e32 v34, v39, v4
	v_add_f32_e32 v31, v33, v31
	v_add_nc_u32_e32 v33, 0xc0, v55
	v_fma_f32 v4, v16, v36, -v30
	v_fmac_f32_e32 v5, v17, v36
	v_add_f32_e32 v30, v32, v34
	v_add_f32_e32 v31, v35, v31
	v_cmpx_gt_i32_e64 s18, v33
	s_cbranch_execz .LBB112_38
; %bb.37:
	s_clause 0x3
	global_load_dwordx2 v[24:25], v[24:25], off offset:1536
	global_load_dwordx2 v[20:21], v[20:21], off offset:1536
	;; [unrolled: 1-line block ×4, first 2 shown]
	s_waitcnt vmcnt(3)
	v_mul_f32_e32 v32, v11, v25
	v_mul_f32_e32 v25, v10, v25
	s_waitcnt vmcnt(2)
	v_mul_f32_e32 v33, v13, v21
	v_mul_f32_e32 v21, v12, v21
	s_waitcnt vmcnt(1)
	v_mul_f32_e32 v34, v15, v23
	v_fma_f32 v10, v10, v24, -v32
	v_fmac_f32_e32 v25, v11, v24
	v_mul_f32_e32 v23, v14, v23
	v_fma_f32 v12, v12, v20, -v33
	v_fmac_f32_e32 v21, v13, v20
	v_add_f32_e32 v2, v2, v10
	v_add_f32_e32 v3, v3, v25
	s_waitcnt vmcnt(0)
	v_mul_f32_e32 v11, v17, v19
	v_mul_f32_e32 v10, v16, v19
	v_fma_f32 v13, v14, v22, -v34
	v_fmac_f32_e32 v23, v15, v22
	v_add_f32_e32 v2, v12, v2
	v_add_f32_e32 v3, v21, v3
	v_fma_f32 v11, v16, v18, -v11
	v_fmac_f32_e32 v10, v17, v18
	v_add_f32_e32 v2, v13, v2
	v_add_f32_e32 v3, v23, v3
	;; [unrolled: 1-line block ×4, first 2 shown]
.LBB112_38:
	s_or_b32 exec_lo, exec_lo, s3
	v_add_f32_e32 v4, v4, v30
	v_add_f32_e32 v5, v5, v31
.LBB112_39:
	s_or_b32 exec_lo, exec_lo, s2
	v_add_f32_e32 v6, v6, v28
	v_add_f32_e32 v7, v7, v29
.LBB112_40:
	s_or_b32 exec_lo, exec_lo, s0
	v_add_f32_e32 v8, v8, v26
	v_add_f32_e32 v9, v9, v27
.LBB112_41:
	s_or_b32 exec_lo, exec_lo, s1
.LBB112_42:
	v_lshlrev_b32_e32 v0, 3, v0
	s_mov_b32 s0, exec_lo
	v_lshl_add_u32 v1, v1, 11, v0
	ds_write2st64_b64 v1, v[8:9], v[6:7] offset1:1
	ds_write2st64_b64 v1, v[4:5], v[2:3] offset0:2 offset1:3
	s_waitcnt vmcnt(0) lgkmcnt(0)
	s_waitcnt_vscnt null, 0x0
	s_barrier
	buffer_gl0_inv
	v_cmpx_gt_u32_e32 0x100, v53
	s_cbranch_execz .LBB112_47
; %bb.43:
	v_lshl_add_u32 v12, v54, 3, v0
	ds_read2st64_b64 v[0:3], v12 offset1:4
	ds_read2st64_b64 v[4:7], v12 offset0:8 offset1:12
	ds_read2st64_b64 v[8:11], v12 offset0:16 offset1:20
	s_waitcnt lgkmcnt(2)
	v_add_f32_e32 v13, v0, v2
	v_add_f32_e32 v14, v1, v3
	ds_read2st64_b64 v[0:3], v12 offset0:24 offset1:28
	s_waitcnt lgkmcnt(2)
	v_add_f32_e32 v4, v13, v4
	v_add_f32_e32 v5, v14, v5
	v_add_f32_e32 v13, v4, v6
	v_add_f32_e32 v14, v5, v7
	ds_read2st64_b64 v[4:7], v12 offset0:32 offset1:36
	s_waitcnt lgkmcnt(2)
	v_add_f32_e32 v8, v13, v8
	v_add_f32_e32 v9, v14, v9
	;; [unrolled: 6-line block ×5, first 2 shown]
	v_add_f32_e32 v8, v8, v10
	v_add_f32_e32 v9, v9, v11
	s_waitcnt lgkmcnt(1)
	v_add_f32_e32 v0, v8, v0
	v_add_f32_e32 v1, v9, v1
	;; [unrolled: 1-line block ×4, first 2 shown]
	s_waitcnt lgkmcnt(0)
	v_add_f32_e32 v2, v0, v4
	v_add_f32_e32 v1, v1, v5
	v_or_b32_e32 v0, s5, v53
	v_add_f32_e32 v2, v2, v6
	v_add_f32_e32 v3, v1, v7
	v_cmp_gt_i32_e32 vcc_lo, s18, v0
	ds_write_b64 v12, v[2:3]
	s_and_b32 exec_lo, exec_lo, vcc_lo
	s_cbranch_execz .LBB112_47
; %bb.44:
	v_mul_lo_u32 v4, s24, v0
	v_mul_f32_e32 v0, s11, v3
	v_mul_f32_e32 v1, s10, v3
	v_cmp_neq_f32_e64 s0, s8, 0
	v_cmp_neq_f32_e64 s1, s9, 0
	v_fma_f32 v0, v2, s10, -v0
	v_fmac_f32_e32 v1, s11, v2
	v_ashrrev_i32_e32 v5, 31, v4
	s_or_b32 s0, s0, s1
	s_andn2_b32 vcc_lo, exec_lo, s0
	v_lshlrev_b64 v[3:4], 3, v[4:5]
	s_cbranch_vccnz .LBB112_46
; %bb.45:
	v_add_co_u32 v5, vcc_lo, s20, v3
	v_add_co_ci_u32_e64 v6, null, s21, v4, vcc_lo
	global_load_dwordx2 v[5:6], v[5:6], off
	s_waitcnt vmcnt(0)
	v_mul_f32_e32 v2, s9, v6
	v_mul_f32_e32 v6, s8, v6
	v_fma_f32 v2, s8, v5, -v2
	v_fmac_f32_e32 v6, s9, v5
	v_add_f32_e32 v0, v0, v2
	v_add_f32_e32 v1, v1, v6
.LBB112_46:
	v_add_co_u32 v2, vcc_lo, s20, v3
	v_add_co_ci_u32_e64 v3, null, s21, v4, vcc_lo
	global_store_dwordx2 v[2:3], v[0:1], off
.LBB112_47:
	s_endpgm
	.section	.rodata,"a",@progbits
	.p2align	6, 0x0
	.amdhsa_kernel _ZL20rocblas_gemvn_kernelILi64ELi16Ei19rocblas_complex_numIfEPKS1_S1_EviiT3_lPKT2_lT1_lS7_lS8_lS4_lPT4_lS8_li
		.amdhsa_group_segment_fixed_size 32768
		.amdhsa_private_segment_fixed_size 0
		.amdhsa_kernarg_size 400
		.amdhsa_user_sgpr_count 6
		.amdhsa_user_sgpr_private_segment_buffer 1
		.amdhsa_user_sgpr_dispatch_ptr 0
		.amdhsa_user_sgpr_queue_ptr 0
		.amdhsa_user_sgpr_kernarg_segment_ptr 1
		.amdhsa_user_sgpr_dispatch_id 0
		.amdhsa_user_sgpr_flat_scratch_init 0
		.amdhsa_user_sgpr_private_segment_size 0
		.amdhsa_wavefront_size32 1
		.amdhsa_uses_dynamic_stack 0
		.amdhsa_system_sgpr_private_segment_wavefront_offset 0
		.amdhsa_system_sgpr_workgroup_id_x 1
		.amdhsa_system_sgpr_workgroup_id_y 0
		.amdhsa_system_sgpr_workgroup_id_z 1
		.amdhsa_system_sgpr_workgroup_info 0
		.amdhsa_system_vgpr_workitem_id 1
		.amdhsa_next_free_vgpr 65
		.amdhsa_next_free_sgpr 29
		.amdhsa_reserve_vcc 1
		.amdhsa_reserve_flat_scratch 0
		.amdhsa_float_round_mode_32 0
		.amdhsa_float_round_mode_16_64 0
		.amdhsa_float_denorm_mode_32 3
		.amdhsa_float_denorm_mode_16_64 3
		.amdhsa_dx10_clamp 1
		.amdhsa_ieee_mode 1
		.amdhsa_fp16_overflow 0
		.amdhsa_workgroup_processor_mode 1
		.amdhsa_memory_ordered 1
		.amdhsa_forward_progress 1
		.amdhsa_shared_vgpr_count 0
		.amdhsa_exception_fp_ieee_invalid_op 0
		.amdhsa_exception_fp_denorm_src 0
		.amdhsa_exception_fp_ieee_div_zero 0
		.amdhsa_exception_fp_ieee_overflow 0
		.amdhsa_exception_fp_ieee_underflow 0
		.amdhsa_exception_fp_ieee_inexact 0
		.amdhsa_exception_int_div_zero 0
	.end_amdhsa_kernel
	.section	.text._ZL20rocblas_gemvn_kernelILi64ELi16Ei19rocblas_complex_numIfEPKS1_S1_EviiT3_lPKT2_lT1_lS7_lS8_lS4_lPT4_lS8_li,"axG",@progbits,_ZL20rocblas_gemvn_kernelILi64ELi16Ei19rocblas_complex_numIfEPKS1_S1_EviiT3_lPKT2_lT1_lS7_lS8_lS4_lPT4_lS8_li,comdat
.Lfunc_end112:
	.size	_ZL20rocblas_gemvn_kernelILi64ELi16Ei19rocblas_complex_numIfEPKS1_S1_EviiT3_lPKT2_lT1_lS7_lS8_lS4_lPT4_lS8_li, .Lfunc_end112-_ZL20rocblas_gemvn_kernelILi64ELi16Ei19rocblas_complex_numIfEPKS1_S1_EviiT3_lPKT2_lT1_lS7_lS8_lS4_lPT4_lS8_li
                                        ; -- End function
	.set _ZL20rocblas_gemvn_kernelILi64ELi16Ei19rocblas_complex_numIfEPKS1_S1_EviiT3_lPKT2_lT1_lS7_lS8_lS4_lPT4_lS8_li.num_vgpr, 65
	.set _ZL20rocblas_gemvn_kernelILi64ELi16Ei19rocblas_complex_numIfEPKS1_S1_EviiT3_lPKT2_lT1_lS7_lS8_lS4_lPT4_lS8_li.num_agpr, 0
	.set _ZL20rocblas_gemvn_kernelILi64ELi16Ei19rocblas_complex_numIfEPKS1_S1_EviiT3_lPKT2_lT1_lS7_lS8_lS4_lPT4_lS8_li.numbered_sgpr, 29
	.set _ZL20rocblas_gemvn_kernelILi64ELi16Ei19rocblas_complex_numIfEPKS1_S1_EviiT3_lPKT2_lT1_lS7_lS8_lS4_lPT4_lS8_li.num_named_barrier, 0
	.set _ZL20rocblas_gemvn_kernelILi64ELi16Ei19rocblas_complex_numIfEPKS1_S1_EviiT3_lPKT2_lT1_lS7_lS8_lS4_lPT4_lS8_li.private_seg_size, 0
	.set _ZL20rocblas_gemvn_kernelILi64ELi16Ei19rocblas_complex_numIfEPKS1_S1_EviiT3_lPKT2_lT1_lS7_lS8_lS4_lPT4_lS8_li.uses_vcc, 1
	.set _ZL20rocblas_gemvn_kernelILi64ELi16Ei19rocblas_complex_numIfEPKS1_S1_EviiT3_lPKT2_lT1_lS7_lS8_lS4_lPT4_lS8_li.uses_flat_scratch, 0
	.set _ZL20rocblas_gemvn_kernelILi64ELi16Ei19rocblas_complex_numIfEPKS1_S1_EviiT3_lPKT2_lT1_lS7_lS8_lS4_lPT4_lS8_li.has_dyn_sized_stack, 0
	.set _ZL20rocblas_gemvn_kernelILi64ELi16Ei19rocblas_complex_numIfEPKS1_S1_EviiT3_lPKT2_lT1_lS7_lS8_lS4_lPT4_lS8_li.has_recursion, 0
	.set _ZL20rocblas_gemvn_kernelILi64ELi16Ei19rocblas_complex_numIfEPKS1_S1_EviiT3_lPKT2_lT1_lS7_lS8_lS4_lPT4_lS8_li.has_indirect_call, 0
	.section	.AMDGPU.csdata,"",@progbits
; Kernel info:
; codeLenInByte = 3736
; TotalNumSgprs: 31
; NumVgprs: 65
; ScratchSize: 0
; MemoryBound: 0
; FloatMode: 240
; IeeeMode: 1
; LDSByteSize: 32768 bytes/workgroup (compile time only)
; SGPRBlocks: 0
; VGPRBlocks: 8
; NumSGPRsForWavesPerEU: 31
; NumVGPRsForWavesPerEU: 65
; Occupancy: 12
; WaveLimiterHint : 1
; COMPUTE_PGM_RSRC2:SCRATCH_EN: 0
; COMPUTE_PGM_RSRC2:USER_SGPR: 6
; COMPUTE_PGM_RSRC2:TRAP_HANDLER: 0
; COMPUTE_PGM_RSRC2:TGID_X_EN: 1
; COMPUTE_PGM_RSRC2:TGID_Y_EN: 0
; COMPUTE_PGM_RSRC2:TGID_Z_EN: 1
; COMPUTE_PGM_RSRC2:TIDIG_COMP_CNT: 1
	.section	.text._ZL20rocblas_gemvn_kernelILi64ELi16El19rocblas_complex_numIfEPKS1_S1_EviiT3_lPKT2_lT1_lS7_lS8_lS4_lPT4_lS8_li,"axG",@progbits,_ZL20rocblas_gemvn_kernelILi64ELi16El19rocblas_complex_numIfEPKS1_S1_EviiT3_lPKT2_lT1_lS7_lS8_lS4_lPT4_lS8_li,comdat
	.globl	_ZL20rocblas_gemvn_kernelILi64ELi16El19rocblas_complex_numIfEPKS1_S1_EviiT3_lPKT2_lT1_lS7_lS8_lS4_lPT4_lS8_li ; -- Begin function _ZL20rocblas_gemvn_kernelILi64ELi16El19rocblas_complex_numIfEPKS1_S1_EviiT3_lPKT2_lT1_lS7_lS8_lS4_lPT4_lS8_li
	.p2align	8
	.type	_ZL20rocblas_gemvn_kernelILi64ELi16El19rocblas_complex_numIfEPKS1_S1_EviiT3_lPKT2_lT1_lS7_lS8_lS4_lPT4_lS8_li,@function
_ZL20rocblas_gemvn_kernelILi64ELi16El19rocblas_complex_numIfEPKS1_S1_EviiT3_lPKT2_lT1_lS7_lS8_lS4_lPT4_lS8_li: ; @_ZL20rocblas_gemvn_kernelILi64ELi16El19rocblas_complex_numIfEPKS1_S1_EviiT3_lPKT2_lT1_lS7_lS8_lS4_lPT4_lS8_li
; %bb.0:
	s_load_dwordx2 s[0:1], s[4:5], 0x9c
	s_waitcnt lgkmcnt(0)
	s_lshr_b32 s2, s0, 16
	s_and_b32 s0, s0, 0xffff
	s_and_b32 s1, s1, 0xffff
	s_mul_i32 s0, s2, s0
	s_mul_i32 s0, s0, s1
	s_cmpk_lg_i32 s0, 0x400
	s_cbranch_scc1 .LBB113_47
; %bb.1:
	s_clause 0x1
	s_load_dwordx16 s[36:51], s[4:5], 0x8
	s_load_dwordx16 s[8:23], s[4:5], 0x48
	s_waitcnt lgkmcnt(0)
	s_mul_i32 s1, s39, s7
	s_mul_hi_u32 s2, s38, s7
	s_mul_i32 s0, s38, s7
	s_add_i32 s1, s2, s1
	s_mul_hi_u32 s2, s14, s7
	s_lshl_b64 s[0:1], s[0:1], 3
	s_add_u32 s0, s36, s0
	s_addc_u32 s1, s37, s1
	s_load_dwordx2 s[24:25], s[0:1], 0x0
	s_mul_i32 s1, s15, s7
	s_mul_i32 s0, s14, s7
	s_add_i32 s1, s2, s1
	s_lshl_b64 s[0:1], s[0:1], 3
	s_add_u32 s0, s12, s0
	s_addc_u32 s1, s13, s1
	s_load_dwordx2 s[12:13], s[0:1], 0x0
	s_waitcnt lgkmcnt(0)
	v_cmp_neq_f32_e64 s0, s24, 0
	v_cmp_neq_f32_e64 s1, s25, 0
	s_or_b32 s0, s0, s1
	s_and_b32 vcc_lo, exec_lo, s0
	s_mov_b32 s0, -1
	s_cbranch_vccnz .LBB113_3
; %bb.2:
	v_cmp_neq_f32_e64 s0, s12, 1.0
	v_cmp_neq_f32_e64 s1, s13, 0
	s_or_b32 s0, s0, s1
.LBB113_3:
	s_andn2_b32 vcc_lo, exec_lo, s0
	s_cbranch_vccnz .LBB113_47
; %bb.4:
	s_load_dwordx2 s[14:15], s[4:5], 0x0
	s_mul_i32 s0, s23, s7
	s_mul_hi_u32 s1, s22, s7
	v_lshlrev_b32_e32 v57, 6, v1
	s_add_i32 s1, s1, s0
	s_mul_i32 s0, s22, s7
	s_lshl_b64 s[0:1], s[0:1], 3
	v_add_nc_u32_e32 v56, v57, v0
	s_add_u32 s2, s16, s0
	s_addc_u32 s3, s17, s1
	s_lshl_b64 s[0:1], s[18:19], 3
	s_add_u32 s5, s2, s0
	s_addc_u32 s26, s3, s1
	s_or_b32 s0, s24, s25
	v_cmp_gt_u32_e32 vcc_lo, 0x100, v56
	s_bitset0_b32 s0, 31
	s_cmp_lg_u32 s0, 0
	s_mov_b32 s0, -1
	s_cbranch_scc1 .LBB113_11
; %bb.5:
	s_and_saveexec_b32 s0, vcc_lo
	s_cbranch_execz .LBB113_10
; %bb.6:
	v_lshl_or_b32 v2, s6, 8, v56
	v_mov_b32_e32 v3, 0
	s_waitcnt lgkmcnt(0)
	s_ashr_i32 s3, s14, 31
	s_mov_b32 s2, s14
	v_cmp_gt_i64_e32 vcc_lo, s[2:3], v[2:3]
	s_and_b32 exec_lo, exec_lo, vcc_lo
	s_cbranch_execz .LBB113_10
; %bb.7:
	v_mad_u64_u32 v[4:5], null, s20, v2, 0
	v_cmp_neq_f32_e64 s1, s12, 0
	v_cmp_neq_f32_e64 s2, s13, 0
	s_or_b32 s1, s1, s2
	v_mad_u64_u32 v[5:6], null, s21, v2, v[5:6]
	v_mov_b32_e32 v6, v3
	s_andn2_b32 vcc_lo, exec_lo, s1
	v_lshlrev_b64 v[4:5], 3, v[4:5]
	s_cbranch_vccnz .LBB113_9
; %bb.8:
	v_add_co_u32 v2, vcc_lo, s5, v4
	v_add_co_ci_u32_e64 v3, null, s26, v5, vcc_lo
	global_load_dwordx2 v[2:3], v[2:3], off
	s_waitcnt vmcnt(0)
	v_mul_f32_e32 v7, s13, v3
	v_mul_f32_e32 v6, s12, v3
	v_fma_f32 v3, s12, v2, -v7
	v_fmac_f32_e32 v6, s13, v2
.LBB113_9:
	v_add_co_u32 v7, vcc_lo, s5, v4
	v_add_co_ci_u32_e64 v8, null, s26, v5, vcc_lo
	v_mov_b32_e32 v5, v3
	global_store_dwordx2 v[7:8], v[5:6], off
.LBB113_10:
	s_or_b32 exec_lo, exec_lo, s0
	s_mov_b32 s0, 0
.LBB113_11:
	s_andn2_b32 vcc_lo, exec_lo, s0
	s_cbranch_vccnz .LBB113_47
; %bb.12:
	s_mul_i32 s0, s47, s7
	s_mul_hi_u32 s1, s46, s7
	s_lshl_b32 s27, s6, 8
	s_add_i32 s17, s1, s0
	s_waitcnt lgkmcnt(0)
	s_ashr_i32 s1, s15, 31
	v_lshlrev_b32_e32 v58, 2, v1
	s_lshr_b32 s1, s1, 26
	v_add_nc_u32_e32 v4, s27, v0
	v_mov_b32_e32 v3, 0
	v_mov_b32_e32 v2, 0
	v_mov_b32_e32 v7, 0
	v_mov_b32_e32 v6, 0
	v_mov_b32_e32 v9, 0
	v_mov_b32_e32 v8, 0
	v_mov_b32_e32 v11, 0
	v_mov_b32_e32 v10, 0
	s_mul_i32 s0, s11, s7
	s_mul_hi_u32 s2, s10, s7
	s_add_i32 s28, s15, s1
	s_mul_i32 s16, s46, s7
	s_andn2_b32 s28, s28, 63
	s_add_i32 s11, s2, s0
	s_mul_i32 s10, s10, s7
	s_mov_b32 s29, exec_lo
	v_cmpx_gt_i32_e64 s28, v58
	s_cbranch_execz .LBB113_24
; %bb.13:
	v_mad_u64_u32 v[2:3], null, s8, v1, 0
	v_lshlrev_b32_e32 v18, 2, v1
	s_lshl_b64 s[0:1], s[50:51], 3
	v_add_nc_u32_e32 v9, 64, v4
	v_add_nc_u32_e32 v12, 0xc0, v4
	s_lshl_b64 s[2:3], s[10:11], 3
	v_or_b32_e32 v11, 3, v18
	v_mad_u64_u32 v[6:7], null, s9, v1, v[3:4]
	s_add_u32 s0, s48, s0
	s_addc_u32 s4, s49, s1
	v_mad_u64_u32 v[7:8], null, s44, v11, 0
	s_add_u32 s6, s0, s2
	v_add_nc_u32_e32 v10, 0x80, v4
	v_mov_b32_e32 v3, v6
	v_cmp_gt_i32_e64 s0, s14, v9
	v_cmp_gt_i32_e64 s2, s14, v12
	s_addc_u32 s4, s4, s3
	v_mov_b32_e32 v6, v8
	v_lshlrev_b64 v[2:3], 5, v[2:3]
	v_ashrrev_i32_e32 v5, 31, v4
	v_cmp_gt_i32_e64 s1, s14, v10
	s_lshl_b64 s[18:19], s[42:43], 3
	v_mad_u64_u32 v[8:9], null, s45, v11, v[6:7]
	v_add_co_u32 v12, s3, s6, v2
	v_or_b32_e32 v11, 2, v18
	v_add_co_ci_u32_e64 v13, null, s4, v3, s3
	v_mad_u64_u32 v[2:3], null, s44, v1, 0
	v_mad_u64_u32 v[9:10], null, s44, v11, 0
	v_lshlrev_b64 v[14:15], 3, v[4:5]
	v_lshlrev_b64 v[5:6], 3, v[7:8]
	v_mad_u64_u32 v[7:8], null, s44, v18, s[44:45]
	v_mad_u64_u32 v[16:17], null, s45, v1, v[3:4]
	v_mov_b32_e32 v3, v10
	s_lshl_b64 s[6:7], s[8:9], 9
	s_lshl_b64 s[22:23], s[16:17], 3
	s_add_u32 s3, s40, s18
	s_addc_u32 s4, s41, s19
	v_mad_u64_u32 v[10:11], null, s45, v11, v[3:4]
	v_mov_b32_e32 v3, v16
	v_mad_u64_u32 v[16:17], null, s45, v18, v[8:9]
	s_add_u32 s18, s3, s22
	s_addc_u32 s4, s4, s23
	v_lshlrev_b64 v[2:3], 5, v[2:3]
	v_add_co_u32 v5, s3, s18, v5
	v_lshlrev_b64 v[9:10], 3, v[9:10]
	v_mov_b32_e32 v8, v16
	v_add_co_ci_u32_e64 v59, null, s4, v6, s3
	v_add_co_u32 v60, s3, s18, v2
	v_lshlrev_b64 v[6:7], 3, v[7:8]
	v_add_co_ci_u32_e64 v61, null, s4, v3, s3
	v_mov_b32_e32 v3, 0
	v_add_co_u32 v62, s3, s18, v9
	v_add_co_ci_u32_e64 v63, null, s4, v10, s3
	v_add_co_u32 v64, s3, s18, v6
	v_add_co_ci_u32_e64 v65, null, s4, v7, s3
	v_mov_b32_e32 v2, v3
	v_mov_b32_e32 v7, v3
	;; [unrolled: 1-line block ×7, first 2 shown]
	s_lshl_b64 s[18:19], s[44:45], 9
	s_lshl_b64 s[22:23], s[8:9], 3
	s_mov_b32 s30, 0
	v_cmp_gt_i32_e32 vcc_lo, s14, v4
	s_branch .LBB113_18
.LBB113_14:                             ;   in Loop: Header=BB113_18 Depth=1
	s_or_b32 exec_lo, exec_lo, s33
	s_waitcnt vmcnt(3)
	v_mul_f32_e32 v48, v29, v47
	v_mul_f32_e32 v47, v28, v47
	s_waitcnt vmcnt(2)
	v_mul_f32_e32 v49, v25, v45
	v_mul_f32_e32 v45, v24, v45
	s_waitcnt vmcnt(1)
	v_mul_f32_e32 v50, v19, v43
	v_fma_f32 v48, v28, v46, -v48
	v_fmac_f32_e32 v47, v29, v46
	v_mul_f32_e32 v43, v18, v43
	v_fma_f32 v49, v24, v44, -v49
	v_fmac_f32_e32 v45, v25, v44
	v_add_f32_e32 v6, v6, v48
	v_add_f32_e32 v7, v7, v47
	s_waitcnt vmcnt(0)
	v_mul_f32_e32 v46, v17, v41
	v_mul_f32_e32 v41, v16, v41
	v_fma_f32 v44, v18, v42, -v50
	v_add_f32_e32 v6, v49, v6
	v_fmac_f32_e32 v43, v19, v42
	v_add_f32_e32 v7, v45, v7
	v_fma_f32 v42, v16, v40, -v46
	v_fmac_f32_e32 v41, v17, v40
	v_add_f32_e32 v6, v44, v6
	v_add_f32_e32 v7, v43, v7
	;; [unrolled: 1-line block ×4, first 2 shown]
.LBB113_15:                             ;   in Loop: Header=BB113_18 Depth=1
	s_or_b32 exec_lo, exec_lo, s31
	s_waitcnt vmcnt(3)
	v_mul_f32_e32 v40, v29, v39
	v_mul_f32_e32 v39, v28, v39
	s_waitcnt vmcnt(2)
	v_mul_f32_e32 v41, v25, v37
	v_mul_f32_e32 v37, v24, v37
	s_waitcnt vmcnt(1)
	v_mul_f32_e32 v42, v19, v35
	v_fma_f32 v40, v28, v38, -v40
	v_fmac_f32_e32 v39, v29, v38
	v_mul_f32_e32 v35, v18, v35
	v_fma_f32 v41, v24, v36, -v41
	v_fmac_f32_e32 v37, v25, v36
	v_add_f32_e32 v8, v8, v40
	v_add_f32_e32 v9, v9, v39
	s_waitcnt vmcnt(0)
	v_mul_f32_e32 v38, v17, v33
	v_mul_f32_e32 v33, v16, v33
	v_fma_f32 v36, v18, v34, -v42
	v_add_f32_e32 v8, v41, v8
	v_fmac_f32_e32 v35, v19, v34
	v_add_f32_e32 v9, v37, v9
	v_fma_f32 v34, v16, v32, -v38
	v_fmac_f32_e32 v33, v17, v32
	v_add_f32_e32 v8, v36, v8
	v_add_f32_e32 v9, v35, v9
	;; [unrolled: 1-line block ×4, first 2 shown]
.LBB113_16:                             ;   in Loop: Header=BB113_18 Depth=1
	s_or_b32 exec_lo, exec_lo, s3
	s_waitcnt vmcnt(3)
	v_mul_f32_e32 v32, v29, v31
	v_mul_f32_e32 v31, v28, v31
	s_waitcnt vmcnt(2)
	v_mul_f32_e32 v33, v25, v27
	v_mul_f32_e32 v27, v24, v27
	s_waitcnt vmcnt(1)
	v_mul_f32_e32 v34, v19, v23
	v_fma_f32 v28, v28, v30, -v32
	v_fmac_f32_e32 v31, v29, v30
	v_mul_f32_e32 v23, v18, v23
	v_fma_f32 v24, v24, v26, -v33
	v_fmac_f32_e32 v27, v25, v26
	v_add_f32_e32 v10, v10, v28
	v_add_f32_e32 v11, v11, v31
	s_waitcnt vmcnt(0)
	v_mul_f32_e32 v29, v17, v21
	v_mul_f32_e32 v21, v16, v21
	v_fma_f32 v18, v18, v22, -v34
	v_add_f32_e32 v10, v24, v10
	v_fmac_f32_e32 v23, v19, v22
	v_add_f32_e32 v11, v27, v11
	v_fma_f32 v16, v16, v20, -v29
	v_fmac_f32_e32 v21, v17, v20
	v_add_f32_e32 v10, v18, v10
	v_add_f32_e32 v11, v23, v11
	;; [unrolled: 1-line block ×4, first 2 shown]
.LBB113_17:                             ;   in Loop: Header=BB113_18 Depth=1
	s_or_b32 exec_lo, exec_lo, s4
	v_add_co_u32 v12, s3, v12, s6
	v_add_co_ci_u32_e64 v13, null, s7, v13, s3
	v_add_co_u32 v5, s3, v5, s18
	v_add_nc_u32_e32 v58, 64, v58
	v_add_co_ci_u32_e64 v59, null, s19, v59, s3
	v_add_co_u32 v60, s3, v60, s18
	v_add_co_ci_u32_e64 v61, null, s19, v61, s3
	v_add_co_u32 v62, s3, v62, s18
	v_add_co_ci_u32_e64 v63, null, s19, v63, s3
	v_cmp_le_i32_e64 s3, s28, v58
	v_add_co_u32 v64, s4, v64, s18
	v_add_co_ci_u32_e64 v65, null, s19, v65, s4
	s_or_b32 s30, s3, s30
	s_andn2_b32 exec_lo, exec_lo, s30
	s_cbranch_execz .LBB113_23
.LBB113_18:                             ; =>This Inner Loop Header: Depth=1
	s_and_saveexec_b32 s4, vcc_lo
	s_cbranch_execz .LBB113_17
; %bb.19:                               ;   in Loop: Header=BB113_18 Depth=1
	v_add_co_u32 v16, s3, v12, s22
	v_add_co_ci_u32_e64 v17, null, s23, v13, s3
	v_add_co_u32 v18, s3, v16, s22
	v_add_co_ci_u32_e64 v19, null, s23, v17, s3
	;; [unrolled: 2-line block ×7, first 2 shown]
	s_clause 0x3
	global_load_dwordx2 v[28:29], v[12:13], off
	global_load_dwordx2 v[24:25], v[16:17], off
	;; [unrolled: 1-line block ×8, first 2 shown]
	s_and_saveexec_b32 s3, s0
	s_cbranch_execz .LBB113_16
; %bb.20:                               ;   in Loop: Header=BB113_18 Depth=1
	global_load_dwordx2 v[38:39], v[54:55], off offset:512
	global_load_dwordx2 v[36:37], v[52:53], off offset:512
	global_load_dwordx2 v[34:35], v[50:51], off offset:512
	global_load_dwordx2 v[32:33], v[48:49], off offset:512
	s_and_saveexec_b32 s31, s1
	s_cbranch_execz .LBB113_15
; %bb.21:                               ;   in Loop: Header=BB113_18 Depth=1
	global_load_dwordx2 v[46:47], v[54:55], off offset:1024
	global_load_dwordx2 v[44:45], v[52:53], off offset:1024
	global_load_dwordx2 v[42:43], v[50:51], off offset:1024
	global_load_dwordx2 v[40:41], v[48:49], off offset:1024
	s_and_saveexec_b32 s33, s2
	s_cbranch_execz .LBB113_14
; %bb.22:                               ;   in Loop: Header=BB113_18 Depth=1
	global_load_dwordx2 v[54:55], v[54:55], off offset:1536
	global_load_dwordx2 v[52:53], v[52:53], off offset:1536
	global_load_dwordx2 v[50:51], v[50:51], off offset:1536
	global_load_dwordx2 v[48:49], v[48:49], off offset:1536
	s_waitcnt vmcnt(3)
	v_mul_f32_e32 v66, v29, v55
	v_mul_f32_e32 v55, v28, v55
	s_waitcnt vmcnt(2)
	v_mul_f32_e32 v67, v25, v53
	v_mul_f32_e32 v53, v24, v53
	s_waitcnt vmcnt(1)
	v_mul_f32_e32 v68, v19, v51
	v_fma_f32 v66, v28, v54, -v66
	v_fmac_f32_e32 v55, v29, v54
	v_mul_f32_e32 v51, v18, v51
	v_fma_f32 v67, v24, v52, -v67
	v_fmac_f32_e32 v53, v25, v52
	v_add_f32_e32 v2, v2, v66
	v_add_f32_e32 v3, v3, v55
	s_waitcnt vmcnt(0)
	v_mul_f32_e32 v54, v17, v49
	v_mul_f32_e32 v49, v16, v49
	v_fma_f32 v52, v18, v50, -v68
	v_fmac_f32_e32 v51, v19, v50
	v_add_f32_e32 v2, v67, v2
	v_add_f32_e32 v3, v53, v3
	v_fma_f32 v50, v16, v48, -v54
	v_fmac_f32_e32 v49, v17, v48
	v_add_f32_e32 v2, v52, v2
	v_add_f32_e32 v3, v51, v3
	;; [unrolled: 1-line block ×4, first 2 shown]
	s_branch .LBB113_14
.LBB113_23:
	s_or_b32 exec_lo, exec_lo, s30
.LBB113_24:
	s_or_b32 exec_lo, exec_lo, s29
	s_sub_i32 s0, s15, s28
	s_cmp_lt_i32 s0, 1
	s_cbranch_scc1 .LBB113_42
; %bb.25:
	v_cmp_gt_i32_e32 vcc_lo, s15, v58
	v_mov_b32_e32 v12, 0
	v_or_b32_e32 v20, 1, v58
	v_mov_b32_e32 v13, 0
	v_mov_b32_e32 v14, 0
	;; [unrolled: 1-line block ×7, first 2 shown]
	s_and_saveexec_b32 s1, vcc_lo
	s_cbranch_execz .LBB113_33
; %bb.26:
	v_mad_u64_u32 v[12:13], null, s8, v58, 0
	s_lshl_b64 s[2:3], s[10:11], 3
	v_mov_b32_e32 v19, 0
	s_add_u32 s0, s48, s2
	s_addc_u32 s2, s49, s3
	s_lshl_b64 s[6:7], s[50:51], 3
	v_mov_b32_e32 v18, 0
	v_mov_b32_e32 v5, v13
	s_add_u32 s3, s0, s6
	s_addc_u32 s4, s2, s7
	v_mov_b32_e32 v17, 0
	v_mov_b32_e32 v16, 0
	v_mad_u64_u32 v[13:14], null, s9, v58, v[5:6]
	v_mov_b32_e32 v15, 0
	v_mov_b32_e32 v14, 0
	s_mov_b32 s2, exec_lo
	v_lshlrev_b64 v[12:13], 3, v[12:13]
	v_add_co_u32 v12, s0, s3, v12
	v_add_co_ci_u32_e64 v13, null, s4, v13, s0
	global_load_dwordx2 v[12:13], v[12:13], off
	v_cmpx_gt_i32_e64 s15, v20
	s_cbranch_execz .LBB113_32
; %bb.27:
	v_mad_u64_u32 v[14:15], null, s8, v20, 0
	v_mov_b32_e32 v19, 0
	v_mov_b32_e32 v18, 0
	;; [unrolled: 1-line block ×3, first 2 shown]
	s_mov_b32 s6, exec_lo
	v_mov_b32_e32 v5, v15
	v_mad_u64_u32 v[15:16], null, s9, v20, v[5:6]
	v_or_b32_e32 v5, 2, v58
	v_mov_b32_e32 v16, 0
	v_lshlrev_b64 v[14:15], 3, v[14:15]
	v_add_co_u32 v14, s0, s3, v14
	v_add_co_ci_u32_e64 v15, null, s4, v15, s0
	global_load_dwordx2 v[14:15], v[14:15], off
	v_cmpx_gt_i32_e64 s15, v5
	s_cbranch_execz .LBB113_31
; %bb.28:
	v_mad_u64_u32 v[16:17], null, s8, v5, 0
	v_mov_b32_e32 v19, 0
	s_mov_b32 s7, exec_lo
	v_mad_u64_u32 v[17:18], null, s9, v5, v[17:18]
	v_or_b32_e32 v5, 3, v58
	v_mov_b32_e32 v18, 0
	v_lshlrev_b64 v[16:17], 3, v[16:17]
	v_add_co_u32 v16, s0, s3, v16
	v_add_co_ci_u32_e64 v17, null, s4, v17, s0
	global_load_dwordx2 v[16:17], v[16:17], off
	v_cmpx_gt_i32_e64 s15, v5
	s_cbranch_execz .LBB113_30
; %bb.29:
	v_mad_u64_u32 v[18:19], null, s8, v5, 0
	v_mad_u64_u32 v[21:22], null, s9, v5, v[19:20]
	v_mov_b32_e32 v19, v21
	v_lshlrev_b64 v[18:19], 3, v[18:19]
	v_add_co_u32 v18, s0, s3, v18
	v_add_co_ci_u32_e64 v19, null, s4, v19, s0
	global_load_dwordx2 v[18:19], v[18:19], off
.LBB113_30:
	s_or_b32 exec_lo, exec_lo, s7
.LBB113_31:
	s_or_b32 exec_lo, exec_lo, s6
.LBB113_32:
	s_or_b32 exec_lo, exec_lo, s2
.LBB113_33:
	s_or_b32 exec_lo, exec_lo, s1
	s_mov_b32 s1, exec_lo
	v_cmpx_gt_i32_e64 s14, v4
	s_cbranch_execz .LBB113_41
; %bb.34:
	v_mad_u64_u32 v[21:22], null, s44, v58, 0
	v_mad_u64_u32 v[23:24], null, s44, v20, 0
	v_ashrrev_i32_e32 v5, 31, v4
	v_or_b32_e32 v33, 2, v58
	v_or_b32_e32 v34, 3, v58
	s_lshl_b64 s[2:3], s[16:17], 3
	v_cndmask_b32_e32 v21, 0, v21, vcc_lo
	v_lshlrev_b64 v[28:29], 3, v[4:5]
	v_mad_u64_u32 v[25:26], null, s45, v58, v[22:23]
	v_mov_b32_e32 v5, v24
	v_mad_u64_u32 v[26:27], null, s44, v33, 0
	s_add_u32 s0, s40, s2
	s_addc_u32 s4, s41, s3
	v_mad_u64_u32 v[30:31], null, s45, v20, v[5:6]
	v_cndmask_b32_e32 v22, 0, v25, vcc_lo
	v_cmp_gt_i32_e32 vcc_lo, s15, v20
	s_lshl_b64 s[2:3], s[42:43], 3
	v_mad_u64_u32 v[24:25], null, s44, v34, 0
	v_lshlrev_b64 v[21:22], 3, v[21:22]
	s_add_u32 s2, s0, s2
	v_cndmask_b32_e32 v31, 0, v23, vcc_lo
	v_mov_b32_e32 v5, v27
	v_cndmask_b32_e32 v32, 0, v30, vcc_lo
	s_addc_u32 s3, s4, s3
	v_add_co_u32 v20, s0, s2, v21
	v_add_co_ci_u32_e64 v21, null, s3, v22, s0
	v_lshlrev_b64 v[22:23], 3, v[31:32]
	v_mad_u64_u32 v[30:31], null, s45, v33, v[5:6]
	v_mov_b32_e32 v5, v25
	v_add_co_u32 v20, vcc_lo, v20, v28
	v_add_co_ci_u32_e64 v21, null, v21, v29, vcc_lo
	v_cmp_gt_i32_e32 vcc_lo, s15, v33
	v_mad_u64_u32 v[31:32], null, s45, v34, v[5:6]
	v_add_co_u32 v22, s0, s2, v22
	v_cndmask_b32_e32 v25, 0, v26, vcc_lo
	v_cndmask_b32_e32 v26, 0, v30, vcc_lo
	v_cmp_gt_i32_e32 vcc_lo, s15, v34
	v_add_co_ci_u32_e64 v23, null, s3, v23, s0
	v_add_co_u32 v22, s0, v22, v28
	v_cndmask_b32_e32 v30, 0, v24, vcc_lo
	v_cndmask_b32_e32 v31, 0, v31, vcc_lo
	v_lshlrev_b64 v[24:25], 3, v[25:26]
	v_add_co_ci_u32_e64 v23, null, v23, v29, s0
	s_clause 0x1
	global_load_dwordx2 v[32:33], v[20:21], off
	global_load_dwordx2 v[34:35], v[22:23], off
	v_lshlrev_b64 v[26:27], 3, v[30:31]
	v_add_co_u32 v5, vcc_lo, s2, v24
	v_add_co_ci_u32_e64 v24, null, s3, v25, vcc_lo
	s_mov_b32 s0, exec_lo
	v_add_co_u32 v25, vcc_lo, s2, v26
	v_add_co_ci_u32_e64 v30, null, s3, v27, vcc_lo
	v_add_co_u32 v26, vcc_lo, v5, v28
	v_add_co_ci_u32_e64 v27, null, v24, v29, vcc_lo
	;; [unrolled: 2-line block ×3, first 2 shown]
	s_clause 0x1
	global_load_dwordx2 v[28:29], v[26:27], off
	global_load_dwordx2 v[30:31], v[24:25], off
	s_waitcnt vmcnt(3)
	v_mul_f32_e32 v5, v13, v33
	v_mul_f32_e32 v33, v12, v33
	s_waitcnt vmcnt(2)
	v_mul_f32_e32 v36, v15, v35
	v_mul_f32_e32 v35, v14, v35
	v_fma_f32 v5, v12, v32, -v5
	v_fmac_f32_e32 v33, v13, v32
	v_fma_f32 v32, v14, v34, -v36
	v_fmac_f32_e32 v35, v15, v34
	v_add_f32_e32 v10, v10, v5
	v_add_f32_e32 v11, v11, v33
	v_add_nc_u32_e32 v33, 64, v4
	s_waitcnt vmcnt(1)
	v_mul_f32_e32 v34, v17, v29
	v_mul_f32_e32 v29, v16, v29
	s_waitcnt vmcnt(0)
	v_mul_f32_e32 v36, v19, v31
	v_mul_f32_e32 v5, v18, v31
	v_fma_f32 v31, v16, v28, -v34
	v_fmac_f32_e32 v29, v17, v28
	v_add_f32_e32 v28, v32, v10
	v_add_f32_e32 v32, v35, v11
	v_fma_f32 v10, v18, v30, -v36
	v_fmac_f32_e32 v5, v19, v30
	v_add_f32_e32 v11, v31, v28
	v_add_f32_e32 v28, v29, v32
	v_cmpx_gt_i32_e64 s14, v33
	s_cbranch_execz .LBB113_40
; %bb.35:
	s_clause 0x3
	global_load_dwordx2 v[29:30], v[20:21], off offset:512
	global_load_dwordx2 v[31:32], v[22:23], off offset:512
	;; [unrolled: 1-line block ×4, first 2 shown]
	s_mov_b32 s2, exec_lo
	s_waitcnt vmcnt(3)
	v_mul_f32_e32 v37, v13, v30
	v_mul_f32_e32 v30, v12, v30
	s_waitcnt vmcnt(2)
	v_mul_f32_e32 v38, v15, v32
	v_mul_f32_e32 v32, v14, v32
	s_waitcnt vmcnt(1)
	v_mul_f32_e32 v39, v17, v34
	v_fma_f32 v37, v12, v29, -v37
	v_fmac_f32_e32 v30, v13, v29
	v_mul_f32_e32 v34, v16, v34
	v_fma_f32 v38, v14, v31, -v38
	v_fmac_f32_e32 v32, v15, v31
	v_add_f32_e32 v8, v8, v37
	v_add_f32_e32 v30, v9, v30
	s_waitcnt vmcnt(0)
	v_mul_f32_e32 v29, v19, v36
	v_mul_f32_e32 v9, v18, v36
	v_fma_f32 v31, v16, v33, -v39
	v_fmac_f32_e32 v34, v17, v33
	v_add_f32_e32 v33, v38, v8
	v_add_f32_e32 v30, v32, v30
	v_add_nc_u32_e32 v32, 0x80, v4
	v_fma_f32 v8, v18, v35, -v29
	v_fmac_f32_e32 v9, v19, v35
	v_add_f32_e32 v29, v31, v33
	v_add_f32_e32 v30, v34, v30
	v_cmpx_gt_i32_e64 s14, v32
	s_cbranch_execz .LBB113_39
; %bb.36:
	s_clause 0x3
	global_load_dwordx2 v[31:32], v[20:21], off offset:1024
	global_load_dwordx2 v[33:34], v[22:23], off offset:1024
	;; [unrolled: 1-line block ×4, first 2 shown]
	s_mov_b32 s3, exec_lo
	s_waitcnt vmcnt(3)
	v_mul_f32_e32 v39, v13, v32
	v_mul_f32_e32 v32, v12, v32
	s_waitcnt vmcnt(2)
	v_mul_f32_e32 v40, v15, v34
	v_mul_f32_e32 v34, v14, v34
	s_waitcnt vmcnt(1)
	v_mul_f32_e32 v41, v17, v36
	v_fma_f32 v39, v12, v31, -v39
	v_fmac_f32_e32 v32, v13, v31
	v_mul_f32_e32 v36, v16, v36
	v_fma_f32 v40, v14, v33, -v40
	v_fmac_f32_e32 v34, v15, v33
	v_add_f32_e32 v6, v6, v39
	v_add_f32_e32 v32, v7, v32
	s_waitcnt vmcnt(0)
	v_mul_f32_e32 v31, v19, v38
	v_mul_f32_e32 v7, v18, v38
	v_fma_f32 v33, v16, v35, -v41
	v_fmac_f32_e32 v36, v17, v35
	v_add_f32_e32 v6, v40, v6
	v_add_f32_e32 v32, v34, v32
	v_add_nc_u32_e32 v34, 0xc0, v4
	v_fma_f32 v4, v18, v37, -v31
	v_fmac_f32_e32 v7, v19, v37
	v_add_f32_e32 v6, v33, v6
	v_add_f32_e32 v31, v36, v32
	v_cmpx_gt_i32_e64 s14, v34
	s_cbranch_execz .LBB113_38
; %bb.37:
	s_clause 0x3
	global_load_dwordx2 v[20:21], v[20:21], off offset:1536
	global_load_dwordx2 v[22:23], v[22:23], off offset:1536
	;; [unrolled: 1-line block ×4, first 2 shown]
	s_waitcnt vmcnt(3)
	v_mul_f32_e32 v32, v13, v21
	v_mul_f32_e32 v21, v12, v21
	s_waitcnt vmcnt(2)
	v_mul_f32_e32 v33, v15, v23
	v_mul_f32_e32 v23, v14, v23
	s_waitcnt vmcnt(1)
	v_mul_f32_e32 v34, v17, v27
	v_fma_f32 v12, v12, v20, -v32
	v_fmac_f32_e32 v21, v13, v20
	v_mul_f32_e32 v27, v16, v27
	v_fma_f32 v14, v14, v22, -v33
	v_fmac_f32_e32 v23, v15, v22
	v_add_f32_e32 v2, v2, v12
	v_add_f32_e32 v3, v3, v21
	s_waitcnt vmcnt(0)
	v_mul_f32_e32 v13, v19, v25
	v_mul_f32_e32 v12, v18, v25
	v_fma_f32 v15, v16, v26, -v34
	v_fmac_f32_e32 v27, v17, v26
	v_add_f32_e32 v2, v14, v2
	v_add_f32_e32 v3, v23, v3
	v_fma_f32 v13, v18, v24, -v13
	v_fmac_f32_e32 v12, v19, v24
	v_add_f32_e32 v2, v15, v2
	v_add_f32_e32 v3, v27, v3
	;; [unrolled: 1-line block ×4, first 2 shown]
.LBB113_38:
	s_or_b32 exec_lo, exec_lo, s3
	v_add_f32_e32 v6, v4, v6
	v_add_f32_e32 v7, v7, v31
.LBB113_39:
	s_or_b32 exec_lo, exec_lo, s2
	v_add_f32_e32 v8, v8, v29
	v_add_f32_e32 v9, v9, v30
.LBB113_40:
	s_or_b32 exec_lo, exec_lo, s0
	v_add_f32_e32 v10, v10, v11
	v_add_f32_e32 v11, v5, v28
.LBB113_41:
	s_or_b32 exec_lo, exec_lo, s1
.LBB113_42:
	v_lshlrev_b32_e32 v0, 3, v0
	s_mov_b32 s0, exec_lo
	v_lshl_add_u32 v1, v1, 11, v0
	ds_write2st64_b64 v1, v[10:11], v[8:9] offset1:1
	ds_write2st64_b64 v1, v[6:7], v[2:3] offset0:2 offset1:3
	s_waitcnt vmcnt(0) lgkmcnt(0)
	s_waitcnt_vscnt null, 0x0
	s_barrier
	buffer_gl0_inv
	v_cmpx_gt_u32_e32 0x100, v56
	s_cbranch_execz .LBB113_47
; %bb.43:
	v_lshl_add_u32 v12, v57, 3, v0
	ds_read2st64_b64 v[0:3], v12 offset1:4
	ds_read2st64_b64 v[4:7], v12 offset0:8 offset1:12
	ds_read2st64_b64 v[8:11], v12 offset0:16 offset1:20
	s_waitcnt lgkmcnt(2)
	v_add_f32_e32 v13, v0, v2
	v_add_f32_e32 v14, v1, v3
	ds_read2st64_b64 v[0:3], v12 offset0:24 offset1:28
	s_waitcnt lgkmcnt(2)
	v_add_f32_e32 v4, v13, v4
	v_add_f32_e32 v5, v14, v5
	v_add_f32_e32 v13, v4, v6
	v_add_f32_e32 v14, v5, v7
	ds_read2st64_b64 v[4:7], v12 offset0:32 offset1:36
	s_waitcnt lgkmcnt(2)
	v_add_f32_e32 v8, v13, v8
	v_add_f32_e32 v9, v14, v9
	;; [unrolled: 6-line block ×5, first 2 shown]
	v_add_f32_e32 v8, v8, v10
	v_add_f32_e32 v9, v9, v11
	s_waitcnt lgkmcnt(1)
	v_add_f32_e32 v0, v8, v0
	v_add_f32_e32 v1, v9, v1
	;; [unrolled: 1-line block ×4, first 2 shown]
	s_waitcnt lgkmcnt(0)
	v_add_f32_e32 v2, v0, v4
	v_add_f32_e32 v1, v1, v5
	v_or_b32_e32 v0, s27, v56
	v_add_f32_e32 v2, v2, v6
	v_add_f32_e32 v3, v1, v7
	v_cmp_gt_i32_e32 vcc_lo, s14, v0
	ds_write_b64 v12, v[2:3]
	s_and_b32 exec_lo, exec_lo, vcc_lo
	s_cbranch_execz .LBB113_47
; %bb.44:
	v_ashrrev_i32_e32 v1, 31, v0
	v_mul_lo_u32 v6, s21, v0
	v_mad_u64_u32 v[4:5], null, s20, v0, 0
	v_mul_f32_e32 v0, s25, v3
	v_mul_lo_u32 v1, s20, v1
	v_cmp_neq_f32_e64 s0, s12, 0
	v_cmp_neq_f32_e64 s1, s13, 0
	v_fma_f32 v0, v2, s24, -v0
	s_or_b32 s0, s0, s1
	v_add3_u32 v5, v5, v1, v6
	v_mul_f32_e32 v1, s24, v3
	s_andn2_b32 vcc_lo, exec_lo, s0
	v_lshlrev_b64 v[3:4], 3, v[4:5]
	v_fmac_f32_e32 v1, s25, v2
	s_cbranch_vccnz .LBB113_46
; %bb.45:
	v_add_co_u32 v5, vcc_lo, s5, v3
	v_add_co_ci_u32_e64 v6, null, s26, v4, vcc_lo
	global_load_dwordx2 v[5:6], v[5:6], off
	s_waitcnt vmcnt(0)
	v_mul_f32_e32 v2, s13, v6
	v_mul_f32_e32 v6, s12, v6
	v_fma_f32 v2, s12, v5, -v2
	v_fmac_f32_e32 v6, s13, v5
	v_add_f32_e32 v0, v0, v2
	v_add_f32_e32 v1, v1, v6
.LBB113_46:
	v_add_co_u32 v2, vcc_lo, s5, v3
	v_add_co_ci_u32_e64 v3, null, s26, v4, vcc_lo
	global_store_dwordx2 v[2:3], v[0:1], off
.LBB113_47:
	s_endpgm
	.section	.rodata,"a",@progbits
	.p2align	6, 0x0
	.amdhsa_kernel _ZL20rocblas_gemvn_kernelILi64ELi16El19rocblas_complex_numIfEPKS1_S1_EviiT3_lPKT2_lT1_lS7_lS8_lS4_lPT4_lS8_li
		.amdhsa_group_segment_fixed_size 32768
		.amdhsa_private_segment_fixed_size 0
		.amdhsa_kernarg_size 400
		.amdhsa_user_sgpr_count 6
		.amdhsa_user_sgpr_private_segment_buffer 1
		.amdhsa_user_sgpr_dispatch_ptr 0
		.amdhsa_user_sgpr_queue_ptr 0
		.amdhsa_user_sgpr_kernarg_segment_ptr 1
		.amdhsa_user_sgpr_dispatch_id 0
		.amdhsa_user_sgpr_flat_scratch_init 0
		.amdhsa_user_sgpr_private_segment_size 0
		.amdhsa_wavefront_size32 1
		.amdhsa_uses_dynamic_stack 0
		.amdhsa_system_sgpr_private_segment_wavefront_offset 0
		.amdhsa_system_sgpr_workgroup_id_x 1
		.amdhsa_system_sgpr_workgroup_id_y 0
		.amdhsa_system_sgpr_workgroup_id_z 1
		.amdhsa_system_sgpr_workgroup_info 0
		.amdhsa_system_vgpr_workitem_id 1
		.amdhsa_next_free_vgpr 69
		.amdhsa_next_free_sgpr 52
		.amdhsa_reserve_vcc 1
		.amdhsa_reserve_flat_scratch 0
		.amdhsa_float_round_mode_32 0
		.amdhsa_float_round_mode_16_64 0
		.amdhsa_float_denorm_mode_32 3
		.amdhsa_float_denorm_mode_16_64 3
		.amdhsa_dx10_clamp 1
		.amdhsa_ieee_mode 1
		.amdhsa_fp16_overflow 0
		.amdhsa_workgroup_processor_mode 1
		.amdhsa_memory_ordered 1
		.amdhsa_forward_progress 1
		.amdhsa_shared_vgpr_count 0
		.amdhsa_exception_fp_ieee_invalid_op 0
		.amdhsa_exception_fp_denorm_src 0
		.amdhsa_exception_fp_ieee_div_zero 0
		.amdhsa_exception_fp_ieee_overflow 0
		.amdhsa_exception_fp_ieee_underflow 0
		.amdhsa_exception_fp_ieee_inexact 0
		.amdhsa_exception_int_div_zero 0
	.end_amdhsa_kernel
	.section	.text._ZL20rocblas_gemvn_kernelILi64ELi16El19rocblas_complex_numIfEPKS1_S1_EviiT3_lPKT2_lT1_lS7_lS8_lS4_lPT4_lS8_li,"axG",@progbits,_ZL20rocblas_gemvn_kernelILi64ELi16El19rocblas_complex_numIfEPKS1_S1_EviiT3_lPKT2_lT1_lS7_lS8_lS4_lPT4_lS8_li,comdat
.Lfunc_end113:
	.size	_ZL20rocblas_gemvn_kernelILi64ELi16El19rocblas_complex_numIfEPKS1_S1_EviiT3_lPKT2_lT1_lS7_lS8_lS4_lPT4_lS8_li, .Lfunc_end113-_ZL20rocblas_gemvn_kernelILi64ELi16El19rocblas_complex_numIfEPKS1_S1_EviiT3_lPKT2_lT1_lS7_lS8_lS4_lPT4_lS8_li
                                        ; -- End function
	.set _ZL20rocblas_gemvn_kernelILi64ELi16El19rocblas_complex_numIfEPKS1_S1_EviiT3_lPKT2_lT1_lS7_lS8_lS4_lPT4_lS8_li.num_vgpr, 69
	.set _ZL20rocblas_gemvn_kernelILi64ELi16El19rocblas_complex_numIfEPKS1_S1_EviiT3_lPKT2_lT1_lS7_lS8_lS4_lPT4_lS8_li.num_agpr, 0
	.set _ZL20rocblas_gemvn_kernelILi64ELi16El19rocblas_complex_numIfEPKS1_S1_EviiT3_lPKT2_lT1_lS7_lS8_lS4_lPT4_lS8_li.numbered_sgpr, 52
	.set _ZL20rocblas_gemvn_kernelILi64ELi16El19rocblas_complex_numIfEPKS1_S1_EviiT3_lPKT2_lT1_lS7_lS8_lS4_lPT4_lS8_li.num_named_barrier, 0
	.set _ZL20rocblas_gemvn_kernelILi64ELi16El19rocblas_complex_numIfEPKS1_S1_EviiT3_lPKT2_lT1_lS7_lS8_lS4_lPT4_lS8_li.private_seg_size, 0
	.set _ZL20rocblas_gemvn_kernelILi64ELi16El19rocblas_complex_numIfEPKS1_S1_EviiT3_lPKT2_lT1_lS7_lS8_lS4_lPT4_lS8_li.uses_vcc, 1
	.set _ZL20rocblas_gemvn_kernelILi64ELi16El19rocblas_complex_numIfEPKS1_S1_EviiT3_lPKT2_lT1_lS7_lS8_lS4_lPT4_lS8_li.uses_flat_scratch, 0
	.set _ZL20rocblas_gemvn_kernelILi64ELi16El19rocblas_complex_numIfEPKS1_S1_EviiT3_lPKT2_lT1_lS7_lS8_lS4_lPT4_lS8_li.has_dyn_sized_stack, 0
	.set _ZL20rocblas_gemvn_kernelILi64ELi16El19rocblas_complex_numIfEPKS1_S1_EviiT3_lPKT2_lT1_lS7_lS8_lS4_lPT4_lS8_li.has_recursion, 0
	.set _ZL20rocblas_gemvn_kernelILi64ELi16El19rocblas_complex_numIfEPKS1_S1_EviiT3_lPKT2_lT1_lS7_lS8_lS4_lPT4_lS8_li.has_indirect_call, 0
	.section	.AMDGPU.csdata,"",@progbits
; Kernel info:
; codeLenInByte = 3920
; TotalNumSgprs: 54
; NumVgprs: 69
; ScratchSize: 0
; MemoryBound: 0
; FloatMode: 240
; IeeeMode: 1
; LDSByteSize: 32768 bytes/workgroup (compile time only)
; SGPRBlocks: 0
; VGPRBlocks: 8
; NumSGPRsForWavesPerEU: 54
; NumVGPRsForWavesPerEU: 69
; Occupancy: 12
; WaveLimiterHint : 0
; COMPUTE_PGM_RSRC2:SCRATCH_EN: 0
; COMPUTE_PGM_RSRC2:USER_SGPR: 6
; COMPUTE_PGM_RSRC2:TRAP_HANDLER: 0
; COMPUTE_PGM_RSRC2:TGID_X_EN: 1
; COMPUTE_PGM_RSRC2:TGID_Y_EN: 0
; COMPUTE_PGM_RSRC2:TGID_Z_EN: 1
; COMPUTE_PGM_RSRC2:TIDIG_COMP_CNT: 1
	.section	.text._ZL20rocblas_gemvn_kernelILi64ELi16Ei19rocblas_complex_numIfES1_S1_EviiT3_lPKT2_lT1_lS5_lS6_lS2_lPT4_lS6_li,"axG",@progbits,_ZL20rocblas_gemvn_kernelILi64ELi16Ei19rocblas_complex_numIfES1_S1_EviiT3_lPKT2_lT1_lS5_lS6_lS2_lPT4_lS6_li,comdat
	.globl	_ZL20rocblas_gemvn_kernelILi64ELi16Ei19rocblas_complex_numIfES1_S1_EviiT3_lPKT2_lT1_lS5_lS6_lS2_lPT4_lS6_li ; -- Begin function _ZL20rocblas_gemvn_kernelILi64ELi16Ei19rocblas_complex_numIfES1_S1_EviiT3_lPKT2_lT1_lS5_lS6_lS2_lPT4_lS6_li
	.p2align	8
	.type	_ZL20rocblas_gemvn_kernelILi64ELi16Ei19rocblas_complex_numIfES1_S1_EviiT3_lPKT2_lT1_lS5_lS6_lS2_lPT4_lS6_li,@function
_ZL20rocblas_gemvn_kernelILi64ELi16Ei19rocblas_complex_numIfES1_S1_EviiT3_lPKT2_lT1_lS5_lS6_lS2_lPT4_lS6_li: ; @_ZL20rocblas_gemvn_kernelILi64ELi16Ei19rocblas_complex_numIfES1_S1_EviiT3_lPKT2_lT1_lS5_lS6_lS2_lPT4_lS6_li
; %bb.0:
	s_load_dwordx2 s[0:1], s[4:5], 0x9c
	s_waitcnt lgkmcnt(0)
	s_lshr_b32 s2, s0, 16
	s_and_b32 s0, s0, 0xffff
	s_and_b32 s1, s1, 0xffff
	s_mul_i32 s0, s2, s0
	s_mul_i32 s0, s0, s1
	s_cmpk_lg_i32 s0, 0x400
	s_cbranch_scc1 .LBB114_47
; %bb.1:
	s_clause 0x1
	s_load_dwordx4 s[8:11], s[4:5], 0x0
	s_load_dwordx2 s[16:17], s[4:5], 0x58
	s_waitcnt lgkmcnt(0)
	v_cmp_neq_f32_e64 s0, s10, 0
	v_cmp_neq_f32_e64 s1, s11, 0
	s_or_b32 s0, s0, s1
	s_and_b32 vcc_lo, exec_lo, s0
	s_mov_b32 s0, -1
	s_cbranch_vccnz .LBB114_3
; %bb.2:
	v_cmp_neq_f32_e64 s0, s16, 1.0
	v_cmp_neq_f32_e64 s1, s17, 0
	s_or_b32 s0, s0, s1
.LBB114_3:
	s_andn2_b32 vcc_lo, exec_lo, s0
	s_cbranch_vccnz .LBB114_47
; %bb.4:
	s_clause 0x2
	s_load_dwordx2 s[12:13], s[4:5], 0x80
	s_load_dwordx4 s[0:3], s[4:5], 0x68
	s_load_dword s21, s[4:5], 0x78
	v_lshlrev_b32_e32 v54, 6, v1
	v_add_nc_u32_e32 v53, v54, v0
	v_cmp_gt_u32_e32 vcc_lo, 0x100, v53
	s_waitcnt lgkmcnt(0)
	s_mul_i32 s13, s13, s7
	s_mul_hi_u32 s14, s12, s7
	s_mul_i32 s12, s12, s7
	s_add_i32 s13, s14, s13
	s_lshl_b64 s[12:13], s[12:13], 3
	s_add_u32 s12, s0, s12
	s_addc_u32 s13, s1, s13
	s_lshl_b64 s[0:1], s[2:3], 3
	s_add_u32 s19, s12, s0
	s_addc_u32 s20, s13, s1
	s_or_b32 s0, s10, s11
	s_bitset0_b32 s0, 31
	s_cmp_lg_u32 s0, 0
	s_mov_b32 s0, -1
	s_cbranch_scc1 .LBB114_11
; %bb.5:
	s_and_saveexec_b32 s0, vcc_lo
	s_cbranch_execz .LBB114_10
; %bb.6:
	v_lshl_or_b32 v2, s6, 8, v53
	v_mov_b32_e32 v3, 0
	s_ashr_i32 s3, s8, 31
	s_mov_b32 s2, s8
	v_cmp_gt_i64_e32 vcc_lo, s[2:3], v[2:3]
	s_and_b32 exec_lo, exec_lo, vcc_lo
	s_cbranch_execz .LBB114_10
; %bb.7:
	v_mad_u64_u32 v[4:5], null, s21, v2, 0
	s_ashr_i32 s3, s21, 31
	v_cmp_neq_f32_e64 s1, s16, 0
	v_cmp_neq_f32_e64 s2, s17, 0
	v_mad_u64_u32 v[5:6], null, s3, v2, v[5:6]
	v_mov_b32_e32 v6, v3
	s_or_b32 s1, s1, s2
	s_andn2_b32 vcc_lo, exec_lo, s1
	v_lshlrev_b64 v[4:5], 3, v[4:5]
	s_cbranch_vccnz .LBB114_9
; %bb.8:
	v_add_co_u32 v2, vcc_lo, s19, v4
	v_add_co_ci_u32_e64 v3, null, s20, v5, vcc_lo
	global_load_dwordx2 v[2:3], v[2:3], off
	s_waitcnt vmcnt(0)
	v_mul_f32_e32 v7, s17, v3
	v_mul_f32_e32 v6, s16, v3
	v_fma_f32 v3, s16, v2, -v7
	v_fmac_f32_e32 v6, s17, v2
.LBB114_9:
	v_add_co_u32 v7, vcc_lo, s19, v4
	v_add_co_ci_u32_e64 v8, null, s20, v5, vcc_lo
	v_mov_b32_e32 v5, v3
	global_store_dwordx2 v[7:8], v[5:6], off
.LBB114_10:
	s_or_b32 exec_lo, exec_lo, s0
	s_mov_b32 s0, 0
.LBB114_11:
	s_andn2_b32 vcc_lo, exec_lo, s0
	s_cbranch_vccnz .LBB114_47
; %bb.12:
	s_clause 0x5
	s_load_dwordx4 s[0:3], s[4:5], 0x30
	s_load_dwordx2 s[24:25], s[4:5], 0x50
	s_load_dwordx4 s[12:15], s[4:5], 0x18
	s_load_dword s18, s[4:5], 0x48
	s_load_dword s22, s[4:5], 0x28
	s_load_dwordx2 s[26:27], s[4:5], 0x40
	v_lshlrev_b32_e32 v56, 2, v1
	v_mov_b32_e32 v3, 0
	v_mov_b32_e32 v2, 0
	;; [unrolled: 1-line block ×8, first 2 shown]
	s_waitcnt lgkmcnt(0)
	s_mul_i32 s1, s1, s7
	s_mul_hi_u32 s4, s0, s7
	s_mul_i32 s0, s0, s7
	s_add_i32 s1, s4, s1
	s_mul_i32 s4, s25, s7
	s_lshl_b64 s[0:1], s[0:1], 3
	s_mul_hi_u32 s23, s24, s7
	s_add_u32 s5, s12, s0
	s_addc_u32 s13, s13, s1
	s_lshl_b64 s[0:1], s[14:15], 3
	s_mul_i32 s12, s24, s7
	s_add_u32 s5, s5, s0
	s_addc_u32 s7, s13, s1
	s_add_i32 s13, s23, s4
	s_mov_b32 s14, exec_lo
	s_lshl_b64 s[0:1], s[12:13], 3
	s_add_u32 s2, s2, s0
	s_addc_u32 s3, s3, s1
	s_lshl_b64 s[0:1], s[26:27], 3
	s_add_u32 s12, s2, s0
	s_addc_u32 s13, s3, s1
	s_ashr_i32 s0, s9, 31
	s_lshl_b32 s4, s6, 8
	s_lshr_b32 s0, s0, 26
	v_add_nc_u32_e32 v55, s4, v0
	s_add_i32 s0, s9, s0
	s_and_b32 s6, s0, 0xffffffc0
	v_cmpx_gt_i32_e64 s6, v56
	s_cbranch_execz .LBB114_24
; %bb.13:
	v_mul_lo_u32 v3, s22, v56
	v_add_nc_u32_e32 v2, 64, v55
	v_add_nc_u32_e32 v4, 0x80, v55
	v_add_nc_u32_e32 v5, 0xc0, v55
	s_lshl_b32 s15, s22, 6
	s_lshl_b32 s24, s18, 6
	v_cmp_gt_i32_e64 s0, s8, v2
	v_add_nc_u32_e32 v2, 2, v56
	v_add3_u32 v57, v3, s22, v0
	v_mul_lo_u32 v3, v1, s22
	v_cmp_gt_i32_e64 s1, s8, v4
	v_add_nc_u32_e32 v4, 3, v56
	v_cmp_gt_i32_e64 s2, s8, v5
	v_mul_lo_u32 v5, v1, s18
	v_mad_u64_u32 v[10:11], null, s22, v2, v[0:1]
	v_mad_u64_u32 v[11:12], null, s22, v4, v[0:1]
	v_lshl_add_u32 v58, v3, 2, v0
	v_mov_b32_e32 v3, 0
	v_mad_u64_u32 v[12:13], null, s18, v56, s[18:19]
	v_mul_lo_u32 v59, s18, v2
	v_mul_lo_u32 v60, s18, v4
	v_lshlrev_b32_e32 v61, 2, v5
	v_mov_b32_e32 v2, v3
	v_mov_b32_e32 v5, v3
	;; [unrolled: 1-line block ×7, first 2 shown]
	s_mov_b32 s23, 0
	s_mov_b32 s25, 0
	v_cmp_gt_i32_e32 vcc_lo, s8, v55
	s_branch .LBB114_18
.LBB114_14:                             ;   in Loop: Header=BB114_18 Depth=1
	s_or_b32 exec_lo, exec_lo, s28
	s_waitcnt vmcnt(3)
	v_mul_f32_e32 v45, v26, v44
	v_mul_f32_e32 v44, v25, v44
	s_waitcnt vmcnt(2)
	v_mul_f32_e32 v46, v22, v42
	v_mul_f32_e32 v42, v21, v42
	s_waitcnt vmcnt(1)
	v_mul_f32_e32 v47, v16, v40
	v_fma_f32 v45, v25, v43, -v45
	v_fmac_f32_e32 v44, v26, v43
	v_mul_f32_e32 v40, v15, v40
	v_fma_f32 v46, v21, v41, -v46
	v_fmac_f32_e32 v42, v22, v41
	v_add_f32_e32 v4, v4, v45
	v_add_f32_e32 v5, v5, v44
	s_waitcnt vmcnt(0)
	v_mul_f32_e32 v43, v14, v38
	v_mul_f32_e32 v38, v13, v38
	v_fma_f32 v41, v15, v39, -v47
	v_add_f32_e32 v4, v46, v4
	v_fmac_f32_e32 v40, v16, v39
	v_add_f32_e32 v5, v42, v5
	v_fma_f32 v39, v13, v37, -v43
	v_fmac_f32_e32 v38, v14, v37
	v_add_f32_e32 v4, v41, v4
	v_add_f32_e32 v5, v40, v5
	;; [unrolled: 1-line block ×4, first 2 shown]
.LBB114_15:                             ;   in Loop: Header=BB114_18 Depth=1
	s_or_b32 exec_lo, exec_lo, s27
	s_waitcnt vmcnt(3)
	v_mul_f32_e32 v37, v26, v36
	v_mul_f32_e32 v36, v25, v36
	s_waitcnt vmcnt(2)
	v_mul_f32_e32 v38, v22, v34
	v_mul_f32_e32 v34, v21, v34
	s_waitcnt vmcnt(1)
	v_mul_f32_e32 v39, v16, v32
	v_fma_f32 v37, v25, v35, -v37
	v_fmac_f32_e32 v36, v26, v35
	v_mul_f32_e32 v32, v15, v32
	v_fma_f32 v38, v21, v33, -v38
	v_fmac_f32_e32 v34, v22, v33
	v_add_f32_e32 v6, v6, v37
	v_add_f32_e32 v7, v7, v36
	s_waitcnt vmcnt(0)
	v_mul_f32_e32 v35, v14, v30
	v_mul_f32_e32 v30, v13, v30
	v_fma_f32 v33, v15, v31, -v39
	v_add_f32_e32 v6, v38, v6
	v_fmac_f32_e32 v32, v16, v31
	v_add_f32_e32 v7, v34, v7
	v_fma_f32 v31, v13, v29, -v35
	v_fmac_f32_e32 v30, v14, v29
	v_add_f32_e32 v6, v33, v6
	v_add_f32_e32 v7, v32, v7
	;; [unrolled: 1-line block ×4, first 2 shown]
.LBB114_16:                             ;   in Loop: Header=BB114_18 Depth=1
	s_or_b32 exec_lo, exec_lo, s3
	s_waitcnt vmcnt(3)
	v_mul_f32_e32 v29, v26, v28
	v_mul_f32_e32 v28, v25, v28
	s_waitcnt vmcnt(2)
	v_mul_f32_e32 v30, v22, v24
	v_mul_f32_e32 v24, v21, v24
	s_waitcnt vmcnt(1)
	v_mul_f32_e32 v31, v16, v20
	v_fma_f32 v25, v25, v27, -v29
	v_fmac_f32_e32 v28, v26, v27
	v_mul_f32_e32 v20, v15, v20
	v_fma_f32 v21, v21, v23, -v30
	v_fmac_f32_e32 v24, v22, v23
	v_add_f32_e32 v8, v8, v25
	v_add_f32_e32 v9, v9, v28
	s_waitcnt vmcnt(0)
	v_mul_f32_e32 v26, v14, v18
	v_mul_f32_e32 v18, v13, v18
	v_fma_f32 v15, v15, v19, -v31
	v_add_f32_e32 v8, v21, v8
	v_fmac_f32_e32 v20, v16, v19
	v_add_f32_e32 v9, v24, v9
	v_fma_f32 v13, v13, v17, -v26
	v_fmac_f32_e32 v18, v14, v17
	v_add_f32_e32 v8, v15, v8
	v_add_f32_e32 v9, v20, v9
	;; [unrolled: 1-line block ×4, first 2 shown]
.LBB114_17:                             ;   in Loop: Header=BB114_18 Depth=1
	s_or_b32 exec_lo, exec_lo, s26
	v_add_nc_u32_e32 v56, 64, v56
	v_add_nc_u32_e32 v57, s15, v57
	;; [unrolled: 1-line block ×5, first 2 shown]
	v_cmp_le_i32_e64 s3, s6, v56
	s_add_i32 s25, s25, s24
	s_or_b32 s23, s3, s23
	s_andn2_b32 exec_lo, exec_lo, s23
	s_cbranch_execz .LBB114_23
.LBB114_18:                             ; =>This Inner Loop Header: Depth=1
	s_and_saveexec_b32 s26, vcc_lo
	s_cbranch_execz .LBB114_17
; %bb.19:                               ;   in Loop: Header=BB114_18 Depth=1
	v_add_nc_u32_e32 v13, s25, v61
	v_add_nc_u32_e32 v15, s25, v12
	;; [unrolled: 1-line block ×5, first 2 shown]
	v_ashrrev_i32_e32 v14, 31, v13
	v_ashrrev_i32_e32 v16, 31, v15
	;; [unrolled: 1-line block ×3, first 2 shown]
	v_add_nc_u32_e32 v23, s4, v57
	v_ashrrev_i32_e32 v20, 31, v19
	v_lshlrev_b64 v[13:14], 3, v[13:14]
	v_lshlrev_b64 v[15:16], 3, v[15:16]
	v_ashrrev_i32_e32 v22, 31, v21
	v_lshlrev_b64 v[17:18], 3, v[17:18]
	v_ashrrev_i32_e32 v24, 31, v23
	v_lshlrev_b64 v[19:20], 3, v[19:20]
	v_add_co_u32 v13, s3, s12, v13
	v_add_nc_u32_e32 v25, s4, v10
	v_add_co_ci_u32_e64 v14, null, s13, v14, s3
	v_add_co_u32 v15, s3, s12, v15
	v_lshlrev_b64 v[21:22], 3, v[21:22]
	v_add_nc_u32_e32 v27, s4, v11
	v_add_co_ci_u32_e64 v16, null, s13, v16, s3
	v_add_co_u32 v17, s3, s12, v17
	v_lshlrev_b64 v[23:24], 3, v[23:24]
	v_ashrrev_i32_e32 v26, 31, v25
	v_add_co_ci_u32_e64 v18, null, s13, v18, s3
	v_add_co_u32 v19, s3, s12, v19
	v_ashrrev_i32_e32 v28, 31, v27
	v_add_co_ci_u32_e64 v20, null, s13, v20, s3
	v_add_co_u32 v51, s3, s5, v21
	v_add_co_ci_u32_e64 v52, null, s7, v22, s3
	v_lshlrev_b64 v[21:22], 3, v[25:26]
	v_add_co_u32 v49, s3, s5, v23
	v_add_co_ci_u32_e64 v50, null, s7, v24, s3
	v_lshlrev_b64 v[23:24], 3, v[27:28]
	v_add_co_u32 v47, s3, s5, v21
	v_add_co_ci_u32_e64 v48, null, s7, v22, s3
	v_add_co_u32 v45, s3, s5, v23
	v_add_co_ci_u32_e64 v46, null, s7, v24, s3
	s_clause 0x3
	global_load_dwordx2 v[25:26], v[13:14], off
	global_load_dwordx2 v[21:22], v[15:16], off
	;; [unrolled: 1-line block ×4, first 2 shown]
	s_clause 0x3
	global_load_dwordx2 v[27:28], v[51:52], off
	global_load_dwordx2 v[23:24], v[49:50], off
	;; [unrolled: 1-line block ×4, first 2 shown]
	s_and_saveexec_b32 s3, s0
	s_cbranch_execz .LBB114_16
; %bb.20:                               ;   in Loop: Header=BB114_18 Depth=1
	s_clause 0x3
	global_load_dwordx2 v[35:36], v[51:52], off offset:512
	global_load_dwordx2 v[33:34], v[49:50], off offset:512
	global_load_dwordx2 v[31:32], v[47:48], off offset:512
	global_load_dwordx2 v[29:30], v[45:46], off offset:512
	s_and_saveexec_b32 s27, s1
	s_cbranch_execz .LBB114_15
; %bb.21:                               ;   in Loop: Header=BB114_18 Depth=1
	s_clause 0x3
	global_load_dwordx2 v[43:44], v[51:52], off offset:1024
	global_load_dwordx2 v[41:42], v[49:50], off offset:1024
	global_load_dwordx2 v[39:40], v[47:48], off offset:1024
	global_load_dwordx2 v[37:38], v[45:46], off offset:1024
	s_and_saveexec_b32 s28, s2
	s_cbranch_execz .LBB114_14
; %bb.22:                               ;   in Loop: Header=BB114_18 Depth=1
	s_clause 0x3
	global_load_dwordx2 v[51:52], v[51:52], off offset:1536
	global_load_dwordx2 v[49:50], v[49:50], off offset:1536
	global_load_dwordx2 v[47:48], v[47:48], off offset:1536
	global_load_dwordx2 v[45:46], v[45:46], off offset:1536
	s_waitcnt vmcnt(3)
	v_mul_f32_e32 v62, v26, v52
	v_mul_f32_e32 v52, v25, v52
	s_waitcnt vmcnt(2)
	v_mul_f32_e32 v63, v22, v50
	v_mul_f32_e32 v50, v21, v50
	s_waitcnt vmcnt(1)
	v_mul_f32_e32 v64, v16, v48
	v_fma_f32 v62, v25, v51, -v62
	v_fmac_f32_e32 v52, v26, v51
	v_mul_f32_e32 v48, v15, v48
	v_fma_f32 v63, v21, v49, -v63
	v_fmac_f32_e32 v50, v22, v49
	v_add_f32_e32 v2, v2, v62
	v_add_f32_e32 v3, v3, v52
	s_waitcnt vmcnt(0)
	v_mul_f32_e32 v51, v14, v46
	v_mul_f32_e32 v46, v13, v46
	v_fma_f32 v49, v15, v47, -v64
	v_fmac_f32_e32 v48, v16, v47
	v_add_f32_e32 v2, v63, v2
	v_add_f32_e32 v3, v50, v3
	v_fma_f32 v47, v13, v45, -v51
	v_fmac_f32_e32 v46, v14, v45
	v_add_f32_e32 v2, v49, v2
	v_add_f32_e32 v3, v48, v3
	;; [unrolled: 1-line block ×4, first 2 shown]
	s_branch .LBB114_14
.LBB114_23:
	s_or_b32 exec_lo, exec_lo, s23
.LBB114_24:
	s_or_b32 exec_lo, exec_lo, s14
	s_sub_i32 s0, s9, s6
	s_cmp_lt_i32 s0, 1
	s_cbranch_scc1 .LBB114_42
; %bb.25:
	v_cmp_gt_i32_e32 vcc_lo, s9, v56
	v_mov_b32_e32 v10, 0
	v_or_b32_e32 v18, 1, v56
	v_mov_b32_e32 v11, 0
	v_mov_b32_e32 v12, 0
	;; [unrolled: 1-line block ×7, first 2 shown]
	s_and_saveexec_b32 s1, vcc_lo
	s_cbranch_execz .LBB114_33
; %bb.26:
	v_mul_lo_u32 v10, v56, s18
	v_mov_b32_e32 v17, 0
	v_mov_b32_e32 v16, 0
	;; [unrolled: 1-line block ×6, first 2 shown]
	s_mov_b32 s2, exec_lo
	v_ashrrev_i32_e32 v11, 31, v10
	v_lshlrev_b64 v[10:11], 3, v[10:11]
	v_add_co_u32 v10, s0, s12, v10
	v_add_co_ci_u32_e64 v11, null, s13, v11, s0
	global_load_dwordx2 v[10:11], v[10:11], off
	v_cmpx_gt_i32_e64 s9, v18
	s_cbranch_execz .LBB114_32
; %bb.27:
	v_mul_lo_u32 v12, v18, s18
	v_or_b32_e32 v19, 2, v56
	v_mov_b32_e32 v17, 0
	v_mov_b32_e32 v16, 0
	;; [unrolled: 1-line block ×4, first 2 shown]
	s_mov_b32 s3, exec_lo
	v_ashrrev_i32_e32 v13, 31, v12
	v_lshlrev_b64 v[12:13], 3, v[12:13]
	v_add_co_u32 v12, s0, s12, v12
	v_add_co_ci_u32_e64 v13, null, s13, v13, s0
	global_load_dwordx2 v[12:13], v[12:13], off
	v_cmpx_gt_i32_e64 s9, v19
	s_cbranch_execz .LBB114_31
; %bb.28:
	v_mul_lo_u32 v14, v19, s18
	v_or_b32_e32 v19, 3, v56
	v_mov_b32_e32 v17, 0
	v_mov_b32_e32 v16, 0
	s_mov_b32 s6, exec_lo
	v_ashrrev_i32_e32 v15, 31, v14
	v_lshlrev_b64 v[14:15], 3, v[14:15]
	v_add_co_u32 v14, s0, s12, v14
	v_add_co_ci_u32_e64 v15, null, s13, v15, s0
	global_load_dwordx2 v[14:15], v[14:15], off
	v_cmpx_gt_i32_e64 s9, v19
	s_cbranch_execz .LBB114_30
; %bb.29:
	v_mul_lo_u32 v16, v19, s18
	v_ashrrev_i32_e32 v17, 31, v16
	v_lshlrev_b64 v[16:17], 3, v[16:17]
	v_add_co_u32 v16, s0, s12, v16
	v_add_co_ci_u32_e64 v17, null, s13, v17, s0
	global_load_dwordx2 v[16:17], v[16:17], off
.LBB114_30:
	s_or_b32 exec_lo, exec_lo, s6
.LBB114_31:
	s_or_b32 exec_lo, exec_lo, s3
.LBB114_32:
	s_or_b32 exec_lo, exec_lo, s2
.LBB114_33:
	s_or_b32 exec_lo, exec_lo, s1
	s_mov_b32 s1, exec_lo
	v_cmpx_gt_i32_e64 s8, v55
	s_cbranch_execz .LBB114_41
; %bb.34:
	v_mul_lo_u32 v19, v56, s22
	v_mul_lo_u32 v20, v18, s22
	v_or_b32_e32 v21, 2, v56
	v_or_b32_e32 v22, 3, v56
	s_mov_b32 s0, exec_lo
	v_mul_lo_u32 v23, v21, s22
	v_cndmask_b32_e32 v19, 0, v19, vcc_lo
	v_cmp_gt_i32_e32 vcc_lo, s9, v18
	v_mul_lo_u32 v24, v22, s22
	v_add_nc_u32_e32 v18, v19, v55
	v_cndmask_b32_e32 v20, 0, v20, vcc_lo
	v_cmp_gt_i32_e32 vcc_lo, s9, v21
	v_ashrrev_i32_e32 v19, 31, v18
	v_add_nc_u32_e32 v20, v20, v55
	v_cndmask_b32_e32 v23, 0, v23, vcc_lo
	v_cmp_gt_i32_e32 vcc_lo, s9, v22
	v_lshlrev_b64 v[18:19], 3, v[18:19]
	v_ashrrev_i32_e32 v21, 31, v20
	v_add_nc_u32_e32 v22, v23, v55
	v_cndmask_b32_e32 v24, 0, v24, vcc_lo
	v_lshlrev_b64 v[20:21], 3, v[20:21]
	v_ashrrev_i32_e32 v23, 31, v22
	v_add_nc_u32_e32 v26, v24, v55
	v_add_co_u32 v24, vcc_lo, s5, v18
	v_add_co_ci_u32_e64 v25, null, s7, v19, vcc_lo
	v_ashrrev_i32_e32 v27, 31, v26
	v_add_co_u32 v20, vcc_lo, s5, v20
	v_add_co_ci_u32_e64 v21, null, s7, v21, vcc_lo
	v_lshlrev_b64 v[18:19], 3, v[22:23]
	v_lshlrev_b64 v[26:27], 3, v[26:27]
	s_clause 0x1
	global_load_dwordx2 v[28:29], v[24:25], off
	global_load_dwordx2 v[30:31], v[20:21], off
	v_add_co_u32 v22, vcc_lo, s5, v18
	v_add_co_ci_u32_e64 v23, null, s7, v19, vcc_lo
	v_add_co_u32 v18, vcc_lo, s5, v26
	v_add_co_ci_u32_e64 v19, null, s7, v27, vcc_lo
	s_clause 0x1
	global_load_dwordx2 v[26:27], v[22:23], off
	global_load_dwordx2 v[32:33], v[18:19], off
	s_waitcnt vmcnt(3)
	v_mul_f32_e32 v34, v11, v29
	v_mul_f32_e32 v29, v10, v29
	s_waitcnt vmcnt(2)
	v_mul_f32_e32 v35, v13, v31
	v_mul_f32_e32 v31, v12, v31
	v_fma_f32 v34, v10, v28, -v34
	v_fmac_f32_e32 v29, v11, v28
	v_fma_f32 v28, v12, v30, -v35
	v_fmac_f32_e32 v31, v13, v30
	v_add_f32_e32 v8, v8, v34
	v_add_f32_e32 v29, v9, v29
	s_waitcnt vmcnt(1)
	v_mul_f32_e32 v30, v15, v27
	v_mul_f32_e32 v27, v14, v27
	s_waitcnt vmcnt(0)
	v_mul_f32_e32 v35, v17, v33
	v_mul_f32_e32 v9, v16, v33
	v_fma_f32 v30, v14, v26, -v30
	v_fmac_f32_e32 v27, v15, v26
	v_add_f32_e32 v26, v28, v8
	v_add_f32_e32 v28, v31, v29
	v_add_nc_u32_e32 v29, 64, v55
	v_fma_f32 v8, v16, v32, -v35
	v_fmac_f32_e32 v9, v17, v32
	v_add_f32_e32 v26, v30, v26
	v_add_f32_e32 v27, v27, v28
	v_cmpx_gt_i32_e64 s8, v29
	s_cbranch_execz .LBB114_40
; %bb.35:
	s_clause 0x3
	global_load_dwordx2 v[28:29], v[24:25], off offset:512
	global_load_dwordx2 v[30:31], v[20:21], off offset:512
	;; [unrolled: 1-line block ×4, first 2 shown]
	s_mov_b32 s2, exec_lo
	s_waitcnt vmcnt(3)
	v_mul_f32_e32 v36, v11, v29
	v_mul_f32_e32 v29, v10, v29
	s_waitcnt vmcnt(2)
	v_mul_f32_e32 v37, v13, v31
	v_mul_f32_e32 v31, v12, v31
	s_waitcnt vmcnt(1)
	v_mul_f32_e32 v38, v15, v33
	v_fma_f32 v36, v10, v28, -v36
	v_fmac_f32_e32 v29, v11, v28
	v_mul_f32_e32 v33, v14, v33
	v_fma_f32 v37, v12, v30, -v37
	v_fmac_f32_e32 v31, v13, v30
	v_add_f32_e32 v6, v6, v36
	v_add_f32_e32 v29, v7, v29
	s_waitcnt vmcnt(0)
	v_mul_f32_e32 v28, v17, v35
	v_mul_f32_e32 v7, v16, v35
	v_fma_f32 v30, v14, v32, -v38
	v_fmac_f32_e32 v33, v15, v32
	v_add_f32_e32 v32, v37, v6
	v_add_f32_e32 v29, v31, v29
	v_add_nc_u32_e32 v31, 0x80, v55
	v_fma_f32 v6, v16, v34, -v28
	v_fmac_f32_e32 v7, v17, v34
	v_add_f32_e32 v28, v30, v32
	v_add_f32_e32 v29, v33, v29
	v_cmpx_gt_i32_e64 s8, v31
	s_cbranch_execz .LBB114_39
; %bb.36:
	s_clause 0x3
	global_load_dwordx2 v[30:31], v[24:25], off offset:1024
	global_load_dwordx2 v[32:33], v[20:21], off offset:1024
	;; [unrolled: 1-line block ×4, first 2 shown]
	s_mov_b32 s3, exec_lo
	s_waitcnt vmcnt(3)
	v_mul_f32_e32 v38, v11, v31
	v_mul_f32_e32 v31, v10, v31
	s_waitcnt vmcnt(2)
	v_mul_f32_e32 v39, v13, v33
	v_mul_f32_e32 v33, v12, v33
	s_waitcnt vmcnt(1)
	v_mul_f32_e32 v40, v15, v35
	v_fma_f32 v38, v10, v30, -v38
	v_fmac_f32_e32 v31, v11, v30
	v_mul_f32_e32 v35, v14, v35
	v_fma_f32 v39, v12, v32, -v39
	v_fmac_f32_e32 v33, v13, v32
	v_add_f32_e32 v4, v4, v38
	v_add_f32_e32 v31, v5, v31
	s_waitcnt vmcnt(0)
	v_mul_f32_e32 v30, v17, v37
	v_mul_f32_e32 v5, v16, v37
	v_fma_f32 v32, v14, v34, -v40
	v_fmac_f32_e32 v35, v15, v34
	v_add_f32_e32 v34, v39, v4
	v_add_f32_e32 v31, v33, v31
	v_add_nc_u32_e32 v33, 0xc0, v55
	v_fma_f32 v4, v16, v36, -v30
	v_fmac_f32_e32 v5, v17, v36
	v_add_f32_e32 v30, v32, v34
	v_add_f32_e32 v31, v35, v31
	v_cmpx_gt_i32_e64 s8, v33
	s_cbranch_execz .LBB114_38
; %bb.37:
	s_clause 0x3
	global_load_dwordx2 v[24:25], v[24:25], off offset:1536
	global_load_dwordx2 v[20:21], v[20:21], off offset:1536
	;; [unrolled: 1-line block ×4, first 2 shown]
	s_waitcnt vmcnt(3)
	v_mul_f32_e32 v32, v11, v25
	v_mul_f32_e32 v25, v10, v25
	s_waitcnt vmcnt(2)
	v_mul_f32_e32 v33, v13, v21
	v_mul_f32_e32 v21, v12, v21
	s_waitcnt vmcnt(1)
	v_mul_f32_e32 v34, v15, v23
	v_fma_f32 v10, v10, v24, -v32
	v_fmac_f32_e32 v25, v11, v24
	v_mul_f32_e32 v23, v14, v23
	v_fma_f32 v12, v12, v20, -v33
	v_fmac_f32_e32 v21, v13, v20
	v_add_f32_e32 v2, v2, v10
	v_add_f32_e32 v3, v3, v25
	s_waitcnt vmcnt(0)
	v_mul_f32_e32 v11, v17, v19
	v_mul_f32_e32 v10, v16, v19
	v_fma_f32 v13, v14, v22, -v34
	v_fmac_f32_e32 v23, v15, v22
	v_add_f32_e32 v2, v12, v2
	v_add_f32_e32 v3, v21, v3
	v_fma_f32 v11, v16, v18, -v11
	v_fmac_f32_e32 v10, v17, v18
	v_add_f32_e32 v2, v13, v2
	v_add_f32_e32 v3, v23, v3
	;; [unrolled: 1-line block ×4, first 2 shown]
.LBB114_38:
	s_or_b32 exec_lo, exec_lo, s3
	v_add_f32_e32 v4, v4, v30
	v_add_f32_e32 v5, v5, v31
.LBB114_39:
	s_or_b32 exec_lo, exec_lo, s2
	v_add_f32_e32 v6, v6, v28
	v_add_f32_e32 v7, v7, v29
.LBB114_40:
	s_or_b32 exec_lo, exec_lo, s0
	v_add_f32_e32 v8, v8, v26
	v_add_f32_e32 v9, v9, v27
.LBB114_41:
	s_or_b32 exec_lo, exec_lo, s1
.LBB114_42:
	v_lshlrev_b32_e32 v0, 3, v0
	s_mov_b32 s0, exec_lo
	v_lshl_add_u32 v1, v1, 11, v0
	ds_write2st64_b64 v1, v[8:9], v[6:7] offset1:1
	ds_write2st64_b64 v1, v[4:5], v[2:3] offset0:2 offset1:3
	s_waitcnt vmcnt(0) lgkmcnt(0)
	s_waitcnt_vscnt null, 0x0
	s_barrier
	buffer_gl0_inv
	v_cmpx_gt_u32_e32 0x100, v53
	s_cbranch_execz .LBB114_47
; %bb.43:
	v_lshl_add_u32 v12, v54, 3, v0
	ds_read2st64_b64 v[0:3], v12 offset1:4
	ds_read2st64_b64 v[4:7], v12 offset0:8 offset1:12
	ds_read2st64_b64 v[8:11], v12 offset0:16 offset1:20
	s_waitcnt lgkmcnt(2)
	v_add_f32_e32 v13, v0, v2
	v_add_f32_e32 v14, v1, v3
	ds_read2st64_b64 v[0:3], v12 offset0:24 offset1:28
	s_waitcnt lgkmcnt(2)
	v_add_f32_e32 v4, v13, v4
	v_add_f32_e32 v5, v14, v5
	v_add_f32_e32 v13, v4, v6
	v_add_f32_e32 v14, v5, v7
	ds_read2st64_b64 v[4:7], v12 offset0:32 offset1:36
	s_waitcnt lgkmcnt(2)
	v_add_f32_e32 v8, v13, v8
	v_add_f32_e32 v9, v14, v9
	v_add_f32_e32 v13, v8, v10
	v_add_f32_e32 v14, v9, v11
	ds_read2st64_b64 v[8:11], v12 offset0:40 offset1:44
	s_waitcnt lgkmcnt(2)
	v_add_f32_e32 v0, v13, v0
	v_add_f32_e32 v1, v14, v1
	v_add_f32_e32 v13, v0, v2
	v_add_f32_e32 v14, v1, v3
	ds_read2st64_b64 v[0:3], v12 offset0:48 offset1:52
	s_waitcnt lgkmcnt(2)
	v_add_f32_e32 v4, v13, v4
	v_add_f32_e32 v5, v14, v5
	v_add_f32_e32 v13, v4, v6
	v_add_f32_e32 v14, v5, v7
	ds_read2st64_b64 v[4:7], v12 offset0:56 offset1:60
	s_waitcnt lgkmcnt(2)
	v_add_f32_e32 v8, v13, v8
	v_add_f32_e32 v9, v14, v9
	v_add_f32_e32 v8, v8, v10
	v_add_f32_e32 v9, v9, v11
	s_waitcnt lgkmcnt(1)
	v_add_f32_e32 v0, v8, v0
	v_add_f32_e32 v1, v9, v1
	;; [unrolled: 1-line block ×4, first 2 shown]
	s_waitcnt lgkmcnt(0)
	v_add_f32_e32 v2, v0, v4
	v_add_f32_e32 v1, v1, v5
	v_or_b32_e32 v0, s4, v53
	v_add_f32_e32 v2, v2, v6
	v_add_f32_e32 v3, v1, v7
	v_cmp_gt_i32_e32 vcc_lo, s8, v0
	ds_write_b64 v12, v[2:3]
	s_and_b32 exec_lo, exec_lo, vcc_lo
	s_cbranch_execz .LBB114_47
; %bb.44:
	v_mul_lo_u32 v4, s21, v0
	v_mul_f32_e32 v0, s11, v3
	v_mul_f32_e32 v1, s10, v3
	v_cmp_neq_f32_e64 s0, s16, 0
	v_cmp_neq_f32_e64 s1, s17, 0
	v_fma_f32 v0, v2, s10, -v0
	v_fmac_f32_e32 v1, s11, v2
	v_ashrrev_i32_e32 v5, 31, v4
	s_or_b32 s0, s0, s1
	s_andn2_b32 vcc_lo, exec_lo, s0
	v_lshlrev_b64 v[3:4], 3, v[4:5]
	s_cbranch_vccnz .LBB114_46
; %bb.45:
	v_add_co_u32 v5, vcc_lo, s19, v3
	v_add_co_ci_u32_e64 v6, null, s20, v4, vcc_lo
	global_load_dwordx2 v[5:6], v[5:6], off
	s_waitcnt vmcnt(0)
	v_mul_f32_e32 v2, s17, v6
	v_mul_f32_e32 v6, s16, v6
	v_fma_f32 v2, s16, v5, -v2
	v_fmac_f32_e32 v6, s17, v5
	v_add_f32_e32 v0, v0, v2
	v_add_f32_e32 v1, v1, v6
.LBB114_46:
	v_add_co_u32 v2, vcc_lo, s19, v3
	v_add_co_ci_u32_e64 v3, null, s20, v4, vcc_lo
	global_store_dwordx2 v[2:3], v[0:1], off
.LBB114_47:
	s_endpgm
	.section	.rodata,"a",@progbits
	.p2align	6, 0x0
	.amdhsa_kernel _ZL20rocblas_gemvn_kernelILi64ELi16Ei19rocblas_complex_numIfES1_S1_EviiT3_lPKT2_lT1_lS5_lS6_lS2_lPT4_lS6_li
		.amdhsa_group_segment_fixed_size 32768
		.amdhsa_private_segment_fixed_size 0
		.amdhsa_kernarg_size 400
		.amdhsa_user_sgpr_count 6
		.amdhsa_user_sgpr_private_segment_buffer 1
		.amdhsa_user_sgpr_dispatch_ptr 0
		.amdhsa_user_sgpr_queue_ptr 0
		.amdhsa_user_sgpr_kernarg_segment_ptr 1
		.amdhsa_user_sgpr_dispatch_id 0
		.amdhsa_user_sgpr_flat_scratch_init 0
		.amdhsa_user_sgpr_private_segment_size 0
		.amdhsa_wavefront_size32 1
		.amdhsa_uses_dynamic_stack 0
		.amdhsa_system_sgpr_private_segment_wavefront_offset 0
		.amdhsa_system_sgpr_workgroup_id_x 1
		.amdhsa_system_sgpr_workgroup_id_y 0
		.amdhsa_system_sgpr_workgroup_id_z 1
		.amdhsa_system_sgpr_workgroup_info 0
		.amdhsa_system_vgpr_workitem_id 1
		.amdhsa_next_free_vgpr 65
		.amdhsa_next_free_sgpr 29
		.amdhsa_reserve_vcc 1
		.amdhsa_reserve_flat_scratch 0
		.amdhsa_float_round_mode_32 0
		.amdhsa_float_round_mode_16_64 0
		.amdhsa_float_denorm_mode_32 3
		.amdhsa_float_denorm_mode_16_64 3
		.amdhsa_dx10_clamp 1
		.amdhsa_ieee_mode 1
		.amdhsa_fp16_overflow 0
		.amdhsa_workgroup_processor_mode 1
		.amdhsa_memory_ordered 1
		.amdhsa_forward_progress 1
		.amdhsa_shared_vgpr_count 0
		.amdhsa_exception_fp_ieee_invalid_op 0
		.amdhsa_exception_fp_denorm_src 0
		.amdhsa_exception_fp_ieee_div_zero 0
		.amdhsa_exception_fp_ieee_overflow 0
		.amdhsa_exception_fp_ieee_underflow 0
		.amdhsa_exception_fp_ieee_inexact 0
		.amdhsa_exception_int_div_zero 0
	.end_amdhsa_kernel
	.section	.text._ZL20rocblas_gemvn_kernelILi64ELi16Ei19rocblas_complex_numIfES1_S1_EviiT3_lPKT2_lT1_lS5_lS6_lS2_lPT4_lS6_li,"axG",@progbits,_ZL20rocblas_gemvn_kernelILi64ELi16Ei19rocblas_complex_numIfES1_S1_EviiT3_lPKT2_lT1_lS5_lS6_lS2_lPT4_lS6_li,comdat
.Lfunc_end114:
	.size	_ZL20rocblas_gemvn_kernelILi64ELi16Ei19rocblas_complex_numIfES1_S1_EviiT3_lPKT2_lT1_lS5_lS6_lS2_lPT4_lS6_li, .Lfunc_end114-_ZL20rocblas_gemvn_kernelILi64ELi16Ei19rocblas_complex_numIfES1_S1_EviiT3_lPKT2_lT1_lS5_lS6_lS2_lPT4_lS6_li
                                        ; -- End function
	.set _ZL20rocblas_gemvn_kernelILi64ELi16Ei19rocblas_complex_numIfES1_S1_EviiT3_lPKT2_lT1_lS5_lS6_lS2_lPT4_lS6_li.num_vgpr, 65
	.set _ZL20rocblas_gemvn_kernelILi64ELi16Ei19rocblas_complex_numIfES1_S1_EviiT3_lPKT2_lT1_lS5_lS6_lS2_lPT4_lS6_li.num_agpr, 0
	.set _ZL20rocblas_gemvn_kernelILi64ELi16Ei19rocblas_complex_numIfES1_S1_EviiT3_lPKT2_lT1_lS5_lS6_lS2_lPT4_lS6_li.numbered_sgpr, 29
	.set _ZL20rocblas_gemvn_kernelILi64ELi16Ei19rocblas_complex_numIfES1_S1_EviiT3_lPKT2_lT1_lS5_lS6_lS2_lPT4_lS6_li.num_named_barrier, 0
	.set _ZL20rocblas_gemvn_kernelILi64ELi16Ei19rocblas_complex_numIfES1_S1_EviiT3_lPKT2_lT1_lS5_lS6_lS2_lPT4_lS6_li.private_seg_size, 0
	.set _ZL20rocblas_gemvn_kernelILi64ELi16Ei19rocblas_complex_numIfES1_S1_EviiT3_lPKT2_lT1_lS5_lS6_lS2_lPT4_lS6_li.uses_vcc, 1
	.set _ZL20rocblas_gemvn_kernelILi64ELi16Ei19rocblas_complex_numIfES1_S1_EviiT3_lPKT2_lT1_lS5_lS6_lS2_lPT4_lS6_li.uses_flat_scratch, 0
	.set _ZL20rocblas_gemvn_kernelILi64ELi16Ei19rocblas_complex_numIfES1_S1_EviiT3_lPKT2_lT1_lS5_lS6_lS2_lPT4_lS6_li.has_dyn_sized_stack, 0
	.set _ZL20rocblas_gemvn_kernelILi64ELi16Ei19rocblas_complex_numIfES1_S1_EviiT3_lPKT2_lT1_lS5_lS6_lS2_lPT4_lS6_li.has_recursion, 0
	.set _ZL20rocblas_gemvn_kernelILi64ELi16Ei19rocblas_complex_numIfES1_S1_EviiT3_lPKT2_lT1_lS5_lS6_lS2_lPT4_lS6_li.has_indirect_call, 0
	.section	.AMDGPU.csdata,"",@progbits
; Kernel info:
; codeLenInByte = 3668
; TotalNumSgprs: 31
; NumVgprs: 65
; ScratchSize: 0
; MemoryBound: 0
; FloatMode: 240
; IeeeMode: 1
; LDSByteSize: 32768 bytes/workgroup (compile time only)
; SGPRBlocks: 0
; VGPRBlocks: 8
; NumSGPRsForWavesPerEU: 31
; NumVGPRsForWavesPerEU: 65
; Occupancy: 12
; WaveLimiterHint : 1
; COMPUTE_PGM_RSRC2:SCRATCH_EN: 0
; COMPUTE_PGM_RSRC2:USER_SGPR: 6
; COMPUTE_PGM_RSRC2:TRAP_HANDLER: 0
; COMPUTE_PGM_RSRC2:TGID_X_EN: 1
; COMPUTE_PGM_RSRC2:TGID_Y_EN: 0
; COMPUTE_PGM_RSRC2:TGID_Z_EN: 1
; COMPUTE_PGM_RSRC2:TIDIG_COMP_CNT: 1
	.section	.text._ZL20rocblas_gemvn_kernelILi64ELi16El19rocblas_complex_numIfES1_S1_EviiT3_lPKT2_lT1_lS5_lS6_lS2_lPT4_lS6_li,"axG",@progbits,_ZL20rocblas_gemvn_kernelILi64ELi16El19rocblas_complex_numIfES1_S1_EviiT3_lPKT2_lT1_lS5_lS6_lS2_lPT4_lS6_li,comdat
	.globl	_ZL20rocblas_gemvn_kernelILi64ELi16El19rocblas_complex_numIfES1_S1_EviiT3_lPKT2_lT1_lS5_lS6_lS2_lPT4_lS6_li ; -- Begin function _ZL20rocblas_gemvn_kernelILi64ELi16El19rocblas_complex_numIfES1_S1_EviiT3_lPKT2_lT1_lS5_lS6_lS2_lPT4_lS6_li
	.p2align	8
	.type	_ZL20rocblas_gemvn_kernelILi64ELi16El19rocblas_complex_numIfES1_S1_EviiT3_lPKT2_lT1_lS5_lS6_lS2_lPT4_lS6_li,@function
_ZL20rocblas_gemvn_kernelILi64ELi16El19rocblas_complex_numIfES1_S1_EviiT3_lPKT2_lT1_lS5_lS6_lS2_lPT4_lS6_li: ; @_ZL20rocblas_gemvn_kernelILi64ELi16El19rocblas_complex_numIfES1_S1_EviiT3_lPKT2_lT1_lS5_lS6_lS2_lPT4_lS6_li
; %bb.0:
	s_load_dwordx2 s[0:1], s[4:5], 0x9c
	s_waitcnt lgkmcnt(0)
	s_lshr_b32 s2, s0, 16
	s_and_b32 s0, s0, 0xffff
	s_and_b32 s1, s1, 0xffff
	s_mul_i32 s0, s2, s0
	s_mul_i32 s0, s0, s1
	s_cmpk_lg_i32 s0, 0x400
	s_cbranch_scc1 .LBB115_47
; %bb.1:
	s_clause 0x1
	s_load_dwordx4 s[28:31], s[4:5], 0x0
	s_load_dwordx2 s[34:35], s[4:5], 0x58
	s_waitcnt lgkmcnt(0)
	v_cmp_neq_f32_e64 s0, s30, 0
	v_cmp_neq_f32_e64 s1, s31, 0
	s_or_b32 s0, s0, s1
	s_and_b32 vcc_lo, exec_lo, s0
	s_mov_b32 s0, -1
	s_cbranch_vccnz .LBB115_3
; %bb.2:
	v_cmp_neq_f32_e64 s0, s34, 1.0
	v_cmp_neq_f32_e64 s1, s35, 0
	s_or_b32 s0, s0, s1
.LBB115_3:
	s_andn2_b32 vcc_lo, exec_lo, s0
	s_cbranch_vccnz .LBB115_47
; %bb.4:
	s_load_dwordx8 s[20:27], s[4:5], 0x68
	v_lshlrev_b32_e32 v57, 6, v1
	v_add_nc_u32_e32 v56, v57, v0
	v_cmp_gt_u32_e32 vcc_lo, 0x100, v56
	s_waitcnt lgkmcnt(0)
	s_mul_i32 s1, s27, s7
	s_mul_hi_u32 s2, s26, s7
	s_mul_i32 s0, s26, s7
	s_add_i32 s1, s2, s1
	s_lshl_b64 s[0:1], s[0:1], 3
	s_add_u32 s2, s20, s0
	s_addc_u32 s3, s21, s1
	s_lshl_b64 s[0:1], s[22:23], 3
	s_add_u32 s33, s2, s0
	s_addc_u32 s38, s3, s1
	s_or_b32 s0, s30, s31
	s_bitset0_b32 s0, 31
	s_cmp_lg_u32 s0, 0
	s_mov_b32 s0, -1
	s_cbranch_scc1 .LBB115_11
; %bb.5:
	s_and_saveexec_b32 s0, vcc_lo
	s_cbranch_execz .LBB115_10
; %bb.6:
	v_lshl_or_b32 v2, s6, 8, v56
	v_mov_b32_e32 v3, 0
	s_ashr_i32 s3, s28, 31
	s_mov_b32 s2, s28
	v_cmp_gt_i64_e32 vcc_lo, s[2:3], v[2:3]
	s_and_b32 exec_lo, exec_lo, vcc_lo
	s_cbranch_execz .LBB115_10
; %bb.7:
	v_mad_u64_u32 v[4:5], null, s24, v2, 0
	v_cmp_neq_f32_e64 s1, s34, 0
	v_cmp_neq_f32_e64 s2, s35, 0
	s_or_b32 s1, s1, s2
	v_mad_u64_u32 v[5:6], null, s25, v2, v[5:6]
	v_mov_b32_e32 v6, v3
	s_andn2_b32 vcc_lo, exec_lo, s1
	v_lshlrev_b64 v[4:5], 3, v[4:5]
	s_cbranch_vccnz .LBB115_9
; %bb.8:
	v_add_co_u32 v2, vcc_lo, s33, v4
	v_add_co_ci_u32_e64 v3, null, s38, v5, vcc_lo
	global_load_dwordx2 v[2:3], v[2:3], off
	s_waitcnt vmcnt(0)
	v_mul_f32_e32 v7, s35, v3
	v_mul_f32_e32 v6, s34, v3
	v_fma_f32 v3, s34, v2, -v7
	v_fmac_f32_e32 v6, s35, v2
.LBB115_9:
	v_add_co_u32 v7, vcc_lo, s33, v4
	v_add_co_ci_u32_e64 v8, null, s38, v5, vcc_lo
	v_mov_b32_e32 v5, v3
	global_store_dwordx2 v[7:8], v[5:6], off
.LBB115_10:
	s_or_b32 exec_lo, exec_lo, s0
	s_mov_b32 s0, 0
.LBB115_11:
	s_andn2_b32 vcc_lo, exec_lo, s0
	s_cbranch_vccnz .LBB115_47
; %bb.12:
	s_load_dwordx16 s[8:23], s[4:5], 0x18
	s_ashr_i32 s0, s29, 31
	s_lshl_b32 s5, s6, 8
	s_lshr_b32 s0, s0, 26
	v_lshlrev_b32_e32 v58, 2, v1
	v_mov_b32_e32 v3, 0
	v_mov_b32_e32 v2, 0
	;; [unrolled: 1-line block ×8, first 2 shown]
	v_add_nc_u32_e32 v4, s5, v0
	s_add_i32 s39, s29, s0
	s_mov_b32 s40, exec_lo
	s_andn2_b32 s39, s39, 63
	s_waitcnt lgkmcnt(0)
	s_mul_i32 s0, s15, s7
	s_mul_hi_u32 s1, s14, s7
	s_mul_i32 s2, s23, s7
	s_mul_hi_u32 s3, s22, s7
	s_mul_i32 s14, s14, s7
	s_add_i32 s15, s1, s0
	s_add_i32 s23, s3, s2
	s_mul_i32 s22, s22, s7
	v_cmpx_gt_i32_e64 s39, v58
	s_cbranch_execz .LBB115_24
; %bb.13:
	v_mad_u64_u32 v[2:3], null, s20, v1, 0
	v_lshlrev_b32_e32 v18, 2, v1
	s_lshl_b64 s[0:1], s[18:19], 3
	v_add_nc_u32_e32 v9, 64, v4
	v_add_nc_u32_e32 v12, 0xc0, v4
	s_lshl_b64 s[2:3], s[22:23], 3
	v_or_b32_e32 v11, 3, v18
	v_mad_u64_u32 v[6:7], null, s21, v1, v[3:4]
	s_add_u32 s0, s16, s0
	s_addc_u32 s4, s17, s1
	v_mad_u64_u32 v[7:8], null, s12, v11, 0
	s_add_u32 s6, s0, s2
	v_add_nc_u32_e32 v10, 0x80, v4
	v_mov_b32_e32 v3, v6
	v_cmp_gt_i32_e64 s0, s28, v9
	v_cmp_gt_i32_e64 s2, s28, v12
	s_addc_u32 s4, s4, s3
	v_mov_b32_e32 v6, v8
	v_lshlrev_b64 v[2:3], 5, v[2:3]
	v_ashrrev_i32_e32 v5, 31, v4
	v_cmp_gt_i32_e64 s1, s28, v10
	s_lshl_b64 s[26:27], s[10:11], 3
	v_mad_u64_u32 v[8:9], null, s13, v11, v[6:7]
	v_add_co_u32 v12, s3, s6, v2
	v_or_b32_e32 v11, 2, v18
	v_add_co_ci_u32_e64 v13, null, s4, v3, s3
	v_mad_u64_u32 v[2:3], null, s12, v1, 0
	v_mad_u64_u32 v[9:10], null, s12, v11, 0
	v_lshlrev_b64 v[14:15], 3, v[4:5]
	v_lshlrev_b64 v[5:6], 3, v[7:8]
	v_mad_u64_u32 v[7:8], null, s12, v18, s[12:13]
	v_mad_u64_u32 v[16:17], null, s13, v1, v[3:4]
	v_mov_b32_e32 v3, v10
	s_lshl_b64 s[6:7], s[20:21], 9
	s_lshl_b64 s[36:37], s[14:15], 3
	s_add_u32 s3, s8, s26
	s_addc_u32 s4, s9, s27
	v_mad_u64_u32 v[10:11], null, s13, v11, v[3:4]
	v_mov_b32_e32 v3, v16
	v_mad_u64_u32 v[16:17], null, s13, v18, v[8:9]
	s_add_u32 s26, s3, s36
	s_addc_u32 s4, s4, s37
	v_lshlrev_b64 v[2:3], 5, v[2:3]
	v_add_co_u32 v5, s3, s26, v5
	v_lshlrev_b64 v[9:10], 3, v[9:10]
	v_mov_b32_e32 v8, v16
	v_add_co_ci_u32_e64 v59, null, s4, v6, s3
	v_add_co_u32 v60, s3, s26, v2
	v_lshlrev_b64 v[6:7], 3, v[7:8]
	v_add_co_ci_u32_e64 v61, null, s4, v3, s3
	v_mov_b32_e32 v3, 0
	v_add_co_u32 v62, s3, s26, v9
	v_add_co_ci_u32_e64 v63, null, s4, v10, s3
	v_add_co_u32 v64, s3, s26, v6
	v_add_co_ci_u32_e64 v65, null, s4, v7, s3
	v_mov_b32_e32 v2, v3
	v_mov_b32_e32 v7, v3
	;; [unrolled: 1-line block ×7, first 2 shown]
	s_lshl_b64 s[26:27], s[12:13], 9
	s_lshl_b64 s[36:37], s[20:21], 3
	s_mov_b32 s41, 0
	v_cmp_gt_i32_e32 vcc_lo, s28, v4
	s_branch .LBB115_18
.LBB115_14:                             ;   in Loop: Header=BB115_18 Depth=1
	s_or_b32 exec_lo, exec_lo, s43
	s_waitcnt vmcnt(3)
	v_mul_f32_e32 v48, v29, v47
	v_mul_f32_e32 v47, v28, v47
	s_waitcnt vmcnt(2)
	v_mul_f32_e32 v49, v25, v45
	v_mul_f32_e32 v45, v24, v45
	s_waitcnt vmcnt(1)
	v_mul_f32_e32 v50, v19, v43
	v_fma_f32 v48, v28, v46, -v48
	v_fmac_f32_e32 v47, v29, v46
	v_mul_f32_e32 v43, v18, v43
	v_fma_f32 v49, v24, v44, -v49
	v_fmac_f32_e32 v45, v25, v44
	v_add_f32_e32 v6, v6, v48
	v_add_f32_e32 v7, v7, v47
	s_waitcnt vmcnt(0)
	v_mul_f32_e32 v46, v17, v41
	v_mul_f32_e32 v41, v16, v41
	v_fma_f32 v44, v18, v42, -v50
	v_add_f32_e32 v6, v49, v6
	v_fmac_f32_e32 v43, v19, v42
	v_add_f32_e32 v7, v45, v7
	v_fma_f32 v42, v16, v40, -v46
	v_fmac_f32_e32 v41, v17, v40
	v_add_f32_e32 v6, v44, v6
	v_add_f32_e32 v7, v43, v7
	;; [unrolled: 1-line block ×4, first 2 shown]
.LBB115_15:                             ;   in Loop: Header=BB115_18 Depth=1
	s_or_b32 exec_lo, exec_lo, s42
	s_waitcnt vmcnt(3)
	v_mul_f32_e32 v40, v29, v39
	v_mul_f32_e32 v39, v28, v39
	s_waitcnt vmcnt(2)
	v_mul_f32_e32 v41, v25, v37
	v_mul_f32_e32 v37, v24, v37
	s_waitcnt vmcnt(1)
	v_mul_f32_e32 v42, v19, v35
	v_fma_f32 v40, v28, v38, -v40
	v_fmac_f32_e32 v39, v29, v38
	v_mul_f32_e32 v35, v18, v35
	v_fma_f32 v41, v24, v36, -v41
	v_fmac_f32_e32 v37, v25, v36
	v_add_f32_e32 v8, v8, v40
	v_add_f32_e32 v9, v9, v39
	s_waitcnt vmcnt(0)
	v_mul_f32_e32 v38, v17, v33
	v_mul_f32_e32 v33, v16, v33
	v_fma_f32 v36, v18, v34, -v42
	v_add_f32_e32 v8, v41, v8
	v_fmac_f32_e32 v35, v19, v34
	v_add_f32_e32 v9, v37, v9
	v_fma_f32 v34, v16, v32, -v38
	v_fmac_f32_e32 v33, v17, v32
	v_add_f32_e32 v8, v36, v8
	v_add_f32_e32 v9, v35, v9
	;; [unrolled: 1-line block ×4, first 2 shown]
.LBB115_16:                             ;   in Loop: Header=BB115_18 Depth=1
	s_or_b32 exec_lo, exec_lo, s3
	s_waitcnt vmcnt(3)
	v_mul_f32_e32 v32, v29, v31
	v_mul_f32_e32 v31, v28, v31
	s_waitcnt vmcnt(2)
	v_mul_f32_e32 v33, v25, v27
	v_mul_f32_e32 v27, v24, v27
	s_waitcnt vmcnt(1)
	v_mul_f32_e32 v34, v19, v23
	v_fma_f32 v28, v28, v30, -v32
	v_fmac_f32_e32 v31, v29, v30
	v_mul_f32_e32 v23, v18, v23
	v_fma_f32 v24, v24, v26, -v33
	v_fmac_f32_e32 v27, v25, v26
	v_add_f32_e32 v10, v10, v28
	v_add_f32_e32 v11, v11, v31
	s_waitcnt vmcnt(0)
	v_mul_f32_e32 v29, v17, v21
	v_mul_f32_e32 v21, v16, v21
	v_fma_f32 v18, v18, v22, -v34
	v_add_f32_e32 v10, v24, v10
	v_fmac_f32_e32 v23, v19, v22
	v_add_f32_e32 v11, v27, v11
	v_fma_f32 v16, v16, v20, -v29
	v_fmac_f32_e32 v21, v17, v20
	v_add_f32_e32 v10, v18, v10
	v_add_f32_e32 v11, v23, v11
	;; [unrolled: 1-line block ×4, first 2 shown]
.LBB115_17:                             ;   in Loop: Header=BB115_18 Depth=1
	s_or_b32 exec_lo, exec_lo, s4
	v_add_co_u32 v12, s3, v12, s6
	v_add_co_ci_u32_e64 v13, null, s7, v13, s3
	v_add_co_u32 v5, s3, v5, s26
	v_add_nc_u32_e32 v58, 64, v58
	v_add_co_ci_u32_e64 v59, null, s27, v59, s3
	v_add_co_u32 v60, s3, v60, s26
	v_add_co_ci_u32_e64 v61, null, s27, v61, s3
	v_add_co_u32 v62, s3, v62, s26
	v_add_co_ci_u32_e64 v63, null, s27, v63, s3
	v_cmp_le_i32_e64 s3, s39, v58
	v_add_co_u32 v64, s4, v64, s26
	v_add_co_ci_u32_e64 v65, null, s27, v65, s4
	s_or_b32 s41, s3, s41
	s_andn2_b32 exec_lo, exec_lo, s41
	s_cbranch_execz .LBB115_23
.LBB115_18:                             ; =>This Inner Loop Header: Depth=1
	s_and_saveexec_b32 s4, vcc_lo
	s_cbranch_execz .LBB115_17
; %bb.19:                               ;   in Loop: Header=BB115_18 Depth=1
	v_add_co_u32 v16, s3, v12, s36
	v_add_co_ci_u32_e64 v17, null, s37, v13, s3
	v_add_co_u32 v18, s3, v16, s36
	v_add_co_ci_u32_e64 v19, null, s37, v17, s3
	;; [unrolled: 2-line block ×7, first 2 shown]
	s_clause 0x3
	global_load_dwordx2 v[28:29], v[12:13], off
	global_load_dwordx2 v[24:25], v[16:17], off
	global_load_dwordx2 v[18:19], v[18:19], off
	global_load_dwordx2 v[16:17], v[20:21], off
	global_load_dwordx2 v[30:31], v[54:55], off
	global_load_dwordx2 v[26:27], v[52:53], off
	global_load_dwordx2 v[22:23], v[50:51], off
	global_load_dwordx2 v[20:21], v[48:49], off
	s_and_saveexec_b32 s3, s0
	s_cbranch_execz .LBB115_16
; %bb.20:                               ;   in Loop: Header=BB115_18 Depth=1
	global_load_dwordx2 v[38:39], v[54:55], off offset:512
	global_load_dwordx2 v[36:37], v[52:53], off offset:512
	global_load_dwordx2 v[34:35], v[50:51], off offset:512
	global_load_dwordx2 v[32:33], v[48:49], off offset:512
	s_and_saveexec_b32 s42, s1
	s_cbranch_execz .LBB115_15
; %bb.21:                               ;   in Loop: Header=BB115_18 Depth=1
	global_load_dwordx2 v[46:47], v[54:55], off offset:1024
	global_load_dwordx2 v[44:45], v[52:53], off offset:1024
	global_load_dwordx2 v[42:43], v[50:51], off offset:1024
	global_load_dwordx2 v[40:41], v[48:49], off offset:1024
	;; [unrolled: 7-line block ×3, first 2 shown]
	s_waitcnt vmcnt(3)
	v_mul_f32_e32 v66, v29, v55
	v_mul_f32_e32 v55, v28, v55
	s_waitcnt vmcnt(2)
	v_mul_f32_e32 v67, v25, v53
	v_mul_f32_e32 v53, v24, v53
	s_waitcnt vmcnt(1)
	v_mul_f32_e32 v68, v19, v51
	v_fma_f32 v66, v28, v54, -v66
	v_fmac_f32_e32 v55, v29, v54
	v_mul_f32_e32 v51, v18, v51
	v_fma_f32 v67, v24, v52, -v67
	v_fmac_f32_e32 v53, v25, v52
	v_add_f32_e32 v2, v2, v66
	v_add_f32_e32 v3, v3, v55
	s_waitcnt vmcnt(0)
	v_mul_f32_e32 v54, v17, v49
	v_mul_f32_e32 v49, v16, v49
	v_fma_f32 v52, v18, v50, -v68
	v_fmac_f32_e32 v51, v19, v50
	v_add_f32_e32 v2, v67, v2
	v_add_f32_e32 v3, v53, v3
	v_fma_f32 v50, v16, v48, -v54
	v_fmac_f32_e32 v49, v17, v48
	v_add_f32_e32 v2, v52, v2
	v_add_f32_e32 v3, v51, v3
	v_add_f32_e32 v2, v50, v2
	v_add_f32_e32 v3, v49, v3
	s_branch .LBB115_14
.LBB115_23:
	s_or_b32 exec_lo, exec_lo, s41
.LBB115_24:
	s_or_b32 exec_lo, exec_lo, s40
	s_sub_i32 s0, s29, s39
	s_cmp_lt_i32 s0, 1
	s_cbranch_scc1 .LBB115_42
; %bb.25:
	v_cmp_gt_i32_e32 vcc_lo, s29, v58
	v_mov_b32_e32 v12, 0
	v_or_b32_e32 v20, 1, v58
	v_mov_b32_e32 v13, 0
	v_mov_b32_e32 v14, 0
	;; [unrolled: 1-line block ×7, first 2 shown]
	s_and_saveexec_b32 s1, vcc_lo
	s_cbranch_execz .LBB115_33
; %bb.26:
	v_mad_u64_u32 v[12:13], null, s20, v58, 0
	s_lshl_b64 s[2:3], s[22:23], 3
	v_mov_b32_e32 v19, 0
	s_add_u32 s0, s16, s2
	s_addc_u32 s2, s17, s3
	s_lshl_b64 s[6:7], s[18:19], 3
	v_mov_b32_e32 v18, 0
	v_mov_b32_e32 v5, v13
	s_add_u32 s3, s0, s6
	s_addc_u32 s4, s2, s7
	v_mov_b32_e32 v17, 0
	v_mov_b32_e32 v16, 0
	v_mad_u64_u32 v[13:14], null, s21, v58, v[5:6]
	v_mov_b32_e32 v15, 0
	v_mov_b32_e32 v14, 0
	s_mov_b32 s2, exec_lo
	v_lshlrev_b64 v[12:13], 3, v[12:13]
	v_add_co_u32 v12, s0, s3, v12
	v_add_co_ci_u32_e64 v13, null, s4, v13, s0
	global_load_dwordx2 v[12:13], v[12:13], off
	v_cmpx_gt_i32_e64 s29, v20
	s_cbranch_execz .LBB115_32
; %bb.27:
	v_mad_u64_u32 v[14:15], null, s20, v20, 0
	v_mov_b32_e32 v19, 0
	v_mov_b32_e32 v18, 0
	;; [unrolled: 1-line block ×3, first 2 shown]
	s_mov_b32 s6, exec_lo
	v_mov_b32_e32 v5, v15
	v_mad_u64_u32 v[15:16], null, s21, v20, v[5:6]
	v_or_b32_e32 v5, 2, v58
	v_mov_b32_e32 v16, 0
	v_lshlrev_b64 v[14:15], 3, v[14:15]
	v_add_co_u32 v14, s0, s3, v14
	v_add_co_ci_u32_e64 v15, null, s4, v15, s0
	global_load_dwordx2 v[14:15], v[14:15], off
	v_cmpx_gt_i32_e64 s29, v5
	s_cbranch_execz .LBB115_31
; %bb.28:
	v_mad_u64_u32 v[16:17], null, s20, v5, 0
	v_mov_b32_e32 v19, 0
	s_mov_b32 s7, exec_lo
	v_mad_u64_u32 v[17:18], null, s21, v5, v[17:18]
	v_or_b32_e32 v5, 3, v58
	v_mov_b32_e32 v18, 0
	v_lshlrev_b64 v[16:17], 3, v[16:17]
	v_add_co_u32 v16, s0, s3, v16
	v_add_co_ci_u32_e64 v17, null, s4, v17, s0
	global_load_dwordx2 v[16:17], v[16:17], off
	v_cmpx_gt_i32_e64 s29, v5
	s_cbranch_execz .LBB115_30
; %bb.29:
	v_mad_u64_u32 v[18:19], null, s20, v5, 0
	v_mad_u64_u32 v[21:22], null, s21, v5, v[19:20]
	v_mov_b32_e32 v19, v21
	v_lshlrev_b64 v[18:19], 3, v[18:19]
	v_add_co_u32 v18, s0, s3, v18
	v_add_co_ci_u32_e64 v19, null, s4, v19, s0
	global_load_dwordx2 v[18:19], v[18:19], off
.LBB115_30:
	s_or_b32 exec_lo, exec_lo, s7
.LBB115_31:
	s_or_b32 exec_lo, exec_lo, s6
.LBB115_32:
	s_or_b32 exec_lo, exec_lo, s2
.LBB115_33:
	s_or_b32 exec_lo, exec_lo, s1
	s_mov_b32 s1, exec_lo
	v_cmpx_gt_i32_e64 s28, v4
	s_cbranch_execz .LBB115_41
; %bb.34:
	v_mad_u64_u32 v[21:22], null, s12, v58, 0
	v_mad_u64_u32 v[23:24], null, s12, v20, 0
	v_ashrrev_i32_e32 v5, 31, v4
	v_or_b32_e32 v33, 2, v58
	v_or_b32_e32 v34, 3, v58
	s_lshl_b64 s[2:3], s[14:15], 3
	v_cndmask_b32_e32 v21, 0, v21, vcc_lo
	v_lshlrev_b64 v[28:29], 3, v[4:5]
	v_mad_u64_u32 v[25:26], null, s13, v58, v[22:23]
	v_mov_b32_e32 v5, v24
	v_mad_u64_u32 v[26:27], null, s12, v33, 0
	s_add_u32 s0, s8, s2
	s_addc_u32 s4, s9, s3
	v_mad_u64_u32 v[30:31], null, s13, v20, v[5:6]
	v_cndmask_b32_e32 v22, 0, v25, vcc_lo
	v_cmp_gt_i32_e32 vcc_lo, s29, v20
	s_lshl_b64 s[2:3], s[10:11], 3
	v_mad_u64_u32 v[24:25], null, s12, v34, 0
	v_lshlrev_b64 v[21:22], 3, v[21:22]
	s_add_u32 s2, s0, s2
	v_cndmask_b32_e32 v31, 0, v23, vcc_lo
	v_mov_b32_e32 v5, v27
	v_cndmask_b32_e32 v32, 0, v30, vcc_lo
	s_addc_u32 s3, s4, s3
	v_add_co_u32 v20, s0, s2, v21
	v_add_co_ci_u32_e64 v21, null, s3, v22, s0
	v_lshlrev_b64 v[22:23], 3, v[31:32]
	v_mad_u64_u32 v[30:31], null, s13, v33, v[5:6]
	v_mov_b32_e32 v5, v25
	v_add_co_u32 v20, vcc_lo, v20, v28
	v_add_co_ci_u32_e64 v21, null, v21, v29, vcc_lo
	v_cmp_gt_i32_e32 vcc_lo, s29, v33
	v_mad_u64_u32 v[31:32], null, s13, v34, v[5:6]
	v_add_co_u32 v22, s0, s2, v22
	v_cndmask_b32_e32 v25, 0, v26, vcc_lo
	v_cndmask_b32_e32 v26, 0, v30, vcc_lo
	v_cmp_gt_i32_e32 vcc_lo, s29, v34
	v_add_co_ci_u32_e64 v23, null, s3, v23, s0
	v_add_co_u32 v22, s0, v22, v28
	v_cndmask_b32_e32 v30, 0, v24, vcc_lo
	v_cndmask_b32_e32 v31, 0, v31, vcc_lo
	v_lshlrev_b64 v[24:25], 3, v[25:26]
	v_add_co_ci_u32_e64 v23, null, v23, v29, s0
	s_clause 0x1
	global_load_dwordx2 v[32:33], v[20:21], off
	global_load_dwordx2 v[34:35], v[22:23], off
	v_lshlrev_b64 v[26:27], 3, v[30:31]
	v_add_co_u32 v5, vcc_lo, s2, v24
	v_add_co_ci_u32_e64 v24, null, s3, v25, vcc_lo
	s_mov_b32 s0, exec_lo
	v_add_co_u32 v25, vcc_lo, s2, v26
	v_add_co_ci_u32_e64 v30, null, s3, v27, vcc_lo
	v_add_co_u32 v26, vcc_lo, v5, v28
	v_add_co_ci_u32_e64 v27, null, v24, v29, vcc_lo
	;; [unrolled: 2-line block ×3, first 2 shown]
	s_clause 0x1
	global_load_dwordx2 v[28:29], v[26:27], off
	global_load_dwordx2 v[30:31], v[24:25], off
	s_waitcnt vmcnt(3)
	v_mul_f32_e32 v5, v13, v33
	v_mul_f32_e32 v33, v12, v33
	s_waitcnt vmcnt(2)
	v_mul_f32_e32 v36, v15, v35
	v_mul_f32_e32 v35, v14, v35
	v_fma_f32 v5, v12, v32, -v5
	v_fmac_f32_e32 v33, v13, v32
	v_fma_f32 v32, v14, v34, -v36
	v_fmac_f32_e32 v35, v15, v34
	v_add_f32_e32 v10, v10, v5
	v_add_f32_e32 v11, v11, v33
	v_add_nc_u32_e32 v33, 64, v4
	s_waitcnt vmcnt(1)
	v_mul_f32_e32 v34, v17, v29
	v_mul_f32_e32 v29, v16, v29
	s_waitcnt vmcnt(0)
	v_mul_f32_e32 v36, v19, v31
	v_mul_f32_e32 v5, v18, v31
	v_fma_f32 v31, v16, v28, -v34
	v_fmac_f32_e32 v29, v17, v28
	v_add_f32_e32 v28, v32, v10
	v_add_f32_e32 v32, v35, v11
	v_fma_f32 v10, v18, v30, -v36
	v_fmac_f32_e32 v5, v19, v30
	v_add_f32_e32 v11, v31, v28
	v_add_f32_e32 v28, v29, v32
	v_cmpx_gt_i32_e64 s28, v33
	s_cbranch_execz .LBB115_40
; %bb.35:
	s_clause 0x3
	global_load_dwordx2 v[29:30], v[20:21], off offset:512
	global_load_dwordx2 v[31:32], v[22:23], off offset:512
	;; [unrolled: 1-line block ×4, first 2 shown]
	s_mov_b32 s2, exec_lo
	s_waitcnt vmcnt(3)
	v_mul_f32_e32 v37, v13, v30
	v_mul_f32_e32 v30, v12, v30
	s_waitcnt vmcnt(2)
	v_mul_f32_e32 v38, v15, v32
	v_mul_f32_e32 v32, v14, v32
	s_waitcnt vmcnt(1)
	v_mul_f32_e32 v39, v17, v34
	v_fma_f32 v37, v12, v29, -v37
	v_fmac_f32_e32 v30, v13, v29
	v_mul_f32_e32 v34, v16, v34
	v_fma_f32 v38, v14, v31, -v38
	v_fmac_f32_e32 v32, v15, v31
	v_add_f32_e32 v8, v8, v37
	v_add_f32_e32 v30, v9, v30
	s_waitcnt vmcnt(0)
	v_mul_f32_e32 v29, v19, v36
	v_mul_f32_e32 v9, v18, v36
	v_fma_f32 v31, v16, v33, -v39
	v_fmac_f32_e32 v34, v17, v33
	v_add_f32_e32 v33, v38, v8
	v_add_f32_e32 v30, v32, v30
	v_add_nc_u32_e32 v32, 0x80, v4
	v_fma_f32 v8, v18, v35, -v29
	v_fmac_f32_e32 v9, v19, v35
	v_add_f32_e32 v29, v31, v33
	v_add_f32_e32 v30, v34, v30
	v_cmpx_gt_i32_e64 s28, v32
	s_cbranch_execz .LBB115_39
; %bb.36:
	s_clause 0x3
	global_load_dwordx2 v[31:32], v[20:21], off offset:1024
	global_load_dwordx2 v[33:34], v[22:23], off offset:1024
	;; [unrolled: 1-line block ×4, first 2 shown]
	s_mov_b32 s3, exec_lo
	s_waitcnt vmcnt(3)
	v_mul_f32_e32 v39, v13, v32
	v_mul_f32_e32 v32, v12, v32
	s_waitcnt vmcnt(2)
	v_mul_f32_e32 v40, v15, v34
	v_mul_f32_e32 v34, v14, v34
	s_waitcnt vmcnt(1)
	v_mul_f32_e32 v41, v17, v36
	v_fma_f32 v39, v12, v31, -v39
	v_fmac_f32_e32 v32, v13, v31
	v_mul_f32_e32 v36, v16, v36
	v_fma_f32 v40, v14, v33, -v40
	v_fmac_f32_e32 v34, v15, v33
	v_add_f32_e32 v6, v6, v39
	v_add_f32_e32 v32, v7, v32
	s_waitcnt vmcnt(0)
	v_mul_f32_e32 v31, v19, v38
	v_mul_f32_e32 v7, v18, v38
	v_fma_f32 v33, v16, v35, -v41
	v_fmac_f32_e32 v36, v17, v35
	v_add_f32_e32 v6, v40, v6
	v_add_f32_e32 v32, v34, v32
	v_add_nc_u32_e32 v34, 0xc0, v4
	v_fma_f32 v4, v18, v37, -v31
	v_fmac_f32_e32 v7, v19, v37
	v_add_f32_e32 v6, v33, v6
	v_add_f32_e32 v31, v36, v32
	v_cmpx_gt_i32_e64 s28, v34
	s_cbranch_execz .LBB115_38
; %bb.37:
	s_clause 0x3
	global_load_dwordx2 v[20:21], v[20:21], off offset:1536
	global_load_dwordx2 v[22:23], v[22:23], off offset:1536
	;; [unrolled: 1-line block ×4, first 2 shown]
	s_waitcnt vmcnt(3)
	v_mul_f32_e32 v32, v13, v21
	v_mul_f32_e32 v21, v12, v21
	s_waitcnt vmcnt(2)
	v_mul_f32_e32 v33, v15, v23
	v_mul_f32_e32 v23, v14, v23
	s_waitcnt vmcnt(1)
	v_mul_f32_e32 v34, v17, v27
	v_fma_f32 v12, v12, v20, -v32
	v_fmac_f32_e32 v21, v13, v20
	v_mul_f32_e32 v27, v16, v27
	v_fma_f32 v14, v14, v22, -v33
	v_fmac_f32_e32 v23, v15, v22
	v_add_f32_e32 v2, v2, v12
	v_add_f32_e32 v3, v3, v21
	s_waitcnt vmcnt(0)
	v_mul_f32_e32 v13, v19, v25
	v_mul_f32_e32 v12, v18, v25
	v_fma_f32 v15, v16, v26, -v34
	v_fmac_f32_e32 v27, v17, v26
	v_add_f32_e32 v2, v14, v2
	v_add_f32_e32 v3, v23, v3
	v_fma_f32 v13, v18, v24, -v13
	v_fmac_f32_e32 v12, v19, v24
	v_add_f32_e32 v2, v15, v2
	v_add_f32_e32 v3, v27, v3
	;; [unrolled: 1-line block ×4, first 2 shown]
.LBB115_38:
	s_or_b32 exec_lo, exec_lo, s3
	v_add_f32_e32 v6, v4, v6
	v_add_f32_e32 v7, v7, v31
.LBB115_39:
	s_or_b32 exec_lo, exec_lo, s2
	v_add_f32_e32 v8, v8, v29
	v_add_f32_e32 v9, v9, v30
.LBB115_40:
	s_or_b32 exec_lo, exec_lo, s0
	v_add_f32_e32 v10, v10, v11
	v_add_f32_e32 v11, v5, v28
.LBB115_41:
	s_or_b32 exec_lo, exec_lo, s1
.LBB115_42:
	v_lshlrev_b32_e32 v0, 3, v0
	s_mov_b32 s0, exec_lo
	v_lshl_add_u32 v1, v1, 11, v0
	ds_write2st64_b64 v1, v[10:11], v[8:9] offset1:1
	ds_write2st64_b64 v1, v[6:7], v[2:3] offset0:2 offset1:3
	s_waitcnt vmcnt(0) lgkmcnt(0)
	s_waitcnt_vscnt null, 0x0
	s_barrier
	buffer_gl0_inv
	v_cmpx_gt_u32_e32 0x100, v56
	s_cbranch_execz .LBB115_47
; %bb.43:
	v_lshl_add_u32 v12, v57, 3, v0
	ds_read2st64_b64 v[0:3], v12 offset1:4
	ds_read2st64_b64 v[4:7], v12 offset0:8 offset1:12
	ds_read2st64_b64 v[8:11], v12 offset0:16 offset1:20
	s_waitcnt lgkmcnt(2)
	v_add_f32_e32 v13, v0, v2
	v_add_f32_e32 v14, v1, v3
	ds_read2st64_b64 v[0:3], v12 offset0:24 offset1:28
	s_waitcnt lgkmcnt(2)
	v_add_f32_e32 v4, v13, v4
	v_add_f32_e32 v5, v14, v5
	v_add_f32_e32 v13, v4, v6
	v_add_f32_e32 v14, v5, v7
	ds_read2st64_b64 v[4:7], v12 offset0:32 offset1:36
	s_waitcnt lgkmcnt(2)
	v_add_f32_e32 v8, v13, v8
	v_add_f32_e32 v9, v14, v9
	;; [unrolled: 6-line block ×5, first 2 shown]
	v_add_f32_e32 v8, v8, v10
	v_add_f32_e32 v9, v9, v11
	s_waitcnt lgkmcnt(1)
	v_add_f32_e32 v0, v8, v0
	v_add_f32_e32 v1, v9, v1
	;; [unrolled: 1-line block ×4, first 2 shown]
	s_waitcnt lgkmcnt(0)
	v_add_f32_e32 v2, v0, v4
	v_add_f32_e32 v1, v1, v5
	v_or_b32_e32 v0, s5, v56
	v_add_f32_e32 v2, v2, v6
	v_add_f32_e32 v3, v1, v7
	v_cmp_gt_i32_e32 vcc_lo, s28, v0
	ds_write_b64 v12, v[2:3]
	s_and_b32 exec_lo, exec_lo, vcc_lo
	s_cbranch_execz .LBB115_47
; %bb.44:
	v_ashrrev_i32_e32 v1, 31, v0
	v_mul_lo_u32 v6, s25, v0
	v_mad_u64_u32 v[4:5], null, s24, v0, 0
	v_mul_f32_e32 v0, s31, v3
	v_mul_lo_u32 v1, s24, v1
	v_cmp_neq_f32_e64 s0, s34, 0
	v_cmp_neq_f32_e64 s1, s35, 0
	v_fma_f32 v0, v2, s30, -v0
	s_or_b32 s0, s0, s1
	v_add3_u32 v5, v5, v1, v6
	v_mul_f32_e32 v1, s30, v3
	s_andn2_b32 vcc_lo, exec_lo, s0
	v_lshlrev_b64 v[3:4], 3, v[4:5]
	v_fmac_f32_e32 v1, s31, v2
	s_cbranch_vccnz .LBB115_46
; %bb.45:
	v_add_co_u32 v5, vcc_lo, s33, v3
	v_add_co_ci_u32_e64 v6, null, s38, v4, vcc_lo
	global_load_dwordx2 v[5:6], v[5:6], off
	s_waitcnt vmcnt(0)
	v_mul_f32_e32 v2, s35, v6
	v_mul_f32_e32 v6, s34, v6
	v_fma_f32 v2, s34, v5, -v2
	v_fmac_f32_e32 v6, s35, v5
	v_add_f32_e32 v0, v0, v2
	v_add_f32_e32 v1, v1, v6
.LBB115_46:
	v_add_co_u32 v2, vcc_lo, s33, v3
	v_add_co_ci_u32_e64 v3, null, s38, v4, vcc_lo
	global_store_dwordx2 v[2:3], v[0:1], off
.LBB115_47:
	s_endpgm
	.section	.rodata,"a",@progbits
	.p2align	6, 0x0
	.amdhsa_kernel _ZL20rocblas_gemvn_kernelILi64ELi16El19rocblas_complex_numIfES1_S1_EviiT3_lPKT2_lT1_lS5_lS6_lS2_lPT4_lS6_li
		.amdhsa_group_segment_fixed_size 32768
		.amdhsa_private_segment_fixed_size 0
		.amdhsa_kernarg_size 400
		.amdhsa_user_sgpr_count 6
		.amdhsa_user_sgpr_private_segment_buffer 1
		.amdhsa_user_sgpr_dispatch_ptr 0
		.amdhsa_user_sgpr_queue_ptr 0
		.amdhsa_user_sgpr_kernarg_segment_ptr 1
		.amdhsa_user_sgpr_dispatch_id 0
		.amdhsa_user_sgpr_flat_scratch_init 0
		.amdhsa_user_sgpr_private_segment_size 0
		.amdhsa_wavefront_size32 1
		.amdhsa_uses_dynamic_stack 0
		.amdhsa_system_sgpr_private_segment_wavefront_offset 0
		.amdhsa_system_sgpr_workgroup_id_x 1
		.amdhsa_system_sgpr_workgroup_id_y 0
		.amdhsa_system_sgpr_workgroup_id_z 1
		.amdhsa_system_sgpr_workgroup_info 0
		.amdhsa_system_vgpr_workitem_id 1
		.amdhsa_next_free_vgpr 69
		.amdhsa_next_free_sgpr 44
		.amdhsa_reserve_vcc 1
		.amdhsa_reserve_flat_scratch 0
		.amdhsa_float_round_mode_32 0
		.amdhsa_float_round_mode_16_64 0
		.amdhsa_float_denorm_mode_32 3
		.amdhsa_float_denorm_mode_16_64 3
		.amdhsa_dx10_clamp 1
		.amdhsa_ieee_mode 1
		.amdhsa_fp16_overflow 0
		.amdhsa_workgroup_processor_mode 1
		.amdhsa_memory_ordered 1
		.amdhsa_forward_progress 1
		.amdhsa_shared_vgpr_count 0
		.amdhsa_exception_fp_ieee_invalid_op 0
		.amdhsa_exception_fp_denorm_src 0
		.amdhsa_exception_fp_ieee_div_zero 0
		.amdhsa_exception_fp_ieee_overflow 0
		.amdhsa_exception_fp_ieee_underflow 0
		.amdhsa_exception_fp_ieee_inexact 0
		.amdhsa_exception_int_div_zero 0
	.end_amdhsa_kernel
	.section	.text._ZL20rocblas_gemvn_kernelILi64ELi16El19rocblas_complex_numIfES1_S1_EviiT3_lPKT2_lT1_lS5_lS6_lS2_lPT4_lS6_li,"axG",@progbits,_ZL20rocblas_gemvn_kernelILi64ELi16El19rocblas_complex_numIfES1_S1_EviiT3_lPKT2_lT1_lS5_lS6_lS2_lPT4_lS6_li,comdat
.Lfunc_end115:
	.size	_ZL20rocblas_gemvn_kernelILi64ELi16El19rocblas_complex_numIfES1_S1_EviiT3_lPKT2_lT1_lS5_lS6_lS2_lPT4_lS6_li, .Lfunc_end115-_ZL20rocblas_gemvn_kernelILi64ELi16El19rocblas_complex_numIfES1_S1_EviiT3_lPKT2_lT1_lS5_lS6_lS2_lPT4_lS6_li
                                        ; -- End function
	.set _ZL20rocblas_gemvn_kernelILi64ELi16El19rocblas_complex_numIfES1_S1_EviiT3_lPKT2_lT1_lS5_lS6_lS2_lPT4_lS6_li.num_vgpr, 69
	.set _ZL20rocblas_gemvn_kernelILi64ELi16El19rocblas_complex_numIfES1_S1_EviiT3_lPKT2_lT1_lS5_lS6_lS2_lPT4_lS6_li.num_agpr, 0
	.set _ZL20rocblas_gemvn_kernelILi64ELi16El19rocblas_complex_numIfES1_S1_EviiT3_lPKT2_lT1_lS5_lS6_lS2_lPT4_lS6_li.numbered_sgpr, 44
	.set _ZL20rocblas_gemvn_kernelILi64ELi16El19rocblas_complex_numIfES1_S1_EviiT3_lPKT2_lT1_lS5_lS6_lS2_lPT4_lS6_li.num_named_barrier, 0
	.set _ZL20rocblas_gemvn_kernelILi64ELi16El19rocblas_complex_numIfES1_S1_EviiT3_lPKT2_lT1_lS5_lS6_lS2_lPT4_lS6_li.private_seg_size, 0
	.set _ZL20rocblas_gemvn_kernelILi64ELi16El19rocblas_complex_numIfES1_S1_EviiT3_lPKT2_lT1_lS5_lS6_lS2_lPT4_lS6_li.uses_vcc, 1
	.set _ZL20rocblas_gemvn_kernelILi64ELi16El19rocblas_complex_numIfES1_S1_EviiT3_lPKT2_lT1_lS5_lS6_lS2_lPT4_lS6_li.uses_flat_scratch, 0
	.set _ZL20rocblas_gemvn_kernelILi64ELi16El19rocblas_complex_numIfES1_S1_EviiT3_lPKT2_lT1_lS5_lS6_lS2_lPT4_lS6_li.has_dyn_sized_stack, 0
	.set _ZL20rocblas_gemvn_kernelILi64ELi16El19rocblas_complex_numIfES1_S1_EviiT3_lPKT2_lT1_lS5_lS6_lS2_lPT4_lS6_li.has_recursion, 0
	.set _ZL20rocblas_gemvn_kernelILi64ELi16El19rocblas_complex_numIfES1_S1_EviiT3_lPKT2_lT1_lS5_lS6_lS2_lPT4_lS6_li.has_indirect_call, 0
	.section	.AMDGPU.csdata,"",@progbits
; Kernel info:
; codeLenInByte = 3852
; TotalNumSgprs: 46
; NumVgprs: 69
; ScratchSize: 0
; MemoryBound: 0
; FloatMode: 240
; IeeeMode: 1
; LDSByteSize: 32768 bytes/workgroup (compile time only)
; SGPRBlocks: 0
; VGPRBlocks: 8
; NumSGPRsForWavesPerEU: 46
; NumVGPRsForWavesPerEU: 69
; Occupancy: 12
; WaveLimiterHint : 1
; COMPUTE_PGM_RSRC2:SCRATCH_EN: 0
; COMPUTE_PGM_RSRC2:USER_SGPR: 6
; COMPUTE_PGM_RSRC2:TRAP_HANDLER: 0
; COMPUTE_PGM_RSRC2:TGID_X_EN: 1
; COMPUTE_PGM_RSRC2:TGID_Y_EN: 0
; COMPUTE_PGM_RSRC2:TGID_Z_EN: 1
; COMPUTE_PGM_RSRC2:TIDIG_COMP_CNT: 1
	.section	.text._ZL22rocblas_gemvtsm_kernelILb0ELi256E19rocblas_complex_numIfEPKS1_S1_EviiT2_lPKT1_lilS7_lilS4_lPT3_lil,"axG",@progbits,_ZL22rocblas_gemvtsm_kernelILb0ELi256E19rocblas_complex_numIfEPKS1_S1_EviiT2_lPKT1_lilS7_lilS4_lPT3_lil,comdat
	.globl	_ZL22rocblas_gemvtsm_kernelILb0ELi256E19rocblas_complex_numIfEPKS1_S1_EviiT2_lPKT1_lilS7_lilS4_lPT3_lil ; -- Begin function _ZL22rocblas_gemvtsm_kernelILb0ELi256E19rocblas_complex_numIfEPKS1_S1_EviiT2_lPKT1_lilS7_lilS4_lPT3_lil
	.p2align	8
	.type	_ZL22rocblas_gemvtsm_kernelILb0ELi256E19rocblas_complex_numIfEPKS1_S1_EviiT2_lPKT1_lilS7_lilS4_lPT3_lil,@function
_ZL22rocblas_gemvtsm_kernelILb0ELi256E19rocblas_complex_numIfEPKS1_S1_EviiT2_lPKT1_lilS7_lilS4_lPT3_lil: ; @_ZL22rocblas_gemvtsm_kernelILb0ELi256E19rocblas_complex_numIfEPKS1_S1_EviiT2_lPKT1_lilS7_lilS4_lPT3_lil
; %bb.0:
	s_clause 0x1
	s_load_dwordx8 s[8:15], s[4:5], 0x8
	s_load_dwordx8 s[16:23], s[4:5], 0x50
	s_waitcnt lgkmcnt(0)
	s_mul_i32 s1, s11, s6
	s_mul_hi_u32 s2, s10, s6
	s_mul_i32 s0, s10, s6
	s_add_i32 s1, s2, s1
	s_mul_hi_u32 s2, s20, s6
	s_lshl_b64 s[0:1], s[0:1], 3
	s_add_u32 s0, s8, s0
	s_addc_u32 s1, s9, s1
	s_load_dwordx2 s[24:25], s[0:1], 0x0
	s_mul_i32 s1, s21, s6
	s_mul_i32 s0, s20, s6
	s_add_i32 s1, s2, s1
	s_lshl_b64 s[0:1], s[0:1], 3
	s_add_u32 s0, s18, s0
	s_addc_u32 s1, s19, s1
	s_load_dwordx2 s[8:9], s[0:1], 0x0
	s_waitcnt lgkmcnt(0)
	v_cmp_neq_f32_e64 s0, s24, 0
	v_cmp_neq_f32_e64 s1, s25, 0
	s_or_b32 s0, s0, s1
	s_and_b32 vcc_lo, exec_lo, s0
	s_mov_b32 s0, -1
	s_cbranch_vccnz .LBB116_2
; %bb.1:
	v_cmp_neq_f32_e64 s0, s8, 1.0
	v_cmp_neq_f32_e64 s1, s9, 0
	s_or_b32 s0, s0, s1
.LBB116_2:
	s_andn2_b32 vcc_lo, exec_lo, s0
	s_cbranch_vccnz .LBB116_36
; %bb.3:
	s_clause 0x3
	s_load_dwordx2 s[0:1], s[4:5], 0x80
	s_load_dwordx2 s[20:21], s[4:5], 0x70
	s_load_dword s10, s[4:5], 0x78
	s_load_dwordx2 s[18:19], s[4:5], 0x0
	s_or_b32 s2, s24, s25
	s_bitset0_b32 s2, 31
	s_waitcnt lgkmcnt(0)
	s_mul_i32 s1, s1, s6
	s_mul_hi_u32 s3, s0, s6
	s_mul_i32 s26, s0, s6
	s_add_i32 s27, s3, s1
	s_cmp_lg_u32 s2, 0
	s_mov_b32 s0, -1
	s_cbranch_scc1 .LBB116_18
; %bb.4:
	v_cmp_neq_f32_e64 s0, s8, 0
	v_cmp_neq_f32_e64 s1, s9, 0
	s_or_b32 s0, s0, s1
	s_cmp_gt_i32 s19, 0
	s_cselect_b32 s2, -1, 0
	s_and_b32 vcc_lo, exec_lo, s0
	s_mov_b32 s0, -1
	s_cbranch_vccnz .LBB116_11
; %bb.5:
	s_andn2_b32 vcc_lo, exec_lo, s2
	s_cbranch_vccnz .LBB116_10
; %bb.6:
	v_mad_i64_i32 v[1:2], null, s10, v0, 0
	s_lshl_b64 s[28:29], s[20:21], 3
	s_ashr_i32 s11, s10, 31
	s_lshl_b64 s[0:1], s[26:27], 3
	s_add_u32 s3, s22, s28
	s_addc_u32 s7, s23, s29
	s_add_u32 s0, s3, s0
	v_lshlrev_b64 v[1:2], 3, v[1:2]
	s_addc_u32 s1, s7, s1
	v_mov_b32_e32 v3, 0
	s_mov_b32 s3, 0
	v_add_co_u32 v1, vcc_lo, s0, v1
	v_add_co_ci_u32_e64 v2, null, s1, v2, vcc_lo
	s_lshl_b64 s[0:1], s[10:11], 11
	v_add_co_u32 v1, vcc_lo, v1, 4
	v_add_co_ci_u32_e64 v2, null, 0, v2, vcc_lo
	s_branch .LBB116_8
	.p2align	6
.LBB116_7:                              ;   in Loop: Header=BB116_8 Depth=1
	s_or_b32 exec_lo, exec_lo, s7
	v_add_co_u32 v1, vcc_lo, v1, s0
	v_add_co_ci_u32_e64 v2, null, s1, v2, vcc_lo
	s_addk_i32 s3, 0x100
	s_cmp_ge_i32 s3, s19
	s_cbranch_scc1 .LBB116_10
.LBB116_8:                              ; =>This Inner Loop Header: Depth=1
	v_add_nc_u32_e32 v4, s3, v0
	s_mov_b32 s7, exec_lo
	v_cmpx_gt_i32_e64 s19, v4
	s_cbranch_execz .LBB116_7
; %bb.9:                                ;   in Loop: Header=BB116_8 Depth=1
	v_mov_b32_e32 v4, v3
	global_store_dwordx2 v[1:2], v[3:4], off offset:-4
	s_branch .LBB116_7
.LBB116_10:
	s_mov_b32 s0, 0
.LBB116_11:
	s_andn2_b32 vcc_lo, exec_lo, s0
	s_cbranch_vccnz .LBB116_17
; %bb.12:
	s_andn2_b32 vcc_lo, exec_lo, s2
	s_cbranch_vccnz .LBB116_17
; %bb.13:
	v_mad_i64_i32 v[1:2], null, s10, v0, 0
	s_lshl_b64 s[2:3], s[20:21], 3
	s_ashr_i32 s11, s10, 31
	s_lshl_b64 s[0:1], s[26:27], 3
	s_add_u32 s2, s22, s2
	s_addc_u32 s3, s23, s3
	s_add_u32 s0, s2, s0
	v_lshlrev_b64 v[1:2], 3, v[1:2]
	s_addc_u32 s1, s3, s1
	s_mov_b32 s2, 0
	v_add_co_u32 v1, vcc_lo, s0, v1
	v_add_co_ci_u32_e64 v2, null, s1, v2, vcc_lo
	s_lshl_b64 s[0:1], s[10:11], 11
	v_add_co_u32 v1, vcc_lo, v1, 4
	v_add_co_ci_u32_e64 v2, null, 0, v2, vcc_lo
	s_branch .LBB116_15
	.p2align	6
.LBB116_14:                             ;   in Loop: Header=BB116_15 Depth=1
	s_or_b32 exec_lo, exec_lo, s3
	v_add_co_u32 v1, vcc_lo, v1, s0
	v_add_co_ci_u32_e64 v2, null, s1, v2, vcc_lo
	s_addk_i32 s2, 0x100
	s_cmp_ge_i32 s2, s19
	s_cbranch_scc1 .LBB116_17
.LBB116_15:                             ; =>This Inner Loop Header: Depth=1
	v_add_nc_u32_e32 v3, s2, v0
	s_mov_b32 s3, exec_lo
	v_cmpx_gt_i32_e64 s19, v3
	s_cbranch_execz .LBB116_14
; %bb.16:                               ;   in Loop: Header=BB116_15 Depth=1
	global_load_dwordx2 v[3:4], v[1:2], off offset:-4
	s_waitcnt vmcnt(0)
	v_mul_f32_e32 v6, s9, v4
	v_mul_f32_e32 v5, s8, v4
	v_fma_f32 v4, s8, v3, -v6
	v_fmac_f32_e32 v5, s9, v3
	global_store_dwordx2 v[1:2], v[4:5], off offset:-4
	s_branch .LBB116_14
.LBB116_17:
	s_mov_b32 s0, 0
.LBB116_18:
	s_andn2_b32 vcc_lo, exec_lo, s0
	s_cbranch_vccnz .LBB116_36
; %bb.19:
	s_clause 0x1
	s_load_dwordx4 s[0:3], s[4:5], 0x30
	s_load_dwordx2 s[28:29], s[4:5], 0x40
	s_mov_b32 s7, exec_lo
	v_cmpx_gt_i32_e64 s18, v0
	s_cbranch_execz .LBB116_21
; %bb.20:
	s_load_dword s11, s[4:5], 0x48
	s_mul_i32 s17, s17, s6
	s_mul_hi_u32 s30, s16, s6
	s_mul_i32 s16, s16, s6
	s_add_i32 s17, s30, s17
	s_lshl_b64 s[16:17], s[16:17], 3
	s_waitcnt lgkmcnt(0)
	v_mad_i64_i32 v[1:2], null, s11, v0, 0
	s_add_u32 s11, s2, s16
	s_addc_u32 s16, s3, s17
	s_lshl_b64 s[2:3], s[28:29], 3
	s_add_u32 s2, s11, s2
	s_addc_u32 s3, s16, s3
	v_lshlrev_b64 v[1:2], 3, v[1:2]
	v_add_co_u32 v1, vcc_lo, s2, v1
	v_add_co_ci_u32_e64 v2, null, s3, v2, vcc_lo
	global_load_dwordx2 v[1:2], v[1:2], off
	s_waitcnt vmcnt(0)
	v_mul_f32_e32 v4, s25, v2
	v_mul_f32_e32 v3, s24, v2
	v_fma_f32 v2, v1, s24, -v4
	v_fmac_f32_e32 v3, s25, v1
	v_lshlrev_b32_e32 v1, 3, v0
	ds_write_b64 v1, v[2:3]
.LBB116_21:
	s_or_b32 exec_lo, exec_lo, s7
	s_cmp_lt_i32 s19, 1
	s_waitcnt lgkmcnt(0)
	s_waitcnt_vscnt null, 0x0
	s_barrier
	buffer_gl0_inv
	s_cbranch_scc1 .LBB116_36
; %bb.22:
	s_load_dword s2, s[4:5], 0x28
	s_lshl_b64 s[4:5], s[26:27], 3
	v_cmp_neq_f32_e64 s3, s8, 0
	v_cmp_neq_f32_e64 s7, s9, 0
	s_add_u32 s11, s22, s4
	s_addc_u32 s16, s23, s5
	s_lshl_b64 s[4:5], s[20:21], 3
	s_mul_i32 s1, s1, s6
	s_add_u32 s4, s11, s4
	s_mul_hi_u32 s24, s0, s6
	s_mul_i32 s0, s0, s6
	s_addc_u32 s5, s16, s5
	s_ashr_i32 s6, s10, 31
	s_or_b32 s7, s3, s7
	s_waitcnt lgkmcnt(0)
	s_ashr_i32 s3, s2, 31
	s_cmp_gt_i32 s18, 0
	v_mad_i64_i32 v[1:2], null, s2, v0, 0
	s_cselect_b32 s11, -1, 0
	s_and_b32 s16, s18, 7
	s_cmp_gt_u32 s18, 7
	s_cselect_b32 s17, -1, 0
	s_and_b32 s18, s18, 0x7ffffff8
	s_cmp_lg_u32 s16, 0
	v_lshlrev_b64 v[1:2], 3, v[1:2]
	s_cselect_b32 s20, -1, 0
	s_add_i32 s1, s24, s1
	s_lshl_b64 s[14:15], s[14:15], 3
	s_lshl_b64 s[0:1], s[0:1], 3
	s_add_u32 s12, s12, s14
	s_addc_u32 s13, s13, s15
	s_add_u32 s0, s12, s0
	s_addc_u32 s1, s13, s1
	v_add_co_u32 v9, vcc_lo, s0, v1
	v_add_co_ci_u32_e64 v10, null, s1, v2, vcc_lo
	s_mov_b32 s1, 0
	v_add_co_u32 v1, vcc_lo, v9, 60
	v_add_co_ci_u32_e64 v2, null, 0, v10, vcc_lo
	s_lshl_b64 s[2:3], s[2:3], 11
	s_mov_b32 s12, 0
	s_branch .LBB116_25
.LBB116_23:                             ;   in Loop: Header=BB116_25 Depth=1
	v_add_co_u32 v3, vcc_lo, s4, v3
	v_add_co_ci_u32_e64 v4, null, s5, v4, vcc_lo
	global_store_dwordx2 v[3:4], v[5:6], off
.LBB116_24:                             ;   in Loop: Header=BB116_25 Depth=1
	s_or_b32 exec_lo, exec_lo, s13
	v_add_co_u32 v1, vcc_lo, v1, s2
	v_add_co_ci_u32_e64 v2, null, s3, v2, vcc_lo
	v_add_co_u32 v9, vcc_lo, v9, s2
	v_add_co_ci_u32_e64 v10, null, s3, v10, vcc_lo
	s_addk_i32 s12, 0x100
	s_cmp_ge_i32 s12, s19
	s_cbranch_scc1 .LBB116_36
.LBB116_25:                             ; =>This Loop Header: Depth=1
                                        ;     Child Loop BB116_31 Depth 2
                                        ;     Child Loop BB116_35 Depth 2
	v_add_nc_u32_e32 v3, s12, v0
	s_mov_b32 s13, exec_lo
	v_cmpx_gt_i32_e64 s19, v3
	s_cbranch_execz .LBB116_24
; %bb.26:                               ;   in Loop: Header=BB116_25 Depth=1
	v_mad_u64_u32 v[6:7], null, v3, s10, 0
	s_andn2_b32 vcc_lo, exec_lo, s7
	v_mov_b32_e32 v4, v7
	v_mad_u64_u32 v[3:4], null, v3, s6, v[4:5]
	v_mov_b32_e32 v5, 0
	v_mov_b32_e32 v7, v3
	v_lshlrev_b64 v[3:4], 3, v[6:7]
	v_mov_b32_e32 v6, 0
	s_cbranch_vccnz .LBB116_28
; %bb.27:                               ;   in Loop: Header=BB116_25 Depth=1
	v_add_co_u32 v5, vcc_lo, s4, v3
	v_add_co_ci_u32_e64 v6, null, s5, v4, vcc_lo
	global_load_dwordx2 v[7:8], v[5:6], off
	s_waitcnt vmcnt(0)
	v_mul_f32_e32 v5, s9, v8
	v_mul_f32_e32 v6, s8, v8
	v_fma_f32 v5, s8, v7, -v5
	v_fmac_f32_e32 v6, s9, v7
.LBB116_28:                             ;   in Loop: Header=BB116_25 Depth=1
	s_andn2_b32 vcc_lo, exec_lo, s11
	s_cbranch_vccnz .LBB116_23
; %bb.29:                               ;   in Loop: Header=BB116_25 Depth=1
	s_andn2_b32 vcc_lo, exec_lo, s17
	s_mov_b32 s0, 0
	s_cbranch_vccnz .LBB116_33
; %bb.30:                               ;   in Loop: Header=BB116_25 Depth=1
	v_mov_b32_e32 v8, v2
	v_mov_b32_e32 v7, v1
	s_mov_b32 s14, 0
.LBB116_31:                             ;   Parent Loop BB116_25 Depth=1
                                        ; =>  This Inner Loop Header: Depth=2
	s_clause 0x3
	global_load_dwordx4 v[11:14], v[7:8], off offset:-60
	global_load_dwordx4 v[15:18], v[7:8], off offset:-44
	;; [unrolled: 1-line block ×4, first 2 shown]
	v_mov_b32_e32 v39, s0
	v_add_co_u32 v7, vcc_lo, v7, 64
	v_add_co_ci_u32_e64 v8, null, 0, v8, vcc_lo
	ds_read_b128 v[27:30], v39
	ds_read_b128 v[31:34], v39 offset:16
	ds_read_b128 v[35:38], v39 offset:32
	;; [unrolled: 1-line block ×3, first 2 shown]
	s_add_i32 s14, s14, 8
	s_add_i32 s0, s0, 64
	s_cmp_eq_u32 s18, s14
	s_waitcnt vmcnt(3) lgkmcnt(3)
	v_mul_f32_e32 v43, v12, v28
	v_mul_f32_e32 v28, v11, v28
	;; [unrolled: 1-line block ×4, first 2 shown]
	s_waitcnt vmcnt(2) lgkmcnt(2)
	v_mul_f32_e32 v45, v16, v32
	v_fma_f32 v11, v11, v27, -v43
	v_fmac_f32_e32 v28, v12, v27
	v_mul_f32_e32 v32, v15, v32
	v_fma_f32 v12, v13, v29, -v44
	v_fmac_f32_e32 v30, v14, v29
	v_add_f32_e32 v5, v5, v11
	v_add_f32_e32 v6, v6, v28
	v_mul_f32_e32 v46, v18, v34
	v_mul_f32_e32 v34, v17, v34
	v_fma_f32 v11, v15, v31, -v45
	v_fmac_f32_e32 v32, v16, v31
	v_add_f32_e32 v5, v5, v12
	v_add_f32_e32 v6, v6, v30
	s_waitcnt vmcnt(1) lgkmcnt(1)
	v_mul_f32_e32 v47, v20, v36
	v_mul_f32_e32 v36, v19, v36
	v_fma_f32 v12, v17, v33, -v46
	v_fmac_f32_e32 v34, v18, v33
	v_add_f32_e32 v5, v5, v11
	v_add_f32_e32 v6, v6, v32
	v_mul_f32_e32 v48, v22, v38
	v_mul_f32_e32 v38, v21, v38
	v_fma_f32 v11, v19, v35, -v47
	v_fmac_f32_e32 v36, v20, v35
	v_add_f32_e32 v5, v5, v12
	v_add_f32_e32 v6, v6, v34
	s_waitcnt vmcnt(0) lgkmcnt(0)
	v_mul_f32_e32 v49, v24, v40
	v_mul_f32_e32 v40, v23, v40
	v_fma_f32 v12, v21, v37, -v48
	v_fmac_f32_e32 v38, v22, v37
	v_add_f32_e32 v5, v5, v11
	v_add_f32_e32 v6, v6, v36
	v_mul_f32_e32 v50, v26, v42
	v_mul_f32_e32 v42, v25, v42
	v_fma_f32 v11, v23, v39, -v49
	v_fmac_f32_e32 v40, v24, v39
	v_add_f32_e32 v5, v5, v12
	v_add_f32_e32 v6, v6, v38
	v_fma_f32 v12, v25, v41, -v50
	v_fmac_f32_e32 v42, v26, v41
	v_add_f32_e32 v5, v5, v11
	v_add_f32_e32 v6, v6, v40
	v_add_f32_e32 v5, v5, v12
	v_add_f32_e32 v6, v6, v42
	s_cbranch_scc0 .LBB116_31
; %bb.32:                               ;   in Loop: Header=BB116_25 Depth=1
	s_mov_b32 s0, s18
.LBB116_33:                             ;   in Loop: Header=BB116_25 Depth=1
	s_andn2_b32 vcc_lo, exec_lo, s20
	s_cbranch_vccnz .LBB116_23
; %bb.34:                               ;   in Loop: Header=BB116_25 Depth=1
	s_lshl_b64 s[14:15], s[0:1], 3
	s_lshl_b32 s0, s0, 3
	v_add_co_u32 v7, vcc_lo, v9, s14
	v_add_co_ci_u32_e64 v8, null, s15, v10, vcc_lo
	s_mov_b32 s14, s16
	.p2align	6
.LBB116_35:                             ;   Parent Loop BB116_25 Depth=1
                                        ; =>  This Inner Loop Header: Depth=2
	global_load_dwordx2 v[11:12], v[7:8], off
	v_mov_b32_e32 v13, s0
	v_add_co_u32 v7, vcc_lo, v7, 8
	v_add_co_ci_u32_e64 v8, null, 0, v8, vcc_lo
	ds_read_b64 v[13:14], v13
	s_add_i32 s14, s14, -1
	s_add_i32 s0, s0, 8
	s_cmp_lg_u32 s14, 0
	s_waitcnt vmcnt(0) lgkmcnt(0)
	v_mul_f32_e32 v15, v12, v14
	v_mul_f32_e32 v14, v11, v14
	v_fma_f32 v11, v11, v13, -v15
	v_fmac_f32_e32 v14, v12, v13
	v_add_f32_e32 v5, v5, v11
	v_add_f32_e32 v6, v6, v14
	s_cbranch_scc1 .LBB116_35
	s_branch .LBB116_23
.LBB116_36:
	s_endpgm
	.section	.rodata,"a",@progbits
	.p2align	6, 0x0
	.amdhsa_kernel _ZL22rocblas_gemvtsm_kernelILb0ELi256E19rocblas_complex_numIfEPKS1_S1_EviiT2_lPKT1_lilS7_lilS4_lPT3_lil
		.amdhsa_group_segment_fixed_size 512
		.amdhsa_private_segment_fixed_size 0
		.amdhsa_kernarg_size 136
		.amdhsa_user_sgpr_count 6
		.amdhsa_user_sgpr_private_segment_buffer 1
		.amdhsa_user_sgpr_dispatch_ptr 0
		.amdhsa_user_sgpr_queue_ptr 0
		.amdhsa_user_sgpr_kernarg_segment_ptr 1
		.amdhsa_user_sgpr_dispatch_id 0
		.amdhsa_user_sgpr_flat_scratch_init 0
		.amdhsa_user_sgpr_private_segment_size 0
		.amdhsa_wavefront_size32 1
		.amdhsa_uses_dynamic_stack 0
		.amdhsa_system_sgpr_private_segment_wavefront_offset 0
		.amdhsa_system_sgpr_workgroup_id_x 1
		.amdhsa_system_sgpr_workgroup_id_y 0
		.amdhsa_system_sgpr_workgroup_id_z 0
		.amdhsa_system_sgpr_workgroup_info 0
		.amdhsa_system_vgpr_workitem_id 0
		.amdhsa_next_free_vgpr 51
		.amdhsa_next_free_sgpr 31
		.amdhsa_reserve_vcc 1
		.amdhsa_reserve_flat_scratch 0
		.amdhsa_float_round_mode_32 0
		.amdhsa_float_round_mode_16_64 0
		.amdhsa_float_denorm_mode_32 3
		.amdhsa_float_denorm_mode_16_64 3
		.amdhsa_dx10_clamp 1
		.amdhsa_ieee_mode 1
		.amdhsa_fp16_overflow 0
		.amdhsa_workgroup_processor_mode 1
		.amdhsa_memory_ordered 1
		.amdhsa_forward_progress 1
		.amdhsa_shared_vgpr_count 0
		.amdhsa_exception_fp_ieee_invalid_op 0
		.amdhsa_exception_fp_denorm_src 0
		.amdhsa_exception_fp_ieee_div_zero 0
		.amdhsa_exception_fp_ieee_overflow 0
		.amdhsa_exception_fp_ieee_underflow 0
		.amdhsa_exception_fp_ieee_inexact 0
		.amdhsa_exception_int_div_zero 0
	.end_amdhsa_kernel
	.section	.text._ZL22rocblas_gemvtsm_kernelILb0ELi256E19rocblas_complex_numIfEPKS1_S1_EviiT2_lPKT1_lilS7_lilS4_lPT3_lil,"axG",@progbits,_ZL22rocblas_gemvtsm_kernelILb0ELi256E19rocblas_complex_numIfEPKS1_S1_EviiT2_lPKT1_lilS7_lilS4_lPT3_lil,comdat
.Lfunc_end116:
	.size	_ZL22rocblas_gemvtsm_kernelILb0ELi256E19rocblas_complex_numIfEPKS1_S1_EviiT2_lPKT1_lilS7_lilS4_lPT3_lil, .Lfunc_end116-_ZL22rocblas_gemvtsm_kernelILb0ELi256E19rocblas_complex_numIfEPKS1_S1_EviiT2_lPKT1_lilS7_lilS4_lPT3_lil
                                        ; -- End function
	.set _ZL22rocblas_gemvtsm_kernelILb0ELi256E19rocblas_complex_numIfEPKS1_S1_EviiT2_lPKT1_lilS7_lilS4_lPT3_lil.num_vgpr, 51
	.set _ZL22rocblas_gemvtsm_kernelILb0ELi256E19rocblas_complex_numIfEPKS1_S1_EviiT2_lPKT1_lilS7_lilS4_lPT3_lil.num_agpr, 0
	.set _ZL22rocblas_gemvtsm_kernelILb0ELi256E19rocblas_complex_numIfEPKS1_S1_EviiT2_lPKT1_lilS7_lilS4_lPT3_lil.numbered_sgpr, 31
	.set _ZL22rocblas_gemvtsm_kernelILb0ELi256E19rocblas_complex_numIfEPKS1_S1_EviiT2_lPKT1_lilS7_lilS4_lPT3_lil.num_named_barrier, 0
	.set _ZL22rocblas_gemvtsm_kernelILb0ELi256E19rocblas_complex_numIfEPKS1_S1_EviiT2_lPKT1_lilS7_lilS4_lPT3_lil.private_seg_size, 0
	.set _ZL22rocblas_gemvtsm_kernelILb0ELi256E19rocblas_complex_numIfEPKS1_S1_EviiT2_lPKT1_lilS7_lilS4_lPT3_lil.uses_vcc, 1
	.set _ZL22rocblas_gemvtsm_kernelILb0ELi256E19rocblas_complex_numIfEPKS1_S1_EviiT2_lPKT1_lilS7_lilS4_lPT3_lil.uses_flat_scratch, 0
	.set _ZL22rocblas_gemvtsm_kernelILb0ELi256E19rocblas_complex_numIfEPKS1_S1_EviiT2_lPKT1_lilS7_lilS4_lPT3_lil.has_dyn_sized_stack, 0
	.set _ZL22rocblas_gemvtsm_kernelILb0ELi256E19rocblas_complex_numIfEPKS1_S1_EviiT2_lPKT1_lilS7_lilS4_lPT3_lil.has_recursion, 0
	.set _ZL22rocblas_gemvtsm_kernelILb0ELi256E19rocblas_complex_numIfEPKS1_S1_EviiT2_lPKT1_lilS7_lilS4_lPT3_lil.has_indirect_call, 0
	.section	.AMDGPU.csdata,"",@progbits
; Kernel info:
; codeLenInByte = 1820
; TotalNumSgprs: 33
; NumVgprs: 51
; ScratchSize: 0
; MemoryBound: 0
; FloatMode: 240
; IeeeMode: 1
; LDSByteSize: 512 bytes/workgroup (compile time only)
; SGPRBlocks: 0
; VGPRBlocks: 6
; NumSGPRsForWavesPerEU: 33
; NumVGPRsForWavesPerEU: 51
; Occupancy: 16
; WaveLimiterHint : 1
; COMPUTE_PGM_RSRC2:SCRATCH_EN: 0
; COMPUTE_PGM_RSRC2:USER_SGPR: 6
; COMPUTE_PGM_RSRC2:TRAP_HANDLER: 0
; COMPUTE_PGM_RSRC2:TGID_X_EN: 1
; COMPUTE_PGM_RSRC2:TGID_Y_EN: 0
; COMPUTE_PGM_RSRC2:TGID_Z_EN: 0
; COMPUTE_PGM_RSRC2:TIDIG_COMP_CNT: 0
	.section	.text._ZL22rocblas_gemvtsm_kernelILb0ELi256E19rocblas_complex_numIfES1_S1_EviiT2_lPKT1_lilS5_lilS2_lPT3_lil,"axG",@progbits,_ZL22rocblas_gemvtsm_kernelILb0ELi256E19rocblas_complex_numIfES1_S1_EviiT2_lPKT1_lilS5_lilS2_lPT3_lil,comdat
	.globl	_ZL22rocblas_gemvtsm_kernelILb0ELi256E19rocblas_complex_numIfES1_S1_EviiT2_lPKT1_lilS5_lilS2_lPT3_lil ; -- Begin function _ZL22rocblas_gemvtsm_kernelILb0ELi256E19rocblas_complex_numIfES1_S1_EviiT2_lPKT1_lilS5_lilS2_lPT3_lil
	.p2align	8
	.type	_ZL22rocblas_gemvtsm_kernelILb0ELi256E19rocblas_complex_numIfES1_S1_EviiT2_lPKT1_lilS5_lilS2_lPT3_lil,@function
_ZL22rocblas_gemvtsm_kernelILb0ELi256E19rocblas_complex_numIfES1_S1_EviiT2_lPKT1_lilS5_lilS2_lPT3_lil: ; @_ZL22rocblas_gemvtsm_kernelILb0ELi256E19rocblas_complex_numIfES1_S1_EviiT2_lPKT1_lilS5_lilS2_lPT3_lil
; %bb.0:
	s_clause 0x1
	s_load_dwordx4 s[0:3], s[4:5], 0x0
	s_load_dwordx2 s[20:21], s[4:5], 0x58
	s_waitcnt lgkmcnt(0)
	v_cmp_neq_f32_e64 s7, s2, 0
	v_cmp_neq_f32_e64 s8, s3, 0
	s_or_b32 s7, s7, s8
	s_and_b32 vcc_lo, exec_lo, s7
	s_mov_b32 s7, -1
	s_cbranch_vccnz .LBB117_2
; %bb.1:
	v_cmp_neq_f32_e64 s7, s20, 1.0
	v_cmp_neq_f32_e64 s8, s21, 0
	s_or_b32 s7, s7, s8
.LBB117_2:
	s_andn2_b32 vcc_lo, exec_lo, s7
	s_cbranch_vccnz .LBB117_36
; %bb.3:
	s_clause 0x2
	s_load_dwordx2 s[12:13], s[4:5], 0x80
	s_load_dwordx4 s[8:11], s[4:5], 0x68
	s_load_dword s22, s[4:5], 0x78
	s_or_b32 s7, s2, s3
	s_bitset0_b32 s7, 31
	s_waitcnt lgkmcnt(0)
	s_mul_i32 s13, s13, s6
	s_mul_hi_u32 s14, s12, s6
	s_mul_i32 s24, s12, s6
	s_add_i32 s25, s14, s13
	s_cmp_lg_u32 s7, 0
	s_mov_b32 s7, -1
	s_cbranch_scc1 .LBB117_18
; %bb.4:
	v_cmp_neq_f32_e64 s7, s20, 0
	v_cmp_neq_f32_e64 s12, s21, 0
	s_or_b32 s12, s7, s12
	s_cmp_gt_i32 s1, 0
	s_cselect_b32 s7, -1, 0
	s_and_b32 vcc_lo, exec_lo, s12
	s_mov_b32 s12, -1
	s_cbranch_vccnz .LBB117_11
; %bb.5:
	s_andn2_b32 vcc_lo, exec_lo, s7
	s_cbranch_vccnz .LBB117_10
; %bb.6:
	v_mad_i64_i32 v[1:2], null, s22, v0, 0
	s_lshl_b64 s[14:15], s[10:11], 3
	s_ashr_i32 s23, s22, 31
	s_lshl_b64 s[12:13], s[24:25], 3
	s_add_u32 s14, s8, s14
	s_addc_u32 s15, s9, s15
	s_add_u32 s12, s14, s12
	v_lshlrev_b64 v[1:2], 3, v[1:2]
	s_addc_u32 s13, s15, s13
	v_mov_b32_e32 v3, 0
	s_mov_b32 s14, 0
	v_add_co_u32 v1, vcc_lo, s12, v1
	v_add_co_ci_u32_e64 v2, null, s13, v2, vcc_lo
	s_lshl_b64 s[12:13], s[22:23], 11
	v_add_co_u32 v1, vcc_lo, v1, 4
	v_add_co_ci_u32_e64 v2, null, 0, v2, vcc_lo
	s_branch .LBB117_8
	.p2align	6
.LBB117_7:                              ;   in Loop: Header=BB117_8 Depth=1
	s_or_b32 exec_lo, exec_lo, s15
	v_add_co_u32 v1, vcc_lo, v1, s12
	v_add_co_ci_u32_e64 v2, null, s13, v2, vcc_lo
	s_addk_i32 s14, 0x100
	s_cmp_ge_i32 s14, s1
	s_cbranch_scc1 .LBB117_10
.LBB117_8:                              ; =>This Inner Loop Header: Depth=1
	v_add_nc_u32_e32 v4, s14, v0
	s_mov_b32 s15, exec_lo
	v_cmpx_gt_i32_e64 s1, v4
	s_cbranch_execz .LBB117_7
; %bb.9:                                ;   in Loop: Header=BB117_8 Depth=1
	v_mov_b32_e32 v4, v3
	global_store_dwordx2 v[1:2], v[3:4], off offset:-4
	s_branch .LBB117_7
.LBB117_10:
	s_mov_b32 s12, 0
.LBB117_11:
	s_andn2_b32 vcc_lo, exec_lo, s12
	s_cbranch_vccnz .LBB117_17
; %bb.12:
	s_andn2_b32 vcc_lo, exec_lo, s7
	s_cbranch_vccnz .LBB117_17
; %bb.13:
	v_mad_i64_i32 v[1:2], null, s22, v0, 0
	s_lshl_b64 s[14:15], s[10:11], 3
	s_ashr_i32 s23, s22, 31
	s_lshl_b64 s[12:13], s[24:25], 3
	s_add_u32 s7, s8, s14
	s_addc_u32 s14, s9, s15
	s_add_u32 s7, s7, s12
	v_lshlrev_b64 v[1:2], 3, v[1:2]
	s_addc_u32 s12, s14, s13
	v_add_co_u32 v1, vcc_lo, s7, v1
	v_add_co_ci_u32_e64 v2, null, s12, v2, vcc_lo
	s_lshl_b64 s[12:13], s[22:23], 11
	v_add_co_u32 v1, vcc_lo, v1, 4
	v_add_co_ci_u32_e64 v2, null, 0, v2, vcc_lo
	s_mov_b32 s7, 0
	s_branch .LBB117_15
	.p2align	6
.LBB117_14:                             ;   in Loop: Header=BB117_15 Depth=1
	s_or_b32 exec_lo, exec_lo, s14
	v_add_co_u32 v1, vcc_lo, v1, s12
	v_add_co_ci_u32_e64 v2, null, s13, v2, vcc_lo
	s_addk_i32 s7, 0x100
	s_cmp_ge_i32 s7, s1
	s_cbranch_scc1 .LBB117_17
.LBB117_15:                             ; =>This Inner Loop Header: Depth=1
	v_add_nc_u32_e32 v3, s7, v0
	s_mov_b32 s14, exec_lo
	v_cmpx_gt_i32_e64 s1, v3
	s_cbranch_execz .LBB117_14
; %bb.16:                               ;   in Loop: Header=BB117_15 Depth=1
	global_load_dwordx2 v[3:4], v[1:2], off offset:-4
	s_waitcnt vmcnt(0)
	v_mul_f32_e32 v6, s21, v4
	v_mul_f32_e32 v5, s20, v4
	v_fma_f32 v4, s20, v3, -v6
	v_fmac_f32_e32 v5, s21, v3
	global_store_dwordx2 v[1:2], v[4:5], off offset:-4
	s_branch .LBB117_14
.LBB117_17:
	s_mov_b32 s7, 0
.LBB117_18:
	s_andn2_b32 vcc_lo, exec_lo, s7
	s_cbranch_vccnz .LBB117_36
; %bb.19:
	s_clause 0x1
	s_load_dwordx4 s[12:15], s[4:5], 0x30
	s_load_dwordx2 s[16:17], s[4:5], 0x40
	s_mov_b32 s7, exec_lo
	v_cmpx_gt_i32_e64 s0, v0
	s_cbranch_execz .LBB117_21
; %bb.20:
	s_clause 0x1
	s_load_dwordx2 s[18:19], s[4:5], 0x50
	s_load_dword s23, s[4:5], 0x48
	s_waitcnt lgkmcnt(0)
	s_mul_i32 s19, s19, s6
	v_mad_i64_i32 v[1:2], null, s23, v0, 0
	s_mul_hi_u32 s26, s18, s6
	s_mul_i32 s18, s18, s6
	s_add_i32 s19, s26, s19
	s_lshl_b64 s[18:19], s[18:19], 3
	s_add_u32 s18, s14, s18
	v_lshlrev_b64 v[1:2], 3, v[1:2]
	s_addc_u32 s19, s15, s19
	s_lshl_b64 s[14:15], s[16:17], 3
	s_add_u32 s14, s18, s14
	s_addc_u32 s15, s19, s15
	v_add_co_u32 v1, vcc_lo, s14, v1
	v_add_co_ci_u32_e64 v2, null, s15, v2, vcc_lo
	global_load_dwordx2 v[1:2], v[1:2], off
	s_waitcnt vmcnt(0)
	v_mul_f32_e32 v4, s3, v2
	v_mul_f32_e32 v3, s2, v2
	v_fma_f32 v2, v1, s2, -v4
	v_fmac_f32_e32 v3, s3, v1
	v_lshlrev_b32_e32 v1, 3, v0
	ds_write_b64 v1, v[2:3]
.LBB117_21:
	s_or_b32 exec_lo, exec_lo, s7
	s_cmp_lt_i32 s1, 1
	s_waitcnt lgkmcnt(0)
	s_waitcnt_vscnt null, 0x0
	s_barrier
	buffer_gl0_inv
	s_cbranch_scc1 .LBB117_36
; %bb.22:
	s_clause 0x1
	s_load_dword s14, s[4:5], 0x28
	s_load_dwordx4 s[16:19], s[4:5], 0x18
	s_lshl_b64 s[2:3], s[24:25], 3
	v_cmp_neq_f32_e64 s4, s20, 0
	v_cmp_neq_f32_e64 s5, s21, 0
	s_add_u32 s7, s8, s2
	s_addc_u32 s8, s9, s3
	s_lshl_b64 s[2:3], s[10:11], 3
	s_mul_i32 s23, s13, s6
	s_add_u32 s7, s7, s2
	s_addc_u32 s8, s8, s3
	s_ashr_i32 s9, s22, 31
	s_or_b32 s10, s4, s5
	s_mul_hi_u32 s24, s12, s6
	s_mul_i32 s2, s12, s6
	s_waitcnt lgkmcnt(0)
	s_ashr_i32 s15, s14, 31
	s_cmp_gt_i32 s0, 0
	v_mad_i64_i32 v[1:2], null, s14, v0, 0
	s_cselect_b32 s11, -1, 0
	s_and_b32 s13, s0, 7
	s_cmp_gt_u32 s0, 7
	s_cselect_b32 s6, -1, 0
	s_and_b32 s0, s0, 0x7ffffff8
	s_cmp_lg_u32 s13, 0
	v_lshlrev_b64 v[1:2], 3, v[1:2]
	s_cselect_b32 s12, -1, 0
	s_add_i32 s3, s24, s23
	s_lshl_b64 s[4:5], s[18:19], 3
	s_lshl_b64 s[2:3], s[2:3], 3
	s_add_u32 s4, s16, s4
	s_addc_u32 s5, s17, s5
	s_add_u32 s2, s4, s2
	s_addc_u32 s3, s5, s3
	v_add_co_u32 v9, vcc_lo, s2, v1
	v_add_co_ci_u32_e64 v10, null, s3, v2, vcc_lo
	s_mov_b32 s3, 0
	v_add_co_u32 v1, vcc_lo, v9, 60
	v_add_co_ci_u32_e64 v2, null, 0, v10, vcc_lo
	s_lshl_b64 s[4:5], s[14:15], 11
	s_mov_b32 s14, 0
	s_branch .LBB117_25
.LBB117_23:                             ;   in Loop: Header=BB117_25 Depth=1
	v_add_co_u32 v3, vcc_lo, s7, v3
	v_add_co_ci_u32_e64 v4, null, s8, v4, vcc_lo
	global_store_dwordx2 v[3:4], v[5:6], off
.LBB117_24:                             ;   in Loop: Header=BB117_25 Depth=1
	s_or_b32 exec_lo, exec_lo, s15
	v_add_co_u32 v1, vcc_lo, v1, s4
	v_add_co_ci_u32_e64 v2, null, s5, v2, vcc_lo
	v_add_co_u32 v9, vcc_lo, v9, s4
	v_add_co_ci_u32_e64 v10, null, s5, v10, vcc_lo
	s_addk_i32 s14, 0x100
	s_cmp_ge_i32 s14, s1
	s_cbranch_scc1 .LBB117_36
.LBB117_25:                             ; =>This Loop Header: Depth=1
                                        ;     Child Loop BB117_31 Depth 2
                                        ;     Child Loop BB117_35 Depth 2
	v_add_nc_u32_e32 v3, s14, v0
	s_mov_b32 s15, exec_lo
	v_cmpx_gt_i32_e64 s1, v3
	s_cbranch_execz .LBB117_24
; %bb.26:                               ;   in Loop: Header=BB117_25 Depth=1
	v_mad_u64_u32 v[6:7], null, v3, s22, 0
	s_andn2_b32 vcc_lo, exec_lo, s10
	v_mov_b32_e32 v4, v7
	v_mad_u64_u32 v[3:4], null, v3, s9, v[4:5]
	v_mov_b32_e32 v5, 0
	v_mov_b32_e32 v7, v3
	v_lshlrev_b64 v[3:4], 3, v[6:7]
	v_mov_b32_e32 v6, 0
	s_cbranch_vccnz .LBB117_28
; %bb.27:                               ;   in Loop: Header=BB117_25 Depth=1
	v_add_co_u32 v5, vcc_lo, s7, v3
	v_add_co_ci_u32_e64 v6, null, s8, v4, vcc_lo
	global_load_dwordx2 v[7:8], v[5:6], off
	s_waitcnt vmcnt(0)
	v_mul_f32_e32 v5, s21, v8
	v_mul_f32_e32 v6, s20, v8
	v_fma_f32 v5, s20, v7, -v5
	v_fmac_f32_e32 v6, s21, v7
.LBB117_28:                             ;   in Loop: Header=BB117_25 Depth=1
	s_andn2_b32 vcc_lo, exec_lo, s11
	s_cbranch_vccnz .LBB117_23
; %bb.29:                               ;   in Loop: Header=BB117_25 Depth=1
	s_andn2_b32 vcc_lo, exec_lo, s6
	s_mov_b32 s2, 0
	s_cbranch_vccnz .LBB117_33
; %bb.30:                               ;   in Loop: Header=BB117_25 Depth=1
	v_mov_b32_e32 v8, v2
	v_mov_b32_e32 v7, v1
	s_mov_b32 s16, 0
.LBB117_31:                             ;   Parent Loop BB117_25 Depth=1
                                        ; =>  This Inner Loop Header: Depth=2
	s_clause 0x3
	global_load_dwordx4 v[11:14], v[7:8], off offset:-60
	global_load_dwordx4 v[15:18], v[7:8], off offset:-44
	;; [unrolled: 1-line block ×4, first 2 shown]
	v_mov_b32_e32 v39, s2
	v_add_co_u32 v7, vcc_lo, v7, 64
	v_add_co_ci_u32_e64 v8, null, 0, v8, vcc_lo
	ds_read_b128 v[27:30], v39
	ds_read_b128 v[31:34], v39 offset:16
	ds_read_b128 v[35:38], v39 offset:32
	;; [unrolled: 1-line block ×3, first 2 shown]
	s_add_i32 s16, s16, 8
	s_add_i32 s2, s2, 64
	s_cmp_eq_u32 s0, s16
	s_waitcnt vmcnt(3) lgkmcnt(3)
	v_mul_f32_e32 v43, v12, v28
	v_mul_f32_e32 v28, v11, v28
	;; [unrolled: 1-line block ×4, first 2 shown]
	s_waitcnt vmcnt(2) lgkmcnt(2)
	v_mul_f32_e32 v45, v16, v32
	v_fma_f32 v11, v11, v27, -v43
	v_fmac_f32_e32 v28, v12, v27
	v_mul_f32_e32 v32, v15, v32
	v_fma_f32 v12, v13, v29, -v44
	v_fmac_f32_e32 v30, v14, v29
	v_add_f32_e32 v5, v5, v11
	v_add_f32_e32 v6, v6, v28
	v_mul_f32_e32 v46, v18, v34
	v_mul_f32_e32 v34, v17, v34
	v_fma_f32 v11, v15, v31, -v45
	v_fmac_f32_e32 v32, v16, v31
	v_add_f32_e32 v5, v5, v12
	v_add_f32_e32 v6, v6, v30
	s_waitcnt vmcnt(1) lgkmcnt(1)
	v_mul_f32_e32 v47, v20, v36
	v_mul_f32_e32 v36, v19, v36
	v_fma_f32 v12, v17, v33, -v46
	v_fmac_f32_e32 v34, v18, v33
	v_add_f32_e32 v5, v5, v11
	v_add_f32_e32 v6, v6, v32
	v_mul_f32_e32 v48, v22, v38
	v_mul_f32_e32 v38, v21, v38
	v_fma_f32 v11, v19, v35, -v47
	v_fmac_f32_e32 v36, v20, v35
	v_add_f32_e32 v5, v5, v12
	v_add_f32_e32 v6, v6, v34
	s_waitcnt vmcnt(0) lgkmcnt(0)
	v_mul_f32_e32 v49, v24, v40
	v_mul_f32_e32 v40, v23, v40
	v_fma_f32 v12, v21, v37, -v48
	v_fmac_f32_e32 v38, v22, v37
	v_add_f32_e32 v5, v5, v11
	v_add_f32_e32 v6, v6, v36
	v_mul_f32_e32 v50, v26, v42
	v_mul_f32_e32 v42, v25, v42
	v_fma_f32 v11, v23, v39, -v49
	v_fmac_f32_e32 v40, v24, v39
	v_add_f32_e32 v5, v5, v12
	v_add_f32_e32 v6, v6, v38
	v_fma_f32 v12, v25, v41, -v50
	v_fmac_f32_e32 v42, v26, v41
	v_add_f32_e32 v5, v5, v11
	v_add_f32_e32 v6, v6, v40
	v_add_f32_e32 v5, v5, v12
	v_add_f32_e32 v6, v6, v42
	s_cbranch_scc0 .LBB117_31
; %bb.32:                               ;   in Loop: Header=BB117_25 Depth=1
	s_mov_b32 s2, s0
.LBB117_33:                             ;   in Loop: Header=BB117_25 Depth=1
	s_andn2_b32 vcc_lo, exec_lo, s12
	s_cbranch_vccnz .LBB117_23
; %bb.34:                               ;   in Loop: Header=BB117_25 Depth=1
	s_lshl_b64 s[16:17], s[2:3], 3
	s_lshl_b32 s2, s2, 3
	v_add_co_u32 v7, vcc_lo, v9, s16
	v_add_co_ci_u32_e64 v8, null, s17, v10, vcc_lo
	s_mov_b32 s16, s13
	.p2align	6
.LBB117_35:                             ;   Parent Loop BB117_25 Depth=1
                                        ; =>  This Inner Loop Header: Depth=2
	global_load_dwordx2 v[11:12], v[7:8], off
	v_mov_b32_e32 v13, s2
	v_add_co_u32 v7, vcc_lo, v7, 8
	v_add_co_ci_u32_e64 v8, null, 0, v8, vcc_lo
	ds_read_b64 v[13:14], v13
	s_add_i32 s16, s16, -1
	s_add_i32 s2, s2, 8
	s_cmp_lg_u32 s16, 0
	s_waitcnt vmcnt(0) lgkmcnt(0)
	v_mul_f32_e32 v15, v12, v14
	v_mul_f32_e32 v14, v11, v14
	v_fma_f32 v11, v11, v13, -v15
	v_fmac_f32_e32 v14, v12, v13
	v_add_f32_e32 v5, v5, v11
	v_add_f32_e32 v6, v6, v14
	s_cbranch_scc1 .LBB117_35
	s_branch .LBB117_23
.LBB117_36:
	s_endpgm
	.section	.rodata,"a",@progbits
	.p2align	6, 0x0
	.amdhsa_kernel _ZL22rocblas_gemvtsm_kernelILb0ELi256E19rocblas_complex_numIfES1_S1_EviiT2_lPKT1_lilS5_lilS2_lPT3_lil
		.amdhsa_group_segment_fixed_size 512
		.amdhsa_private_segment_fixed_size 0
		.amdhsa_kernarg_size 136
		.amdhsa_user_sgpr_count 6
		.amdhsa_user_sgpr_private_segment_buffer 1
		.amdhsa_user_sgpr_dispatch_ptr 0
		.amdhsa_user_sgpr_queue_ptr 0
		.amdhsa_user_sgpr_kernarg_segment_ptr 1
		.amdhsa_user_sgpr_dispatch_id 0
		.amdhsa_user_sgpr_flat_scratch_init 0
		.amdhsa_user_sgpr_private_segment_size 0
		.amdhsa_wavefront_size32 1
		.amdhsa_uses_dynamic_stack 0
		.amdhsa_system_sgpr_private_segment_wavefront_offset 0
		.amdhsa_system_sgpr_workgroup_id_x 1
		.amdhsa_system_sgpr_workgroup_id_y 0
		.amdhsa_system_sgpr_workgroup_id_z 0
		.amdhsa_system_sgpr_workgroup_info 0
		.amdhsa_system_vgpr_workitem_id 0
		.amdhsa_next_free_vgpr 51
		.amdhsa_next_free_sgpr 27
		.amdhsa_reserve_vcc 1
		.amdhsa_reserve_flat_scratch 0
		.amdhsa_float_round_mode_32 0
		.amdhsa_float_round_mode_16_64 0
		.amdhsa_float_denorm_mode_32 3
		.amdhsa_float_denorm_mode_16_64 3
		.amdhsa_dx10_clamp 1
		.amdhsa_ieee_mode 1
		.amdhsa_fp16_overflow 0
		.amdhsa_workgroup_processor_mode 1
		.amdhsa_memory_ordered 1
		.amdhsa_forward_progress 1
		.amdhsa_shared_vgpr_count 0
		.amdhsa_exception_fp_ieee_invalid_op 0
		.amdhsa_exception_fp_denorm_src 0
		.amdhsa_exception_fp_ieee_div_zero 0
		.amdhsa_exception_fp_ieee_overflow 0
		.amdhsa_exception_fp_ieee_underflow 0
		.amdhsa_exception_fp_ieee_inexact 0
		.amdhsa_exception_int_div_zero 0
	.end_amdhsa_kernel
	.section	.text._ZL22rocblas_gemvtsm_kernelILb0ELi256E19rocblas_complex_numIfES1_S1_EviiT2_lPKT1_lilS5_lilS2_lPT3_lil,"axG",@progbits,_ZL22rocblas_gemvtsm_kernelILb0ELi256E19rocblas_complex_numIfES1_S1_EviiT2_lPKT1_lilS5_lilS2_lPT3_lil,comdat
.Lfunc_end117:
	.size	_ZL22rocblas_gemvtsm_kernelILb0ELi256E19rocblas_complex_numIfES1_S1_EviiT2_lPKT1_lilS5_lilS2_lPT3_lil, .Lfunc_end117-_ZL22rocblas_gemvtsm_kernelILb0ELi256E19rocblas_complex_numIfES1_S1_EviiT2_lPKT1_lilS5_lilS2_lPT3_lil
                                        ; -- End function
	.set _ZL22rocblas_gemvtsm_kernelILb0ELi256E19rocblas_complex_numIfES1_S1_EviiT2_lPKT1_lilS5_lilS2_lPT3_lil.num_vgpr, 51
	.set _ZL22rocblas_gemvtsm_kernelILb0ELi256E19rocblas_complex_numIfES1_S1_EviiT2_lPKT1_lilS5_lilS2_lPT3_lil.num_agpr, 0
	.set _ZL22rocblas_gemvtsm_kernelILb0ELi256E19rocblas_complex_numIfES1_S1_EviiT2_lPKT1_lilS5_lilS2_lPT3_lil.numbered_sgpr, 27
	.set _ZL22rocblas_gemvtsm_kernelILb0ELi256E19rocblas_complex_numIfES1_S1_EviiT2_lPKT1_lilS5_lilS2_lPT3_lil.num_named_barrier, 0
	.set _ZL22rocblas_gemvtsm_kernelILb0ELi256E19rocblas_complex_numIfES1_S1_EviiT2_lPKT1_lilS5_lilS2_lPT3_lil.private_seg_size, 0
	.set _ZL22rocblas_gemvtsm_kernelILb0ELi256E19rocblas_complex_numIfES1_S1_EviiT2_lPKT1_lilS5_lilS2_lPT3_lil.uses_vcc, 1
	.set _ZL22rocblas_gemvtsm_kernelILb0ELi256E19rocblas_complex_numIfES1_S1_EviiT2_lPKT1_lilS5_lilS2_lPT3_lil.uses_flat_scratch, 0
	.set _ZL22rocblas_gemvtsm_kernelILb0ELi256E19rocblas_complex_numIfES1_S1_EviiT2_lPKT1_lilS5_lilS2_lPT3_lil.has_dyn_sized_stack, 0
	.set _ZL22rocblas_gemvtsm_kernelILb0ELi256E19rocblas_complex_numIfES1_S1_EviiT2_lPKT1_lilS5_lilS2_lPT3_lil.has_recursion, 0
	.set _ZL22rocblas_gemvtsm_kernelILb0ELi256E19rocblas_complex_numIfES1_S1_EviiT2_lPKT1_lilS5_lilS2_lPT3_lil.has_indirect_call, 0
	.section	.AMDGPU.csdata,"",@progbits
; Kernel info:
; codeLenInByte = 1756
; TotalNumSgprs: 29
; NumVgprs: 51
; ScratchSize: 0
; MemoryBound: 0
; FloatMode: 240
; IeeeMode: 1
; LDSByteSize: 512 bytes/workgroup (compile time only)
; SGPRBlocks: 0
; VGPRBlocks: 6
; NumSGPRsForWavesPerEU: 29
; NumVGPRsForWavesPerEU: 51
; Occupancy: 16
; WaveLimiterHint : 1
; COMPUTE_PGM_RSRC2:SCRATCH_EN: 0
; COMPUTE_PGM_RSRC2:USER_SGPR: 6
; COMPUTE_PGM_RSRC2:TRAP_HANDLER: 0
; COMPUTE_PGM_RSRC2:TGID_X_EN: 1
; COMPUTE_PGM_RSRC2:TGID_Y_EN: 0
; COMPUTE_PGM_RSRC2:TGID_Z_EN: 0
; COMPUTE_PGM_RSRC2:TIDIG_COMP_CNT: 0
	.section	.text._ZL23rocblas_gemvt_sn_kernelILb0ELi256ELi4Ei19rocblas_complex_numIfEPKS1_S1_EviiT4_lPKT3_lilS7_lilPT5_i,"axG",@progbits,_ZL23rocblas_gemvt_sn_kernelILb0ELi256ELi4Ei19rocblas_complex_numIfEPKS1_S1_EviiT4_lPKT3_lilS7_lilPT5_i,comdat
	.globl	_ZL23rocblas_gemvt_sn_kernelILb0ELi256ELi4Ei19rocblas_complex_numIfEPKS1_S1_EviiT4_lPKT3_lilS7_lilPT5_i ; -- Begin function _ZL23rocblas_gemvt_sn_kernelILb0ELi256ELi4Ei19rocblas_complex_numIfEPKS1_S1_EviiT4_lPKT3_lilS7_lilPT5_i
	.p2align	8
	.type	_ZL23rocblas_gemvt_sn_kernelILb0ELi256ELi4Ei19rocblas_complex_numIfEPKS1_S1_EviiT4_lPKT3_lilS7_lilPT5_i,@function
_ZL23rocblas_gemvt_sn_kernelILb0ELi256ELi4Ei19rocblas_complex_numIfEPKS1_S1_EviiT4_lPKT3_lilS7_lilPT5_i: ; @_ZL23rocblas_gemvt_sn_kernelILb0ELi256ELi4Ei19rocblas_complex_numIfEPKS1_S1_EviiT4_lPKT3_lilS7_lilPT5_i
; %bb.0:
	s_add_u32 s0, s0, s8
	s_clause 0x1
	s_load_dwordx8 s[8:15], s[4:5], 0x8
	s_load_dwordx2 s[16:17], s[4:5], 0x0
	s_addc_u32 s1, s1, 0
	s_mov_b32 s19, 0
	v_cmp_eq_u32_e32 vcc_lo, 0, v0
	s_waitcnt lgkmcnt(0)
	s_mul_i32 s11, s11, s7
	s_mul_hi_u32 s18, s10, s7
	s_mul_i32 s10, s10, s7
	s_add_i32 s11, s18, s11
	s_load_dword s18, s[4:5], 0x68
	s_lshl_b64 s[10:11], s[10:11], 3
	s_mul_hi_u32 s22, s17, s7
	s_add_u32 s8, s8, s10
	s_addc_u32 s9, s9, s11
	s_load_dwordx2 s[20:21], s[8:9], 0x0
	s_load_dwordx4 s[8:11], s[4:5], 0x50
	s_ashr_i32 s28, s17, 31
	s_mul_i32 s24, s17, s7
	s_mul_i32 s23, s28, s7
	s_add_i32 s22, s22, s23
	s_waitcnt lgkmcnt(0)
	s_mul_hi_u32 s23, s24, s18
	s_mul_i32 s22, s22, s18
	s_add_i32 s23, s23, s22
	s_mul_i32 s22, s24, s18
	s_or_b32 s25, s20, s21
	s_mov_b32 s24, -1
	s_bitset0_b32 s25, 31
	s_cmp_lg_u32 s25, 0
	s_cbranch_scc1 .LBB118_5
; %bb.1:
	s_cmp_gt_i32 s17, 0
	s_cselect_b32 s24, -1, 0
	s_and_b32 s24, vcc_lo, s24
	s_and_saveexec_b32 s29, s24
	s_cbranch_execz .LBB118_4
; %bb.2:
	s_mov_b32 s24, s7
	s_mov_b32 s7, 0
	v_mov_b32_e32 v1, 0
	s_lshl_b64 s[26:27], s[22:23], 3
	s_lshl_b64 s[30:31], s[6:7], 3
	s_mov_b32 s7, s24
	s_add_u32 s24, s26, s30
	s_addc_u32 s25, s27, s31
	s_add_u32 s24, s10, s24
	v_mov_b32_e32 v2, v1
	s_addc_u32 s25, s11, s25
	s_add_u32 s24, s24, 4
	s_addc_u32 s25, s25, 0
	s_lshl_b64 s[26:27], s[18:19], 3
	s_mov_b32 s19, s17
.LBB118_3:                              ; =>This Inner Loop Header: Depth=1
	s_add_i32 s19, s19, -1
	global_store_dwordx2 v1, v[1:2], s[24:25] offset:-4
	s_add_u32 s24, s24, s26
	s_addc_u32 s25, s25, s27
	s_cmp_eq_u32 s19, 0
	s_cbranch_scc0 .LBB118_3
.LBB118_4:
	s_or_b32 exec_lo, exec_lo, s29
	s_mov_b32 s24, 0
.LBB118_5:
	s_andn2_b32 vcc_lo, exec_lo, s24
	s_cbranch_vccnz .LBB118_77
; %bb.6:
	s_clause 0x1
	s_load_dwordx4 s[24:27], s[4:5], 0x30
	s_load_dwordx2 s[30:31], s[4:5], 0x40
	s_mul_i32 s9, s9, s7
	s_mul_hi_u32 s19, s8, s7
	s_mul_i32 s8, s8, s7
	s_add_i32 s9, s19, s9
	s_clause 0x1
	s_load_dword s19, s[4:5], 0x48
	s_load_dword s37, s[4:5], 0x28
	s_lshl_b64 s[8:9], s[8:9], 3
	v_and_b32_e32 v26, 31, v0
	v_cmp_gt_u32_e64 s4, 32, v0
	v_mbcnt_lo_u32_b32 v27, -1, 0
	v_lshrrev_b32_e32 v28, 2, v0
	s_waitcnt lgkmcnt(0)
	s_add_u32 s26, s26, s8
	s_addc_u32 s27, s27, s9
	s_lshl_b64 s[8:9], s[30:31], 3
	s_mul_i32 s25, s25, s7
	s_add_u32 s33, s26, s8
	s_addc_u32 s36, s27, s9
	s_lshl_b64 s[8:9], s[22:23], 3
	s_mul_hi_u32 s29, s24, s7
	s_add_u32 s40, s10, s8
	s_mul_i32 s22, s24, s7
	s_addc_u32 s11, s11, s9
	s_add_i32 s23, s29, s25
	s_lshl_b64 s[22:23], s[22:23], 3
	s_add_u32 s5, s12, s22
	s_addc_u32 s7, s13, s23
	s_lshl_b64 s[14:15], s[14:15], 3
	s_add_u32 s8, s5, s14
	s_addc_u32 s7, s7, s15
	s_lshl_b32 s5, s6, 10
	s_ashr_i32 s9, s16, 31
	v_lshl_or_b32 v2, v0, 2, s5
	s_lshr_b32 s9, s9, 30
	s_lshr_b32 s10, s28, 30
	s_add_i32 s9, s16, s9
	s_add_i32 s10, s17, s10
	v_ashrrev_i32_e32 v3, 31, v2
	s_and_b32 s9, s9, -4
	v_mul_lo_u32 v1, s19, v2
	s_sub_i32 s38, s16, s9
	v_cmp_gt_u32_e64 s5, 8, v0
	v_lshlrev_b64 v[3:4], 3, v[2:3]
	v_add_nc_u32_e32 v29, 4, v2
	v_add_nc_u32_e32 v30, s38, v2
	s_and_b32 s41, s10, -4
	s_cmp_lt_i32 s41, 1
	v_add_co_u32 v24, vcc_lo, s8, v3
	v_add_co_ci_u32_e64 v25, null, s7, v4, vcc_lo
	s_cbranch_scc1 .LBB118_54
; %bb.7:
	v_cmp_gt_u32_e32 vcc_lo, 24, v27
	v_mul_lo_u32 v5, s19, v2
	s_cmp_gt_i32 s38, 0
	v_cmp_ge_i32_e64 s7, s16, v29
	s_cselect_b32 s42, -1, 0
	v_cndmask_b32_e64 v6, 0, 8, vcc_lo
	v_cmp_gt_u32_e32 vcc_lo, 28, v27
	s_lshl_b32 s43, s37, 2
	s_lshl_b32 s44, s37, 1
	s_add_u32 s24, s22, s14
	v_add_lshl_u32 v2, v6, v27, 2
	v_cndmask_b32_e64 v7, 0, 4, vcc_lo
	v_cmp_gt_u32_e32 vcc_lo, 30, v27
	v_ashrrev_i32_e32 v6, 31, v5
	s_addc_u32 s26, s23, s15
	s_add_u32 s24, s12, s24
	v_add_lshl_u32 v32, v7, v27, 2
	v_cndmask_b32_e64 v8, 0, 2, vcc_lo
	v_cmp_ne_u32_e32 vcc_lo, 31, v27
	v_add_nc_u32_e32 v7, s19, v5
	v_lshlrev_b64 v[11:12], 3, v[5:6]
	s_addc_u32 s26, s13, s26
	v_add_lshl_u32 v33, v8, v27, 2
	v_add_co_ci_u32_e64 v9, null, 0, v27, vcc_lo
	v_ashrrev_i32_e32 v8, 31, v7
	v_add_co_u32 v6, vcc_lo, s33, v11
	v_lshlrev_b32_e32 v34, 2, v9
	v_add_nc_u32_e32 v9, s19, v7
	v_lshlrev_b64 v[13:14], 3, v[7:8]
	v_add_co_ci_u32_e64 v7, null, s36, v12, vcc_lo
	v_cmp_ge_i32_e64 s8, s16, v30
	v_add_nc_u32_e32 v15, s19, v9
	v_ashrrev_i32_e32 v10, 31, v9
	v_add_co_u32 v8, vcc_lo, s33, v13
	v_lshl_or_b32 v31, v27, 2, 64
	v_ashrrev_i32_e32 v16, 31, v15
	v_lshlrev_b64 v[10:11], 3, v[9:10]
	v_add_co_ci_u32_e64 v9, null, s36, v14, vcc_lo
	v_cmp_eq_u32_e64 s9, 0, v26
	v_lshlrev_b64 v[12:13], 3, v[15:16]
	v_lshlrev_b32_e32 v35, 3, v26
	v_add_co_u32 v10, vcc_lo, s33, v10
	v_add_co_ci_u32_e64 v11, null, s36, v11, vcc_lo
	v_add_co_u32 v12, vcc_lo, s33, v12
	v_add_co_ci_u32_e64 v13, null, s36, v13, vcc_lo
	v_add_co_u32 v37, vcc_lo, s24, v3
	v_and_b32_e32 v36, 56, v28
	v_cmp_eq_u32_e64 s10, 0, v0
	v_add_co_ci_u32_e64 v38, null, s26, v4, vcc_lo
	v_mov_b32_e32 v14, 0
	s_mov_b32 s25, 0
	s_mul_i32 s45, s37, 3
	s_mov_b32 s26, s25
	s_mov_b32 s46, s37
	s_mov_b32 s39, 0
	s_branch .LBB118_9
.LBB118_8:                              ;   in Loop: Header=BB118_9 Depth=1
	s_or_b32 exec_lo, exec_lo, s27
	s_add_i32 s39, s39, 4
	s_add_i32 s46, s46, s43
	;; [unrolled: 1-line block ×5, first 2 shown]
	s_cmp_ge_i32 s39, s41
	s_cbranch_scc1 .LBB118_55
.LBB118_9:                              ; =>This Loop Header: Depth=1
                                        ;     Child Loop BB118_40 Depth 2
                                        ;     Child Loop BB118_42 Depth 2
                                        ; implicit-def: $vgpr17
                                        ; implicit-def: $vgpr39
                                        ; implicit-def: $vgpr18
                                        ; implicit-def: $vgpr19
                                        ; implicit-def: $vgpr20
                                        ; implicit-def: $vgpr21
                                        ; implicit-def: $vgpr23
                                        ; implicit-def: $vgpr22
	s_and_saveexec_b32 s24, s7
	s_xor_b32 s24, exec_lo, s24
	s_cbranch_execnz .LBB118_36
; %bb.10:                               ;   in Loop: Header=BB118_9 Depth=1
	s_andn2_saveexec_b32 s24, s24
	s_cbranch_execnz .LBB118_37
.LBB118_11:                             ;   in Loop: Header=BB118_9 Depth=1
	s_or_b32 exec_lo, exec_lo, s24
	s_and_saveexec_b32 s24, s4
.LBB118_12:                             ;   in Loop: Header=BB118_9 Depth=1
	v_mov_b32_e32 v15, v14
	ds_write_b64 v35, v[14:15]
.LBB118_13:                             ;   in Loop: Header=BB118_9 Depth=1
	s_or_b32 exec_lo, exec_lo, s24
	ds_bpermute_b32 v15, v31, v17
	ds_bpermute_b32 v16, v31, v39
	s_waitcnt lgkmcnt(0)
	s_waitcnt_vscnt null, 0x0
	s_barrier
	buffer_gl0_inv
	v_add_f32_e32 v15, v17, v15
	v_add_f32_e32 v16, v39, v16
	ds_bpermute_b32 v17, v2, v15
	ds_bpermute_b32 v39, v2, v16
	s_waitcnt lgkmcnt(1)
	v_add_f32_e32 v15, v15, v17
	s_waitcnt lgkmcnt(0)
	v_add_f32_e32 v16, v16, v39
	ds_bpermute_b32 v17, v32, v15
	ds_bpermute_b32 v39, v32, v16
	s_waitcnt lgkmcnt(1)
	v_add_f32_e32 v15, v15, v17
	s_waitcnt lgkmcnt(0)
	;; [unrolled: 6-line block ×3, first 2 shown]
	v_add_f32_e32 v16, v16, v39
	ds_bpermute_b32 v17, v34, v15
	ds_bpermute_b32 v39, v34, v16
	s_and_saveexec_b32 s24, s9
	s_cbranch_execz .LBB118_15
; %bb.14:                               ;   in Loop: Header=BB118_9 Depth=1
	s_waitcnt lgkmcnt(0)
	v_add_f32_e32 v16, v16, v39
	v_add_f32_e32 v15, v15, v17
	ds_write_b64 v36, v[15:16]
.LBB118_15:                             ;   in Loop: Header=BB118_9 Depth=1
	s_or_b32 exec_lo, exec_lo, s24
	s_waitcnt lgkmcnt(1)
	v_mov_b32_e32 v17, 0
	v_mov_b32_e32 v16, 0
	s_waitcnt lgkmcnt(0)
	s_barrier
	buffer_gl0_inv
	s_and_saveexec_b32 s24, s5
	s_cbranch_execnz .LBB118_43
; %bb.16:                               ;   in Loop: Header=BB118_9 Depth=1
	s_or_b32 exec_lo, exec_lo, s24
	s_and_saveexec_b32 s24, s4
	s_cbranch_execnz .LBB118_44
.LBB118_17:                             ;   in Loop: Header=BB118_9 Depth=1
	s_or_b32 exec_lo, exec_lo, s24
	s_and_saveexec_b32 s24, s4
.LBB118_18:                             ;   in Loop: Header=BB118_9 Depth=1
	v_mov_b32_e32 v15, v14
	ds_write_b64 v35, v[14:15]
.LBB118_19:                             ;   in Loop: Header=BB118_9 Depth=1
	s_or_b32 exec_lo, exec_lo, s24
	ds_bpermute_b32 v15, v31, v18
	ds_bpermute_b32 v39, v31, v19
	s_waitcnt lgkmcnt(0)
	s_barrier
	buffer_gl0_inv
	v_add_f32_e32 v15, v18, v15
	v_add_f32_e32 v18, v19, v39
	ds_bpermute_b32 v19, v2, v15
	ds_bpermute_b32 v39, v2, v18
	s_waitcnt lgkmcnt(1)
	v_add_f32_e32 v15, v15, v19
	s_waitcnt lgkmcnt(0)
	v_add_f32_e32 v18, v18, v39
	ds_bpermute_b32 v19, v32, v15
	ds_bpermute_b32 v39, v32, v18
	s_waitcnt lgkmcnt(1)
	v_add_f32_e32 v15, v15, v19
	s_waitcnt lgkmcnt(0)
	;; [unrolled: 6-line block ×3, first 2 shown]
	v_add_f32_e32 v18, v18, v39
	ds_bpermute_b32 v19, v34, v15
	ds_bpermute_b32 v39, v34, v18
	s_and_saveexec_b32 s24, s9
	s_cbranch_execz .LBB118_21
; %bb.20:                               ;   in Loop: Header=BB118_9 Depth=1
	s_waitcnt lgkmcnt(0)
	v_add_f32_e32 v40, v18, v39
	v_add_f32_e32 v39, v15, v19
	ds_write_b64 v36, v[39:40]
.LBB118_21:                             ;   in Loop: Header=BB118_9 Depth=1
	s_or_b32 exec_lo, exec_lo, s24
	s_waitcnt lgkmcnt(1)
	v_mov_b32_e32 v19, 0
	v_mov_b32_e32 v18, 0
	s_waitcnt lgkmcnt(0)
	s_barrier
	buffer_gl0_inv
	s_and_saveexec_b32 s24, s5
	s_cbranch_execnz .LBB118_45
; %bb.22:                               ;   in Loop: Header=BB118_9 Depth=1
	s_or_b32 exec_lo, exec_lo, s24
	s_and_saveexec_b32 s24, s4
	s_cbranch_execnz .LBB118_46
.LBB118_23:                             ;   in Loop: Header=BB118_9 Depth=1
	s_or_b32 exec_lo, exec_lo, s24
	s_and_saveexec_b32 s24, s4
.LBB118_24:                             ;   in Loop: Header=BB118_9 Depth=1
	v_mov_b32_e32 v15, v14
	ds_write_b64 v35, v[14:15]
.LBB118_25:                             ;   in Loop: Header=BB118_9 Depth=1
	s_or_b32 exec_lo, exec_lo, s24
	ds_bpermute_b32 v15, v31, v20
	ds_bpermute_b32 v39, v31, v21
	s_waitcnt lgkmcnt(0)
	s_barrier
	buffer_gl0_inv
	v_add_f32_e32 v15, v20, v15
	v_add_f32_e32 v20, v21, v39
	ds_bpermute_b32 v21, v2, v15
	ds_bpermute_b32 v39, v2, v20
	s_waitcnt lgkmcnt(1)
	v_add_f32_e32 v15, v15, v21
	s_waitcnt lgkmcnt(0)
	v_add_f32_e32 v20, v20, v39
	ds_bpermute_b32 v21, v32, v15
	ds_bpermute_b32 v39, v32, v20
	s_waitcnt lgkmcnt(1)
	v_add_f32_e32 v15, v15, v21
	s_waitcnt lgkmcnt(0)
	;; [unrolled: 6-line block ×3, first 2 shown]
	v_add_f32_e32 v20, v20, v39
	ds_bpermute_b32 v21, v34, v15
	ds_bpermute_b32 v39, v34, v20
	s_and_saveexec_b32 s24, s9
	s_cbranch_execz .LBB118_27
; %bb.26:                               ;   in Loop: Header=BB118_9 Depth=1
	s_waitcnt lgkmcnt(0)
	v_add_f32_e32 v40, v20, v39
	v_add_f32_e32 v39, v15, v21
	ds_write_b64 v36, v[39:40]
.LBB118_27:                             ;   in Loop: Header=BB118_9 Depth=1
	s_or_b32 exec_lo, exec_lo, s24
	s_waitcnt lgkmcnt(1)
	v_mov_b32_e32 v21, 0
	v_mov_b32_e32 v20, 0
	s_waitcnt lgkmcnt(0)
	s_barrier
	buffer_gl0_inv
	s_and_saveexec_b32 s24, s5
	s_cbranch_execnz .LBB118_47
; %bb.28:                               ;   in Loop: Header=BB118_9 Depth=1
	s_or_b32 exec_lo, exec_lo, s24
	s_and_saveexec_b32 s24, s4
	s_cbranch_execnz .LBB118_48
.LBB118_29:                             ;   in Loop: Header=BB118_9 Depth=1
	s_or_b32 exec_lo, exec_lo, s24
	s_and_saveexec_b32 s24, s4
.LBB118_30:                             ;   in Loop: Header=BB118_9 Depth=1
	v_mov_b32_e32 v15, v14
	ds_write_b64 v35, v[14:15]
.LBB118_31:                             ;   in Loop: Header=BB118_9 Depth=1
	s_or_b32 exec_lo, exec_lo, s24
	ds_bpermute_b32 v15, v31, v23
	ds_bpermute_b32 v39, v31, v22
	s_waitcnt lgkmcnt(0)
	s_barrier
	buffer_gl0_inv
	v_add_f32_e32 v15, v23, v15
	v_add_f32_e32 v22, v22, v39
	ds_bpermute_b32 v23, v2, v15
	ds_bpermute_b32 v39, v2, v22
	s_waitcnt lgkmcnt(1)
	v_add_f32_e32 v15, v15, v23
	s_waitcnt lgkmcnt(0)
	v_add_f32_e32 v22, v22, v39
	ds_bpermute_b32 v23, v32, v15
	ds_bpermute_b32 v39, v32, v22
	s_waitcnt lgkmcnt(1)
	v_add_f32_e32 v15, v15, v23
	s_waitcnt lgkmcnt(0)
	;; [unrolled: 6-line block ×3, first 2 shown]
	v_add_f32_e32 v22, v22, v39
	ds_bpermute_b32 v23, v34, v15
	ds_bpermute_b32 v39, v34, v22
	s_and_saveexec_b32 s24, s9
	s_cbranch_execz .LBB118_33
; %bb.32:                               ;   in Loop: Header=BB118_9 Depth=1
	s_waitcnt lgkmcnt(0)
	v_add_f32_e32 v40, v22, v39
	v_add_f32_e32 v39, v15, v23
	ds_write_b64 v36, v[39:40]
.LBB118_33:                             ;   in Loop: Header=BB118_9 Depth=1
	s_or_b32 exec_lo, exec_lo, s24
	s_waitcnt lgkmcnt(1)
	v_mov_b32_e32 v23, 0
	v_mov_b32_e32 v22, 0
	s_waitcnt lgkmcnt(0)
	s_barrier
	buffer_gl0_inv
	s_and_saveexec_b32 s24, s5
	s_cbranch_execnz .LBB118_49
; %bb.34:                               ;   in Loop: Header=BB118_9 Depth=1
	s_or_b32 exec_lo, exec_lo, s24
	s_and_saveexec_b32 s24, s4
	s_cbranch_execnz .LBB118_50
.LBB118_35:                             ;   in Loop: Header=BB118_9 Depth=1
	s_or_b32 exec_lo, exec_lo, s24
	s_and_saveexec_b32 s27, s10
	s_cbranch_execz .LBB118_8
	s_branch .LBB118_51
.LBB118_36:                             ;   in Loop: Header=BB118_9 Depth=1
	s_mul_i32 s28, s39, s37
	s_clause 0x1
	global_load_dwordx2 v[63:64], v[6:7], off
	global_load_dwordx2 v[65:66], v[8:9], off
	s_ashr_i32 s29, s28, 31
	s_lshl_b64 s[30:31], s[28:29], 3
	s_add_i32 s28, s28, s37
	v_add_co_u32 v19, vcc_lo, v24, s30
	s_ashr_i32 s29, s28, 31
	v_add_co_ci_u32_e64 v20, null, s31, v25, vcc_lo
	s_lshl_b64 s[30:31], s[28:29], 3
	s_add_i32 s28, s28, s37
	v_add_co_u32 v43, vcc_lo, v24, s30
	s_ashr_i32 s29, s28, 31
	v_add_co_ci_u32_e64 v44, null, s31, v25, vcc_lo
	;; [unrolled: 5-line block ×3, first 2 shown]
	s_lshl_b64 s[28:29], s[28:29], 3
	global_load_dwordx4 v[15:18], v[19:20], off offset:16
	s_waitcnt lgkmcnt(0)
	global_load_dwordx4 v[19:22], v[19:20], off
	v_add_co_u32 v59, vcc_lo, v24, s28
	s_clause 0x1
	global_load_dwordx2 v[67:68], v[10:11], off
	global_load_dwordx2 v[69:70], v[12:13], off
	v_add_co_ci_u32_e64 v60, null, s29, v25, vcc_lo
	s_clause 0x5
	global_load_dwordx4 v[39:42], v[43:44], off
	global_load_dwordx4 v[43:46], v[43:44], off offset:16
	global_load_dwordx4 v[47:50], v[51:52], off
	global_load_dwordx4 v[51:54], v[51:52], off offset:16
	;; [unrolled: 2-line block ×3, first 2 shown]
	s_waitcnt vmcnt(11)
	buffer_store_dword v64, off, s[0:3], 0 offset:4
	buffer_store_dword v63, off, s[0:3], 0
	s_waitcnt vmcnt(10)
	buffer_store_dword v66, off, s[0:3], 0 offset:12
	buffer_store_dword v65, off, s[0:3], 0 offset:8
	s_waitcnt vmcnt(7)
	buffer_store_dword v68, off, s[0:3], 0 offset:20
	buffer_store_dword v67, off, s[0:3], 0 offset:16
	;; [unrolled: 3-line block ×3, first 2 shown]
	v_mul_f32_e32 v23, v64, v20
	v_mul_f32_e32 v20, v63, v20
	;; [unrolled: 1-line block ×8, first 2 shown]
	s_waitcnt vmcnt(5)
	v_mul_f32_e32 v74, v64, v40
	v_mul_f32_e32 v40, v63, v40
	;; [unrolled: 1-line block ×4, first 2 shown]
	s_waitcnt vmcnt(4)
	v_mul_f32_e32 v76, v68, v44
	v_mul_f32_e32 v44, v67, v44
	;; [unrolled: 1-line block ×4, first 2 shown]
	s_waitcnt vmcnt(3)
	v_mul_f32_e32 v78, v64, v48
	v_mul_f32_e32 v48, v63, v48
	v_fma_f32 v23, v63, v19, -v23
	v_fmac_f32_e32 v20, v64, v19
	v_fma_f32 v19, v65, v21, -v71
	v_fmac_f32_e32 v22, v66, v21
	;; [unrolled: 2-line block ×4, first 2 shown]
	s_waitcnt vmcnt(1)
	v_mul_f32_e32 v17, v64, v56
	v_mul_f32_e32 v56, v63, v56
	;; [unrolled: 1-line block ×10, first 2 shown]
	s_waitcnt vmcnt(0)
	v_mul_f32_e32 v72, v68, v60
	v_mul_f32_e32 v60, v67, v60
	v_fma_f32 v74, v63, v39, -v74
	v_fmac_f32_e32 v40, v64, v39
	v_fma_f32 v39, v65, v41, -v75
	v_fmac_f32_e32 v42, v66, v41
	;; [unrolled: 2-line block ×5, first 2 shown]
	v_add_f32_e32 v23, 0, v23
	v_add_f32_e32 v20, 0, v20
	v_fma_f32 v17, v63, v55, -v17
	v_fmac_f32_e32 v56, v64, v55
	v_fma_f32 v47, v65, v49, -v79
	v_fmac_f32_e32 v50, v66, v49
	;; [unrolled: 2-line block ×6, first 2 shown]
	v_add_f32_e32 v59, 0, v74
	v_add_f32_e32 v40, 0, v40
	;; [unrolled: 1-line block ×8, first 2 shown]
	v_mul_f32_e32 v73, v70, v62
	v_mul_f32_e32 v62, v69, v62
	v_add_f32_e32 v23, v59, v39
	v_add_f32_e32 v39, v40, v42
	;; [unrolled: 1-line block ×8, first 2 shown]
	v_fma_f32 v57, v69, v61, -v73
	v_fmac_f32_e32 v62, v70, v61
	v_add_f32_e32 v22, v23, v41
	v_add_f32_e32 v23, v39, v44
	;; [unrolled: 1-line block ×14, first 2 shown]
	s_andn2_saveexec_b32 s24, s24
	s_cbranch_execz .LBB118_11
.LBB118_37:                             ;   in Loop: Header=BB118_9 Depth=1
	v_mov_b32_e32 v17, 0
	v_mov_b32_e32 v39, 0
	;; [unrolled: 1-line block ×6, first 2 shown]
	s_waitcnt lgkmcnt(0)
	v_mov_b32_e32 v23, 0
	v_mov_b32_e32 v22, 0
	s_and_saveexec_b32 s47, s8
	s_cbranch_execz .LBB118_53
; %bb.38:                               ;   in Loop: Header=BB118_9 Depth=1
	s_andn2_b32 vcc_lo, exec_lo, s42
	s_cbranch_vccnz .LBB118_52
; %bb.39:                               ;   in Loop: Header=BB118_9 Depth=1
	v_mov_b32_e32 v15, v5
	s_mov_b32 s27, 0
	s_mov_b32 s28, s38
	.p2align	6
.LBB118_40:                             ;   Parent Loop BB118_9 Depth=1
                                        ; =>  This Inner Loop Header: Depth=2
	v_ashrrev_i32_e32 v16, 31, v15
	v_mov_b32_e32 v18, s27
	s_add_i32 s28, s28, -1
	s_add_i32 s27, s27, 8
	s_cmp_eq_u32 s28, 0
	v_lshlrev_b64 v[16:17], 3, v[15:16]
	v_add_nc_u32_e32 v15, s19, v15
	v_add_co_u32 v16, vcc_lo, s33, v16
	v_add_co_ci_u32_e64 v17, null, s36, v17, vcc_lo
	global_load_dwordx2 v[16:17], v[16:17], off
	s_waitcnt vmcnt(0)
	buffer_store_dword v17, v18, s[0:3], 0 offen offset:4
	buffer_store_dword v16, v18, s[0:3], 0 offen
	s_cbranch_scc0 .LBB118_40
; %bb.41:                               ;   in Loop: Header=BB118_9 Depth=1
	s_ashr_i32 s27, s26, 31
	v_mov_b32_e32 v22, 0
	s_lshl_b64 s[28:29], s[26:27], 3
	v_mov_b32_e32 v23, 0
	v_add_co_u32 v15, vcc_lo, v37, s28
	v_add_co_ci_u32_e64 v16, null, s29, v38, vcc_lo
	v_mov_b32_e32 v21, 0
	v_mov_b32_e32 v20, 0
	;; [unrolled: 1-line block ×6, first 2 shown]
	s_mov_b32 s27, 0
	s_mov_b32 s28, s45
	;; [unrolled: 1-line block ×5, first 2 shown]
.LBB118_42:                             ;   Parent Loop BB118_9 Depth=1
                                        ; =>  This Inner Loop Header: Depth=2
	s_ashr_i32 s35, s34, 31
	s_ashr_i32 s31, s30, 31
	s_lshl_b64 s[50:51], s[34:35], 3
	s_ashr_i32 s29, s28, 31
	s_lshl_b64 s[52:53], s[30:31], 3
	v_add_co_u32 v42, vcc_lo, v24, s50
	s_lshl_b64 s[54:55], s[28:29], 3
	v_add_co_ci_u32_e64 v43, null, s51, v25, vcc_lo
	v_add_co_u32 v44, vcc_lo, v24, s52
	v_mov_b32_e32 v48, s27
	v_add_co_ci_u32_e64 v45, null, s53, v25, vcc_lo
	v_add_co_u32 v46, vcc_lo, v24, s54
	v_add_co_ci_u32_e64 v47, null, s55, v25, vcc_lo
	global_load_dwordx2 v[40:41], v[15:16], off
	s_clause 0x1
	buffer_load_dword v49, v48, s[0:3], 0 offen offset:4
	buffer_load_dword v48, v48, s[0:3], 0 offen
	s_clause 0x2
	global_load_dwordx2 v[42:43], v[42:43], off
	global_load_dwordx2 v[44:45], v[44:45], off
	;; [unrolled: 1-line block ×3, first 2 shown]
	v_add_co_u32 v15, vcc_lo, v15, 8
	v_add_co_ci_u32_e64 v16, null, 0, v16, vcc_lo
	s_add_i32 s48, s48, -1
	s_add_i32 s27, s27, 8
	s_add_i32 s34, s34, 1
	;; [unrolled: 1-line block ×4, first 2 shown]
	s_cmp_lg_u32 s48, 0
	s_waitcnt vmcnt(4)
	v_mul_f32_e32 v50, v49, v41
	s_waitcnt vmcnt(3)
	v_mul_f32_e32 v41, v48, v41
	;; [unrolled: 2-line block ×3, first 2 shown]
	v_mul_f32_e32 v43, v48, v43
	s_waitcnt vmcnt(1)
	v_mul_f32_e32 v52, v49, v45
	v_mul_f32_e32 v45, v48, v45
	s_waitcnt vmcnt(0)
	v_mul_f32_e32 v53, v49, v47
	v_mul_f32_e32 v47, v48, v47
	v_fma_f32 v50, v48, v40, -v50
	v_fmac_f32_e32 v41, v49, v40
	v_fma_f32 v40, v48, v42, -v51
	v_fmac_f32_e32 v43, v49, v42
	;; [unrolled: 2-line block ×4, first 2 shown]
	v_add_f32_e32 v17, v17, v50
	v_add_f32_e32 v39, v39, v41
	;; [unrolled: 1-line block ×8, first 2 shown]
	s_cbranch_scc1 .LBB118_42
	s_branch .LBB118_53
.LBB118_43:                             ;   in Loop: Header=BB118_9 Depth=1
	ds_read_b64 v[16:17], v35
	s_or_b32 exec_lo, exec_lo, s24
	s_and_saveexec_b32 s24, s4
	s_cbranch_execz .LBB118_17
.LBB118_44:                             ;   in Loop: Header=BB118_9 Depth=1
	s_waitcnt lgkmcnt(0)
	ds_bpermute_b32 v15, v32, v16
	ds_bpermute_b32 v39, v32, v17
	s_waitcnt lgkmcnt(1)
	v_add_f32_e32 v15, v16, v15
	s_waitcnt lgkmcnt(0)
	v_add_f32_e32 v16, v17, v39
	ds_bpermute_b32 v17, v33, v15
	ds_bpermute_b32 v39, v33, v16
	s_waitcnt lgkmcnt(1)
	v_add_f32_e32 v15, v15, v17
	s_waitcnt lgkmcnt(0)
	v_add_f32_e32 v17, v16, v39
	;; [unrolled: 6-line block ×3, first 2 shown]
	s_or_b32 exec_lo, exec_lo, s24
	s_and_saveexec_b32 s24, s4
	s_cbranch_execnz .LBB118_18
	s_branch .LBB118_19
.LBB118_45:                             ;   in Loop: Header=BB118_9 Depth=1
	ds_read_b64 v[18:19], v35
	s_or_b32 exec_lo, exec_lo, s24
	s_and_saveexec_b32 s24, s4
	s_cbranch_execz .LBB118_23
.LBB118_46:                             ;   in Loop: Header=BB118_9 Depth=1
	s_waitcnt lgkmcnt(0)
	ds_bpermute_b32 v15, v32, v18
	ds_bpermute_b32 v39, v32, v19
	s_waitcnt lgkmcnt(1)
	v_add_f32_e32 v15, v18, v15
	s_waitcnt lgkmcnt(0)
	v_add_f32_e32 v18, v19, v39
	ds_bpermute_b32 v19, v33, v15
	ds_bpermute_b32 v39, v33, v18
	s_waitcnt lgkmcnt(1)
	v_add_f32_e32 v15, v15, v19
	s_waitcnt lgkmcnt(0)
	v_add_f32_e32 v19, v18, v39
	;; [unrolled: 6-line block ×3, first 2 shown]
	s_or_b32 exec_lo, exec_lo, s24
	s_and_saveexec_b32 s24, s4
	s_cbranch_execnz .LBB118_24
	s_branch .LBB118_25
.LBB118_47:                             ;   in Loop: Header=BB118_9 Depth=1
	ds_read_b64 v[20:21], v35
	s_or_b32 exec_lo, exec_lo, s24
	s_and_saveexec_b32 s24, s4
	s_cbranch_execz .LBB118_29
.LBB118_48:                             ;   in Loop: Header=BB118_9 Depth=1
	s_waitcnt lgkmcnt(0)
	ds_bpermute_b32 v15, v32, v20
	ds_bpermute_b32 v39, v32, v21
	s_waitcnt lgkmcnt(1)
	v_add_f32_e32 v15, v20, v15
	s_waitcnt lgkmcnt(0)
	v_add_f32_e32 v20, v21, v39
	ds_bpermute_b32 v21, v33, v15
	ds_bpermute_b32 v39, v33, v20
	s_waitcnt lgkmcnt(1)
	v_add_f32_e32 v15, v15, v21
	s_waitcnt lgkmcnt(0)
	v_add_f32_e32 v21, v20, v39
	;; [unrolled: 6-line block ×3, first 2 shown]
	s_or_b32 exec_lo, exec_lo, s24
	s_and_saveexec_b32 s24, s4
	s_cbranch_execnz .LBB118_30
	s_branch .LBB118_31
.LBB118_49:                             ;   in Loop: Header=BB118_9 Depth=1
	ds_read_b64 v[22:23], v35
	s_or_b32 exec_lo, exec_lo, s24
	s_and_saveexec_b32 s24, s4
	s_cbranch_execz .LBB118_35
.LBB118_50:                             ;   in Loop: Header=BB118_9 Depth=1
	s_waitcnt lgkmcnt(0)
	ds_bpermute_b32 v15, v32, v22
	ds_bpermute_b32 v39, v32, v23
	s_waitcnt lgkmcnt(1)
	v_add_f32_e32 v15, v22, v15
	s_waitcnt lgkmcnt(0)
	v_add_f32_e32 v22, v23, v39
	ds_bpermute_b32 v23, v33, v15
	ds_bpermute_b32 v39, v33, v22
	s_waitcnt lgkmcnt(1)
	v_add_f32_e32 v15, v15, v23
	s_waitcnt lgkmcnt(0)
	v_add_f32_e32 v23, v22, v39
	;; [unrolled: 6-line block ×3, first 2 shown]
	s_or_b32 exec_lo, exec_lo, s24
	s_and_saveexec_b32 s27, s10
	s_cbranch_execz .LBB118_8
.LBB118_51:                             ;   in Loop: Header=BB118_9 Depth=1
	v_mul_f32_e32 v15, s21, v17
	v_mul_f32_e32 v40, s20, v17
	s_mul_i32 s24, s39, s18
	v_mul_f32_e32 v17, s21, v21
	s_add_i32 s24, s24, s6
	v_fma_f32 v39, v16, s20, -v15
	s_lshl_b64 s[28:29], s[24:25], 3
	v_fmac_f32_e32 v40, s21, v16
	s_add_u32 s28, s40, s28
	s_addc_u32 s29, s11, s29
	s_add_i32 s24, s24, s18
	v_mul_f32_e32 v15, s21, v19
	global_store_dwordx2 v14, v[39:40], s[28:29]
	v_mul_f32_e32 v16, s20, v19
	s_lshl_b64 s[28:29], s[24:25], 3
	v_mul_f32_e32 v19, s20, v21
	s_add_u32 s28, s40, s28
	s_addc_u32 s29, s11, s29
	s_add_i32 s24, s24, s18
	v_fma_f32 v15, v18, s20, -v15
	v_fmac_f32_e32 v16, s21, v18
	v_fma_f32 v18, v20, s20, -v17
	s_waitcnt lgkmcnt(0)
	v_mul_f32_e32 v17, s21, v23
	s_lshl_b64 s[30:31], s[24:25], 3
	v_mul_f32_e32 v21, s20, v23
	s_add_u32 s30, s40, s30
	s_addc_u32 s31, s11, s31
	s_add_i32 s24, s24, s18
	v_fmac_f32_e32 v19, s21, v20
	v_fma_f32 v20, v22, s20, -v17
	v_fmac_f32_e32 v21, s21, v22
	s_lshl_b64 s[34:35], s[24:25], 3
	global_store_dwordx2 v14, v[15:16], s[28:29]
	s_add_u32 s28, s40, s34
	s_addc_u32 s29, s11, s35
	global_store_dwordx2 v14, v[18:19], s[30:31]
	global_store_dwordx2 v14, v[20:21], s[28:29]
	s_branch .LBB118_8
.LBB118_52:                             ;   in Loop: Header=BB118_9 Depth=1
	v_mov_b32_e32 v17, 0
	v_mov_b32_e32 v39, 0
	;; [unrolled: 1-line block ×8, first 2 shown]
.LBB118_53:                             ;   in Loop: Header=BB118_9 Depth=1
	s_or_b32 exec_lo, exec_lo, s47
	s_or_b32 exec_lo, exec_lo, s24
	s_and_saveexec_b32 s24, s4
	s_cbranch_execnz .LBB118_12
	s_branch .LBB118_13
.LBB118_54:
	s_mov_b32 s39, 0
.LBB118_55:
	s_cmp_ge_i32 s39, s17
	s_cbranch_scc1 .LBB118_77
; %bb.56:
	v_cmp_gt_u32_e64 s5, 24, v27
	s_cmp_gt_i32 s38, 0
	s_mov_b32 s7, 0
	s_cselect_b32 s26, -1, 0
	s_lshl_b64 s[24:25], s[6:7], 3
	v_cndmask_b32_e64 v2, 0, 8, s5
	v_cmp_gt_u32_e64 s5, 28, v27
	v_cmp_ge_i32_e64 s10, s16, v30
	s_add_u32 s7, s40, s24
	v_cmp_ge_i32_e32 vcc_lo, s16, v29
	v_add_lshl_u32 v15, v2, v27, 2
	v_cndmask_b32_e64 v5, 0, 4, s5
	v_cmp_gt_u32_e64 s5, 30, v27
	v_ashrrev_i32_e32 v2, 31, v1
	s_addc_u32 s16, s11, s25
	s_and_b32 s24, s26, s10
	v_add_lshl_u32 v16, v5, v27, 2
	v_cndmask_b32_e64 v6, 0, 2, s5
	v_cmp_ne_u32_e64 s5, 31, v27
	v_add_nc_u32_e32 v5, s19, v1
	v_lshlrev_b64 v[9:10], 3, v[1:2]
	v_cmp_gt_u32_e64 s4, 32, v0
	v_add_lshl_u32 v17, v6, v27, 2
	v_add_co_ci_u32_e64 v7, null, 0, v27, s5
	v_ashrrev_i32_e32 v6, 31, v5
	v_cmp_gt_u32_e64 s8, 8, v0
	v_cmp_eq_u32_e64 s9, 0, v0
	v_lshlrev_b32_e32 v18, 2, v7
	v_add_nc_u32_e32 v7, s19, v5
	v_lshlrev_b64 v[11:12], 3, v[5:6]
	v_add_co_u32 v5, s6, s33, v9
	v_add_co_ci_u32_e64 v6, null, s36, v10, s6
	v_add_nc_u32_e32 v20, s19, v7
	v_ashrrev_i32_e32 v8, 31, v7
	v_lshlrev_b32_e32 v13, 3, v26
	v_lshl_or_b32 v14, v27, 2, 64
	v_cmp_eq_u32_e64 s5, 0, v26
	v_ashrrev_i32_e32 v21, 31, v20
	v_lshlrev_b64 v[9:10], 3, v[7:8]
	v_add_co_u32 v7, s6, s33, v11
	v_add_co_ci_u32_e64 v8, null, s36, v12, s6
	v_lshlrev_b64 v[11:12], 3, v[20:21]
	v_add_co_u32 v9, s6, s33, v9
	v_add_co_ci_u32_e64 v10, null, s36, v10, s6
	v_and_b32_e32 v19, 56, v28
	v_add_co_u32 v11, s6, s33, v11
	v_add_co_ci_u32_e64 v12, null, s36, v12, s6
	s_add_u32 s6, s22, s14
	s_addc_u32 s10, s23, s15
	s_add_u32 s6, s12, s6
	s_addc_u32 s10, s13, s10
	v_add_co_u32 v0, s6, s6, v3
	v_add_co_ci_u32_e64 v20, null, s10, v4, s6
	v_mov_b32_e32 v2, 0
	s_mul_i32 s10, s39, s37
	s_branch .LBB118_58
.LBB118_57:                             ;   in Loop: Header=BB118_58 Depth=1
	s_or_b32 exec_lo, exec_lo, s6
	s_add_i32 s39, s39, 1
	s_add_i32 s10, s10, s37
	s_cmp_lt_i32 s39, s17
	s_cbranch_scc0 .LBB118_77
.LBB118_58:                             ; =>This Loop Header: Depth=1
                                        ;     Child Loop BB118_70 Depth 2
                                        ;     Child Loop BB118_72 Depth 2
                                        ; implicit-def: $vgpr21
                                        ; implicit-def: $vgpr22
	s_and_saveexec_b32 s6, vcc_lo
	s_xor_b32 s11, exec_lo, s6
	s_cbranch_execnz .LBB118_67
; %bb.59:                               ;   in Loop: Header=BB118_58 Depth=1
	s_andn2_saveexec_b32 s12, s11
	s_cbranch_execnz .LBB118_68
.LBB118_60:                             ;   in Loop: Header=BB118_58 Depth=1
	s_or_b32 exec_lo, exec_lo, s12
	s_and_saveexec_b32 s6, s4
	s_cbranch_execz .LBB118_62
.LBB118_61:                             ;   in Loop: Header=BB118_58 Depth=1
	s_waitcnt lgkmcnt(0)
	v_mov_b32_e32 v3, v2
	ds_write_b64 v13, v[2:3]
.LBB118_62:                             ;   in Loop: Header=BB118_58 Depth=1
	s_or_b32 exec_lo, exec_lo, s6
	s_waitcnt lgkmcnt(0)
	ds_bpermute_b32 v3, v14, v21
	s_waitcnt lgkmcnt(1)
	ds_bpermute_b32 v4, v14, v22
	s_waitcnt lgkmcnt(0)
	s_waitcnt_vscnt null, 0x0
	s_barrier
	buffer_gl0_inv
	v_add_f32_e32 v3, v21, v3
	v_add_f32_e32 v4, v22, v4
	ds_bpermute_b32 v21, v15, v3
	ds_bpermute_b32 v22, v15, v4
	s_waitcnt lgkmcnt(1)
	v_add_f32_e32 v3, v3, v21
	s_waitcnt lgkmcnt(0)
	v_add_f32_e32 v4, v4, v22
	ds_bpermute_b32 v21, v16, v3
	ds_bpermute_b32 v22, v16, v4
	s_waitcnt lgkmcnt(1)
	v_add_f32_e32 v3, v3, v21
	s_waitcnt lgkmcnt(0)
	;; [unrolled: 6-line block ×3, first 2 shown]
	v_add_f32_e32 v4, v4, v22
	ds_bpermute_b32 v21, v18, v3
	ds_bpermute_b32 v22, v18, v4
	s_and_saveexec_b32 s6, s5
	s_cbranch_execz .LBB118_64
; %bb.63:                               ;   in Loop: Header=BB118_58 Depth=1
	s_waitcnt lgkmcnt(0)
	v_add_f32_e32 v4, v4, v22
	v_add_f32_e32 v3, v3, v21
	ds_write_b64 v19, v[3:4]
.LBB118_64:                             ;   in Loop: Header=BB118_58 Depth=1
	s_or_b32 exec_lo, exec_lo, s6
	v_mov_b32_e32 v4, 0
	v_mov_b32_e32 v3, 0
	s_waitcnt lgkmcnt(0)
	s_barrier
	buffer_gl0_inv
	s_and_saveexec_b32 s6, s8
	s_cbranch_execnz .LBB118_74
; %bb.65:                               ;   in Loop: Header=BB118_58 Depth=1
	s_or_b32 exec_lo, exec_lo, s6
	s_and_saveexec_b32 s6, s4
	s_cbranch_execnz .LBB118_75
.LBB118_66:                             ;   in Loop: Header=BB118_58 Depth=1
	s_or_b32 exec_lo, exec_lo, s6
	s_and_saveexec_b32 s6, s9
	s_cbranch_execz .LBB118_57
	s_branch .LBB118_76
.LBB118_67:                             ;   in Loop: Header=BB118_58 Depth=1
	s_mul_i32 s12, s39, s37
	s_ashr_i32 s13, s12, 31
	s_lshl_b64 s[12:13], s[12:13], 3
	s_waitcnt lgkmcnt(0)
	v_add_co_u32 v3, s6, v24, s12
	v_add_co_ci_u32_e64 v4, null, s13, v25, s6
	global_load_dwordx4 v[26:29], v[3:4], off
	s_waitcnt lgkmcnt(0)
	s_clause 0x1
	global_load_dwordx2 v[21:22], v[5:6], off
	global_load_dwordx2 v[34:35], v[7:8], off
	global_load_dwordx4 v[30:33], v[3:4], off offset:16
	s_clause 0x1
	global_load_dwordx2 v[3:4], v[9:10], off
	global_load_dwordx2 v[36:37], v[11:12], off
	s_waitcnt vmcnt(4)
	v_mul_f32_e32 v23, v22, v27
	v_mul_f32_e32 v27, v21, v27
	s_waitcnt vmcnt(3)
	v_mul_f32_e32 v38, v35, v29
	v_mul_f32_e32 v29, v34, v29
	s_waitcnt vmcnt(1)
	v_mul_f32_e32 v39, v4, v31
	v_fma_f32 v23, v21, v26, -v23
	v_fmac_f32_e32 v27, v22, v26
	v_mul_f32_e32 v31, v3, v31
	v_fma_f32 v38, v34, v28, -v38
	v_fmac_f32_e32 v29, v35, v28
	v_add_f32_e32 v23, 0, v23
	v_add_f32_e32 v27, 0, v27
	s_waitcnt vmcnt(0)
	v_mul_f32_e32 v26, v37, v33
	v_mul_f32_e32 v28, v36, v33
	v_fma_f32 v33, v3, v30, -v39
	v_fmac_f32_e32 v31, v4, v30
	v_add_f32_e32 v23, v23, v38
	v_add_f32_e32 v27, v27, v29
	buffer_store_dword v22, off, s[0:3], 0 offset:4
	v_fma_f32 v22, v36, v32, -v26
	v_fmac_f32_e32 v28, v37, v32
	v_add_f32_e32 v23, v23, v33
	v_add_f32_e32 v26, v27, v31
	buffer_store_dword v21, off, s[0:3], 0
	buffer_store_dword v35, off, s[0:3], 0 offset:12
	buffer_store_dword v34, off, s[0:3], 0 offset:8
	;; [unrolled: 1-line block ×6, first 2 shown]
	v_add_f32_e32 v21, v23, v22
	v_add_f32_e32 v22, v26, v28
	s_andn2_saveexec_b32 s12, s11
	s_cbranch_execz .LBB118_60
.LBB118_68:                             ;   in Loop: Header=BB118_58 Depth=1
	v_mov_b32_e32 v21, 0
	s_waitcnt lgkmcnt(0)
	v_mov_b32_e32 v22, 0
	s_and_saveexec_b32 s13, s24
	s_cbranch_execz .LBB118_73
; %bb.69:                               ;   in Loop: Header=BB118_58 Depth=1
	v_mov_b32_e32 v3, v1
	s_mov_b32 s11, 0
	s_mov_b32 s14, s38
	.p2align	6
.LBB118_70:                             ;   Parent Loop BB118_58 Depth=1
                                        ; =>  This Inner Loop Header: Depth=2
	v_ashrrev_i32_e32 v4, 31, v3
	s_add_i32 s14, s14, -1
	v_lshlrev_b64 v[21:22], 3, v[3:4]
	v_mov_b32_e32 v4, s11
	v_add_nc_u32_e32 v3, s19, v3
	s_add_i32 s11, s11, 8
	s_cmp_eq_u32 s14, 0
	v_add_co_u32 v21, s6, s33, v21
	v_add_co_ci_u32_e64 v22, null, s36, v22, s6
	global_load_dwordx2 v[21:22], v[21:22], off
	s_waitcnt vmcnt(0)
	buffer_store_dword v22, v4, s[0:3], 0 offen offset:4
	buffer_store_dword v21, v4, s[0:3], 0 offen
	s_cbranch_scc0 .LBB118_70
; %bb.71:                               ;   in Loop: Header=BB118_58 Depth=1
	s_ashr_i32 s11, s10, 31
	v_mov_b32_e32 v21, 0
	s_lshl_b64 s[14:15], s[10:11], 3
	v_mov_b32_e32 v22, 0
	v_add_co_u32 v3, s6, v0, s14
	v_add_co_ci_u32_e64 v4, null, s15, v20, s6
	s_mov_b32 s11, 0
	s_mov_b32 s14, s38
	.p2align	6
.LBB118_72:                             ;   Parent Loop BB118_58 Depth=1
                                        ; =>  This Inner Loop Header: Depth=2
	v_mov_b32_e32 v23, s11
	global_load_dwordx2 v[26:27], v[3:4], off
	v_add_co_u32 v3, s6, v3, 8
	v_add_co_ci_u32_e64 v4, null, 0, v4, s6
	s_clause 0x1
	buffer_load_dword v28, v23, s[0:3], 0 offen offset:4
	buffer_load_dword v23, v23, s[0:3], 0 offen
	s_add_i32 s14, s14, -1
	s_add_i32 s11, s11, 8
	s_cmp_lg_u32 s14, 0
	s_waitcnt vmcnt(1)
	v_mul_f32_e32 v29, v28, v27
	s_waitcnt vmcnt(0)
	v_mul_f32_e32 v27, v23, v27
	v_fma_f32 v23, v23, v26, -v29
	v_fmac_f32_e32 v27, v28, v26
	v_add_f32_e32 v21, v21, v23
	v_add_f32_e32 v22, v22, v27
	s_cbranch_scc1 .LBB118_72
.LBB118_73:                             ;   in Loop: Header=BB118_58 Depth=1
	s_or_b32 exec_lo, exec_lo, s13
	s_or_b32 exec_lo, exec_lo, s12
	s_and_saveexec_b32 s6, s4
	s_cbranch_execnz .LBB118_61
	s_branch .LBB118_62
.LBB118_74:                             ;   in Loop: Header=BB118_58 Depth=1
	ds_read_b64 v[3:4], v13
	s_or_b32 exec_lo, exec_lo, s6
	s_and_saveexec_b32 s6, s4
	s_cbranch_execz .LBB118_66
.LBB118_75:                             ;   in Loop: Header=BB118_58 Depth=1
	s_waitcnt lgkmcnt(0)
	ds_bpermute_b32 v21, v16, v3
	ds_bpermute_b32 v22, v16, v4
	s_waitcnt lgkmcnt(1)
	v_add_f32_e32 v3, v3, v21
	s_waitcnt lgkmcnt(0)
	v_add_f32_e32 v4, v4, v22
	ds_bpermute_b32 v21, v17, v3
	ds_bpermute_b32 v22, v17, v4
	s_waitcnt lgkmcnt(1)
	v_add_f32_e32 v3, v3, v21
	s_waitcnt lgkmcnt(0)
	v_add_f32_e32 v4, v4, v22
	;; [unrolled: 6-line block ×3, first 2 shown]
	s_or_b32 exec_lo, exec_lo, s6
	s_and_saveexec_b32 s6, s9
	s_cbranch_execz .LBB118_57
.LBB118_76:                             ;   in Loop: Header=BB118_58 Depth=1
	s_waitcnt lgkmcnt(0)
	v_mul_f32_e32 v21, s21, v4
	v_mul_f32_e32 v22, s20, v4
	s_mul_hi_u32 s13, s39, s18
	s_mul_i32 s12, s39, s18
	s_lshl_b64 s[12:13], s[12:13], 3
	v_fma_f32 v21, v3, s20, -v21
	v_fmac_f32_e32 v22, s21, v3
	s_add_u32 s12, s7, s12
	s_addc_u32 s13, s16, s13
	global_store_dwordx2 v2, v[21:22], s[12:13]
	s_branch .LBB118_57
.LBB118_77:
	s_endpgm
	.section	.rodata,"a",@progbits
	.p2align	6, 0x0
	.amdhsa_kernel _ZL23rocblas_gemvt_sn_kernelILb0ELi256ELi4Ei19rocblas_complex_numIfEPKS1_S1_EviiT4_lPKT3_lilS7_lilPT5_i
		.amdhsa_group_segment_fixed_size 256
		.amdhsa_private_segment_fixed_size 48
		.amdhsa_kernarg_size 360
		.amdhsa_user_sgpr_count 6
		.amdhsa_user_sgpr_private_segment_buffer 1
		.amdhsa_user_sgpr_dispatch_ptr 0
		.amdhsa_user_sgpr_queue_ptr 0
		.amdhsa_user_sgpr_kernarg_segment_ptr 1
		.amdhsa_user_sgpr_dispatch_id 0
		.amdhsa_user_sgpr_flat_scratch_init 0
		.amdhsa_user_sgpr_private_segment_size 0
		.amdhsa_wavefront_size32 1
		.amdhsa_uses_dynamic_stack 0
		.amdhsa_system_sgpr_private_segment_wavefront_offset 1
		.amdhsa_system_sgpr_workgroup_id_x 1
		.amdhsa_system_sgpr_workgroup_id_y 0
		.amdhsa_system_sgpr_workgroup_id_z 1
		.amdhsa_system_sgpr_workgroup_info 0
		.amdhsa_system_vgpr_workitem_id 0
		.amdhsa_next_free_vgpr 82
		.amdhsa_next_free_sgpr 56
		.amdhsa_reserve_vcc 1
		.amdhsa_reserve_flat_scratch 0
		.amdhsa_float_round_mode_32 0
		.amdhsa_float_round_mode_16_64 0
		.amdhsa_float_denorm_mode_32 3
		.amdhsa_float_denorm_mode_16_64 3
		.amdhsa_dx10_clamp 1
		.amdhsa_ieee_mode 1
		.amdhsa_fp16_overflow 0
		.amdhsa_workgroup_processor_mode 1
		.amdhsa_memory_ordered 1
		.amdhsa_forward_progress 1
		.amdhsa_shared_vgpr_count 0
		.amdhsa_exception_fp_ieee_invalid_op 0
		.amdhsa_exception_fp_denorm_src 0
		.amdhsa_exception_fp_ieee_div_zero 0
		.amdhsa_exception_fp_ieee_overflow 0
		.amdhsa_exception_fp_ieee_underflow 0
		.amdhsa_exception_fp_ieee_inexact 0
		.amdhsa_exception_int_div_zero 0
	.end_amdhsa_kernel
	.section	.text._ZL23rocblas_gemvt_sn_kernelILb0ELi256ELi4Ei19rocblas_complex_numIfEPKS1_S1_EviiT4_lPKT3_lilS7_lilPT5_i,"axG",@progbits,_ZL23rocblas_gemvt_sn_kernelILb0ELi256ELi4Ei19rocblas_complex_numIfEPKS1_S1_EviiT4_lPKT3_lilS7_lilPT5_i,comdat
.Lfunc_end118:
	.size	_ZL23rocblas_gemvt_sn_kernelILb0ELi256ELi4Ei19rocblas_complex_numIfEPKS1_S1_EviiT4_lPKT3_lilS7_lilPT5_i, .Lfunc_end118-_ZL23rocblas_gemvt_sn_kernelILb0ELi256ELi4Ei19rocblas_complex_numIfEPKS1_S1_EviiT4_lPKT3_lilS7_lilPT5_i
                                        ; -- End function
	.set _ZL23rocblas_gemvt_sn_kernelILb0ELi256ELi4Ei19rocblas_complex_numIfEPKS1_S1_EviiT4_lPKT3_lilS7_lilPT5_i.num_vgpr, 82
	.set _ZL23rocblas_gemvt_sn_kernelILb0ELi256ELi4Ei19rocblas_complex_numIfEPKS1_S1_EviiT4_lPKT3_lilS7_lilPT5_i.num_agpr, 0
	.set _ZL23rocblas_gemvt_sn_kernelILb0ELi256ELi4Ei19rocblas_complex_numIfEPKS1_S1_EviiT4_lPKT3_lilS7_lilPT5_i.numbered_sgpr, 56
	.set _ZL23rocblas_gemvt_sn_kernelILb0ELi256ELi4Ei19rocblas_complex_numIfEPKS1_S1_EviiT4_lPKT3_lilS7_lilPT5_i.num_named_barrier, 0
	.set _ZL23rocblas_gemvt_sn_kernelILb0ELi256ELi4Ei19rocblas_complex_numIfEPKS1_S1_EviiT4_lPKT3_lilS7_lilPT5_i.private_seg_size, 48
	.set _ZL23rocblas_gemvt_sn_kernelILb0ELi256ELi4Ei19rocblas_complex_numIfEPKS1_S1_EviiT4_lPKT3_lilS7_lilPT5_i.uses_vcc, 1
	.set _ZL23rocblas_gemvt_sn_kernelILb0ELi256ELi4Ei19rocblas_complex_numIfEPKS1_S1_EviiT4_lPKT3_lilS7_lilPT5_i.uses_flat_scratch, 0
	.set _ZL23rocblas_gemvt_sn_kernelILb0ELi256ELi4Ei19rocblas_complex_numIfEPKS1_S1_EviiT4_lPKT3_lilS7_lilPT5_i.has_dyn_sized_stack, 0
	.set _ZL23rocblas_gemvt_sn_kernelILb0ELi256ELi4Ei19rocblas_complex_numIfEPKS1_S1_EviiT4_lPKT3_lilS7_lilPT5_i.has_recursion, 0
	.set _ZL23rocblas_gemvt_sn_kernelILb0ELi256ELi4Ei19rocblas_complex_numIfEPKS1_S1_EviiT4_lPKT3_lilS7_lilPT5_i.has_indirect_call, 0
	.section	.AMDGPU.csdata,"",@progbits
; Kernel info:
; codeLenInByte = 5560
; TotalNumSgprs: 58
; NumVgprs: 82
; ScratchSize: 48
; MemoryBound: 0
; FloatMode: 240
; IeeeMode: 1
; LDSByteSize: 256 bytes/workgroup (compile time only)
; SGPRBlocks: 0
; VGPRBlocks: 10
; NumSGPRsForWavesPerEU: 58
; NumVGPRsForWavesPerEU: 82
; Occupancy: 10
; WaveLimiterHint : 1
; COMPUTE_PGM_RSRC2:SCRATCH_EN: 1
; COMPUTE_PGM_RSRC2:USER_SGPR: 6
; COMPUTE_PGM_RSRC2:TRAP_HANDLER: 0
; COMPUTE_PGM_RSRC2:TGID_X_EN: 1
; COMPUTE_PGM_RSRC2:TGID_Y_EN: 0
; COMPUTE_PGM_RSRC2:TGID_Z_EN: 1
; COMPUTE_PGM_RSRC2:TIDIG_COMP_CNT: 0
	.section	.text._ZL23rocblas_gemvt_sn_kernelILb0ELi256ELi4El19rocblas_complex_numIfEPKS1_S1_EviiT4_lPKT3_lilS7_lilPT5_i,"axG",@progbits,_ZL23rocblas_gemvt_sn_kernelILb0ELi256ELi4El19rocblas_complex_numIfEPKS1_S1_EviiT4_lPKT3_lilS7_lilPT5_i,comdat
	.globl	_ZL23rocblas_gemvt_sn_kernelILb0ELi256ELi4El19rocblas_complex_numIfEPKS1_S1_EviiT4_lPKT3_lilS7_lilPT5_i ; -- Begin function _ZL23rocblas_gemvt_sn_kernelILb0ELi256ELi4El19rocblas_complex_numIfEPKS1_S1_EviiT4_lPKT3_lilS7_lilPT5_i
	.p2align	8
	.type	_ZL23rocblas_gemvt_sn_kernelILb0ELi256ELi4El19rocblas_complex_numIfEPKS1_S1_EviiT4_lPKT3_lilS7_lilPT5_i,@function
_ZL23rocblas_gemvt_sn_kernelILb0ELi256ELi4El19rocblas_complex_numIfEPKS1_S1_EviiT4_lPKT3_lilS7_lilPT5_i: ; @_ZL23rocblas_gemvt_sn_kernelILb0ELi256ELi4El19rocblas_complex_numIfEPKS1_S1_EviiT4_lPKT3_lilS7_lilPT5_i
; %bb.0:
	s_add_u32 s0, s0, s8
	s_clause 0x1
	s_load_dwordx8 s[8:15], s[4:5], 0x8
	s_load_dwordx2 s[20:21], s[4:5], 0x0
	s_addc_u32 s1, s1, 0
	s_load_dword s22, s[4:5], 0x68
	s_mov_b32 s23, 0
	v_cmp_eq_u32_e32 vcc_lo, 0, v0
	s_waitcnt lgkmcnt(0)
	s_mul_i32 s11, s11, s7
	s_mul_hi_u32 s16, s10, s7
	s_mul_i32 s10, s10, s7
	s_add_i32 s11, s16, s11
	s_mul_hi_u32 s16, s21, s7
	s_lshl_b64 s[10:11], s[10:11], 3
	s_mul_i32 s18, s21, s7
	s_add_u32 s8, s8, s10
	s_addc_u32 s9, s9, s11
	s_load_dwordx2 s[24:25], s[8:9], 0x0
	s_load_dwordx4 s[8:11], s[4:5], 0x50
	s_ashr_i32 s38, s21, 31
	s_mul_i32 s36, s18, s22
	s_mul_i32 s17, s38, s7
	s_add_i32 s16, s16, s17
	s_mul_hi_u32 s17, s18, s22
	s_mul_i32 s16, s16, s22
	s_add_i32 s37, s17, s16
	s_mov_b32 s16, -1
	s_waitcnt lgkmcnt(0)
	s_or_b32 s19, s24, s25
	s_bitset0_b32 s19, 31
	s_cmp_lg_u32 s19, 0
	s_cbranch_scc1 .LBB119_5
; %bb.1:
	s_cmp_gt_i32 s21, 0
	s_cselect_b32 s16, -1, 0
	s_and_b32 s16, vcc_lo, s16
	s_and_saveexec_b32 s26, s16
	s_cbranch_execz .LBB119_4
; %bb.2:
	s_mov_b32 s16, s7
	s_mov_b32 s7, 0
	v_mov_b32_e32 v1, 0
	s_lshl_b64 s[18:19], s[36:37], 3
	s_lshl_b64 s[28:29], s[6:7], 3
	s_mov_b32 s7, s16
	s_add_u32 s16, s18, s28
	s_addc_u32 s17, s19, s29
	s_add_u32 s16, s10, s16
	v_mov_b32_e32 v2, v1
	s_addc_u32 s17, s11, s17
	s_add_u32 s16, s16, 4
	s_addc_u32 s17, s17, 0
	s_lshl_b64 s[18:19], s[22:23], 3
	s_mov_b32 s23, s21
.LBB119_3:                              ; =>This Inner Loop Header: Depth=1
	s_add_i32 s23, s23, -1
	global_store_dwordx2 v1, v[1:2], s[16:17] offset:-4
	s_add_u32 s16, s16, s18
	s_addc_u32 s17, s17, s19
	s_cmp_eq_u32 s23, 0
	s_cbranch_scc0 .LBB119_3
.LBB119_4:
	s_or_b32 exec_lo, exec_lo, s26
	s_mov_b32 s16, 0
.LBB119_5:
	s_andn2_b32 vcc_lo, exec_lo, s16
	s_cbranch_vccnz .LBB119_77
; %bb.6:
	s_clause 0x3
	s_load_dword s26, s[4:5], 0x28
	s_load_dword s28, s[4:5], 0x48
	s_load_dwordx4 s[16:19], s[4:5], 0x30
	s_load_dwordx2 s[4:5], s[4:5], 0x40
	s_mul_i32 s9, s9, s7
	s_mul_hi_u32 s23, s8, s7
	s_mul_i32 s8, s8, s7
	s_add_i32 s9, s23, s9
	v_and_b32_e32 v28, 31, v0
	s_lshl_b64 s[30:31], s[8:9], 3
	v_mbcnt_lo_u32_b32 v31, -1, 0
	v_lshrrev_b32_e32 v33, 2, v0
	s_waitcnt lgkmcnt(0)
	s_ashr_i32 s27, s26, 31
	s_ashr_i32 s29, s28, 31
	s_add_u32 s8, s18, s30
	s_mul_i32 s9, s17, s7
	s_addc_u32 s17, s19, s31
	s_lshl_b64 s[34:35], s[4:5], 3
	s_mul_hi_u32 s23, s16, s7
	s_add_u32 s33, s8, s34
	s_addc_u32 s44, s17, s35
	s_lshl_b64 s[4:5], s[36:37], 3
	s_mul_i32 s8, s16, s7
	s_add_u32 s45, s10, s4
	s_addc_u32 s46, s11, s5
	s_add_i32 s9, s23, s9
	v_cmp_gt_u32_e64 s4, 32, v0
	s_lshl_b64 s[16:17], s[8:9], 3
	v_cmp_gt_u32_e64 s5, 8, v0
	s_add_u32 s7, s12, s16
	s_addc_u32 s8, s13, s17
	s_lshl_b64 s[14:15], s[14:15], 3
	s_add_u32 s7, s7, s14
	s_addc_u32 s8, s8, s15
	s_lshl_b32 s9, s6, 10
	s_ashr_i32 s10, s20, 31
	v_lshl_or_b32 v5, v0, 2, s9
	s_lshr_b32 s9, s38, 30
	s_lshr_b32 s10, s10, 30
	s_add_i32 s9, s21, s9
	s_add_i32 s10, s20, s10
	v_ashrrev_i32_e32 v6, 31, v5
	s_and_b32 s47, s9, -4
	s_and_b32 s9, s10, -4
	v_add_nc_u32_e32 v34, 4, v5
	s_sub_i32 s23, s20, s9
	v_lshlrev_b64 v[3:4], 3, v[5:6]
	v_or_b32_e32 v32, 1, v5
	v_or_b32_e32 v30, 2, v5
	v_add_nc_u32_e32 v35, s23, v5
	v_or_b32_e32 v29, 3, v5
	s_cmp_lt_i32 s47, 1
	v_add_co_u32 v1, vcc_lo, s7, v3
	v_add_co_ci_u32_e64 v2, null, s8, v4, vcc_lo
	s_cbranch_scc1 .LBB119_54
; %bb.7:
	v_cmp_gt_u32_e32 vcc_lo, 24, v31
	v_mad_i64_i32 v[10:11], null, s28, v30, 0
	v_mad_i64_i32 v[12:13], null, s28, v29, 0
	v_cndmask_b32_e64 v6, 0, 8, vcc_lo
	v_cmp_gt_u32_e32 vcc_lo, 28, v31
	s_cmp_gt_i32 s23, 0
	s_mov_b32 s7, 0
	v_lshlrev_b64 v[10:11], 3, v[10:11]
	v_add_lshl_u32 v37, v6, v31, 2
	v_cndmask_b32_e64 v7, 0, 4, vcc_lo
	v_cmp_gt_u32_e32 vcc_lo, 30, v31
	s_cselect_b32 s48, -1, 0
	s_lshl_b64 s[36:37], s[6:7], 3
	v_lshlrev_b64 v[12:13], 3, v[12:13]
	v_add_lshl_u32 v38, v7, v31, 2
	v_cndmask_b32_e64 v8, 0, 2, vcc_lo
	v_cmp_ne_u32_e32 vcc_lo, 31, v31
	v_mad_i64_i32 v[6:7], null, s28, v5, 0
	s_add_u32 s49, s45, s36
	v_add_lshl_u32 v39, v8, v31, 2
	v_add_co_ci_u32_e64 v9, null, 0, v31, vcc_lo
	s_addc_u32 s50, s46, s37
	s_add_u32 s36, s18, s34
	v_lshlrev_b64 v[14:15], 3, v[6:7]
	v_lshlrev_b32_e32 v40, 2, v9
	v_mad_i64_i32 v[8:9], null, s28, v32, 0
	s_addc_u32 s37, s19, s35
	s_add_u32 s36, s36, s30
	v_add_co_u32 v6, vcc_lo, s33, v14
	v_add_co_ci_u32_e64 v7, null, s44, v15, vcc_lo
	v_lshlrev_b64 v[8:9], 3, v[8:9]
	s_addc_u32 s37, s37, s31
	v_mov_b32_e32 v19, v2
	v_cmp_ge_i32_e64 s8, s20, v34
	v_cmp_ge_i32_e64 s9, s20, v35
	v_lshl_or_b32 v36, v31, 2, 64
	v_add_co_u32 v8, vcc_lo, s33, v8
	v_add_co_ci_u32_e64 v9, null, s44, v9, vcc_lo
	v_add_co_u32 v10, vcc_lo, s33, v10
	v_add_co_ci_u32_e64 v11, null, s44, v11, vcc_lo
	;; [unrolled: 2-line block ×3, first 2 shown]
	v_add_co_u32 v14, vcc_lo, s36, v14
	v_cmp_eq_u32_e64 s10, 0, v28
	v_lshlrev_b32_e32 v41, 3, v28
	v_and_b32_e32 v42, 56, v33
	v_cmp_eq_u32_e64 s11, 0, v0
	v_add_co_ci_u32_e64 v15, null, s37, v15, vcc_lo
	v_mov_b32_e32 v16, 0
	v_mov_b32_e32 v18, v1
	s_lshl_b64 s[36:37], s[28:29], 3
	s_lshl_b64 s[38:39], s[26:27], 5
	;; [unrolled: 1-line block ×4, first 2 shown]
	s_mul_hi_i32 s51, s26, 24
	s_mul_i32 s52, s26, 24
	s_branch .LBB119_9
.LBB119_8:                              ;   in Loop: Header=BB119_9 Depth=1
	s_or_b32 exec_lo, exec_lo, s53
	v_add_co_u32 v18, vcc_lo, v18, s38
	v_add_co_ci_u32_e64 v19, null, s39, v19, vcc_lo
	s_add_i32 s7, s7, 4
	s_cmp_ge_i32 s7, s47
	s_cbranch_scc1 .LBB119_55
.LBB119_9:                              ; =>This Loop Header: Depth=1
                                        ;     Child Loop BB119_40 Depth 2
                                        ;     Child Loop BB119_42 Depth 2
                                        ; implicit-def: $vgpr43
                                        ; implicit-def: $vgpr44
                                        ; implicit-def: $vgpr22
                                        ; implicit-def: $vgpr23
                                        ; implicit-def: $vgpr24
                                        ; implicit-def: $vgpr25
                                        ; implicit-def: $vgpr27
                                        ; implicit-def: $vgpr26
	s_and_saveexec_b32 s53, s8
	s_xor_b32 s53, exec_lo, s53
	s_cbranch_execnz .LBB119_36
; %bb.10:                               ;   in Loop: Header=BB119_9 Depth=1
	s_andn2_saveexec_b32 s53, s53
	s_cbranch_execnz .LBB119_37
.LBB119_11:                             ;   in Loop: Header=BB119_9 Depth=1
	s_or_b32 exec_lo, exec_lo, s53
	s_and_saveexec_b32 s53, s4
.LBB119_12:                             ;   in Loop: Header=BB119_9 Depth=1
	v_mov_b32_e32 v17, v16
	ds_write_b64 v41, v[16:17]
.LBB119_13:                             ;   in Loop: Header=BB119_9 Depth=1
	s_or_b32 exec_lo, exec_lo, s53
	ds_bpermute_b32 v17, v36, v43
	ds_bpermute_b32 v20, v36, v44
	s_waitcnt lgkmcnt(0)
	s_waitcnt_vscnt null, 0x0
	s_barrier
	buffer_gl0_inv
	v_add_f32_e32 v17, v43, v17
	v_add_f32_e32 v20, v44, v20
	ds_bpermute_b32 v21, v37, v17
	ds_bpermute_b32 v43, v37, v20
	s_waitcnt lgkmcnt(1)
	v_add_f32_e32 v17, v17, v21
	s_waitcnt lgkmcnt(0)
	v_add_f32_e32 v20, v20, v43
	ds_bpermute_b32 v21, v38, v17
	ds_bpermute_b32 v43, v38, v20
	s_waitcnt lgkmcnt(1)
	v_add_f32_e32 v17, v17, v21
	s_waitcnt lgkmcnt(0)
	;; [unrolled: 6-line block ×3, first 2 shown]
	v_add_f32_e32 v20, v20, v43
	ds_bpermute_b32 v21, v40, v17
	ds_bpermute_b32 v43, v40, v20
	s_and_saveexec_b32 s53, s10
	s_cbranch_execz .LBB119_15
; %bb.14:                               ;   in Loop: Header=BB119_9 Depth=1
	s_waitcnt lgkmcnt(0)
	v_add_f32_e32 v44, v20, v43
	v_add_f32_e32 v43, v17, v21
	ds_write_b64 v42, v[43:44]
.LBB119_15:                             ;   in Loop: Header=BB119_9 Depth=1
	s_or_b32 exec_lo, exec_lo, s53
	s_waitcnt lgkmcnt(1)
	v_mov_b32_e32 v21, 0
	v_mov_b32_e32 v20, 0
	s_waitcnt lgkmcnt(0)
	s_barrier
	buffer_gl0_inv
	s_and_saveexec_b32 s53, s5
	s_cbranch_execnz .LBB119_43
; %bb.16:                               ;   in Loop: Header=BB119_9 Depth=1
	s_or_b32 exec_lo, exec_lo, s53
	s_and_saveexec_b32 s53, s4
	s_cbranch_execnz .LBB119_44
.LBB119_17:                             ;   in Loop: Header=BB119_9 Depth=1
	s_or_b32 exec_lo, exec_lo, s53
	s_and_saveexec_b32 s53, s4
.LBB119_18:                             ;   in Loop: Header=BB119_9 Depth=1
	v_mov_b32_e32 v17, v16
	ds_write_b64 v41, v[16:17]
.LBB119_19:                             ;   in Loop: Header=BB119_9 Depth=1
	s_or_b32 exec_lo, exec_lo, s53
	ds_bpermute_b32 v17, v36, v22
	ds_bpermute_b32 v43, v36, v23
	s_waitcnt lgkmcnt(0)
	s_barrier
	buffer_gl0_inv
	v_add_f32_e32 v17, v22, v17
	v_add_f32_e32 v22, v23, v43
	ds_bpermute_b32 v23, v37, v17
	ds_bpermute_b32 v43, v37, v22
	s_waitcnt lgkmcnt(1)
	v_add_f32_e32 v17, v17, v23
	s_waitcnt lgkmcnt(0)
	v_add_f32_e32 v22, v22, v43
	ds_bpermute_b32 v23, v38, v17
	ds_bpermute_b32 v43, v38, v22
	s_waitcnt lgkmcnt(1)
	v_add_f32_e32 v17, v17, v23
	s_waitcnt lgkmcnt(0)
	;; [unrolled: 6-line block ×3, first 2 shown]
	v_add_f32_e32 v22, v22, v43
	ds_bpermute_b32 v23, v40, v17
	ds_bpermute_b32 v43, v40, v22
	s_and_saveexec_b32 s53, s10
	s_cbranch_execz .LBB119_21
; %bb.20:                               ;   in Loop: Header=BB119_9 Depth=1
	s_waitcnt lgkmcnt(0)
	v_add_f32_e32 v44, v22, v43
	v_add_f32_e32 v43, v17, v23
	ds_write_b64 v42, v[43:44]
.LBB119_21:                             ;   in Loop: Header=BB119_9 Depth=1
	s_or_b32 exec_lo, exec_lo, s53
	s_waitcnt lgkmcnt(1)
	v_mov_b32_e32 v23, 0
	v_mov_b32_e32 v22, 0
	s_waitcnt lgkmcnt(0)
	s_barrier
	buffer_gl0_inv
	s_and_saveexec_b32 s53, s5
	s_cbranch_execnz .LBB119_45
; %bb.22:                               ;   in Loop: Header=BB119_9 Depth=1
	s_or_b32 exec_lo, exec_lo, s53
	s_and_saveexec_b32 s53, s4
	s_cbranch_execnz .LBB119_46
.LBB119_23:                             ;   in Loop: Header=BB119_9 Depth=1
	s_or_b32 exec_lo, exec_lo, s53
	s_and_saveexec_b32 s53, s4
.LBB119_24:                             ;   in Loop: Header=BB119_9 Depth=1
	v_mov_b32_e32 v17, v16
	ds_write_b64 v41, v[16:17]
.LBB119_25:                             ;   in Loop: Header=BB119_9 Depth=1
	s_or_b32 exec_lo, exec_lo, s53
	ds_bpermute_b32 v17, v36, v24
	ds_bpermute_b32 v43, v36, v25
	s_waitcnt lgkmcnt(0)
	s_barrier
	buffer_gl0_inv
	v_add_f32_e32 v17, v24, v17
	v_add_f32_e32 v24, v25, v43
	ds_bpermute_b32 v25, v37, v17
	ds_bpermute_b32 v43, v37, v24
	s_waitcnt lgkmcnt(1)
	v_add_f32_e32 v17, v17, v25
	s_waitcnt lgkmcnt(0)
	v_add_f32_e32 v24, v24, v43
	ds_bpermute_b32 v25, v38, v17
	ds_bpermute_b32 v43, v38, v24
	s_waitcnt lgkmcnt(1)
	v_add_f32_e32 v17, v17, v25
	s_waitcnt lgkmcnt(0)
	;; [unrolled: 6-line block ×3, first 2 shown]
	v_add_f32_e32 v24, v24, v43
	ds_bpermute_b32 v25, v40, v17
	ds_bpermute_b32 v43, v40, v24
	s_and_saveexec_b32 s53, s10
	s_cbranch_execz .LBB119_27
; %bb.26:                               ;   in Loop: Header=BB119_9 Depth=1
	s_waitcnt lgkmcnt(0)
	v_add_f32_e32 v44, v24, v43
	v_add_f32_e32 v43, v17, v25
	ds_write_b64 v42, v[43:44]
.LBB119_27:                             ;   in Loop: Header=BB119_9 Depth=1
	s_or_b32 exec_lo, exec_lo, s53
	s_waitcnt lgkmcnt(1)
	v_mov_b32_e32 v25, 0
	v_mov_b32_e32 v24, 0
	s_waitcnt lgkmcnt(0)
	s_barrier
	buffer_gl0_inv
	s_and_saveexec_b32 s53, s5
	s_cbranch_execnz .LBB119_47
; %bb.28:                               ;   in Loop: Header=BB119_9 Depth=1
	s_or_b32 exec_lo, exec_lo, s53
	s_and_saveexec_b32 s53, s4
	s_cbranch_execnz .LBB119_48
.LBB119_29:                             ;   in Loop: Header=BB119_9 Depth=1
	s_or_b32 exec_lo, exec_lo, s53
	s_and_saveexec_b32 s53, s4
.LBB119_30:                             ;   in Loop: Header=BB119_9 Depth=1
	v_mov_b32_e32 v17, v16
	ds_write_b64 v41, v[16:17]
.LBB119_31:                             ;   in Loop: Header=BB119_9 Depth=1
	s_or_b32 exec_lo, exec_lo, s53
	ds_bpermute_b32 v17, v36, v27
	ds_bpermute_b32 v43, v36, v26
	s_waitcnt lgkmcnt(0)
	s_barrier
	buffer_gl0_inv
	v_add_f32_e32 v17, v27, v17
	v_add_f32_e32 v26, v26, v43
	ds_bpermute_b32 v27, v37, v17
	ds_bpermute_b32 v43, v37, v26
	s_waitcnt lgkmcnt(1)
	v_add_f32_e32 v17, v17, v27
	s_waitcnt lgkmcnt(0)
	v_add_f32_e32 v26, v26, v43
	ds_bpermute_b32 v27, v38, v17
	ds_bpermute_b32 v43, v38, v26
	s_waitcnt lgkmcnt(1)
	v_add_f32_e32 v17, v17, v27
	s_waitcnt lgkmcnt(0)
	;; [unrolled: 6-line block ×3, first 2 shown]
	v_add_f32_e32 v26, v26, v43
	ds_bpermute_b32 v27, v40, v17
	ds_bpermute_b32 v43, v40, v26
	s_and_saveexec_b32 s53, s10
	s_cbranch_execz .LBB119_33
; %bb.32:                               ;   in Loop: Header=BB119_9 Depth=1
	s_waitcnt lgkmcnt(0)
	v_add_f32_e32 v44, v26, v43
	v_add_f32_e32 v43, v17, v27
	ds_write_b64 v42, v[43:44]
.LBB119_33:                             ;   in Loop: Header=BB119_9 Depth=1
	s_or_b32 exec_lo, exec_lo, s53
	s_waitcnt lgkmcnt(1)
	v_mov_b32_e32 v27, 0
	v_mov_b32_e32 v26, 0
	s_waitcnt lgkmcnt(0)
	s_barrier
	buffer_gl0_inv
	s_and_saveexec_b32 s53, s5
	s_cbranch_execnz .LBB119_49
; %bb.34:                               ;   in Loop: Header=BB119_9 Depth=1
	s_or_b32 exec_lo, exec_lo, s53
	s_and_saveexec_b32 s53, s4
	s_cbranch_execnz .LBB119_50
.LBB119_35:                             ;   in Loop: Header=BB119_9 Depth=1
	s_or_b32 exec_lo, exec_lo, s53
	s_and_saveexec_b32 s53, s11
	s_cbranch_execz .LBB119_8
	s_branch .LBB119_51
.LBB119_36:                             ;   in Loop: Header=BB119_9 Depth=1
	s_mul_i32 s54, s7, s27
	s_mul_hi_u32 s55, s7, s26
	s_or_b32 s56, s7, 1
	s_add_i32 s55, s55, s54
	s_mul_i32 s54, s7, s26
	s_mul_i32 s57, s56, s27
	s_mul_hi_u32 s58, s56, s26
	s_lshl_b64 s[54:55], s[54:55], 3
	s_add_i32 s57, s58, s57
	s_mul_i32 s56, s56, s26
	v_add_co_u32 v24, vcc_lo, v1, s54
	v_add_co_ci_u32_e64 v25, null, s55, v2, vcc_lo
	s_lshl_b64 s[54:55], s[56:57], 3
	s_or_b32 s56, s7, 2
	v_add_co_u32 v55, vcc_lo, v1, s54
	v_add_co_ci_u32_e64 v56, null, s55, v2, vcc_lo
	s_mul_i32 s54, s56, s27
	s_mul_hi_u32 s55, s56, s26
	s_clause 0x3
	global_load_dwordx2 v[67:68], v[6:7], off
	global_load_dwordx2 v[69:70], v[8:9], off
	;; [unrolled: 1-line block ×4, first 2 shown]
	s_add_i32 s55, s55, s54
	s_mul_i32 s54, s56, s26
	s_or_b32 s56, s7, 3
	s_lshl_b64 s[54:55], s[54:55], 3
	s_mul_i32 s57, s56, s27
	s_mul_hi_u32 s58, s56, s26
	s_mul_i32 s56, s56, s26
	s_add_i32 s57, s58, s57
	v_add_co_u32 v59, vcc_lo, v1, s54
	v_add_co_ci_u32_e64 v60, null, s55, v2, vcc_lo
	s_lshl_b64 s[54:55], s[56:57], 3
	global_load_dwordx4 v[20:23], v[24:25], off offset:16
	s_waitcnt lgkmcnt(0)
	global_load_dwordx4 v[24:27], v[24:25], off
	v_add_co_u32 v63, vcc_lo, v1, s54
	v_add_co_ci_u32_e64 v64, null, s55, v2, vcc_lo
	s_clause 0x5
	global_load_dwordx4 v[43:46], v[55:56], off
	global_load_dwordx4 v[47:50], v[59:60], off
	;; [unrolled: 1-line block ×3, first 2 shown]
	global_load_dwordx4 v[55:58], v[55:56], off offset:16
	global_load_dwordx4 v[59:62], v[59:60], off offset:16
	global_load_dwordx4 v[63:66], v[63:64], off offset:16
	s_waitcnt vmcnt(11)
	buffer_store_dword v68, off, s[0:3], 0 offset:4
	buffer_store_dword v67, off, s[0:3], 0
	s_waitcnt vmcnt(10)
	buffer_store_dword v70, off, s[0:3], 0 offset:12
	buffer_store_dword v69, off, s[0:3], 0 offset:8
	s_waitcnt vmcnt(9)
	buffer_store_dword v72, off, s[0:3], 0 offset:20
	buffer_store_dword v71, off, s[0:3], 0 offset:16
	;; [unrolled: 3-line block ×3, first 2 shown]
	s_waitcnt vmcnt(7)
	v_mul_f32_e32 v76, v72, v21
	s_waitcnt vmcnt(6)
	v_mul_f32_e32 v17, v68, v25
	v_mul_f32_e32 v25, v67, v25
	;; [unrolled: 1-line block ×7, first 2 shown]
	s_waitcnt vmcnt(5)
	v_mul_f32_e32 v78, v68, v44
	v_mul_f32_e32 v44, v67, v44
	s_waitcnt vmcnt(4)
	v_mul_f32_e32 v79, v68, v48
	v_mul_f32_e32 v80, v70, v46
	;; [unrolled: 1-line block ×4, first 2 shown]
	s_waitcnt vmcnt(3)
	v_mul_f32_e32 v81, v68, v52
	v_mul_f32_e32 v82, v70, v50
	;; [unrolled: 1-line block ×6, first 2 shown]
	v_fma_f32 v17, v67, v24, -v17
	v_fmac_f32_e32 v25, v68, v24
	v_fma_f32 v24, v69, v26, -v75
	v_fmac_f32_e32 v27, v70, v26
	s_waitcnt vmcnt(2)
	v_mul_f32_e32 v26, v74, v58
	v_mul_f32_e32 v58, v73, v58
	s_waitcnt vmcnt(1)
	v_mul_f32_e32 v75, v74, v62
	v_mul_f32_e32 v62, v73, v62
	v_fma_f32 v76, v71, v20, -v76
	v_fmac_f32_e32 v21, v72, v20
	v_fma_f32 v20, v73, v22, -v77
	v_fmac_f32_e32 v23, v74, v22
	s_waitcnt vmcnt(0)
	v_mul_f32_e32 v22, v74, v66
	v_fma_f32 v77, v67, v43, -v78
	v_fmac_f32_e32 v44, v68, v43
	v_fma_f32 v43, v69, v45, -v80
	v_fmac_f32_e32 v46, v70, v45
	;; [unrolled: 2-line block ×5, first 2 shown]
	v_mul_f32_e32 v84, v72, v56
	v_mul_f32_e32 v56, v71, v56
	;; [unrolled: 1-line block ×6, first 2 shown]
	v_fma_f32 v51, v69, v53, -v83
	v_fmac_f32_e32 v54, v70, v53
	v_fma_f32 v26, v73, v57, -v26
	v_fmac_f32_e32 v58, v74, v57
	;; [unrolled: 2-line block ×3, first 2 shown]
	v_fma_f32 v61, v73, v65, -v22
	v_add_f32_e32 v17, 0, v17
	v_add_f32_e32 v22, 0, v25
	;; [unrolled: 1-line block ×8, first 2 shown]
	v_mul_f32_e32 v66, v73, v66
	v_fma_f32 v53, v71, v55, -v84
	v_fmac_f32_e32 v56, v72, v55
	v_fma_f32 v55, v71, v59, -v85
	v_fmac_f32_e32 v60, v72, v59
	;; [unrolled: 2-line block ×3, first 2 shown]
	v_add_f32_e32 v17, v17, v24
	v_add_f32_e32 v22, v22, v27
	;; [unrolled: 1-line block ×8, first 2 shown]
	v_fmac_f32_e32 v66, v74, v65
	v_add_f32_e32 v17, v17, v76
	v_add_f32_e32 v21, v22, v21
	;; [unrolled: 1-line block ×16, first 2 shown]
	s_andn2_saveexec_b32 s53, s53
	s_cbranch_execz .LBB119_11
.LBB119_37:                             ;   in Loop: Header=BB119_9 Depth=1
	v_mov_b32_e32 v43, 0
	v_mov_b32_e32 v44, 0
	;; [unrolled: 1-line block ×6, first 2 shown]
	s_waitcnt lgkmcnt(0)
	v_mov_b32_e32 v27, 0
	v_mov_b32_e32 v26, 0
	s_and_saveexec_b32 s54, s9
	s_cbranch_execz .LBB119_53
; %bb.38:                               ;   in Loop: Header=BB119_9 Depth=1
	s_andn2_b32 vcc_lo, exec_lo, s48
	s_cbranch_vccnz .LBB119_52
; %bb.39:                               ;   in Loop: Header=BB119_9 Depth=1
	v_mov_b32_e32 v21, v15
	v_mov_b32_e32 v20, v14
	s_mov_b32 s55, 0
	s_mov_b32 s56, s23
.LBB119_40:                             ;   Parent Loop BB119_9 Depth=1
                                        ; =>  This Inner Loop Header: Depth=2
	global_load_dwordx2 v[22:23], v[20:21], off
	v_add_co_u32 v20, vcc_lo, v20, s36
	v_mov_b32_e32 v17, s55
	v_add_co_ci_u32_e64 v21, null, s37, v21, vcc_lo
	s_add_i32 s56, s56, -1
	s_add_i32 s55, s55, 8
	s_cmp_eq_u32 s56, 0
	s_waitcnt vmcnt(0)
	buffer_store_dword v23, v17, s[0:3], 0 offen offset:4
	buffer_store_dword v22, v17, s[0:3], 0 offen
	s_cbranch_scc0 .LBB119_40
; %bb.41:                               ;   in Loop: Header=BB119_9 Depth=1
	v_mov_b32_e32 v21, v19
	v_mov_b32_e32 v26, 0
	;; [unrolled: 1-line block ×10, first 2 shown]
	s_mov_b32 s55, 0
	s_mov_b32 s56, s23
.LBB119_42:                             ;   Parent Loop BB119_9 Depth=1
                                        ; =>  This Inner Loop Header: Depth=2
	v_add_co_u32 v47, vcc_lo, v20, s40
	v_add_co_ci_u32_e64 v48, null, s41, v21, vcc_lo
	v_add_co_u32 v49, vcc_lo, v20, s42
	v_mov_b32_e32 v17, s55
	v_add_co_ci_u32_e64 v50, null, s43, v21, vcc_lo
	v_add_co_u32 v51, vcc_lo, v20, s52
	v_add_co_ci_u32_e64 v52, null, s51, v21, vcc_lo
	global_load_dwordx2 v[45:46], v[20:21], off
	s_clause 0x1
	buffer_load_dword v53, v17, s[0:3], 0 offen offset:4
	buffer_load_dword v17, v17, s[0:3], 0 offen
	s_clause 0x2
	global_load_dwordx2 v[47:48], v[47:48], off
	global_load_dwordx2 v[49:50], v[49:50], off
	;; [unrolled: 1-line block ×3, first 2 shown]
	v_add_co_u32 v20, vcc_lo, v20, 8
	v_add_co_ci_u32_e64 v21, null, 0, v21, vcc_lo
	s_add_i32 s56, s56, -1
	s_add_i32 s55, s55, 8
	s_cmp_lg_u32 s56, 0
	s_waitcnt vmcnt(4)
	v_mul_f32_e32 v54, v53, v46
	s_waitcnt vmcnt(3)
	v_mul_f32_e32 v46, v17, v46
	;; [unrolled: 2-line block ×3, first 2 shown]
	v_mul_f32_e32 v48, v17, v48
	s_waitcnt vmcnt(1)
	v_mul_f32_e32 v56, v53, v50
	v_mul_f32_e32 v50, v17, v50
	s_waitcnt vmcnt(0)
	v_mul_f32_e32 v57, v53, v52
	v_mul_f32_e32 v52, v17, v52
	v_fma_f32 v54, v17, v45, -v54
	v_fmac_f32_e32 v46, v53, v45
	v_fma_f32 v45, v17, v47, -v55
	v_fmac_f32_e32 v48, v53, v47
	;; [unrolled: 2-line block ×4, first 2 shown]
	v_add_f32_e32 v43, v43, v54
	v_add_f32_e32 v44, v44, v46
	;; [unrolled: 1-line block ×8, first 2 shown]
	s_cbranch_scc1 .LBB119_42
	s_branch .LBB119_53
.LBB119_43:                             ;   in Loop: Header=BB119_9 Depth=1
	ds_read_b64 v[20:21], v41
	s_or_b32 exec_lo, exec_lo, s53
	s_and_saveexec_b32 s53, s4
	s_cbranch_execz .LBB119_17
.LBB119_44:                             ;   in Loop: Header=BB119_9 Depth=1
	s_waitcnt lgkmcnt(0)
	ds_bpermute_b32 v17, v38, v20
	ds_bpermute_b32 v43, v38, v21
	s_waitcnt lgkmcnt(1)
	v_add_f32_e32 v17, v20, v17
	s_waitcnt lgkmcnt(0)
	v_add_f32_e32 v20, v21, v43
	ds_bpermute_b32 v21, v39, v17
	ds_bpermute_b32 v43, v39, v20
	s_waitcnt lgkmcnt(1)
	v_add_f32_e32 v17, v17, v21
	s_waitcnt lgkmcnt(0)
	v_add_f32_e32 v21, v20, v43
	ds_bpermute_b32 v20, v40, v17
	ds_bpermute_b32 v43, v40, v21
	s_waitcnt lgkmcnt(1)
	v_add_f32_e32 v20, v17, v20
	s_waitcnt lgkmcnt(0)
	v_add_f32_e32 v21, v21, v43
	s_or_b32 exec_lo, exec_lo, s53
	s_and_saveexec_b32 s53, s4
	s_cbranch_execnz .LBB119_18
	s_branch .LBB119_19
.LBB119_45:                             ;   in Loop: Header=BB119_9 Depth=1
	ds_read_b64 v[22:23], v41
	s_or_b32 exec_lo, exec_lo, s53
	s_and_saveexec_b32 s53, s4
	s_cbranch_execz .LBB119_23
.LBB119_46:                             ;   in Loop: Header=BB119_9 Depth=1
	s_waitcnt lgkmcnt(0)
	ds_bpermute_b32 v17, v38, v22
	ds_bpermute_b32 v43, v38, v23
	s_waitcnt lgkmcnt(1)
	v_add_f32_e32 v17, v22, v17
	s_waitcnt lgkmcnt(0)
	v_add_f32_e32 v22, v23, v43
	ds_bpermute_b32 v23, v39, v17
	ds_bpermute_b32 v43, v39, v22
	s_waitcnt lgkmcnt(1)
	v_add_f32_e32 v17, v17, v23
	s_waitcnt lgkmcnt(0)
	v_add_f32_e32 v23, v22, v43
	;; [unrolled: 6-line block ×3, first 2 shown]
	s_or_b32 exec_lo, exec_lo, s53
	s_and_saveexec_b32 s53, s4
	s_cbranch_execnz .LBB119_24
	s_branch .LBB119_25
.LBB119_47:                             ;   in Loop: Header=BB119_9 Depth=1
	ds_read_b64 v[24:25], v41
	s_or_b32 exec_lo, exec_lo, s53
	s_and_saveexec_b32 s53, s4
	s_cbranch_execz .LBB119_29
.LBB119_48:                             ;   in Loop: Header=BB119_9 Depth=1
	s_waitcnt lgkmcnt(0)
	ds_bpermute_b32 v17, v38, v24
	ds_bpermute_b32 v43, v38, v25
	s_waitcnt lgkmcnt(1)
	v_add_f32_e32 v17, v24, v17
	s_waitcnt lgkmcnt(0)
	v_add_f32_e32 v24, v25, v43
	ds_bpermute_b32 v25, v39, v17
	ds_bpermute_b32 v43, v39, v24
	s_waitcnt lgkmcnt(1)
	v_add_f32_e32 v17, v17, v25
	s_waitcnt lgkmcnt(0)
	v_add_f32_e32 v25, v24, v43
	;; [unrolled: 6-line block ×3, first 2 shown]
	s_or_b32 exec_lo, exec_lo, s53
	s_and_saveexec_b32 s53, s4
	s_cbranch_execnz .LBB119_30
	s_branch .LBB119_31
.LBB119_49:                             ;   in Loop: Header=BB119_9 Depth=1
	ds_read_b64 v[26:27], v41
	s_or_b32 exec_lo, exec_lo, s53
	s_and_saveexec_b32 s53, s4
	s_cbranch_execz .LBB119_35
.LBB119_50:                             ;   in Loop: Header=BB119_9 Depth=1
	s_waitcnt lgkmcnt(0)
	ds_bpermute_b32 v17, v38, v26
	ds_bpermute_b32 v43, v38, v27
	s_waitcnt lgkmcnt(1)
	v_add_f32_e32 v17, v26, v17
	s_waitcnt lgkmcnt(0)
	v_add_f32_e32 v26, v27, v43
	ds_bpermute_b32 v27, v39, v17
	ds_bpermute_b32 v43, v39, v26
	s_waitcnt lgkmcnt(1)
	v_add_f32_e32 v17, v17, v27
	s_waitcnt lgkmcnt(0)
	v_add_f32_e32 v27, v26, v43
	;; [unrolled: 6-line block ×3, first 2 shown]
	s_or_b32 exec_lo, exec_lo, s53
	s_and_saveexec_b32 s53, s11
	s_cbranch_execz .LBB119_8
.LBB119_51:                             ;   in Loop: Header=BB119_9 Depth=1
	v_mul_f32_e32 v17, s25, v21
	v_mul_f32_e32 v44, s24, v21
	s_mul_hi_u32 s55, s7, s22
	s_mul_i32 s54, s7, s22
	v_mul_f32_e32 v21, s24, v23
	s_lshl_b64 s[54:55], s[54:55], 3
	v_fma_f32 v43, v20, s24, -v17
	v_fmac_f32_e32 v44, s25, v20
	s_add_u32 s54, s49, s54
	s_addc_u32 s55, s50, s55
	v_mul_f32_e32 v17, s25, v23
	v_mul_f32_e32 v23, s24, v25
	global_store_dwordx2 v16, v[43:44], s[54:55]
	s_or_b32 s54, s7, 1
	v_fmac_f32_e32 v21, s25, v22
	s_mul_hi_u32 s55, s54, s22
	s_mul_i32 s54, s54, s22
	v_fma_f32 v20, v22, s24, -v17
	s_lshl_b64 s[54:55], s[54:55], 3
	v_mul_f32_e32 v17, s25, v25
	s_add_u32 s54, s49, s54
	s_addc_u32 s55, s50, s55
	s_or_b32 s56, s7, 2
	s_waitcnt lgkmcnt(0)
	v_mul_f32_e32 v25, s24, v27
	s_mul_hi_u32 s57, s56, s22
	s_mul_i32 s56, s56, s22
	v_fma_f32 v22, v24, s24, -v17
	s_lshl_b64 s[56:57], s[56:57], 3
	v_mul_f32_e32 v17, s25, v27
	s_add_u32 s56, s49, s56
	s_addc_u32 s57, s50, s57
	s_or_b32 s58, s7, 3
	v_fmac_f32_e32 v23, s25, v24
	s_mul_hi_u32 s59, s58, s22
	s_mul_i32 s58, s58, s22
	v_fma_f32 v24, v26, s24, -v17
	v_fmac_f32_e32 v25, s25, v26
	s_lshl_b64 s[58:59], s[58:59], 3
	global_store_dwordx2 v16, v[20:21], s[54:55]
	s_add_u32 s54, s49, s58
	s_addc_u32 s55, s50, s59
	global_store_dwordx2 v16, v[22:23], s[56:57]
	global_store_dwordx2 v16, v[24:25], s[54:55]
	s_branch .LBB119_8
.LBB119_52:                             ;   in Loop: Header=BB119_9 Depth=1
	v_mov_b32_e32 v43, 0
	v_mov_b32_e32 v44, 0
	v_mov_b32_e32 v22, 0
	v_mov_b32_e32 v23, 0
	v_mov_b32_e32 v24, 0
	v_mov_b32_e32 v25, 0
	v_mov_b32_e32 v27, 0
	v_mov_b32_e32 v26, 0
.LBB119_53:                             ;   in Loop: Header=BB119_9 Depth=1
	s_or_b32 exec_lo, exec_lo, s54
	s_or_b32 exec_lo, exec_lo, s53
	s_and_saveexec_b32 s53, s4
	s_cbranch_execnz .LBB119_12
	s_branch .LBB119_13
.LBB119_54:
	s_mov_b32 s7, 0
.LBB119_55:
	s_cmp_ge_i32 s7, s21
	s_cbranch_scc1 .LBB119_77
; %bb.56:
	v_cmp_gt_u32_e64 s5, 24, v31
	v_mad_i64_i32 v[11:12], null, s28, v29, 0
	s_cmp_gt_i32 s23, 0
	s_mov_b32 s11, 0
	v_cndmask_b32_e64 v6, 0, 8, s5
	v_cmp_gt_u32_e64 s5, 28, v31
	s_mov_b32 s10, s6
	s_cselect_b32 s37, -1, 0
	s_lshl_b64 s[10:11], s[10:11], 3
	v_add_lshl_u32 v20, v6, v31, 2
	v_cndmask_b32_e64 v7, 0, 4, s5
	v_cmp_gt_u32_e64 s5, 30, v31
	v_mad_i64_i32 v[5:6], null, s28, v5, 0
	v_cmp_ge_i32_e32 vcc_lo, s20, v34
	v_add_lshl_u32 v21, v7, v31, 2
	v_cndmask_b32_e64 v8, 0, 2, s5
	v_cmp_ne_u32_e64 s5, 31, v31
	v_cmp_ge_i32_e64 s9, s20, v35
	s_add_u32 s20, s45, s10
	v_lshlrev_b64 v[13:14], 3, v[5:6]
	v_add_lshl_u32 v22, v8, v31, 2
	v_add_co_ci_u32_e64 v9, null, 0, v31, s5
	v_mad_i64_i32 v[7:8], null, s28, v32, 0
	v_add_co_u32 v5, s10, s33, v13
	v_lshlrev_b32_e32 v23, 2, v9
	v_mad_i64_i32 v[9:10], null, s28, v30, 0
	v_lshlrev_b64 v[11:12], 3, v[11:12]
	v_lshlrev_b64 v[7:8], 3, v[7:8]
	v_add_co_ci_u32_e64 v6, null, s44, v14, s10
	s_addc_u32 s36, s46, s11
	s_mul_i32 s11, s27, s7
	v_lshlrev_b64 v[9:10], 3, v[9:10]
	v_add_co_u32 v7, s10, s33, v7
	v_add_co_ci_u32_e64 v8, null, s44, v8, s10
	v_cmp_gt_u32_e64 s4, 32, v0
	v_add_co_u32 v9, s10, s33, v9
	v_add_co_ci_u32_e64 v10, null, s44, v10, s10
	v_add_co_u32 v11, s10, s33, v11
	s_and_b32 s33, s37, s9
	s_add_u32 s9, s18, s34
	v_add_co_ci_u32_e64 v12, null, s44, v12, s10
	s_addc_u32 s10, s19, s35
	s_add_u32 s9, s9, s30
	s_mul_hi_u32 s18, s26, s7
	s_addc_u32 s19, s10, s31
	s_add_i32 s11, s18, s11
	s_mul_i32 s10, s26, s7
	v_add_co_u32 v13, s9, s9, v13
	v_add_co_ci_u32_e64 v14, null, s19, v14, s9
	s_lshl_b64 s[18:19], s[10:11], 3
	s_lshl_b64 s[10:11], s[28:29], 3
	s_add_u32 s9, s16, s18
	s_addc_u32 s16, s17, s19
	s_add_u32 s9, s9, s14
	s_addc_u32 s14, s16, s15
	;; [unrolled: 2-line block ×3, first 2 shown]
	v_add_co_u32 v3, s9, s9, v3
	v_lshlrev_b32_e32 v18, 3, v28
	v_lshl_or_b32 v19, v31, 2, 64
	v_cmp_eq_u32_e64 s5, 0, v28
	v_and_b32_e32 v24, 56, v33
	v_cmp_gt_u32_e64 s8, 8, v0
	v_cmp_eq_u32_e64 s6, 0, v0
	v_add_co_ci_u32_e64 v4, null, s12, v4, s9
	v_mov_b32_e32 v15, 0
	s_lshl_b64 s[12:13], s[26:27], 3
	s_branch .LBB119_58
.LBB119_57:                             ;   in Loop: Header=BB119_58 Depth=1
	s_or_b32 exec_lo, exec_lo, s9
	v_add_co_u32 v3, s9, v3, s12
	v_add_co_ci_u32_e64 v4, null, s13, v4, s9
	s_add_i32 s7, s7, 1
	s_cmp_lt_i32 s7, s21
	s_cbranch_scc0 .LBB119_77
.LBB119_58:                             ; =>This Loop Header: Depth=1
                                        ;     Child Loop BB119_70 Depth 2
                                        ;     Child Loop BB119_72 Depth 2
                                        ; implicit-def: $vgpr0
                                        ; implicit-def: $vgpr25
	s_and_saveexec_b32 s9, vcc_lo
	s_xor_b32 s14, exec_lo, s9
	s_cbranch_execnz .LBB119_67
; %bb.59:                               ;   in Loop: Header=BB119_58 Depth=1
	s_andn2_saveexec_b32 s14, s14
	s_cbranch_execnz .LBB119_68
.LBB119_60:                             ;   in Loop: Header=BB119_58 Depth=1
	s_or_b32 exec_lo, exec_lo, s14
	s_and_saveexec_b32 s9, s4
	s_cbranch_execz .LBB119_62
.LBB119_61:                             ;   in Loop: Header=BB119_58 Depth=1
	s_waitcnt lgkmcnt(0)
	v_mov_b32_e32 v16, v15
	ds_write_b64 v18, v[15:16]
.LBB119_62:                             ;   in Loop: Header=BB119_58 Depth=1
	s_or_b32 exec_lo, exec_lo, s9
	s_waitcnt lgkmcnt(0)
	ds_bpermute_b32 v16, v19, v0
	ds_bpermute_b32 v17, v19, v25
	s_waitcnt lgkmcnt(0)
	s_waitcnt_vscnt null, 0x0
	s_barrier
	buffer_gl0_inv
	v_add_f32_e32 v0, v0, v16
	v_add_f32_e32 v16, v25, v17
	ds_bpermute_b32 v17, v20, v0
	ds_bpermute_b32 v25, v20, v16
	s_waitcnt lgkmcnt(1)
	v_add_f32_e32 v0, v0, v17
	s_waitcnt lgkmcnt(0)
	v_add_f32_e32 v16, v16, v25
	ds_bpermute_b32 v17, v21, v0
	ds_bpermute_b32 v25, v21, v16
	s_waitcnt lgkmcnt(1)
	v_add_f32_e32 v0, v0, v17
	s_waitcnt lgkmcnt(0)
	;; [unrolled: 6-line block ×3, first 2 shown]
	v_add_f32_e32 v16, v16, v25
	ds_bpermute_b32 v17, v23, v0
	ds_bpermute_b32 v25, v23, v16
	s_and_saveexec_b32 s9, s5
	s_cbranch_execz .LBB119_64
; %bb.63:                               ;   in Loop: Header=BB119_58 Depth=1
	s_waitcnt lgkmcnt(0)
	v_add_f32_e32 v26, v16, v25
	v_add_f32_e32 v25, v0, v17
	ds_write_b64 v24, v[25:26]
.LBB119_64:                             ;   in Loop: Header=BB119_58 Depth=1
	s_or_b32 exec_lo, exec_lo, s9
	s_waitcnt lgkmcnt(1)
	v_mov_b32_e32 v17, 0
	v_mov_b32_e32 v16, 0
	s_waitcnt lgkmcnt(0)
	s_barrier
	buffer_gl0_inv
	s_and_saveexec_b32 s9, s8
	s_cbranch_execnz .LBB119_74
; %bb.65:                               ;   in Loop: Header=BB119_58 Depth=1
	s_or_b32 exec_lo, exec_lo, s9
	s_and_saveexec_b32 s9, s4
	s_cbranch_execnz .LBB119_75
.LBB119_66:                             ;   in Loop: Header=BB119_58 Depth=1
	s_or_b32 exec_lo, exec_lo, s9
	s_and_saveexec_b32 s9, s6
	s_cbranch_execz .LBB119_57
	s_branch .LBB119_76
.LBB119_67:                             ;   in Loop: Header=BB119_58 Depth=1
	s_mul_i32 s9, s7, s27
	s_mul_hi_u32 s15, s7, s26
	s_mul_i32 s16, s7, s26
	s_add_i32 s17, s15, s9
	s_lshl_b64 s[16:17], s[16:17], 3
	s_waitcnt lgkmcnt(0)
	v_add_co_u32 v16, s9, v1, s16
	v_add_co_ci_u32_e64 v17, null, s17, v2, s9
	s_waitcnt lgkmcnt(0)
	global_load_dwordx4 v[25:28], v[16:17], off
	s_clause 0x1
	global_load_dwordx2 v[33:34], v[5:6], off
	global_load_dwordx2 v[35:36], v[7:8], off
	global_load_dwordx4 v[29:32], v[16:17], off offset:16
	s_clause 0x1
	global_load_dwordx2 v[16:17], v[9:10], off
	global_load_dwordx2 v[37:38], v[11:12], off
	s_waitcnt vmcnt(4)
	v_mul_f32_e32 v0, v34, v26
	v_mul_f32_e32 v26, v33, v26
	s_waitcnt vmcnt(3)
	v_mul_f32_e32 v39, v36, v28
	v_mul_f32_e32 v28, v35, v28
	s_waitcnt vmcnt(1)
	v_mul_f32_e32 v40, v17, v30
	v_fma_f32 v0, v33, v25, -v0
	v_fmac_f32_e32 v26, v34, v25
	v_mul_f32_e32 v30, v16, v30
	v_fma_f32 v39, v35, v27, -v39
	v_fmac_f32_e32 v28, v36, v27
	v_add_f32_e32 v0, 0, v0
	v_add_f32_e32 v26, 0, v26
	s_waitcnt vmcnt(0)
	v_mul_f32_e32 v25, v38, v32
	v_mul_f32_e32 v27, v37, v32
	v_fma_f32 v32, v16, v29, -v40
	v_fmac_f32_e32 v30, v17, v29
	v_add_f32_e32 v0, v0, v39
	v_add_f32_e32 v26, v26, v28
	v_fma_f32 v25, v37, v31, -v25
	v_fmac_f32_e32 v27, v38, v31
	buffer_store_dword v34, off, s[0:3], 0 offset:4
	v_add_f32_e32 v0, v0, v32
	v_add_f32_e32 v26, v26, v30
	buffer_store_dword v33, off, s[0:3], 0
	buffer_store_dword v36, off, s[0:3], 0 offset:12
	buffer_store_dword v35, off, s[0:3], 0 offset:8
	;; [unrolled: 1-line block ×6, first 2 shown]
	v_add_f32_e32 v0, v0, v25
	v_add_f32_e32 v25, v26, v27
	s_andn2_saveexec_b32 s14, s14
	s_cbranch_execz .LBB119_60
.LBB119_68:                             ;   in Loop: Header=BB119_58 Depth=1
	v_mov_b32_e32 v0, 0
	v_mov_b32_e32 v25, 0
	s_and_saveexec_b32 s15, s33
	s_cbranch_execz .LBB119_73
; %bb.69:                               ;   in Loop: Header=BB119_58 Depth=1
	s_waitcnt lgkmcnt(0)
	v_mov_b32_e32 v17, v14
	v_mov_b32_e32 v16, v13
	s_mov_b32 s16, 0
	s_mov_b32 s17, s23
.LBB119_70:                             ;   Parent Loop BB119_58 Depth=1
                                        ; =>  This Inner Loop Header: Depth=2
	s_waitcnt lgkmcnt(0)
	global_load_dwordx2 v[25:26], v[16:17], off
	v_add_co_u32 v16, s9, v16, s10
	v_mov_b32_e32 v0, s16
	v_add_co_ci_u32_e64 v17, null, s11, v17, s9
	s_add_i32 s17, s17, -1
	s_add_i32 s16, s16, 8
	s_cmp_eq_u32 s17, 0
	s_waitcnt vmcnt(0)
	buffer_store_dword v26, v0, s[0:3], 0 offen offset:4
	buffer_store_dword v25, v0, s[0:3], 0 offen
	s_cbranch_scc0 .LBB119_70
; %bb.71:                               ;   in Loop: Header=BB119_58 Depth=1
	v_mov_b32_e32 v17, v4
	v_mov_b32_e32 v0, 0
	;; [unrolled: 1-line block ×4, first 2 shown]
	s_mov_b32 s16, 0
	s_mov_b32 s17, s23
	.p2align	6
.LBB119_72:                             ;   Parent Loop BB119_58 Depth=1
                                        ; =>  This Inner Loop Header: Depth=2
	v_mov_b32_e32 v28, s16
	global_load_dwordx2 v[26:27], v[16:17], off
	v_add_co_u32 v16, s9, v16, 8
	v_add_co_ci_u32_e64 v17, null, 0, v17, s9
	s_clause 0x1
	buffer_load_dword v29, v28, s[0:3], 0 offen offset:4
	buffer_load_dword v28, v28, s[0:3], 0 offen
	s_add_i32 s17, s17, -1
	s_add_i32 s16, s16, 8
	s_cmp_lg_u32 s17, 0
	s_waitcnt vmcnt(1)
	v_mul_f32_e32 v30, v29, v27
	s_waitcnt vmcnt(0)
	v_mul_f32_e32 v27, v28, v27
	v_fma_f32 v28, v28, v26, -v30
	v_fmac_f32_e32 v27, v29, v26
	v_add_f32_e32 v0, v0, v28
	v_add_f32_e32 v25, v25, v27
	s_cbranch_scc1 .LBB119_72
.LBB119_73:                             ;   in Loop: Header=BB119_58 Depth=1
	s_or_b32 exec_lo, exec_lo, s15
	s_or_b32 exec_lo, exec_lo, s14
	s_and_saveexec_b32 s9, s4
	s_cbranch_execnz .LBB119_61
	s_branch .LBB119_62
.LBB119_74:                             ;   in Loop: Header=BB119_58 Depth=1
	ds_read_b64 v[16:17], v18
	s_or_b32 exec_lo, exec_lo, s9
	s_and_saveexec_b32 s9, s4
	s_cbranch_execz .LBB119_66
.LBB119_75:                             ;   in Loop: Header=BB119_58 Depth=1
	s_waitcnt lgkmcnt(0)
	ds_bpermute_b32 v0, v21, v16
	ds_bpermute_b32 v25, v21, v17
	s_waitcnt lgkmcnt(1)
	v_add_f32_e32 v0, v16, v0
	s_waitcnt lgkmcnt(0)
	v_add_f32_e32 v16, v17, v25
	ds_bpermute_b32 v17, v22, v0
	ds_bpermute_b32 v25, v22, v16
	s_waitcnt lgkmcnt(1)
	v_add_f32_e32 v0, v0, v17
	s_waitcnt lgkmcnt(0)
	v_add_f32_e32 v17, v16, v25
	;; [unrolled: 6-line block ×3, first 2 shown]
	s_or_b32 exec_lo, exec_lo, s9
	s_and_saveexec_b32 s9, s6
	s_cbranch_execz .LBB119_57
.LBB119_76:                             ;   in Loop: Header=BB119_58 Depth=1
	s_waitcnt lgkmcnt(0)
	v_mul_f32_e32 v0, s25, v17
	v_mul_f32_e32 v26, s24, v17
	s_mul_hi_u32 s15, s7, s22
	s_mul_i32 s14, s7, s22
	s_lshl_b64 s[14:15], s[14:15], 3
	v_fma_f32 v25, v16, s24, -v0
	v_fmac_f32_e32 v26, s25, v16
	s_add_u32 s14, s20, s14
	s_addc_u32 s15, s36, s15
	global_store_dwordx2 v15, v[25:26], s[14:15]
	s_branch .LBB119_57
.LBB119_77:
	s_endpgm
	.section	.rodata,"a",@progbits
	.p2align	6, 0x0
	.amdhsa_kernel _ZL23rocblas_gemvt_sn_kernelILb0ELi256ELi4El19rocblas_complex_numIfEPKS1_S1_EviiT4_lPKT3_lilS7_lilPT5_i
		.amdhsa_group_segment_fixed_size 256
		.amdhsa_private_segment_fixed_size 48
		.amdhsa_kernarg_size 360
		.amdhsa_user_sgpr_count 6
		.amdhsa_user_sgpr_private_segment_buffer 1
		.amdhsa_user_sgpr_dispatch_ptr 0
		.amdhsa_user_sgpr_queue_ptr 0
		.amdhsa_user_sgpr_kernarg_segment_ptr 1
		.amdhsa_user_sgpr_dispatch_id 0
		.amdhsa_user_sgpr_flat_scratch_init 0
		.amdhsa_user_sgpr_private_segment_size 0
		.amdhsa_wavefront_size32 1
		.amdhsa_uses_dynamic_stack 0
		.amdhsa_system_sgpr_private_segment_wavefront_offset 1
		.amdhsa_system_sgpr_workgroup_id_x 1
		.amdhsa_system_sgpr_workgroup_id_y 0
		.amdhsa_system_sgpr_workgroup_id_z 1
		.amdhsa_system_sgpr_workgroup_info 0
		.amdhsa_system_vgpr_workitem_id 0
		.amdhsa_next_free_vgpr 87
		.amdhsa_next_free_sgpr 60
		.amdhsa_reserve_vcc 1
		.amdhsa_reserve_flat_scratch 0
		.amdhsa_float_round_mode_32 0
		.amdhsa_float_round_mode_16_64 0
		.amdhsa_float_denorm_mode_32 3
		.amdhsa_float_denorm_mode_16_64 3
		.amdhsa_dx10_clamp 1
		.amdhsa_ieee_mode 1
		.amdhsa_fp16_overflow 0
		.amdhsa_workgroup_processor_mode 1
		.amdhsa_memory_ordered 1
		.amdhsa_forward_progress 1
		.amdhsa_shared_vgpr_count 0
		.amdhsa_exception_fp_ieee_invalid_op 0
		.amdhsa_exception_fp_denorm_src 0
		.amdhsa_exception_fp_ieee_div_zero 0
		.amdhsa_exception_fp_ieee_overflow 0
		.amdhsa_exception_fp_ieee_underflow 0
		.amdhsa_exception_fp_ieee_inexact 0
		.amdhsa_exception_int_div_zero 0
	.end_amdhsa_kernel
	.section	.text._ZL23rocblas_gemvt_sn_kernelILb0ELi256ELi4El19rocblas_complex_numIfEPKS1_S1_EviiT4_lPKT3_lilS7_lilPT5_i,"axG",@progbits,_ZL23rocblas_gemvt_sn_kernelILb0ELi256ELi4El19rocblas_complex_numIfEPKS1_S1_EviiT4_lPKT3_lilS7_lilPT5_i,comdat
.Lfunc_end119:
	.size	_ZL23rocblas_gemvt_sn_kernelILb0ELi256ELi4El19rocblas_complex_numIfEPKS1_S1_EviiT4_lPKT3_lilS7_lilPT5_i, .Lfunc_end119-_ZL23rocblas_gemvt_sn_kernelILb0ELi256ELi4El19rocblas_complex_numIfEPKS1_S1_EviiT4_lPKT3_lilS7_lilPT5_i
                                        ; -- End function
	.set _ZL23rocblas_gemvt_sn_kernelILb0ELi256ELi4El19rocblas_complex_numIfEPKS1_S1_EviiT4_lPKT3_lilS7_lilPT5_i.num_vgpr, 87
	.set _ZL23rocblas_gemvt_sn_kernelILb0ELi256ELi4El19rocblas_complex_numIfEPKS1_S1_EviiT4_lPKT3_lilS7_lilPT5_i.num_agpr, 0
	.set _ZL23rocblas_gemvt_sn_kernelILb0ELi256ELi4El19rocblas_complex_numIfEPKS1_S1_EviiT4_lPKT3_lilS7_lilPT5_i.numbered_sgpr, 60
	.set _ZL23rocblas_gemvt_sn_kernelILb0ELi256ELi4El19rocblas_complex_numIfEPKS1_S1_EviiT4_lPKT3_lilS7_lilPT5_i.num_named_barrier, 0
	.set _ZL23rocblas_gemvt_sn_kernelILb0ELi256ELi4El19rocblas_complex_numIfEPKS1_S1_EviiT4_lPKT3_lilS7_lilPT5_i.private_seg_size, 48
	.set _ZL23rocblas_gemvt_sn_kernelILb0ELi256ELi4El19rocblas_complex_numIfEPKS1_S1_EviiT4_lPKT3_lilS7_lilPT5_i.uses_vcc, 1
	.set _ZL23rocblas_gemvt_sn_kernelILb0ELi256ELi4El19rocblas_complex_numIfEPKS1_S1_EviiT4_lPKT3_lilS7_lilPT5_i.uses_flat_scratch, 0
	.set _ZL23rocblas_gemvt_sn_kernelILb0ELi256ELi4El19rocblas_complex_numIfEPKS1_S1_EviiT4_lPKT3_lilS7_lilPT5_i.has_dyn_sized_stack, 0
	.set _ZL23rocblas_gemvt_sn_kernelILb0ELi256ELi4El19rocblas_complex_numIfEPKS1_S1_EviiT4_lPKT3_lilS7_lilPT5_i.has_recursion, 0
	.set _ZL23rocblas_gemvt_sn_kernelILb0ELi256ELi4El19rocblas_complex_numIfEPKS1_S1_EviiT4_lPKT3_lilS7_lilPT5_i.has_indirect_call, 0
	.section	.AMDGPU.csdata,"",@progbits
; Kernel info:
; codeLenInByte = 5624
; TotalNumSgprs: 62
; NumVgprs: 87
; ScratchSize: 48
; MemoryBound: 0
; FloatMode: 240
; IeeeMode: 1
; LDSByteSize: 256 bytes/workgroup (compile time only)
; SGPRBlocks: 0
; VGPRBlocks: 10
; NumSGPRsForWavesPerEU: 62
; NumVGPRsForWavesPerEU: 87
; Occupancy: 10
; WaveLimiterHint : 1
; COMPUTE_PGM_RSRC2:SCRATCH_EN: 1
; COMPUTE_PGM_RSRC2:USER_SGPR: 6
; COMPUTE_PGM_RSRC2:TRAP_HANDLER: 0
; COMPUTE_PGM_RSRC2:TGID_X_EN: 1
; COMPUTE_PGM_RSRC2:TGID_Y_EN: 0
; COMPUTE_PGM_RSRC2:TGID_Z_EN: 1
; COMPUTE_PGM_RSRC2:TIDIG_COMP_CNT: 0
	.section	.text._ZL23rocblas_gemvt_sn_reduceILi256ELi8E19rocblas_complex_numIfEPKS1_S1_EviT2_lPT3_lilPT1_i,"axG",@progbits,_ZL23rocblas_gemvt_sn_reduceILi256ELi8E19rocblas_complex_numIfEPKS1_S1_EviT2_lPT3_lilPT1_i,comdat
	.globl	_ZL23rocblas_gemvt_sn_reduceILi256ELi8E19rocblas_complex_numIfEPKS1_S1_EviT2_lPT3_lilPT1_i ; -- Begin function _ZL23rocblas_gemvt_sn_reduceILi256ELi8E19rocblas_complex_numIfEPKS1_S1_EviT2_lPT3_lilPT1_i
	.p2align	8
	.type	_ZL23rocblas_gemvt_sn_reduceILi256ELi8E19rocblas_complex_numIfEPKS1_S1_EviT2_lPT3_lilPT1_i,@function
_ZL23rocblas_gemvt_sn_reduceILi256ELi8E19rocblas_complex_numIfEPKS1_S1_EviT2_lPT3_lilPT1_i: ; @_ZL23rocblas_gemvt_sn_reduceILi256ELi8E19rocblas_complex_numIfEPKS1_S1_EviT2_lPT3_lilPT1_i
; %bb.0:
	s_clause 0x2
	s_load_dwordx8 s[12:19], s[4:5], 0x8
	s_load_dword s6, s[4:5], 0x0
	s_load_dword s9, s[4:5], 0x4c
	v_lshlrev_b32_e32 v5, 3, v0
	v_mov_b32_e32 v3, 0
	v_mov_b32_e32 v4, 0
	s_waitcnt lgkmcnt(0)
	s_mul_i32 s0, s15, s8
	s_mul_hi_u32 s1, s14, s8
	s_mul_i32 s9, s9, s8
	s_add_i32 s1, s1, s0
	s_mul_i32 s0, s14, s8
	s_ashr_i32 s14, s6, 31
	s_lshl_b64 s[0:1], s[0:1], 3
	s_mov_b32 s15, 0
	s_add_u32 s0, s12, s0
	s_addc_u32 s1, s13, s1
	s_load_dwordx2 s[10:11], s[4:5], 0x38
	s_load_dwordx2 s[2:3], s[0:1], 0x0
	s_add_u32 s0, s4, 0x48
	s_addc_u32 s1, s5, 0
	s_add_i32 s12, s9, s7
	s_lshr_b32 s9, s14, 29
	s_mul_i32 s13, s12, s14
	s_add_i32 s9, s6, s9
	s_mul_hi_u32 s14, s12, s6
	s_and_b32 s9, s9, -8
	s_add_i32 s13, s14, s13
	s_mul_i32 s12, s12, s6
	s_mov_b32 s14, exec_lo
	v_cmpx_gt_i32_e64 s9, v5
	s_cbranch_execz .LBB120_4
; %bb.1:
	s_load_dword s0, s[0:1], 0xc
	v_lshlrev_b32_e32 v1, 6, v0
	s_lshl_b64 s[20:21], s[12:13], 3
	v_mov_b32_e32 v3, 0
	v_mov_b32_e32 v4, 0
	s_waitcnt lgkmcnt(0)
	s_and_b32 s0, s0, 0xffff
	s_lshl_b32 s1, s0, 3
	s_add_u32 s20, s10, s20
	s_addc_u32 s21, s11, s21
	v_add_co_u32 v1, s20, s20, v1
	v_add_co_ci_u32_e64 v2, null, s21, 0, s20
	s_lshl_b32 s20, s0, 6
	v_add_co_u32 v1, vcc_lo, v1, 60
	v_add_co_ci_u32_e64 v2, null, 0, v2, vcc_lo
	s_inst_prefetch 0x1
	.p2align	6
.LBB120_2:                              ; =>This Inner Loop Header: Depth=1
	s_clause 0x3
	global_load_dwordx4 v[6:9], v[1:2], off offset:-60
	global_load_dwordx4 v[10:13], v[1:2], off offset:-44
	;; [unrolled: 1-line block ×4, first 2 shown]
	v_add_nc_u32_e32 v5, s1, v5
	v_add_co_u32 v1, vcc_lo, v1, s20
	v_add_co_ci_u32_e64 v2, null, 0, v2, vcc_lo
	v_cmp_le_i32_e64 s0, s9, v5
	s_or_b32 s15, s0, s15
	s_waitcnt vmcnt(3)
	v_add_f32_e32 v4, v4, v6
	v_add_f32_e32 v3, v3, v7
	v_add_f32_e32 v4, v4, v8
	v_add_f32_e32 v3, v3, v9
	s_waitcnt vmcnt(2)
	v_add_f32_e32 v4, v4, v10
	v_add_f32_e32 v3, v3, v11
	v_add_f32_e32 v4, v4, v12
	v_add_f32_e32 v3, v3, v13
	;; [unrolled: 5-line block ×4, first 2 shown]
	s_andn2_b32 exec_lo, exec_lo, s15
	s_cbranch_execnz .LBB120_2
; %bb.3:
	s_inst_prefetch 0x2
	s_or_b32 exec_lo, exec_lo, s15
.LBB120_4:
	s_or_b32 exec_lo, exec_lo, s14
	s_sub_i32 s0, s6, s9
	v_cmp_gt_u32_e32 vcc_lo, s0, v0
	s_and_saveexec_b32 s0, vcc_lo
	s_cbranch_execz .LBB120_6
; %bb.5:
	v_xad_u32 v1, v0, -1, s6
	v_mov_b32_e32 v2, 0
	s_lshl_b64 s[12:13], s[12:13], 3
	s_waitcnt lgkmcnt(0)
	s_add_u32 s1, s10, s12
	s_addc_u32 s6, s11, s13
	v_lshlrev_b64 v[1:2], 3, v[1:2]
	v_add_co_u32 v1, vcc_lo, s1, v1
	v_add_co_ci_u32_e64 v2, null, s6, v2, vcc_lo
	global_load_dwordx2 v[1:2], v[1:2], off
	s_waitcnt vmcnt(0)
	v_add_f32_e32 v4, v4, v1
	v_add_f32_e32 v3, v3, v2
.LBB120_6:
	s_or_b32 exec_lo, exec_lo, s0
	v_and_b32_e32 v1, 31, v0
	v_cmp_gt_u32_e32 vcc_lo, 32, v0
	v_lshlrev_b32_e32 v5, 3, v1
	s_and_saveexec_b32 s0, vcc_lo
; %bb.7:
	v_mov_b32_e32 v6, 0
	v_mov_b32_e32 v7, v6
	ds_write_b64 v5, v[6:7]
; %bb.8:
	s_or_b32 exec_lo, exec_lo, s0
	v_mbcnt_lo_u32_b32 v2, -1, 0
	s_mov_b32 s1, exec_lo
	s_waitcnt lgkmcnt(0)
	s_barrier
	buffer_gl0_inv
	v_lshl_or_b32 v6, v2, 2, 64
	v_cmp_gt_u32_e64 s0, 24, v2
	ds_bpermute_b32 v7, v6, v4
	ds_bpermute_b32 v6, v6, v3
	v_cndmask_b32_e64 v8, 0, 8, s0
	v_cmp_gt_u32_e64 s0, 28, v2
	v_add_lshl_u32 v8, v8, v2, 2
	s_waitcnt lgkmcnt(1)
	v_add_f32_e32 v4, v4, v7
	s_waitcnt lgkmcnt(0)
	v_add_f32_e32 v6, v3, v6
	v_cndmask_b32_e64 v3, 0, 4, s0
	v_cmp_gt_u32_e64 s0, 30, v2
	ds_bpermute_b32 v7, v8, v4
	ds_bpermute_b32 v8, v8, v6
	v_add_lshl_u32 v3, v3, v2, 2
	s_waitcnt lgkmcnt(1)
	v_add_f32_e32 v7, v4, v7
	s_waitcnt lgkmcnt(0)
	v_add_f32_e32 v6, v6, v8
	v_cndmask_b32_e64 v4, 0, 2, s0
	v_cmp_ne_u32_e64 s0, 31, v2
	ds_bpermute_b32 v8, v3, v7
	ds_bpermute_b32 v9, v3, v6
	v_add_lshl_u32 v4, v4, v2, 2
	v_add_co_ci_u32_e64 v2, null, 0, v2, s0
	s_waitcnt lgkmcnt(1)
	v_add_f32_e32 v7, v7, v8
	s_waitcnt lgkmcnt(0)
	v_add_f32_e32 v8, v6, v9
	v_lshlrev_b32_e32 v6, 2, v2
	ds_bpermute_b32 v9, v4, v7
	ds_bpermute_b32 v10, v4, v8
	s_waitcnt lgkmcnt(1)
	v_add_f32_e32 v2, v7, v9
	s_waitcnt lgkmcnt(0)
	v_add_f32_e32 v8, v8, v10
	ds_bpermute_b32 v7, v6, v2
	ds_bpermute_b32 v9, v6, v8
	v_cmpx_eq_u32_e32 0, v1
	s_cbranch_execz .LBB120_10
; %bb.9:
	v_lshrrev_b32_e32 v1, 2, v0
	s_waitcnt lgkmcnt(0)
	v_add_f32_e32 v8, v8, v9
	v_add_f32_e32 v7, v2, v7
	v_and_b32_e32 v1, 56, v1
	ds_write_b64 v1, v[7:8]
.LBB120_10:
	s_or_b32 exec_lo, exec_lo, s1
	v_mov_b32_e32 v2, 0
	v_mov_b32_e32 v1, 0
	s_mov_b32 s1, exec_lo
	s_waitcnt lgkmcnt(0)
	s_barrier
	buffer_gl0_inv
	v_cmpx_gt_u32_e32 8, v0
; %bb.11:
	ds_read_b64 v[1:2], v5
; %bb.12:
	s_or_b32 exec_lo, exec_lo, s1
	s_and_saveexec_b32 s0, vcc_lo
	s_cbranch_execz .LBB120_14
; %bb.13:
	s_waitcnt lgkmcnt(0)
	ds_bpermute_b32 v5, v3, v1
	ds_bpermute_b32 v3, v3, v2
	s_waitcnt lgkmcnt(1)
	v_add_f32_e32 v1, v1, v5
	s_waitcnt lgkmcnt(0)
	v_add_f32_e32 v2, v2, v3
	ds_bpermute_b32 v3, v4, v1
	ds_bpermute_b32 v4, v4, v2
	s_waitcnt lgkmcnt(1)
	v_add_f32_e32 v1, v1, v3
	s_waitcnt lgkmcnt(0)
	v_add_f32_e32 v2, v2, v4
	;; [unrolled: 6-line block ×3, first 2 shown]
.LBB120_14:
	s_or_b32 exec_lo, exec_lo, s0
	s_mov_b32 s0, exec_lo
	v_cmpx_eq_u32_e32 0, v0
	s_cbranch_execz .LBB120_18
; %bb.15:
	s_clause 0x1
	s_load_dwordx2 s[0:1], s[4:5], 0x30
	s_load_dword s6, s[4:5], 0x28
	v_cmp_neq_f32_e64 s9, s2, 0
	s_waitcnt lgkmcnt(0)
	s_mul_i32 s1, s1, s8
	s_mul_hi_u32 s4, s0, s8
	s_mul_i32 s0, s0, s8
	s_add_i32 s1, s4, s1
	v_cmp_neq_f32_e64 s8, s3, 0
	s_lshl_b64 s[0:1], s[0:1], 3
	s_ashr_i32 s10, s6, 31
	s_add_u32 s4, s16, s0
	s_addc_u32 s5, s17, s1
	s_lshl_b64 s[0:1], s[18:19], 3
	s_mul_i32 s10, s10, s7
	s_add_u32 s4, s4, s0
	s_addc_u32 s5, s5, s1
	s_or_b32 s0, s9, s8
	s_mul_hi_u32 s1, s6, s7
	s_andn2_b32 vcc_lo, exec_lo, s0
	s_add_i32 s1, s1, s10
	s_mul_i32 s0, s6, s7
	s_cbranch_vccnz .LBB120_17
; %bb.16:
	s_lshl_b64 s[6:7], s[0:1], 3
	s_add_u32 s6, s4, s6
	s_addc_u32 s7, s5, s7
	s_load_dwordx2 s[6:7], s[6:7], 0x0
	s_waitcnt lgkmcnt(0)
	v_mul_f32_e64 v0, s3, s7
	v_mul_f32_e64 v3, s2, s7
	v_fma_f32 v0, s2, s6, -v0
	v_fmac_f32_e64 v3, s3, s6
	v_add_f32_e32 v1, v1, v0
	v_add_f32_e32 v2, v2, v3
.LBB120_17:
	s_lshl_b64 s[0:1], s[0:1], 3
	v_mov_b32_e32 v0, 0
	s_add_u32 s0, s4, s0
	s_addc_u32 s1, s5, s1
	global_store_dwordx2 v0, v[1:2], s[0:1]
.LBB120_18:
	s_endpgm
	.section	.rodata,"a",@progbits
	.p2align	6, 0x0
	.amdhsa_kernel _ZL23rocblas_gemvt_sn_reduceILi256ELi8E19rocblas_complex_numIfEPKS1_S1_EviT2_lPT3_lilPT1_i
		.amdhsa_group_segment_fixed_size 256
		.amdhsa_private_segment_fixed_size 0
		.amdhsa_kernarg_size 328
		.amdhsa_user_sgpr_count 6
		.amdhsa_user_sgpr_private_segment_buffer 1
		.amdhsa_user_sgpr_dispatch_ptr 0
		.amdhsa_user_sgpr_queue_ptr 0
		.amdhsa_user_sgpr_kernarg_segment_ptr 1
		.amdhsa_user_sgpr_dispatch_id 0
		.amdhsa_user_sgpr_flat_scratch_init 0
		.amdhsa_user_sgpr_private_segment_size 0
		.amdhsa_wavefront_size32 1
		.amdhsa_uses_dynamic_stack 0
		.amdhsa_system_sgpr_private_segment_wavefront_offset 0
		.amdhsa_system_sgpr_workgroup_id_x 1
		.amdhsa_system_sgpr_workgroup_id_y 1
		.amdhsa_system_sgpr_workgroup_id_z 1
		.amdhsa_system_sgpr_workgroup_info 0
		.amdhsa_system_vgpr_workitem_id 0
		.amdhsa_next_free_vgpr 22
		.amdhsa_next_free_sgpr 22
		.amdhsa_reserve_vcc 1
		.amdhsa_reserve_flat_scratch 0
		.amdhsa_float_round_mode_32 0
		.amdhsa_float_round_mode_16_64 0
		.amdhsa_float_denorm_mode_32 3
		.amdhsa_float_denorm_mode_16_64 3
		.amdhsa_dx10_clamp 1
		.amdhsa_ieee_mode 1
		.amdhsa_fp16_overflow 0
		.amdhsa_workgroup_processor_mode 1
		.amdhsa_memory_ordered 1
		.amdhsa_forward_progress 1
		.amdhsa_shared_vgpr_count 0
		.amdhsa_exception_fp_ieee_invalid_op 0
		.amdhsa_exception_fp_denorm_src 0
		.amdhsa_exception_fp_ieee_div_zero 0
		.amdhsa_exception_fp_ieee_overflow 0
		.amdhsa_exception_fp_ieee_underflow 0
		.amdhsa_exception_fp_ieee_inexact 0
		.amdhsa_exception_int_div_zero 0
	.end_amdhsa_kernel
	.section	.text._ZL23rocblas_gemvt_sn_reduceILi256ELi8E19rocblas_complex_numIfEPKS1_S1_EviT2_lPT3_lilPT1_i,"axG",@progbits,_ZL23rocblas_gemvt_sn_reduceILi256ELi8E19rocblas_complex_numIfEPKS1_S1_EviT2_lPT3_lilPT1_i,comdat
.Lfunc_end120:
	.size	_ZL23rocblas_gemvt_sn_reduceILi256ELi8E19rocblas_complex_numIfEPKS1_S1_EviT2_lPT3_lilPT1_i, .Lfunc_end120-_ZL23rocblas_gemvt_sn_reduceILi256ELi8E19rocblas_complex_numIfEPKS1_S1_EviT2_lPT3_lilPT1_i
                                        ; -- End function
	.set _ZL23rocblas_gemvt_sn_reduceILi256ELi8E19rocblas_complex_numIfEPKS1_S1_EviT2_lPT3_lilPT1_i.num_vgpr, 22
	.set _ZL23rocblas_gemvt_sn_reduceILi256ELi8E19rocblas_complex_numIfEPKS1_S1_EviT2_lPT3_lilPT1_i.num_agpr, 0
	.set _ZL23rocblas_gemvt_sn_reduceILi256ELi8E19rocblas_complex_numIfEPKS1_S1_EviT2_lPT3_lilPT1_i.numbered_sgpr, 22
	.set _ZL23rocblas_gemvt_sn_reduceILi256ELi8E19rocblas_complex_numIfEPKS1_S1_EviT2_lPT3_lilPT1_i.num_named_barrier, 0
	.set _ZL23rocblas_gemvt_sn_reduceILi256ELi8E19rocblas_complex_numIfEPKS1_S1_EviT2_lPT3_lilPT1_i.private_seg_size, 0
	.set _ZL23rocblas_gemvt_sn_reduceILi256ELi8E19rocblas_complex_numIfEPKS1_S1_EviT2_lPT3_lilPT1_i.uses_vcc, 1
	.set _ZL23rocblas_gemvt_sn_reduceILi256ELi8E19rocblas_complex_numIfEPKS1_S1_EviT2_lPT3_lilPT1_i.uses_flat_scratch, 0
	.set _ZL23rocblas_gemvt_sn_reduceILi256ELi8E19rocblas_complex_numIfEPKS1_S1_EviT2_lPT3_lilPT1_i.has_dyn_sized_stack, 0
	.set _ZL23rocblas_gemvt_sn_reduceILi256ELi8E19rocblas_complex_numIfEPKS1_S1_EviT2_lPT3_lilPT1_i.has_recursion, 0
	.set _ZL23rocblas_gemvt_sn_reduceILi256ELi8E19rocblas_complex_numIfEPKS1_S1_EviT2_lPT3_lilPT1_i.has_indirect_call, 0
	.section	.AMDGPU.csdata,"",@progbits
; Kernel info:
; codeLenInByte = 1236
; TotalNumSgprs: 24
; NumVgprs: 22
; ScratchSize: 0
; MemoryBound: 0
; FloatMode: 240
; IeeeMode: 1
; LDSByteSize: 256 bytes/workgroup (compile time only)
; SGPRBlocks: 0
; VGPRBlocks: 2
; NumSGPRsForWavesPerEU: 24
; NumVGPRsForWavesPerEU: 22
; Occupancy: 16
; WaveLimiterHint : 0
; COMPUTE_PGM_RSRC2:SCRATCH_EN: 0
; COMPUTE_PGM_RSRC2:USER_SGPR: 6
; COMPUTE_PGM_RSRC2:TRAP_HANDLER: 0
; COMPUTE_PGM_RSRC2:TGID_X_EN: 1
; COMPUTE_PGM_RSRC2:TGID_Y_EN: 1
; COMPUTE_PGM_RSRC2:TGID_Z_EN: 1
; COMPUTE_PGM_RSRC2:TIDIG_COMP_CNT: 0
	.section	.text._ZL23rocblas_gemvt_sn_kernelILb0ELi256ELi4Ei19rocblas_complex_numIfES1_S1_EviiT4_lPKT3_lilS5_lilPT5_i,"axG",@progbits,_ZL23rocblas_gemvt_sn_kernelILb0ELi256ELi4Ei19rocblas_complex_numIfES1_S1_EviiT4_lPKT3_lilS5_lilPT5_i,comdat
	.globl	_ZL23rocblas_gemvt_sn_kernelILb0ELi256ELi4Ei19rocblas_complex_numIfES1_S1_EviiT4_lPKT3_lilS5_lilPT5_i ; -- Begin function _ZL23rocblas_gemvt_sn_kernelILb0ELi256ELi4Ei19rocblas_complex_numIfES1_S1_EviiT4_lPKT3_lilS5_lilPT5_i
	.p2align	8
	.type	_ZL23rocblas_gemvt_sn_kernelILb0ELi256ELi4Ei19rocblas_complex_numIfES1_S1_EviiT4_lPKT3_lilS5_lilPT5_i,@function
_ZL23rocblas_gemvt_sn_kernelILb0ELi256ELi4Ei19rocblas_complex_numIfES1_S1_EviiT4_lPKT3_lilS5_lilPT5_i: ; @_ZL23rocblas_gemvt_sn_kernelILb0ELi256ELi4Ei19rocblas_complex_numIfES1_S1_EviiT4_lPKT3_lilS5_lilPT5_i
; %bb.0:
	s_add_u32 s0, s0, s8
	s_clause 0x2
	s_load_dwordx4 s[12:15], s[4:5], 0x0
	s_load_dword s20, s[4:5], 0x68
	s_load_dwordx4 s[8:11], s[4:5], 0x50
	s_addc_u32 s1, s1, 0
	s_mov_b32 s21, 0
	v_cmp_eq_u32_e32 vcc_lo, 0, v0
	s_waitcnt lgkmcnt(0)
	s_ashr_i32 s24, s13, 31
	s_mul_hi_u32 s16, s13, s7
	s_mul_i32 s18, s24, s7
	s_mul_i32 s17, s13, s7
	s_add_i32 s16, s16, s18
	s_or_b32 s19, s14, s15
	s_mul_hi_u32 s18, s17, s20
	s_mul_i32 s16, s16, s20
	s_bitset0_b32 s19, 31
	s_add_i32 s23, s18, s16
	s_mul_i32 s22, s17, s20
	s_cmp_lg_u32 s19, 0
	s_mov_b32 s16, -1
	s_cbranch_scc1 .LBB121_5
; %bb.1:
	s_cmp_gt_i32 s13, 0
	s_cselect_b32 s16, -1, 0
	s_and_b32 s16, vcc_lo, s16
	s_and_saveexec_b32 s25, s16
	s_cbranch_execz .LBB121_4
; %bb.2:
	s_mov_b32 s16, s7
	s_mov_b32 s7, 0
	v_mov_b32_e32 v1, 0
	s_lshl_b64 s[18:19], s[22:23], 3
	s_lshl_b64 s[26:27], s[6:7], 3
	s_mov_b32 s7, s16
	s_add_u32 s16, s18, s26
	s_addc_u32 s17, s19, s27
	s_add_u32 s16, s10, s16
	v_mov_b32_e32 v2, v1
	s_addc_u32 s17, s11, s17
	s_add_u32 s16, s16, 4
	s_addc_u32 s17, s17, 0
	s_lshl_b64 s[18:19], s[20:21], 3
	s_mov_b32 s21, s13
.LBB121_3:                              ; =>This Inner Loop Header: Depth=1
	s_add_i32 s21, s21, -1
	global_store_dwordx2 v1, v[1:2], s[16:17] offset:-4
	s_add_u32 s16, s16, s18
	s_addc_u32 s17, s17, s19
	s_cmp_eq_u32 s21, 0
	s_cbranch_scc0 .LBB121_3
.LBB121_4:
	s_or_b32 exec_lo, exec_lo, s25
	s_mov_b32 s16, 0
.LBB121_5:
	s_andn2_b32 vcc_lo, exec_lo, s16
	s_cbranch_vccnz .LBB121_77
; %bb.6:
	s_clause 0x2
	s_load_dwordx4 s[28:31], s[4:5], 0x30
	s_load_dwordx2 s[26:27], s[4:5], 0x40
	s_load_dwordx4 s[16:19], s[4:5], 0x18
	s_mul_i32 s9, s9, s7
	s_mul_hi_u32 s21, s8, s7
	s_mul_i32 s8, s8, s7
	s_add_i32 s9, s21, s9
	s_clause 0x1
	s_load_dword s21, s[4:5], 0x28
	s_load_dword s37, s[4:5], 0x48
	s_lshl_b64 s[8:9], s[8:9], 3
	v_and_b32_e32 v26, 31, v0
	v_cmp_gt_u32_e64 s4, 32, v0
	v_mbcnt_lo_u32_b32 v27, -1, 0
	v_lshrrev_b32_e32 v28, 2, v0
	s_waitcnt lgkmcnt(0)
	s_add_u32 s25, s30, s8
	s_addc_u32 s30, s31, s9
	s_lshl_b64 s[8:9], s[26:27], 3
	s_mul_i32 s29, s29, s7
	s_add_u32 s33, s25, s8
	s_addc_u32 s36, s30, s9
	s_lshl_b64 s[8:9], s[22:23], 3
	s_mul_hi_u32 s26, s28, s7
	s_add_u32 s40, s10, s8
	s_mul_i32 s22, s28, s7
	s_addc_u32 s11, s11, s9
	s_add_i32 s23, s26, s29
	s_lshl_b64 s[22:23], s[22:23], 3
	s_add_u32 s5, s16, s22
	s_addc_u32 s7, s17, s23
	s_lshl_b64 s[18:19], s[18:19], 3
	s_add_u32 s8, s5, s18
	s_addc_u32 s7, s7, s19
	s_lshl_b32 s5, s6, 10
	s_ashr_i32 s9, s12, 31
	v_lshl_or_b32 v2, v0, 2, s5
	s_lshr_b32 s9, s9, 30
	s_lshr_b32 s10, s24, 30
	s_add_i32 s9, s12, s9
	s_add_i32 s10, s13, s10
	v_ashrrev_i32_e32 v3, 31, v2
	s_and_b32 s9, s9, -4
	v_mul_lo_u32 v1, s37, v2
	s_sub_i32 s38, s12, s9
	v_cmp_gt_u32_e64 s5, 8, v0
	v_lshlrev_b64 v[3:4], 3, v[2:3]
	v_add_nc_u32_e32 v29, 4, v2
	v_add_nc_u32_e32 v30, s38, v2
	s_and_b32 s41, s10, -4
	s_cmp_lt_i32 s41, 1
	v_add_co_u32 v24, vcc_lo, s8, v3
	v_add_co_ci_u32_e64 v25, null, s7, v4, vcc_lo
	s_cbranch_scc1 .LBB121_54
; %bb.7:
	v_cmp_gt_u32_e32 vcc_lo, 24, v27
	v_mul_lo_u32 v5, s37, v2
	s_cmp_gt_i32 s38, 0
	v_cmp_ge_i32_e64 s7, s12, v29
	s_cselect_b32 s42, -1, 0
	v_cndmask_b32_e64 v6, 0, 8, vcc_lo
	v_cmp_gt_u32_e32 vcc_lo, 28, v27
	s_lshl_b32 s43, s21, 2
	s_lshl_b32 s44, s21, 1
	s_add_u32 s24, s22, s18
	v_add_lshl_u32 v2, v6, v27, 2
	v_cndmask_b32_e64 v7, 0, 4, vcc_lo
	v_cmp_gt_u32_e32 vcc_lo, 30, v27
	v_ashrrev_i32_e32 v6, 31, v5
	s_addc_u32 s26, s23, s19
	s_add_u32 s24, s16, s24
	v_add_lshl_u32 v32, v7, v27, 2
	v_cndmask_b32_e64 v8, 0, 2, vcc_lo
	v_cmp_ne_u32_e32 vcc_lo, 31, v27
	v_add_nc_u32_e32 v7, s37, v5
	v_lshlrev_b64 v[11:12], 3, v[5:6]
	s_addc_u32 s26, s17, s26
	v_add_lshl_u32 v33, v8, v27, 2
	v_add_co_ci_u32_e64 v9, null, 0, v27, vcc_lo
	v_ashrrev_i32_e32 v8, 31, v7
	v_add_co_u32 v6, vcc_lo, s33, v11
	v_lshlrev_b32_e32 v34, 2, v9
	v_add_nc_u32_e32 v9, s37, v7
	v_lshlrev_b64 v[13:14], 3, v[7:8]
	v_add_co_ci_u32_e64 v7, null, s36, v12, vcc_lo
	v_cmp_ge_i32_e64 s8, s12, v30
	v_add_nc_u32_e32 v15, s37, v9
	v_ashrrev_i32_e32 v10, 31, v9
	v_add_co_u32 v8, vcc_lo, s33, v13
	v_lshl_or_b32 v31, v27, 2, 64
	v_ashrrev_i32_e32 v16, 31, v15
	v_lshlrev_b64 v[10:11], 3, v[9:10]
	v_add_co_ci_u32_e64 v9, null, s36, v14, vcc_lo
	v_cmp_eq_u32_e64 s9, 0, v26
	v_lshlrev_b64 v[12:13], 3, v[15:16]
	v_lshlrev_b32_e32 v35, 3, v26
	v_add_co_u32 v10, vcc_lo, s33, v10
	v_add_co_ci_u32_e64 v11, null, s36, v11, vcc_lo
	v_add_co_u32 v12, vcc_lo, s33, v12
	v_add_co_ci_u32_e64 v13, null, s36, v13, vcc_lo
	v_add_co_u32 v37, vcc_lo, s24, v3
	v_and_b32_e32 v36, 56, v28
	v_cmp_eq_u32_e64 s10, 0, v0
	v_add_co_ci_u32_e64 v38, null, s26, v4, vcc_lo
	v_mov_b32_e32 v14, 0
	s_mov_b32 s25, 0
	s_mul_i32 s45, s21, 3
	s_mov_b32 s26, s25
	s_mov_b32 s46, s21
	;; [unrolled: 1-line block ×3, first 2 shown]
	s_branch .LBB121_9
.LBB121_8:                              ;   in Loop: Header=BB121_9 Depth=1
	s_or_b32 exec_lo, exec_lo, s27
	s_add_i32 s39, s39, 4
	s_add_i32 s46, s46, s43
	;; [unrolled: 1-line block ×5, first 2 shown]
	s_cmp_ge_i32 s39, s41
	s_cbranch_scc1 .LBB121_55
.LBB121_9:                              ; =>This Loop Header: Depth=1
                                        ;     Child Loop BB121_40 Depth 2
                                        ;     Child Loop BB121_42 Depth 2
                                        ; implicit-def: $vgpr17
                                        ; implicit-def: $vgpr39
                                        ; implicit-def: $vgpr18
                                        ; implicit-def: $vgpr19
                                        ; implicit-def: $vgpr20
                                        ; implicit-def: $vgpr21
                                        ; implicit-def: $vgpr23
                                        ; implicit-def: $vgpr22
	s_and_saveexec_b32 s24, s7
	s_xor_b32 s24, exec_lo, s24
	s_cbranch_execnz .LBB121_36
; %bb.10:                               ;   in Loop: Header=BB121_9 Depth=1
	s_andn2_saveexec_b32 s24, s24
	s_cbranch_execnz .LBB121_37
.LBB121_11:                             ;   in Loop: Header=BB121_9 Depth=1
	s_or_b32 exec_lo, exec_lo, s24
	s_and_saveexec_b32 s24, s4
.LBB121_12:                             ;   in Loop: Header=BB121_9 Depth=1
	v_mov_b32_e32 v15, v14
	ds_write_b64 v35, v[14:15]
.LBB121_13:                             ;   in Loop: Header=BB121_9 Depth=1
	s_or_b32 exec_lo, exec_lo, s24
	ds_bpermute_b32 v15, v31, v17
	ds_bpermute_b32 v16, v31, v39
	s_waitcnt lgkmcnt(0)
	s_waitcnt_vscnt null, 0x0
	s_barrier
	buffer_gl0_inv
	v_add_f32_e32 v15, v17, v15
	v_add_f32_e32 v16, v39, v16
	ds_bpermute_b32 v17, v2, v15
	ds_bpermute_b32 v39, v2, v16
	s_waitcnt lgkmcnt(1)
	v_add_f32_e32 v15, v15, v17
	s_waitcnt lgkmcnt(0)
	v_add_f32_e32 v16, v16, v39
	ds_bpermute_b32 v17, v32, v15
	ds_bpermute_b32 v39, v32, v16
	s_waitcnt lgkmcnt(1)
	v_add_f32_e32 v15, v15, v17
	s_waitcnt lgkmcnt(0)
	;; [unrolled: 6-line block ×3, first 2 shown]
	v_add_f32_e32 v16, v16, v39
	ds_bpermute_b32 v17, v34, v15
	ds_bpermute_b32 v39, v34, v16
	s_and_saveexec_b32 s24, s9
	s_cbranch_execz .LBB121_15
; %bb.14:                               ;   in Loop: Header=BB121_9 Depth=1
	s_waitcnt lgkmcnt(0)
	v_add_f32_e32 v16, v16, v39
	v_add_f32_e32 v15, v15, v17
	ds_write_b64 v36, v[15:16]
.LBB121_15:                             ;   in Loop: Header=BB121_9 Depth=1
	s_or_b32 exec_lo, exec_lo, s24
	s_waitcnt lgkmcnt(1)
	v_mov_b32_e32 v17, 0
	v_mov_b32_e32 v16, 0
	s_waitcnt lgkmcnt(0)
	s_barrier
	buffer_gl0_inv
	s_and_saveexec_b32 s24, s5
	s_cbranch_execnz .LBB121_43
; %bb.16:                               ;   in Loop: Header=BB121_9 Depth=1
	s_or_b32 exec_lo, exec_lo, s24
	s_and_saveexec_b32 s24, s4
	s_cbranch_execnz .LBB121_44
.LBB121_17:                             ;   in Loop: Header=BB121_9 Depth=1
	s_or_b32 exec_lo, exec_lo, s24
	s_and_saveexec_b32 s24, s4
.LBB121_18:                             ;   in Loop: Header=BB121_9 Depth=1
	v_mov_b32_e32 v15, v14
	ds_write_b64 v35, v[14:15]
.LBB121_19:                             ;   in Loop: Header=BB121_9 Depth=1
	s_or_b32 exec_lo, exec_lo, s24
	ds_bpermute_b32 v15, v31, v18
	ds_bpermute_b32 v39, v31, v19
	s_waitcnt lgkmcnt(0)
	s_barrier
	buffer_gl0_inv
	v_add_f32_e32 v15, v18, v15
	v_add_f32_e32 v18, v19, v39
	ds_bpermute_b32 v19, v2, v15
	ds_bpermute_b32 v39, v2, v18
	s_waitcnt lgkmcnt(1)
	v_add_f32_e32 v15, v15, v19
	s_waitcnt lgkmcnt(0)
	v_add_f32_e32 v18, v18, v39
	ds_bpermute_b32 v19, v32, v15
	ds_bpermute_b32 v39, v32, v18
	s_waitcnt lgkmcnt(1)
	v_add_f32_e32 v15, v15, v19
	s_waitcnt lgkmcnt(0)
	;; [unrolled: 6-line block ×3, first 2 shown]
	v_add_f32_e32 v18, v18, v39
	ds_bpermute_b32 v19, v34, v15
	ds_bpermute_b32 v39, v34, v18
	s_and_saveexec_b32 s24, s9
	s_cbranch_execz .LBB121_21
; %bb.20:                               ;   in Loop: Header=BB121_9 Depth=1
	s_waitcnt lgkmcnt(0)
	v_add_f32_e32 v40, v18, v39
	v_add_f32_e32 v39, v15, v19
	ds_write_b64 v36, v[39:40]
.LBB121_21:                             ;   in Loop: Header=BB121_9 Depth=1
	s_or_b32 exec_lo, exec_lo, s24
	s_waitcnt lgkmcnt(1)
	v_mov_b32_e32 v19, 0
	v_mov_b32_e32 v18, 0
	s_waitcnt lgkmcnt(0)
	s_barrier
	buffer_gl0_inv
	s_and_saveexec_b32 s24, s5
	s_cbranch_execnz .LBB121_45
; %bb.22:                               ;   in Loop: Header=BB121_9 Depth=1
	s_or_b32 exec_lo, exec_lo, s24
	s_and_saveexec_b32 s24, s4
	s_cbranch_execnz .LBB121_46
.LBB121_23:                             ;   in Loop: Header=BB121_9 Depth=1
	s_or_b32 exec_lo, exec_lo, s24
	s_and_saveexec_b32 s24, s4
.LBB121_24:                             ;   in Loop: Header=BB121_9 Depth=1
	v_mov_b32_e32 v15, v14
	ds_write_b64 v35, v[14:15]
.LBB121_25:                             ;   in Loop: Header=BB121_9 Depth=1
	s_or_b32 exec_lo, exec_lo, s24
	ds_bpermute_b32 v15, v31, v20
	ds_bpermute_b32 v39, v31, v21
	s_waitcnt lgkmcnt(0)
	s_barrier
	buffer_gl0_inv
	v_add_f32_e32 v15, v20, v15
	v_add_f32_e32 v20, v21, v39
	ds_bpermute_b32 v21, v2, v15
	ds_bpermute_b32 v39, v2, v20
	s_waitcnt lgkmcnt(1)
	v_add_f32_e32 v15, v15, v21
	s_waitcnt lgkmcnt(0)
	v_add_f32_e32 v20, v20, v39
	ds_bpermute_b32 v21, v32, v15
	ds_bpermute_b32 v39, v32, v20
	s_waitcnt lgkmcnt(1)
	v_add_f32_e32 v15, v15, v21
	s_waitcnt lgkmcnt(0)
	;; [unrolled: 6-line block ×3, first 2 shown]
	v_add_f32_e32 v20, v20, v39
	ds_bpermute_b32 v21, v34, v15
	ds_bpermute_b32 v39, v34, v20
	s_and_saveexec_b32 s24, s9
	s_cbranch_execz .LBB121_27
; %bb.26:                               ;   in Loop: Header=BB121_9 Depth=1
	s_waitcnt lgkmcnt(0)
	v_add_f32_e32 v40, v20, v39
	v_add_f32_e32 v39, v15, v21
	ds_write_b64 v36, v[39:40]
.LBB121_27:                             ;   in Loop: Header=BB121_9 Depth=1
	s_or_b32 exec_lo, exec_lo, s24
	s_waitcnt lgkmcnt(1)
	v_mov_b32_e32 v21, 0
	v_mov_b32_e32 v20, 0
	s_waitcnt lgkmcnt(0)
	s_barrier
	buffer_gl0_inv
	s_and_saveexec_b32 s24, s5
	s_cbranch_execnz .LBB121_47
; %bb.28:                               ;   in Loop: Header=BB121_9 Depth=1
	s_or_b32 exec_lo, exec_lo, s24
	s_and_saveexec_b32 s24, s4
	s_cbranch_execnz .LBB121_48
.LBB121_29:                             ;   in Loop: Header=BB121_9 Depth=1
	s_or_b32 exec_lo, exec_lo, s24
	s_and_saveexec_b32 s24, s4
.LBB121_30:                             ;   in Loop: Header=BB121_9 Depth=1
	v_mov_b32_e32 v15, v14
	ds_write_b64 v35, v[14:15]
.LBB121_31:                             ;   in Loop: Header=BB121_9 Depth=1
	s_or_b32 exec_lo, exec_lo, s24
	ds_bpermute_b32 v15, v31, v23
	ds_bpermute_b32 v39, v31, v22
	s_waitcnt lgkmcnt(0)
	s_barrier
	buffer_gl0_inv
	v_add_f32_e32 v15, v23, v15
	v_add_f32_e32 v22, v22, v39
	ds_bpermute_b32 v23, v2, v15
	ds_bpermute_b32 v39, v2, v22
	s_waitcnt lgkmcnt(1)
	v_add_f32_e32 v15, v15, v23
	s_waitcnt lgkmcnt(0)
	v_add_f32_e32 v22, v22, v39
	ds_bpermute_b32 v23, v32, v15
	ds_bpermute_b32 v39, v32, v22
	s_waitcnt lgkmcnt(1)
	v_add_f32_e32 v15, v15, v23
	s_waitcnt lgkmcnt(0)
	;; [unrolled: 6-line block ×3, first 2 shown]
	v_add_f32_e32 v22, v22, v39
	ds_bpermute_b32 v23, v34, v15
	ds_bpermute_b32 v39, v34, v22
	s_and_saveexec_b32 s24, s9
	s_cbranch_execz .LBB121_33
; %bb.32:                               ;   in Loop: Header=BB121_9 Depth=1
	s_waitcnt lgkmcnt(0)
	v_add_f32_e32 v40, v22, v39
	v_add_f32_e32 v39, v15, v23
	ds_write_b64 v36, v[39:40]
.LBB121_33:                             ;   in Loop: Header=BB121_9 Depth=1
	s_or_b32 exec_lo, exec_lo, s24
	s_waitcnt lgkmcnt(1)
	v_mov_b32_e32 v23, 0
	v_mov_b32_e32 v22, 0
	s_waitcnt lgkmcnt(0)
	s_barrier
	buffer_gl0_inv
	s_and_saveexec_b32 s24, s5
	s_cbranch_execnz .LBB121_49
; %bb.34:                               ;   in Loop: Header=BB121_9 Depth=1
	s_or_b32 exec_lo, exec_lo, s24
	s_and_saveexec_b32 s24, s4
	s_cbranch_execnz .LBB121_50
.LBB121_35:                             ;   in Loop: Header=BB121_9 Depth=1
	s_or_b32 exec_lo, exec_lo, s24
	s_and_saveexec_b32 s27, s10
	s_cbranch_execz .LBB121_8
	s_branch .LBB121_51
.LBB121_36:                             ;   in Loop: Header=BB121_9 Depth=1
	s_mul_i32 s28, s39, s21
	s_clause 0x1
	global_load_dwordx2 v[63:64], v[6:7], off
	global_load_dwordx2 v[65:66], v[8:9], off
	s_ashr_i32 s29, s28, 31
	s_lshl_b64 s[30:31], s[28:29], 3
	s_add_i32 s28, s28, s21
	v_add_co_u32 v19, vcc_lo, v24, s30
	s_ashr_i32 s29, s28, 31
	v_add_co_ci_u32_e64 v20, null, s31, v25, vcc_lo
	s_lshl_b64 s[30:31], s[28:29], 3
	s_add_i32 s28, s28, s21
	v_add_co_u32 v43, vcc_lo, v24, s30
	s_ashr_i32 s29, s28, 31
	v_add_co_ci_u32_e64 v44, null, s31, v25, vcc_lo
	;; [unrolled: 5-line block ×3, first 2 shown]
	s_lshl_b64 s[28:29], s[28:29], 3
	global_load_dwordx4 v[15:18], v[19:20], off offset:16
	s_waitcnt lgkmcnt(0)
	global_load_dwordx4 v[19:22], v[19:20], off
	v_add_co_u32 v59, vcc_lo, v24, s28
	s_clause 0x1
	global_load_dwordx2 v[67:68], v[10:11], off
	global_load_dwordx2 v[69:70], v[12:13], off
	v_add_co_ci_u32_e64 v60, null, s29, v25, vcc_lo
	s_clause 0x5
	global_load_dwordx4 v[39:42], v[43:44], off
	global_load_dwordx4 v[43:46], v[43:44], off offset:16
	global_load_dwordx4 v[47:50], v[51:52], off
	global_load_dwordx4 v[51:54], v[51:52], off offset:16
	;; [unrolled: 2-line block ×3, first 2 shown]
	s_waitcnt vmcnt(11)
	buffer_store_dword v64, off, s[0:3], 0 offset:4
	buffer_store_dword v63, off, s[0:3], 0
	s_waitcnt vmcnt(10)
	buffer_store_dword v66, off, s[0:3], 0 offset:12
	buffer_store_dword v65, off, s[0:3], 0 offset:8
	s_waitcnt vmcnt(7)
	buffer_store_dword v68, off, s[0:3], 0 offset:20
	buffer_store_dword v67, off, s[0:3], 0 offset:16
	;; [unrolled: 3-line block ×3, first 2 shown]
	v_mul_f32_e32 v23, v64, v20
	v_mul_f32_e32 v20, v63, v20
	;; [unrolled: 1-line block ×8, first 2 shown]
	s_waitcnt vmcnt(5)
	v_mul_f32_e32 v74, v64, v40
	v_mul_f32_e32 v40, v63, v40
	;; [unrolled: 1-line block ×4, first 2 shown]
	s_waitcnt vmcnt(4)
	v_mul_f32_e32 v76, v68, v44
	v_mul_f32_e32 v44, v67, v44
	;; [unrolled: 1-line block ×4, first 2 shown]
	s_waitcnt vmcnt(3)
	v_mul_f32_e32 v78, v64, v48
	v_mul_f32_e32 v48, v63, v48
	v_fma_f32 v23, v63, v19, -v23
	v_fmac_f32_e32 v20, v64, v19
	v_fma_f32 v19, v65, v21, -v71
	v_fmac_f32_e32 v22, v66, v21
	v_fma_f32 v21, v67, v15, -v72
	v_fmac_f32_e32 v16, v68, v15
	v_fma_f32 v15, v69, v17, -v73
	v_fmac_f32_e32 v18, v70, v17
	s_waitcnt vmcnt(1)
	v_mul_f32_e32 v17, v64, v56
	v_mul_f32_e32 v56, v63, v56
	;; [unrolled: 1-line block ×10, first 2 shown]
	s_waitcnt vmcnt(0)
	v_mul_f32_e32 v72, v68, v60
	v_mul_f32_e32 v60, v67, v60
	v_fma_f32 v74, v63, v39, -v74
	v_fmac_f32_e32 v40, v64, v39
	v_fma_f32 v39, v65, v41, -v75
	v_fmac_f32_e32 v42, v66, v41
	v_fma_f32 v41, v67, v43, -v76
	v_fmac_f32_e32 v44, v68, v43
	v_fma_f32 v43, v69, v45, -v77
	v_fmac_f32_e32 v46, v70, v45
	v_fma_f32 v45, v63, v47, -v78
	v_fmac_f32_e32 v48, v64, v47
	v_add_f32_e32 v23, 0, v23
	v_add_f32_e32 v20, 0, v20
	v_fma_f32 v17, v63, v55, -v17
	v_fmac_f32_e32 v56, v64, v55
	v_fma_f32 v47, v65, v49, -v79
	v_fmac_f32_e32 v50, v66, v49
	;; [unrolled: 2-line block ×6, first 2 shown]
	v_add_f32_e32 v59, 0, v74
	v_add_f32_e32 v40, 0, v40
	v_add_f32_e32 v45, 0, v45
	v_add_f32_e32 v48, 0, v48
	v_add_f32_e32 v19, v23, v19
	v_add_f32_e32 v20, v20, v22
	v_add_f32_e32 v17, 0, v17
	v_add_f32_e32 v22, 0, v56
	v_mul_f32_e32 v73, v70, v62
	v_mul_f32_e32 v62, v69, v62
	v_add_f32_e32 v23, v59, v39
	v_add_f32_e32 v39, v40, v42
	;; [unrolled: 1-line block ×8, first 2 shown]
	v_fma_f32 v57, v69, v61, -v73
	v_fmac_f32_e32 v62, v70, v61
	v_add_f32_e32 v22, v23, v41
	v_add_f32_e32 v23, v39, v44
	;; [unrolled: 1-line block ×14, first 2 shown]
	s_andn2_saveexec_b32 s24, s24
	s_cbranch_execz .LBB121_11
.LBB121_37:                             ;   in Loop: Header=BB121_9 Depth=1
	v_mov_b32_e32 v17, 0
	v_mov_b32_e32 v39, 0
	;; [unrolled: 1-line block ×6, first 2 shown]
	s_waitcnt lgkmcnt(0)
	v_mov_b32_e32 v23, 0
	v_mov_b32_e32 v22, 0
	s_and_saveexec_b32 s47, s8
	s_cbranch_execz .LBB121_53
; %bb.38:                               ;   in Loop: Header=BB121_9 Depth=1
	s_andn2_b32 vcc_lo, exec_lo, s42
	s_cbranch_vccnz .LBB121_52
; %bb.39:                               ;   in Loop: Header=BB121_9 Depth=1
	v_mov_b32_e32 v15, v5
	s_mov_b32 s27, 0
	s_mov_b32 s28, s38
	.p2align	6
.LBB121_40:                             ;   Parent Loop BB121_9 Depth=1
                                        ; =>  This Inner Loop Header: Depth=2
	v_ashrrev_i32_e32 v16, 31, v15
	v_mov_b32_e32 v18, s27
	s_add_i32 s28, s28, -1
	s_add_i32 s27, s27, 8
	s_cmp_eq_u32 s28, 0
	v_lshlrev_b64 v[16:17], 3, v[15:16]
	v_add_nc_u32_e32 v15, s37, v15
	v_add_co_u32 v16, vcc_lo, s33, v16
	v_add_co_ci_u32_e64 v17, null, s36, v17, vcc_lo
	global_load_dwordx2 v[16:17], v[16:17], off
	s_waitcnt vmcnt(0)
	buffer_store_dword v17, v18, s[0:3], 0 offen offset:4
	buffer_store_dword v16, v18, s[0:3], 0 offen
	s_cbranch_scc0 .LBB121_40
; %bb.41:                               ;   in Loop: Header=BB121_9 Depth=1
	s_ashr_i32 s27, s26, 31
	v_mov_b32_e32 v22, 0
	s_lshl_b64 s[28:29], s[26:27], 3
	v_mov_b32_e32 v23, 0
	v_add_co_u32 v15, vcc_lo, v37, s28
	v_add_co_ci_u32_e64 v16, null, s29, v38, vcc_lo
	v_mov_b32_e32 v21, 0
	v_mov_b32_e32 v20, 0
	;; [unrolled: 1-line block ×6, first 2 shown]
	s_mov_b32 s27, 0
	s_mov_b32 s28, s45
	;; [unrolled: 1-line block ×5, first 2 shown]
.LBB121_42:                             ;   Parent Loop BB121_9 Depth=1
                                        ; =>  This Inner Loop Header: Depth=2
	s_ashr_i32 s35, s34, 31
	s_ashr_i32 s31, s30, 31
	s_lshl_b64 s[50:51], s[34:35], 3
	s_ashr_i32 s29, s28, 31
	s_lshl_b64 s[52:53], s[30:31], 3
	v_add_co_u32 v42, vcc_lo, v24, s50
	s_lshl_b64 s[54:55], s[28:29], 3
	v_add_co_ci_u32_e64 v43, null, s51, v25, vcc_lo
	v_add_co_u32 v44, vcc_lo, v24, s52
	v_mov_b32_e32 v48, s27
	v_add_co_ci_u32_e64 v45, null, s53, v25, vcc_lo
	v_add_co_u32 v46, vcc_lo, v24, s54
	v_add_co_ci_u32_e64 v47, null, s55, v25, vcc_lo
	global_load_dwordx2 v[40:41], v[15:16], off
	s_clause 0x1
	buffer_load_dword v49, v48, s[0:3], 0 offen offset:4
	buffer_load_dword v48, v48, s[0:3], 0 offen
	s_clause 0x2
	global_load_dwordx2 v[42:43], v[42:43], off
	global_load_dwordx2 v[44:45], v[44:45], off
	global_load_dwordx2 v[46:47], v[46:47], off
	v_add_co_u32 v15, vcc_lo, v15, 8
	v_add_co_ci_u32_e64 v16, null, 0, v16, vcc_lo
	s_add_i32 s48, s48, -1
	s_add_i32 s27, s27, 8
	s_add_i32 s34, s34, 1
	;; [unrolled: 1-line block ×4, first 2 shown]
	s_cmp_lg_u32 s48, 0
	s_waitcnt vmcnt(4)
	v_mul_f32_e32 v50, v49, v41
	s_waitcnt vmcnt(3)
	v_mul_f32_e32 v41, v48, v41
	;; [unrolled: 2-line block ×3, first 2 shown]
	v_mul_f32_e32 v43, v48, v43
	s_waitcnt vmcnt(1)
	v_mul_f32_e32 v52, v49, v45
	v_mul_f32_e32 v45, v48, v45
	s_waitcnt vmcnt(0)
	v_mul_f32_e32 v53, v49, v47
	v_mul_f32_e32 v47, v48, v47
	v_fma_f32 v50, v48, v40, -v50
	v_fmac_f32_e32 v41, v49, v40
	v_fma_f32 v40, v48, v42, -v51
	v_fmac_f32_e32 v43, v49, v42
	;; [unrolled: 2-line block ×4, first 2 shown]
	v_add_f32_e32 v17, v17, v50
	v_add_f32_e32 v39, v39, v41
	;; [unrolled: 1-line block ×8, first 2 shown]
	s_cbranch_scc1 .LBB121_42
	s_branch .LBB121_53
.LBB121_43:                             ;   in Loop: Header=BB121_9 Depth=1
	ds_read_b64 v[16:17], v35
	s_or_b32 exec_lo, exec_lo, s24
	s_and_saveexec_b32 s24, s4
	s_cbranch_execz .LBB121_17
.LBB121_44:                             ;   in Loop: Header=BB121_9 Depth=1
	s_waitcnt lgkmcnt(0)
	ds_bpermute_b32 v15, v32, v16
	ds_bpermute_b32 v39, v32, v17
	s_waitcnt lgkmcnt(1)
	v_add_f32_e32 v15, v16, v15
	s_waitcnt lgkmcnt(0)
	v_add_f32_e32 v16, v17, v39
	ds_bpermute_b32 v17, v33, v15
	ds_bpermute_b32 v39, v33, v16
	s_waitcnt lgkmcnt(1)
	v_add_f32_e32 v15, v15, v17
	s_waitcnt lgkmcnt(0)
	v_add_f32_e32 v17, v16, v39
	;; [unrolled: 6-line block ×3, first 2 shown]
	s_or_b32 exec_lo, exec_lo, s24
	s_and_saveexec_b32 s24, s4
	s_cbranch_execnz .LBB121_18
	s_branch .LBB121_19
.LBB121_45:                             ;   in Loop: Header=BB121_9 Depth=1
	ds_read_b64 v[18:19], v35
	s_or_b32 exec_lo, exec_lo, s24
	s_and_saveexec_b32 s24, s4
	s_cbranch_execz .LBB121_23
.LBB121_46:                             ;   in Loop: Header=BB121_9 Depth=1
	s_waitcnt lgkmcnt(0)
	ds_bpermute_b32 v15, v32, v18
	ds_bpermute_b32 v39, v32, v19
	s_waitcnt lgkmcnt(1)
	v_add_f32_e32 v15, v18, v15
	s_waitcnt lgkmcnt(0)
	v_add_f32_e32 v18, v19, v39
	ds_bpermute_b32 v19, v33, v15
	ds_bpermute_b32 v39, v33, v18
	s_waitcnt lgkmcnt(1)
	v_add_f32_e32 v15, v15, v19
	s_waitcnt lgkmcnt(0)
	v_add_f32_e32 v19, v18, v39
	;; [unrolled: 6-line block ×3, first 2 shown]
	s_or_b32 exec_lo, exec_lo, s24
	s_and_saveexec_b32 s24, s4
	s_cbranch_execnz .LBB121_24
	s_branch .LBB121_25
.LBB121_47:                             ;   in Loop: Header=BB121_9 Depth=1
	ds_read_b64 v[20:21], v35
	s_or_b32 exec_lo, exec_lo, s24
	s_and_saveexec_b32 s24, s4
	s_cbranch_execz .LBB121_29
.LBB121_48:                             ;   in Loop: Header=BB121_9 Depth=1
	s_waitcnt lgkmcnt(0)
	ds_bpermute_b32 v15, v32, v20
	ds_bpermute_b32 v39, v32, v21
	s_waitcnt lgkmcnt(1)
	v_add_f32_e32 v15, v20, v15
	s_waitcnt lgkmcnt(0)
	v_add_f32_e32 v20, v21, v39
	ds_bpermute_b32 v21, v33, v15
	ds_bpermute_b32 v39, v33, v20
	s_waitcnt lgkmcnt(1)
	v_add_f32_e32 v15, v15, v21
	s_waitcnt lgkmcnt(0)
	v_add_f32_e32 v21, v20, v39
	;; [unrolled: 6-line block ×3, first 2 shown]
	s_or_b32 exec_lo, exec_lo, s24
	s_and_saveexec_b32 s24, s4
	s_cbranch_execnz .LBB121_30
	s_branch .LBB121_31
.LBB121_49:                             ;   in Loop: Header=BB121_9 Depth=1
	ds_read_b64 v[22:23], v35
	s_or_b32 exec_lo, exec_lo, s24
	s_and_saveexec_b32 s24, s4
	s_cbranch_execz .LBB121_35
.LBB121_50:                             ;   in Loop: Header=BB121_9 Depth=1
	s_waitcnt lgkmcnt(0)
	ds_bpermute_b32 v15, v32, v22
	ds_bpermute_b32 v39, v32, v23
	s_waitcnt lgkmcnt(1)
	v_add_f32_e32 v15, v22, v15
	s_waitcnt lgkmcnt(0)
	v_add_f32_e32 v22, v23, v39
	ds_bpermute_b32 v23, v33, v15
	ds_bpermute_b32 v39, v33, v22
	s_waitcnt lgkmcnt(1)
	v_add_f32_e32 v15, v15, v23
	s_waitcnt lgkmcnt(0)
	v_add_f32_e32 v23, v22, v39
	;; [unrolled: 6-line block ×3, first 2 shown]
	s_or_b32 exec_lo, exec_lo, s24
	s_and_saveexec_b32 s27, s10
	s_cbranch_execz .LBB121_8
.LBB121_51:                             ;   in Loop: Header=BB121_9 Depth=1
	v_mul_f32_e32 v15, s15, v17
	v_mul_f32_e32 v40, s14, v17
	s_mul_i32 s24, s39, s20
	v_mul_f32_e32 v17, s15, v21
	s_add_i32 s24, s24, s6
	v_fma_f32 v39, v16, s14, -v15
	s_lshl_b64 s[28:29], s[24:25], 3
	v_fmac_f32_e32 v40, s15, v16
	s_add_u32 s28, s40, s28
	s_addc_u32 s29, s11, s29
	s_add_i32 s24, s24, s20
	v_mul_f32_e32 v15, s15, v19
	global_store_dwordx2 v14, v[39:40], s[28:29]
	v_mul_f32_e32 v16, s14, v19
	s_lshl_b64 s[28:29], s[24:25], 3
	v_mul_f32_e32 v19, s14, v21
	s_add_u32 s28, s40, s28
	s_addc_u32 s29, s11, s29
	s_add_i32 s24, s24, s20
	v_fma_f32 v15, v18, s14, -v15
	v_fmac_f32_e32 v16, s15, v18
	v_fma_f32 v18, v20, s14, -v17
	s_waitcnt lgkmcnt(0)
	v_mul_f32_e32 v17, s15, v23
	s_lshl_b64 s[30:31], s[24:25], 3
	v_mul_f32_e32 v21, s14, v23
	s_add_u32 s30, s40, s30
	s_addc_u32 s31, s11, s31
	s_add_i32 s24, s24, s20
	v_fmac_f32_e32 v19, s15, v20
	v_fma_f32 v20, v22, s14, -v17
	v_fmac_f32_e32 v21, s15, v22
	s_lshl_b64 s[34:35], s[24:25], 3
	global_store_dwordx2 v14, v[15:16], s[28:29]
	s_add_u32 s28, s40, s34
	s_addc_u32 s29, s11, s35
	global_store_dwordx2 v14, v[18:19], s[30:31]
	global_store_dwordx2 v14, v[20:21], s[28:29]
	s_branch .LBB121_8
.LBB121_52:                             ;   in Loop: Header=BB121_9 Depth=1
	v_mov_b32_e32 v17, 0
	v_mov_b32_e32 v39, 0
	;; [unrolled: 1-line block ×8, first 2 shown]
.LBB121_53:                             ;   in Loop: Header=BB121_9 Depth=1
	s_or_b32 exec_lo, exec_lo, s47
	s_or_b32 exec_lo, exec_lo, s24
	s_and_saveexec_b32 s24, s4
	s_cbranch_execnz .LBB121_12
	s_branch .LBB121_13
.LBB121_54:
	s_mov_b32 s39, 0
.LBB121_55:
	s_cmp_ge_i32 s39, s13
	s_cbranch_scc1 .LBB121_77
; %bb.56:
	v_cmp_gt_u32_e64 s5, 24, v27
	s_cmp_gt_i32 s38, 0
	s_mov_b32 s7, 0
	s_cselect_b32 s26, -1, 0
	s_lshl_b64 s[24:25], s[6:7], 3
	v_cndmask_b32_e64 v2, 0, 8, s5
	v_cmp_gt_u32_e64 s5, 28, v27
	v_cmp_ge_i32_e64 s10, s12, v30
	s_add_u32 s7, s40, s24
	v_cmp_ge_i32_e32 vcc_lo, s12, v29
	v_add_lshl_u32 v15, v2, v27, 2
	v_cndmask_b32_e64 v5, 0, 4, s5
	v_cmp_gt_u32_e64 s5, 30, v27
	v_ashrrev_i32_e32 v2, 31, v1
	s_addc_u32 s12, s11, s25
	s_and_b32 s24, s26, s10
	v_add_lshl_u32 v16, v5, v27, 2
	v_cndmask_b32_e64 v6, 0, 2, s5
	v_cmp_ne_u32_e64 s5, 31, v27
	v_add_nc_u32_e32 v5, s37, v1
	v_lshlrev_b64 v[9:10], 3, v[1:2]
	v_cmp_gt_u32_e64 s4, 32, v0
	v_add_lshl_u32 v17, v6, v27, 2
	v_add_co_ci_u32_e64 v7, null, 0, v27, s5
	v_ashrrev_i32_e32 v6, 31, v5
	v_cmp_gt_u32_e64 s8, 8, v0
	v_cmp_eq_u32_e64 s9, 0, v0
	v_lshlrev_b32_e32 v18, 2, v7
	v_add_nc_u32_e32 v7, s37, v5
	v_lshlrev_b64 v[11:12], 3, v[5:6]
	v_add_co_u32 v5, s6, s33, v9
	v_add_co_ci_u32_e64 v6, null, s36, v10, s6
	v_add_nc_u32_e32 v20, s37, v7
	v_ashrrev_i32_e32 v8, 31, v7
	v_lshlrev_b32_e32 v13, 3, v26
	v_lshl_or_b32 v14, v27, 2, 64
	v_cmp_eq_u32_e64 s5, 0, v26
	v_ashrrev_i32_e32 v21, 31, v20
	v_lshlrev_b64 v[9:10], 3, v[7:8]
	v_add_co_u32 v7, s6, s33, v11
	v_add_co_ci_u32_e64 v8, null, s36, v12, s6
	v_lshlrev_b64 v[11:12], 3, v[20:21]
	v_add_co_u32 v9, s6, s33, v9
	v_add_co_ci_u32_e64 v10, null, s36, v10, s6
	v_and_b32_e32 v19, 56, v28
	v_add_co_u32 v11, s6, s33, v11
	v_add_co_ci_u32_e64 v12, null, s36, v12, s6
	s_add_u32 s6, s22, s18
	s_addc_u32 s10, s23, s19
	s_add_u32 s6, s16, s6
	s_addc_u32 s10, s17, s10
	v_add_co_u32 v0, s6, s6, v3
	v_add_co_ci_u32_e64 v20, null, s10, v4, s6
	v_mov_b32_e32 v2, 0
	s_mul_i32 s10, s39, s21
	s_branch .LBB121_58
.LBB121_57:                             ;   in Loop: Header=BB121_58 Depth=1
	s_or_b32 exec_lo, exec_lo, s6
	s_add_i32 s39, s39, 1
	s_add_i32 s10, s10, s21
	s_cmp_lt_i32 s39, s13
	s_cbranch_scc0 .LBB121_77
.LBB121_58:                             ; =>This Loop Header: Depth=1
                                        ;     Child Loop BB121_70 Depth 2
                                        ;     Child Loop BB121_72 Depth 2
                                        ; implicit-def: $vgpr21
                                        ; implicit-def: $vgpr22
	s_and_saveexec_b32 s6, vcc_lo
	s_xor_b32 s11, exec_lo, s6
	s_cbranch_execnz .LBB121_67
; %bb.59:                               ;   in Loop: Header=BB121_58 Depth=1
	s_andn2_saveexec_b32 s16, s11
	s_cbranch_execnz .LBB121_68
.LBB121_60:                             ;   in Loop: Header=BB121_58 Depth=1
	s_or_b32 exec_lo, exec_lo, s16
	s_and_saveexec_b32 s6, s4
	s_cbranch_execz .LBB121_62
.LBB121_61:                             ;   in Loop: Header=BB121_58 Depth=1
	s_waitcnt lgkmcnt(0)
	v_mov_b32_e32 v3, v2
	ds_write_b64 v13, v[2:3]
.LBB121_62:                             ;   in Loop: Header=BB121_58 Depth=1
	s_or_b32 exec_lo, exec_lo, s6
	s_waitcnt lgkmcnt(0)
	ds_bpermute_b32 v3, v14, v21
	s_waitcnt lgkmcnt(1)
	ds_bpermute_b32 v4, v14, v22
	s_waitcnt lgkmcnt(0)
	s_waitcnt_vscnt null, 0x0
	s_barrier
	buffer_gl0_inv
	v_add_f32_e32 v3, v21, v3
	v_add_f32_e32 v4, v22, v4
	ds_bpermute_b32 v21, v15, v3
	ds_bpermute_b32 v22, v15, v4
	s_waitcnt lgkmcnt(1)
	v_add_f32_e32 v3, v3, v21
	s_waitcnt lgkmcnt(0)
	v_add_f32_e32 v4, v4, v22
	ds_bpermute_b32 v21, v16, v3
	ds_bpermute_b32 v22, v16, v4
	s_waitcnt lgkmcnt(1)
	v_add_f32_e32 v3, v3, v21
	s_waitcnt lgkmcnt(0)
	;; [unrolled: 6-line block ×3, first 2 shown]
	v_add_f32_e32 v4, v4, v22
	ds_bpermute_b32 v21, v18, v3
	ds_bpermute_b32 v22, v18, v4
	s_and_saveexec_b32 s6, s5
	s_cbranch_execz .LBB121_64
; %bb.63:                               ;   in Loop: Header=BB121_58 Depth=1
	s_waitcnt lgkmcnt(0)
	v_add_f32_e32 v4, v4, v22
	v_add_f32_e32 v3, v3, v21
	ds_write_b64 v19, v[3:4]
.LBB121_64:                             ;   in Loop: Header=BB121_58 Depth=1
	s_or_b32 exec_lo, exec_lo, s6
	v_mov_b32_e32 v4, 0
	v_mov_b32_e32 v3, 0
	s_waitcnt lgkmcnt(0)
	s_barrier
	buffer_gl0_inv
	s_and_saveexec_b32 s6, s8
	s_cbranch_execnz .LBB121_74
; %bb.65:                               ;   in Loop: Header=BB121_58 Depth=1
	s_or_b32 exec_lo, exec_lo, s6
	s_and_saveexec_b32 s6, s4
	s_cbranch_execnz .LBB121_75
.LBB121_66:                             ;   in Loop: Header=BB121_58 Depth=1
	s_or_b32 exec_lo, exec_lo, s6
	s_and_saveexec_b32 s6, s9
	s_cbranch_execz .LBB121_57
	s_branch .LBB121_76
.LBB121_67:                             ;   in Loop: Header=BB121_58 Depth=1
	s_mul_i32 s16, s39, s21
	s_ashr_i32 s17, s16, 31
	s_lshl_b64 s[16:17], s[16:17], 3
	s_waitcnt lgkmcnt(0)
	v_add_co_u32 v3, s6, v24, s16
	v_add_co_ci_u32_e64 v4, null, s17, v25, s6
	global_load_dwordx4 v[26:29], v[3:4], off
	s_waitcnt lgkmcnt(0)
	s_clause 0x1
	global_load_dwordx2 v[21:22], v[5:6], off
	global_load_dwordx2 v[34:35], v[7:8], off
	global_load_dwordx4 v[30:33], v[3:4], off offset:16
	s_clause 0x1
	global_load_dwordx2 v[3:4], v[9:10], off
	global_load_dwordx2 v[36:37], v[11:12], off
	s_waitcnt vmcnt(4)
	v_mul_f32_e32 v23, v22, v27
	v_mul_f32_e32 v27, v21, v27
	s_waitcnt vmcnt(3)
	v_mul_f32_e32 v38, v35, v29
	v_mul_f32_e32 v29, v34, v29
	s_waitcnt vmcnt(1)
	v_mul_f32_e32 v39, v4, v31
	v_fma_f32 v23, v21, v26, -v23
	v_fmac_f32_e32 v27, v22, v26
	v_mul_f32_e32 v31, v3, v31
	v_fma_f32 v38, v34, v28, -v38
	v_fmac_f32_e32 v29, v35, v28
	v_add_f32_e32 v23, 0, v23
	v_add_f32_e32 v27, 0, v27
	s_waitcnt vmcnt(0)
	v_mul_f32_e32 v26, v37, v33
	v_mul_f32_e32 v28, v36, v33
	v_fma_f32 v33, v3, v30, -v39
	v_fmac_f32_e32 v31, v4, v30
	v_add_f32_e32 v23, v23, v38
	v_add_f32_e32 v27, v27, v29
	buffer_store_dword v22, off, s[0:3], 0 offset:4
	v_fma_f32 v22, v36, v32, -v26
	v_fmac_f32_e32 v28, v37, v32
	v_add_f32_e32 v23, v23, v33
	v_add_f32_e32 v26, v27, v31
	buffer_store_dword v21, off, s[0:3], 0
	buffer_store_dword v35, off, s[0:3], 0 offset:12
	buffer_store_dword v34, off, s[0:3], 0 offset:8
	;; [unrolled: 1-line block ×6, first 2 shown]
	v_add_f32_e32 v21, v23, v22
	v_add_f32_e32 v22, v26, v28
	s_andn2_saveexec_b32 s16, s11
	s_cbranch_execz .LBB121_60
.LBB121_68:                             ;   in Loop: Header=BB121_58 Depth=1
	v_mov_b32_e32 v21, 0
	s_waitcnt lgkmcnt(0)
	v_mov_b32_e32 v22, 0
	s_and_saveexec_b32 s17, s24
	s_cbranch_execz .LBB121_73
; %bb.69:                               ;   in Loop: Header=BB121_58 Depth=1
	v_mov_b32_e32 v3, v1
	s_mov_b32 s11, 0
	s_mov_b32 s18, s38
	.p2align	6
.LBB121_70:                             ;   Parent Loop BB121_58 Depth=1
                                        ; =>  This Inner Loop Header: Depth=2
	v_ashrrev_i32_e32 v4, 31, v3
	s_add_i32 s18, s18, -1
	v_lshlrev_b64 v[21:22], 3, v[3:4]
	v_mov_b32_e32 v4, s11
	v_add_nc_u32_e32 v3, s37, v3
	s_add_i32 s11, s11, 8
	s_cmp_eq_u32 s18, 0
	v_add_co_u32 v21, s6, s33, v21
	v_add_co_ci_u32_e64 v22, null, s36, v22, s6
	global_load_dwordx2 v[21:22], v[21:22], off
	s_waitcnt vmcnt(0)
	buffer_store_dword v22, v4, s[0:3], 0 offen offset:4
	buffer_store_dword v21, v4, s[0:3], 0 offen
	s_cbranch_scc0 .LBB121_70
; %bb.71:                               ;   in Loop: Header=BB121_58 Depth=1
	s_ashr_i32 s11, s10, 31
	v_mov_b32_e32 v21, 0
	s_lshl_b64 s[18:19], s[10:11], 3
	v_mov_b32_e32 v22, 0
	v_add_co_u32 v3, s6, v0, s18
	v_add_co_ci_u32_e64 v4, null, s19, v20, s6
	s_mov_b32 s11, 0
	s_mov_b32 s18, s38
	.p2align	6
.LBB121_72:                             ;   Parent Loop BB121_58 Depth=1
                                        ; =>  This Inner Loop Header: Depth=2
	v_mov_b32_e32 v23, s11
	global_load_dwordx2 v[26:27], v[3:4], off
	v_add_co_u32 v3, s6, v3, 8
	v_add_co_ci_u32_e64 v4, null, 0, v4, s6
	s_clause 0x1
	buffer_load_dword v28, v23, s[0:3], 0 offen offset:4
	buffer_load_dword v23, v23, s[0:3], 0 offen
	s_add_i32 s18, s18, -1
	s_add_i32 s11, s11, 8
	s_cmp_lg_u32 s18, 0
	s_waitcnt vmcnt(1)
	v_mul_f32_e32 v29, v28, v27
	s_waitcnt vmcnt(0)
	v_mul_f32_e32 v27, v23, v27
	v_fma_f32 v23, v23, v26, -v29
	v_fmac_f32_e32 v27, v28, v26
	v_add_f32_e32 v21, v21, v23
	v_add_f32_e32 v22, v22, v27
	s_cbranch_scc1 .LBB121_72
.LBB121_73:                             ;   in Loop: Header=BB121_58 Depth=1
	s_or_b32 exec_lo, exec_lo, s17
	s_or_b32 exec_lo, exec_lo, s16
	s_and_saveexec_b32 s6, s4
	s_cbranch_execnz .LBB121_61
	s_branch .LBB121_62
.LBB121_74:                             ;   in Loop: Header=BB121_58 Depth=1
	ds_read_b64 v[3:4], v13
	s_or_b32 exec_lo, exec_lo, s6
	s_and_saveexec_b32 s6, s4
	s_cbranch_execz .LBB121_66
.LBB121_75:                             ;   in Loop: Header=BB121_58 Depth=1
	s_waitcnt lgkmcnt(0)
	ds_bpermute_b32 v21, v16, v3
	ds_bpermute_b32 v22, v16, v4
	s_waitcnt lgkmcnt(1)
	v_add_f32_e32 v3, v3, v21
	s_waitcnt lgkmcnt(0)
	v_add_f32_e32 v4, v4, v22
	ds_bpermute_b32 v21, v17, v3
	ds_bpermute_b32 v22, v17, v4
	s_waitcnt lgkmcnt(1)
	v_add_f32_e32 v3, v3, v21
	s_waitcnt lgkmcnt(0)
	v_add_f32_e32 v4, v4, v22
	;; [unrolled: 6-line block ×3, first 2 shown]
	s_or_b32 exec_lo, exec_lo, s6
	s_and_saveexec_b32 s6, s9
	s_cbranch_execz .LBB121_57
.LBB121_76:                             ;   in Loop: Header=BB121_58 Depth=1
	s_waitcnt lgkmcnt(0)
	v_mul_f32_e32 v21, s15, v4
	v_mul_f32_e32 v22, s14, v4
	s_mul_hi_u32 s17, s39, s20
	s_mul_i32 s16, s39, s20
	s_lshl_b64 s[16:17], s[16:17], 3
	v_fma_f32 v21, v3, s14, -v21
	v_fmac_f32_e32 v22, s15, v3
	s_add_u32 s16, s7, s16
	s_addc_u32 s17, s12, s17
	global_store_dwordx2 v2, v[21:22], s[16:17]
	s_branch .LBB121_57
.LBB121_77:
	s_endpgm
	.section	.rodata,"a",@progbits
	.p2align	6, 0x0
	.amdhsa_kernel _ZL23rocblas_gemvt_sn_kernelILb0ELi256ELi4Ei19rocblas_complex_numIfES1_S1_EviiT4_lPKT3_lilS5_lilPT5_i
		.amdhsa_group_segment_fixed_size 256
		.amdhsa_private_segment_fixed_size 48
		.amdhsa_kernarg_size 360
		.amdhsa_user_sgpr_count 6
		.amdhsa_user_sgpr_private_segment_buffer 1
		.amdhsa_user_sgpr_dispatch_ptr 0
		.amdhsa_user_sgpr_queue_ptr 0
		.amdhsa_user_sgpr_kernarg_segment_ptr 1
		.amdhsa_user_sgpr_dispatch_id 0
		.amdhsa_user_sgpr_flat_scratch_init 0
		.amdhsa_user_sgpr_private_segment_size 0
		.amdhsa_wavefront_size32 1
		.amdhsa_uses_dynamic_stack 0
		.amdhsa_system_sgpr_private_segment_wavefront_offset 1
		.amdhsa_system_sgpr_workgroup_id_x 1
		.amdhsa_system_sgpr_workgroup_id_y 0
		.amdhsa_system_sgpr_workgroup_id_z 1
		.amdhsa_system_sgpr_workgroup_info 0
		.amdhsa_system_vgpr_workitem_id 0
		.amdhsa_next_free_vgpr 82
		.amdhsa_next_free_sgpr 56
		.amdhsa_reserve_vcc 1
		.amdhsa_reserve_flat_scratch 0
		.amdhsa_float_round_mode_32 0
		.amdhsa_float_round_mode_16_64 0
		.amdhsa_float_denorm_mode_32 3
		.amdhsa_float_denorm_mode_16_64 3
		.amdhsa_dx10_clamp 1
		.amdhsa_ieee_mode 1
		.amdhsa_fp16_overflow 0
		.amdhsa_workgroup_processor_mode 1
		.amdhsa_memory_ordered 1
		.amdhsa_forward_progress 1
		.amdhsa_shared_vgpr_count 0
		.amdhsa_exception_fp_ieee_invalid_op 0
		.amdhsa_exception_fp_denorm_src 0
		.amdhsa_exception_fp_ieee_div_zero 0
		.amdhsa_exception_fp_ieee_overflow 0
		.amdhsa_exception_fp_ieee_underflow 0
		.amdhsa_exception_fp_ieee_inexact 0
		.amdhsa_exception_int_div_zero 0
	.end_amdhsa_kernel
	.section	.text._ZL23rocblas_gemvt_sn_kernelILb0ELi256ELi4Ei19rocblas_complex_numIfES1_S1_EviiT4_lPKT3_lilS5_lilPT5_i,"axG",@progbits,_ZL23rocblas_gemvt_sn_kernelILb0ELi256ELi4Ei19rocblas_complex_numIfES1_S1_EviiT4_lPKT3_lilS5_lilPT5_i,comdat
.Lfunc_end121:
	.size	_ZL23rocblas_gemvt_sn_kernelILb0ELi256ELi4Ei19rocblas_complex_numIfES1_S1_EviiT4_lPKT3_lilS5_lilPT5_i, .Lfunc_end121-_ZL23rocblas_gemvt_sn_kernelILb0ELi256ELi4Ei19rocblas_complex_numIfES1_S1_EviiT4_lPKT3_lilS5_lilPT5_i
                                        ; -- End function
	.set _ZL23rocblas_gemvt_sn_kernelILb0ELi256ELi4Ei19rocblas_complex_numIfES1_S1_EviiT4_lPKT3_lilS5_lilPT5_i.num_vgpr, 82
	.set _ZL23rocblas_gemvt_sn_kernelILb0ELi256ELi4Ei19rocblas_complex_numIfES1_S1_EviiT4_lPKT3_lilS5_lilPT5_i.num_agpr, 0
	.set _ZL23rocblas_gemvt_sn_kernelILb0ELi256ELi4Ei19rocblas_complex_numIfES1_S1_EviiT4_lPKT3_lilS5_lilPT5_i.numbered_sgpr, 56
	.set _ZL23rocblas_gemvt_sn_kernelILb0ELi256ELi4Ei19rocblas_complex_numIfES1_S1_EviiT4_lPKT3_lilS5_lilPT5_i.num_named_barrier, 0
	.set _ZL23rocblas_gemvt_sn_kernelILb0ELi256ELi4Ei19rocblas_complex_numIfES1_S1_EviiT4_lPKT3_lilS5_lilPT5_i.private_seg_size, 48
	.set _ZL23rocblas_gemvt_sn_kernelILb0ELi256ELi4Ei19rocblas_complex_numIfES1_S1_EviiT4_lPKT3_lilS5_lilPT5_i.uses_vcc, 1
	.set _ZL23rocblas_gemvt_sn_kernelILb0ELi256ELi4Ei19rocblas_complex_numIfES1_S1_EviiT4_lPKT3_lilS5_lilPT5_i.uses_flat_scratch, 0
	.set _ZL23rocblas_gemvt_sn_kernelILb0ELi256ELi4Ei19rocblas_complex_numIfES1_S1_EviiT4_lPKT3_lilS5_lilPT5_i.has_dyn_sized_stack, 0
	.set _ZL23rocblas_gemvt_sn_kernelILb0ELi256ELi4Ei19rocblas_complex_numIfES1_S1_EviiT4_lPKT3_lilS5_lilPT5_i.has_recursion, 0
	.set _ZL23rocblas_gemvt_sn_kernelILb0ELi256ELi4Ei19rocblas_complex_numIfES1_S1_EviiT4_lPKT3_lilS5_lilPT5_i.has_indirect_call, 0
	.section	.AMDGPU.csdata,"",@progbits
; Kernel info:
; codeLenInByte = 5560
; TotalNumSgprs: 58
; NumVgprs: 82
; ScratchSize: 48
; MemoryBound: 0
; FloatMode: 240
; IeeeMode: 1
; LDSByteSize: 256 bytes/workgroup (compile time only)
; SGPRBlocks: 0
; VGPRBlocks: 10
; NumSGPRsForWavesPerEU: 58
; NumVGPRsForWavesPerEU: 82
; Occupancy: 10
; WaveLimiterHint : 1
; COMPUTE_PGM_RSRC2:SCRATCH_EN: 1
; COMPUTE_PGM_RSRC2:USER_SGPR: 6
; COMPUTE_PGM_RSRC2:TRAP_HANDLER: 0
; COMPUTE_PGM_RSRC2:TGID_X_EN: 1
; COMPUTE_PGM_RSRC2:TGID_Y_EN: 0
; COMPUTE_PGM_RSRC2:TGID_Z_EN: 1
; COMPUTE_PGM_RSRC2:TIDIG_COMP_CNT: 0
	.section	.text._ZL23rocblas_gemvt_sn_kernelILb0ELi256ELi4El19rocblas_complex_numIfES1_S1_EviiT4_lPKT3_lilS5_lilPT5_i,"axG",@progbits,_ZL23rocblas_gemvt_sn_kernelILb0ELi256ELi4El19rocblas_complex_numIfES1_S1_EviiT4_lPKT3_lilS5_lilPT5_i,comdat
	.globl	_ZL23rocblas_gemvt_sn_kernelILb0ELi256ELi4El19rocblas_complex_numIfES1_S1_EviiT4_lPKT3_lilS5_lilPT5_i ; -- Begin function _ZL23rocblas_gemvt_sn_kernelILb0ELi256ELi4El19rocblas_complex_numIfES1_S1_EviiT4_lPKT3_lilS5_lilPT5_i
	.p2align	8
	.type	_ZL23rocblas_gemvt_sn_kernelILb0ELi256ELi4El19rocblas_complex_numIfES1_S1_EviiT4_lPKT3_lilS5_lilPT5_i,@function
_ZL23rocblas_gemvt_sn_kernelILb0ELi256ELi4El19rocblas_complex_numIfES1_S1_EviiT4_lPKT3_lilS5_lilPT5_i: ; @_ZL23rocblas_gemvt_sn_kernelILb0ELi256ELi4El19rocblas_complex_numIfES1_S1_EviiT4_lPKT3_lilS5_lilPT5_i
; %bb.0:
	s_add_u32 s0, s0, s8
	s_clause 0x2
	s_load_dwordx4 s[12:15], s[4:5], 0x0
	s_load_dword s24, s[4:5], 0x68
	s_load_dwordx4 s[8:11], s[4:5], 0x50
	s_addc_u32 s1, s1, 0
	s_mov_b32 s25, 0
	v_cmp_eq_u32_e32 vcc_lo, 0, v0
	s_waitcnt lgkmcnt(0)
	s_ashr_i32 s38, s13, 31
	s_mul_hi_u32 s16, s13, s7
	s_mul_i32 s18, s38, s7
	s_mul_i32 s17, s13, s7
	s_add_i32 s16, s16, s18
	s_or_b32 s19, s14, s15
	s_mul_hi_u32 s18, s17, s24
	s_mul_i32 s16, s16, s24
	s_bitset0_b32 s19, 31
	s_add_i32 s37, s18, s16
	s_mul_i32 s36, s17, s24
	s_cmp_lg_u32 s19, 0
	s_mov_b32 s16, -1
	s_cbranch_scc1 .LBB122_5
; %bb.1:
	s_cmp_gt_i32 s13, 0
	s_cselect_b32 s16, -1, 0
	s_and_b32 s16, vcc_lo, s16
	s_and_saveexec_b32 s20, s16
	s_cbranch_execz .LBB122_4
; %bb.2:
	s_mov_b32 s16, s7
	s_mov_b32 s7, 0
	v_mov_b32_e32 v1, 0
	s_lshl_b64 s[18:19], s[36:37], 3
	s_lshl_b64 s[22:23], s[6:7], 3
	s_mov_b32 s7, s16
	s_add_u32 s16, s18, s22
	s_addc_u32 s17, s19, s23
	s_add_u32 s16, s10, s16
	v_mov_b32_e32 v2, v1
	s_addc_u32 s17, s11, s17
	s_add_u32 s16, s16, 4
	s_addc_u32 s17, s17, 0
	s_lshl_b64 s[18:19], s[24:25], 3
	s_mov_b32 s21, s13
.LBB122_3:                              ; =>This Inner Loop Header: Depth=1
	s_add_i32 s21, s21, -1
	global_store_dwordx2 v1, v[1:2], s[16:17] offset:-4
	s_add_u32 s16, s16, s18
	s_addc_u32 s17, s17, s19
	s_cmp_eq_u32 s21, 0
	s_cbranch_scc0 .LBB122_3
.LBB122_4:
	s_or_b32 exec_lo, exec_lo, s20
	s_mov_b32 s16, 0
.LBB122_5:
	s_andn2_b32 vcc_lo, exec_lo, s16
	s_cbranch_vccnz .LBB122_77
; %bb.6:
	s_clause 0x4
	s_load_dword s26, s[4:5], 0x28
	s_load_dword s28, s[4:5], 0x48
	s_load_dwordx4 s[20:23], s[4:5], 0x30
	s_load_dwordx2 s[34:35], s[4:5], 0x40
	s_load_dwordx4 s[16:19], s[4:5], 0x18
	s_mul_i32 s5, s9, s7
	s_mul_hi_u32 s9, s8, s7
	s_mul_i32 s4, s8, s7
	s_add_i32 s5, s9, s5
	v_and_b32_e32 v28, 31, v0
	s_lshl_b64 s[30:31], s[4:5], 3
	v_mbcnt_lo_u32_b32 v31, -1, 0
	v_lshrrev_b32_e32 v33, 2, v0
	s_waitcnt lgkmcnt(0)
	s_ashr_i32 s27, s26, 31
	s_ashr_i32 s29, s28, 31
	s_add_u32 s4, s22, s30
	s_addc_u32 s5, s23, s31
	s_lshl_b64 s[34:35], s[34:35], 3
	s_mul_i32 s9, s21, s7
	s_add_u32 s33, s4, s34
	s_addc_u32 s44, s5, s35
	s_lshl_b64 s[4:5], s[36:37], 3
	s_mul_hi_u32 s21, s20, s7
	s_add_u32 s45, s10, s4
	s_mul_i32 s8, s20, s7
	s_addc_u32 s46, s11, s5
	s_add_i32 s9, s21, s9
	v_cmp_gt_u32_e64 s4, 32, v0
	s_lshl_b64 s[20:21], s[8:9], 3
	v_cmp_gt_u32_e64 s5, 8, v0
	s_add_u32 s7, s16, s20
	s_addc_u32 s8, s17, s21
	s_lshl_b64 s[18:19], s[18:19], 3
	s_add_u32 s7, s7, s18
	s_addc_u32 s8, s8, s19
	s_lshl_b32 s9, s6, 10
	s_ashr_i32 s10, s12, 31
	v_lshl_or_b32 v5, v0, 2, s9
	s_lshr_b32 s9, s38, 30
	s_lshr_b32 s10, s10, 30
	s_add_i32 s9, s13, s9
	s_add_i32 s10, s12, s10
	v_ashrrev_i32_e32 v6, 31, v5
	s_and_b32 s47, s9, -4
	s_and_b32 s9, s10, -4
	v_add_nc_u32_e32 v34, 4, v5
	s_sub_i32 s25, s12, s9
	v_lshlrev_b64 v[3:4], 3, v[5:6]
	v_or_b32_e32 v32, 1, v5
	v_or_b32_e32 v30, 2, v5
	v_add_nc_u32_e32 v35, s25, v5
	v_or_b32_e32 v29, 3, v5
	s_cmp_lt_i32 s47, 1
	v_add_co_u32 v1, vcc_lo, s7, v3
	v_add_co_ci_u32_e64 v2, null, s8, v4, vcc_lo
	s_cbranch_scc1 .LBB122_54
; %bb.7:
	v_cmp_gt_u32_e32 vcc_lo, 24, v31
	v_mad_i64_i32 v[10:11], null, s28, v30, 0
	v_mad_i64_i32 v[12:13], null, s28, v29, 0
	v_cndmask_b32_e64 v6, 0, 8, vcc_lo
	v_cmp_gt_u32_e32 vcc_lo, 28, v31
	s_cmp_gt_i32 s25, 0
	s_mov_b32 s7, 0
	v_lshlrev_b64 v[10:11], 3, v[10:11]
	v_add_lshl_u32 v37, v6, v31, 2
	v_cndmask_b32_e64 v7, 0, 4, vcc_lo
	v_cmp_gt_u32_e32 vcc_lo, 30, v31
	s_cselect_b32 s48, -1, 0
	s_lshl_b64 s[36:37], s[6:7], 3
	v_lshlrev_b64 v[12:13], 3, v[12:13]
	v_add_lshl_u32 v38, v7, v31, 2
	v_cndmask_b32_e64 v8, 0, 2, vcc_lo
	v_cmp_ne_u32_e32 vcc_lo, 31, v31
	v_mad_i64_i32 v[6:7], null, s28, v5, 0
	s_add_u32 s49, s45, s36
	v_add_lshl_u32 v39, v8, v31, 2
	v_add_co_ci_u32_e64 v9, null, 0, v31, vcc_lo
	s_addc_u32 s50, s46, s37
	s_add_u32 s36, s22, s34
	v_lshlrev_b64 v[14:15], 3, v[6:7]
	v_lshlrev_b32_e32 v40, 2, v9
	v_mad_i64_i32 v[8:9], null, s28, v32, 0
	s_addc_u32 s37, s23, s35
	s_add_u32 s36, s36, s30
	v_add_co_u32 v6, vcc_lo, s33, v14
	v_add_co_ci_u32_e64 v7, null, s44, v15, vcc_lo
	v_lshlrev_b64 v[8:9], 3, v[8:9]
	s_addc_u32 s37, s37, s31
	v_mov_b32_e32 v19, v2
	v_cmp_ge_i32_e64 s8, s12, v34
	v_cmp_ge_i32_e64 s9, s12, v35
	v_lshl_or_b32 v36, v31, 2, 64
	v_add_co_u32 v8, vcc_lo, s33, v8
	v_add_co_ci_u32_e64 v9, null, s44, v9, vcc_lo
	v_add_co_u32 v10, vcc_lo, s33, v10
	v_add_co_ci_u32_e64 v11, null, s44, v11, vcc_lo
	v_add_co_u32 v12, vcc_lo, s33, v12
	v_add_co_ci_u32_e64 v13, null, s44, v13, vcc_lo
	v_add_co_u32 v14, vcc_lo, s36, v14
	v_cmp_eq_u32_e64 s10, 0, v28
	v_lshlrev_b32_e32 v41, 3, v28
	v_and_b32_e32 v42, 56, v33
	v_cmp_eq_u32_e64 s11, 0, v0
	v_add_co_ci_u32_e64 v15, null, s37, v15, vcc_lo
	v_mov_b32_e32 v16, 0
	v_mov_b32_e32 v18, v1
	s_lshl_b64 s[36:37], s[28:29], 3
	s_lshl_b64 s[38:39], s[26:27], 5
	;; [unrolled: 1-line block ×4, first 2 shown]
	s_mul_hi_i32 s51, s26, 24
	s_mul_i32 s52, s26, 24
	s_branch .LBB122_9
.LBB122_8:                              ;   in Loop: Header=BB122_9 Depth=1
	s_or_b32 exec_lo, exec_lo, s53
	v_add_co_u32 v18, vcc_lo, v18, s38
	v_add_co_ci_u32_e64 v19, null, s39, v19, vcc_lo
	s_add_i32 s7, s7, 4
	s_cmp_ge_i32 s7, s47
	s_cbranch_scc1 .LBB122_55
.LBB122_9:                              ; =>This Loop Header: Depth=1
                                        ;     Child Loop BB122_40 Depth 2
                                        ;     Child Loop BB122_42 Depth 2
                                        ; implicit-def: $vgpr43
                                        ; implicit-def: $vgpr44
                                        ; implicit-def: $vgpr22
                                        ; implicit-def: $vgpr23
                                        ; implicit-def: $vgpr24
                                        ; implicit-def: $vgpr25
                                        ; implicit-def: $vgpr27
                                        ; implicit-def: $vgpr26
	s_and_saveexec_b32 s53, s8
	s_xor_b32 s53, exec_lo, s53
	s_cbranch_execnz .LBB122_36
; %bb.10:                               ;   in Loop: Header=BB122_9 Depth=1
	s_andn2_saveexec_b32 s53, s53
	s_cbranch_execnz .LBB122_37
.LBB122_11:                             ;   in Loop: Header=BB122_9 Depth=1
	s_or_b32 exec_lo, exec_lo, s53
	s_and_saveexec_b32 s53, s4
.LBB122_12:                             ;   in Loop: Header=BB122_9 Depth=1
	v_mov_b32_e32 v17, v16
	ds_write_b64 v41, v[16:17]
.LBB122_13:                             ;   in Loop: Header=BB122_9 Depth=1
	s_or_b32 exec_lo, exec_lo, s53
	ds_bpermute_b32 v17, v36, v43
	ds_bpermute_b32 v20, v36, v44
	s_waitcnt lgkmcnt(0)
	s_waitcnt_vscnt null, 0x0
	s_barrier
	buffer_gl0_inv
	v_add_f32_e32 v17, v43, v17
	v_add_f32_e32 v20, v44, v20
	ds_bpermute_b32 v21, v37, v17
	ds_bpermute_b32 v43, v37, v20
	s_waitcnt lgkmcnt(1)
	v_add_f32_e32 v17, v17, v21
	s_waitcnt lgkmcnt(0)
	v_add_f32_e32 v20, v20, v43
	ds_bpermute_b32 v21, v38, v17
	ds_bpermute_b32 v43, v38, v20
	s_waitcnt lgkmcnt(1)
	v_add_f32_e32 v17, v17, v21
	s_waitcnt lgkmcnt(0)
	;; [unrolled: 6-line block ×3, first 2 shown]
	v_add_f32_e32 v20, v20, v43
	ds_bpermute_b32 v21, v40, v17
	ds_bpermute_b32 v43, v40, v20
	s_and_saveexec_b32 s53, s10
	s_cbranch_execz .LBB122_15
; %bb.14:                               ;   in Loop: Header=BB122_9 Depth=1
	s_waitcnt lgkmcnt(0)
	v_add_f32_e32 v44, v20, v43
	v_add_f32_e32 v43, v17, v21
	ds_write_b64 v42, v[43:44]
.LBB122_15:                             ;   in Loop: Header=BB122_9 Depth=1
	s_or_b32 exec_lo, exec_lo, s53
	s_waitcnt lgkmcnt(1)
	v_mov_b32_e32 v21, 0
	v_mov_b32_e32 v20, 0
	s_waitcnt lgkmcnt(0)
	s_barrier
	buffer_gl0_inv
	s_and_saveexec_b32 s53, s5
	s_cbranch_execnz .LBB122_43
; %bb.16:                               ;   in Loop: Header=BB122_9 Depth=1
	s_or_b32 exec_lo, exec_lo, s53
	s_and_saveexec_b32 s53, s4
	s_cbranch_execnz .LBB122_44
.LBB122_17:                             ;   in Loop: Header=BB122_9 Depth=1
	s_or_b32 exec_lo, exec_lo, s53
	s_and_saveexec_b32 s53, s4
.LBB122_18:                             ;   in Loop: Header=BB122_9 Depth=1
	v_mov_b32_e32 v17, v16
	ds_write_b64 v41, v[16:17]
.LBB122_19:                             ;   in Loop: Header=BB122_9 Depth=1
	s_or_b32 exec_lo, exec_lo, s53
	ds_bpermute_b32 v17, v36, v22
	ds_bpermute_b32 v43, v36, v23
	s_waitcnt lgkmcnt(0)
	s_barrier
	buffer_gl0_inv
	v_add_f32_e32 v17, v22, v17
	v_add_f32_e32 v22, v23, v43
	ds_bpermute_b32 v23, v37, v17
	ds_bpermute_b32 v43, v37, v22
	s_waitcnt lgkmcnt(1)
	v_add_f32_e32 v17, v17, v23
	s_waitcnt lgkmcnt(0)
	v_add_f32_e32 v22, v22, v43
	ds_bpermute_b32 v23, v38, v17
	ds_bpermute_b32 v43, v38, v22
	s_waitcnt lgkmcnt(1)
	v_add_f32_e32 v17, v17, v23
	s_waitcnt lgkmcnt(0)
	;; [unrolled: 6-line block ×3, first 2 shown]
	v_add_f32_e32 v22, v22, v43
	ds_bpermute_b32 v23, v40, v17
	ds_bpermute_b32 v43, v40, v22
	s_and_saveexec_b32 s53, s10
	s_cbranch_execz .LBB122_21
; %bb.20:                               ;   in Loop: Header=BB122_9 Depth=1
	s_waitcnt lgkmcnt(0)
	v_add_f32_e32 v44, v22, v43
	v_add_f32_e32 v43, v17, v23
	ds_write_b64 v42, v[43:44]
.LBB122_21:                             ;   in Loop: Header=BB122_9 Depth=1
	s_or_b32 exec_lo, exec_lo, s53
	s_waitcnt lgkmcnt(1)
	v_mov_b32_e32 v23, 0
	v_mov_b32_e32 v22, 0
	s_waitcnt lgkmcnt(0)
	s_barrier
	buffer_gl0_inv
	s_and_saveexec_b32 s53, s5
	s_cbranch_execnz .LBB122_45
; %bb.22:                               ;   in Loop: Header=BB122_9 Depth=1
	s_or_b32 exec_lo, exec_lo, s53
	s_and_saveexec_b32 s53, s4
	s_cbranch_execnz .LBB122_46
.LBB122_23:                             ;   in Loop: Header=BB122_9 Depth=1
	s_or_b32 exec_lo, exec_lo, s53
	s_and_saveexec_b32 s53, s4
.LBB122_24:                             ;   in Loop: Header=BB122_9 Depth=1
	v_mov_b32_e32 v17, v16
	ds_write_b64 v41, v[16:17]
.LBB122_25:                             ;   in Loop: Header=BB122_9 Depth=1
	s_or_b32 exec_lo, exec_lo, s53
	ds_bpermute_b32 v17, v36, v24
	ds_bpermute_b32 v43, v36, v25
	s_waitcnt lgkmcnt(0)
	s_barrier
	buffer_gl0_inv
	v_add_f32_e32 v17, v24, v17
	v_add_f32_e32 v24, v25, v43
	ds_bpermute_b32 v25, v37, v17
	ds_bpermute_b32 v43, v37, v24
	s_waitcnt lgkmcnt(1)
	v_add_f32_e32 v17, v17, v25
	s_waitcnt lgkmcnt(0)
	v_add_f32_e32 v24, v24, v43
	ds_bpermute_b32 v25, v38, v17
	ds_bpermute_b32 v43, v38, v24
	s_waitcnt lgkmcnt(1)
	v_add_f32_e32 v17, v17, v25
	s_waitcnt lgkmcnt(0)
	;; [unrolled: 6-line block ×3, first 2 shown]
	v_add_f32_e32 v24, v24, v43
	ds_bpermute_b32 v25, v40, v17
	ds_bpermute_b32 v43, v40, v24
	s_and_saveexec_b32 s53, s10
	s_cbranch_execz .LBB122_27
; %bb.26:                               ;   in Loop: Header=BB122_9 Depth=1
	s_waitcnt lgkmcnt(0)
	v_add_f32_e32 v44, v24, v43
	v_add_f32_e32 v43, v17, v25
	ds_write_b64 v42, v[43:44]
.LBB122_27:                             ;   in Loop: Header=BB122_9 Depth=1
	s_or_b32 exec_lo, exec_lo, s53
	s_waitcnt lgkmcnt(1)
	v_mov_b32_e32 v25, 0
	v_mov_b32_e32 v24, 0
	s_waitcnt lgkmcnt(0)
	s_barrier
	buffer_gl0_inv
	s_and_saveexec_b32 s53, s5
	s_cbranch_execnz .LBB122_47
; %bb.28:                               ;   in Loop: Header=BB122_9 Depth=1
	s_or_b32 exec_lo, exec_lo, s53
	s_and_saveexec_b32 s53, s4
	s_cbranch_execnz .LBB122_48
.LBB122_29:                             ;   in Loop: Header=BB122_9 Depth=1
	s_or_b32 exec_lo, exec_lo, s53
	s_and_saveexec_b32 s53, s4
.LBB122_30:                             ;   in Loop: Header=BB122_9 Depth=1
	v_mov_b32_e32 v17, v16
	ds_write_b64 v41, v[16:17]
.LBB122_31:                             ;   in Loop: Header=BB122_9 Depth=1
	s_or_b32 exec_lo, exec_lo, s53
	ds_bpermute_b32 v17, v36, v27
	ds_bpermute_b32 v43, v36, v26
	s_waitcnt lgkmcnt(0)
	s_barrier
	buffer_gl0_inv
	v_add_f32_e32 v17, v27, v17
	v_add_f32_e32 v26, v26, v43
	ds_bpermute_b32 v27, v37, v17
	ds_bpermute_b32 v43, v37, v26
	s_waitcnt lgkmcnt(1)
	v_add_f32_e32 v17, v17, v27
	s_waitcnt lgkmcnt(0)
	v_add_f32_e32 v26, v26, v43
	ds_bpermute_b32 v27, v38, v17
	ds_bpermute_b32 v43, v38, v26
	s_waitcnt lgkmcnt(1)
	v_add_f32_e32 v17, v17, v27
	s_waitcnt lgkmcnt(0)
	;; [unrolled: 6-line block ×3, first 2 shown]
	v_add_f32_e32 v26, v26, v43
	ds_bpermute_b32 v27, v40, v17
	ds_bpermute_b32 v43, v40, v26
	s_and_saveexec_b32 s53, s10
	s_cbranch_execz .LBB122_33
; %bb.32:                               ;   in Loop: Header=BB122_9 Depth=1
	s_waitcnt lgkmcnt(0)
	v_add_f32_e32 v44, v26, v43
	v_add_f32_e32 v43, v17, v27
	ds_write_b64 v42, v[43:44]
.LBB122_33:                             ;   in Loop: Header=BB122_9 Depth=1
	s_or_b32 exec_lo, exec_lo, s53
	s_waitcnt lgkmcnt(1)
	v_mov_b32_e32 v27, 0
	v_mov_b32_e32 v26, 0
	s_waitcnt lgkmcnt(0)
	s_barrier
	buffer_gl0_inv
	s_and_saveexec_b32 s53, s5
	s_cbranch_execnz .LBB122_49
; %bb.34:                               ;   in Loop: Header=BB122_9 Depth=1
	s_or_b32 exec_lo, exec_lo, s53
	s_and_saveexec_b32 s53, s4
	s_cbranch_execnz .LBB122_50
.LBB122_35:                             ;   in Loop: Header=BB122_9 Depth=1
	s_or_b32 exec_lo, exec_lo, s53
	s_and_saveexec_b32 s53, s11
	s_cbranch_execz .LBB122_8
	s_branch .LBB122_51
.LBB122_36:                             ;   in Loop: Header=BB122_9 Depth=1
	s_mul_i32 s54, s7, s27
	s_mul_hi_u32 s55, s7, s26
	s_or_b32 s56, s7, 1
	s_add_i32 s55, s55, s54
	s_mul_i32 s54, s7, s26
	s_mul_i32 s57, s56, s27
	s_mul_hi_u32 s58, s56, s26
	s_lshl_b64 s[54:55], s[54:55], 3
	s_add_i32 s57, s58, s57
	s_mul_i32 s56, s56, s26
	v_add_co_u32 v24, vcc_lo, v1, s54
	v_add_co_ci_u32_e64 v25, null, s55, v2, vcc_lo
	s_lshl_b64 s[54:55], s[56:57], 3
	s_or_b32 s56, s7, 2
	v_add_co_u32 v55, vcc_lo, v1, s54
	v_add_co_ci_u32_e64 v56, null, s55, v2, vcc_lo
	s_mul_i32 s54, s56, s27
	s_mul_hi_u32 s55, s56, s26
	s_clause 0x3
	global_load_dwordx2 v[67:68], v[6:7], off
	global_load_dwordx2 v[69:70], v[8:9], off
	;; [unrolled: 1-line block ×4, first 2 shown]
	s_add_i32 s55, s55, s54
	s_mul_i32 s54, s56, s26
	s_or_b32 s56, s7, 3
	s_lshl_b64 s[54:55], s[54:55], 3
	s_mul_i32 s57, s56, s27
	s_mul_hi_u32 s58, s56, s26
	s_mul_i32 s56, s56, s26
	s_add_i32 s57, s58, s57
	v_add_co_u32 v59, vcc_lo, v1, s54
	v_add_co_ci_u32_e64 v60, null, s55, v2, vcc_lo
	s_lshl_b64 s[54:55], s[56:57], 3
	global_load_dwordx4 v[20:23], v[24:25], off offset:16
	s_waitcnt lgkmcnt(0)
	global_load_dwordx4 v[24:27], v[24:25], off
	v_add_co_u32 v63, vcc_lo, v1, s54
	v_add_co_ci_u32_e64 v64, null, s55, v2, vcc_lo
	s_clause 0x5
	global_load_dwordx4 v[43:46], v[55:56], off
	global_load_dwordx4 v[47:50], v[59:60], off
	;; [unrolled: 1-line block ×3, first 2 shown]
	global_load_dwordx4 v[55:58], v[55:56], off offset:16
	global_load_dwordx4 v[59:62], v[59:60], off offset:16
	;; [unrolled: 1-line block ×3, first 2 shown]
	s_waitcnt vmcnt(11)
	buffer_store_dword v68, off, s[0:3], 0 offset:4
	buffer_store_dword v67, off, s[0:3], 0
	s_waitcnt vmcnt(10)
	buffer_store_dword v70, off, s[0:3], 0 offset:12
	buffer_store_dword v69, off, s[0:3], 0 offset:8
	s_waitcnt vmcnt(9)
	buffer_store_dword v72, off, s[0:3], 0 offset:20
	buffer_store_dword v71, off, s[0:3], 0 offset:16
	s_waitcnt vmcnt(8)
	buffer_store_dword v74, off, s[0:3], 0 offset:28
	buffer_store_dword v73, off, s[0:3], 0 offset:24
	s_waitcnt vmcnt(7)
	v_mul_f32_e32 v76, v72, v21
	s_waitcnt vmcnt(6)
	v_mul_f32_e32 v17, v68, v25
	v_mul_f32_e32 v25, v67, v25
	;; [unrolled: 1-line block ×7, first 2 shown]
	s_waitcnt vmcnt(5)
	v_mul_f32_e32 v78, v68, v44
	v_mul_f32_e32 v44, v67, v44
	s_waitcnt vmcnt(4)
	v_mul_f32_e32 v79, v68, v48
	v_mul_f32_e32 v80, v70, v46
	;; [unrolled: 1-line block ×4, first 2 shown]
	s_waitcnt vmcnt(3)
	v_mul_f32_e32 v81, v68, v52
	v_mul_f32_e32 v82, v70, v50
	;; [unrolled: 1-line block ×6, first 2 shown]
	v_fma_f32 v17, v67, v24, -v17
	v_fmac_f32_e32 v25, v68, v24
	v_fma_f32 v24, v69, v26, -v75
	v_fmac_f32_e32 v27, v70, v26
	s_waitcnt vmcnt(2)
	v_mul_f32_e32 v26, v74, v58
	v_mul_f32_e32 v58, v73, v58
	s_waitcnt vmcnt(1)
	v_mul_f32_e32 v75, v74, v62
	v_mul_f32_e32 v62, v73, v62
	v_fma_f32 v76, v71, v20, -v76
	v_fmac_f32_e32 v21, v72, v20
	v_fma_f32 v20, v73, v22, -v77
	v_fmac_f32_e32 v23, v74, v22
	s_waitcnt vmcnt(0)
	v_mul_f32_e32 v22, v74, v66
	v_fma_f32 v77, v67, v43, -v78
	v_fmac_f32_e32 v44, v68, v43
	v_fma_f32 v43, v69, v45, -v80
	v_fmac_f32_e32 v46, v70, v45
	;; [unrolled: 2-line block ×5, first 2 shown]
	v_mul_f32_e32 v84, v72, v56
	v_mul_f32_e32 v56, v71, v56
	;; [unrolled: 1-line block ×6, first 2 shown]
	v_fma_f32 v51, v69, v53, -v83
	v_fmac_f32_e32 v54, v70, v53
	v_fma_f32 v26, v73, v57, -v26
	v_fmac_f32_e32 v58, v74, v57
	;; [unrolled: 2-line block ×3, first 2 shown]
	v_fma_f32 v61, v73, v65, -v22
	v_add_f32_e32 v17, 0, v17
	v_add_f32_e32 v22, 0, v25
	;; [unrolled: 1-line block ×8, first 2 shown]
	v_mul_f32_e32 v66, v73, v66
	v_fma_f32 v53, v71, v55, -v84
	v_fmac_f32_e32 v56, v72, v55
	v_fma_f32 v55, v71, v59, -v85
	v_fmac_f32_e32 v60, v72, v59
	;; [unrolled: 2-line block ×3, first 2 shown]
	v_add_f32_e32 v17, v17, v24
	v_add_f32_e32 v22, v22, v27
	;; [unrolled: 1-line block ×8, first 2 shown]
	v_fmac_f32_e32 v66, v74, v65
	v_add_f32_e32 v17, v17, v76
	v_add_f32_e32 v21, v22, v21
	;; [unrolled: 1-line block ×16, first 2 shown]
	s_andn2_saveexec_b32 s53, s53
	s_cbranch_execz .LBB122_11
.LBB122_37:                             ;   in Loop: Header=BB122_9 Depth=1
	v_mov_b32_e32 v43, 0
	v_mov_b32_e32 v44, 0
	;; [unrolled: 1-line block ×6, first 2 shown]
	s_waitcnt lgkmcnt(0)
	v_mov_b32_e32 v27, 0
	v_mov_b32_e32 v26, 0
	s_and_saveexec_b32 s54, s9
	s_cbranch_execz .LBB122_53
; %bb.38:                               ;   in Loop: Header=BB122_9 Depth=1
	s_andn2_b32 vcc_lo, exec_lo, s48
	s_cbranch_vccnz .LBB122_52
; %bb.39:                               ;   in Loop: Header=BB122_9 Depth=1
	v_mov_b32_e32 v21, v15
	v_mov_b32_e32 v20, v14
	s_mov_b32 s55, 0
	s_mov_b32 s56, s25
.LBB122_40:                             ;   Parent Loop BB122_9 Depth=1
                                        ; =>  This Inner Loop Header: Depth=2
	global_load_dwordx2 v[22:23], v[20:21], off
	v_add_co_u32 v20, vcc_lo, v20, s36
	v_mov_b32_e32 v17, s55
	v_add_co_ci_u32_e64 v21, null, s37, v21, vcc_lo
	s_add_i32 s56, s56, -1
	s_add_i32 s55, s55, 8
	s_cmp_eq_u32 s56, 0
	s_waitcnt vmcnt(0)
	buffer_store_dword v23, v17, s[0:3], 0 offen offset:4
	buffer_store_dword v22, v17, s[0:3], 0 offen
	s_cbranch_scc0 .LBB122_40
; %bb.41:                               ;   in Loop: Header=BB122_9 Depth=1
	v_mov_b32_e32 v21, v19
	v_mov_b32_e32 v26, 0
	;; [unrolled: 1-line block ×10, first 2 shown]
	s_mov_b32 s55, 0
	s_mov_b32 s56, s25
.LBB122_42:                             ;   Parent Loop BB122_9 Depth=1
                                        ; =>  This Inner Loop Header: Depth=2
	v_add_co_u32 v47, vcc_lo, v20, s40
	v_add_co_ci_u32_e64 v48, null, s41, v21, vcc_lo
	v_add_co_u32 v49, vcc_lo, v20, s42
	v_mov_b32_e32 v17, s55
	v_add_co_ci_u32_e64 v50, null, s43, v21, vcc_lo
	v_add_co_u32 v51, vcc_lo, v20, s52
	v_add_co_ci_u32_e64 v52, null, s51, v21, vcc_lo
	global_load_dwordx2 v[45:46], v[20:21], off
	s_clause 0x1
	buffer_load_dword v53, v17, s[0:3], 0 offen offset:4
	buffer_load_dword v17, v17, s[0:3], 0 offen
	s_clause 0x2
	global_load_dwordx2 v[47:48], v[47:48], off
	global_load_dwordx2 v[49:50], v[49:50], off
	;; [unrolled: 1-line block ×3, first 2 shown]
	v_add_co_u32 v20, vcc_lo, v20, 8
	v_add_co_ci_u32_e64 v21, null, 0, v21, vcc_lo
	s_add_i32 s56, s56, -1
	s_add_i32 s55, s55, 8
	s_cmp_lg_u32 s56, 0
	s_waitcnt vmcnt(4)
	v_mul_f32_e32 v54, v53, v46
	s_waitcnt vmcnt(3)
	v_mul_f32_e32 v46, v17, v46
	;; [unrolled: 2-line block ×3, first 2 shown]
	v_mul_f32_e32 v48, v17, v48
	s_waitcnt vmcnt(1)
	v_mul_f32_e32 v56, v53, v50
	v_mul_f32_e32 v50, v17, v50
	s_waitcnt vmcnt(0)
	v_mul_f32_e32 v57, v53, v52
	v_mul_f32_e32 v52, v17, v52
	v_fma_f32 v54, v17, v45, -v54
	v_fmac_f32_e32 v46, v53, v45
	v_fma_f32 v45, v17, v47, -v55
	v_fmac_f32_e32 v48, v53, v47
	;; [unrolled: 2-line block ×4, first 2 shown]
	v_add_f32_e32 v43, v43, v54
	v_add_f32_e32 v44, v44, v46
	;; [unrolled: 1-line block ×8, first 2 shown]
	s_cbranch_scc1 .LBB122_42
	s_branch .LBB122_53
.LBB122_43:                             ;   in Loop: Header=BB122_9 Depth=1
	ds_read_b64 v[20:21], v41
	s_or_b32 exec_lo, exec_lo, s53
	s_and_saveexec_b32 s53, s4
	s_cbranch_execz .LBB122_17
.LBB122_44:                             ;   in Loop: Header=BB122_9 Depth=1
	s_waitcnt lgkmcnt(0)
	ds_bpermute_b32 v17, v38, v20
	ds_bpermute_b32 v43, v38, v21
	s_waitcnt lgkmcnt(1)
	v_add_f32_e32 v17, v20, v17
	s_waitcnt lgkmcnt(0)
	v_add_f32_e32 v20, v21, v43
	ds_bpermute_b32 v21, v39, v17
	ds_bpermute_b32 v43, v39, v20
	s_waitcnt lgkmcnt(1)
	v_add_f32_e32 v17, v17, v21
	s_waitcnt lgkmcnt(0)
	v_add_f32_e32 v21, v20, v43
	;; [unrolled: 6-line block ×3, first 2 shown]
	s_or_b32 exec_lo, exec_lo, s53
	s_and_saveexec_b32 s53, s4
	s_cbranch_execnz .LBB122_18
	s_branch .LBB122_19
.LBB122_45:                             ;   in Loop: Header=BB122_9 Depth=1
	ds_read_b64 v[22:23], v41
	s_or_b32 exec_lo, exec_lo, s53
	s_and_saveexec_b32 s53, s4
	s_cbranch_execz .LBB122_23
.LBB122_46:                             ;   in Loop: Header=BB122_9 Depth=1
	s_waitcnt lgkmcnt(0)
	ds_bpermute_b32 v17, v38, v22
	ds_bpermute_b32 v43, v38, v23
	s_waitcnt lgkmcnt(1)
	v_add_f32_e32 v17, v22, v17
	s_waitcnt lgkmcnt(0)
	v_add_f32_e32 v22, v23, v43
	ds_bpermute_b32 v23, v39, v17
	ds_bpermute_b32 v43, v39, v22
	s_waitcnt lgkmcnt(1)
	v_add_f32_e32 v17, v17, v23
	s_waitcnt lgkmcnt(0)
	v_add_f32_e32 v23, v22, v43
	;; [unrolled: 6-line block ×3, first 2 shown]
	s_or_b32 exec_lo, exec_lo, s53
	s_and_saveexec_b32 s53, s4
	s_cbranch_execnz .LBB122_24
	s_branch .LBB122_25
.LBB122_47:                             ;   in Loop: Header=BB122_9 Depth=1
	ds_read_b64 v[24:25], v41
	s_or_b32 exec_lo, exec_lo, s53
	s_and_saveexec_b32 s53, s4
	s_cbranch_execz .LBB122_29
.LBB122_48:                             ;   in Loop: Header=BB122_9 Depth=1
	s_waitcnt lgkmcnt(0)
	ds_bpermute_b32 v17, v38, v24
	ds_bpermute_b32 v43, v38, v25
	s_waitcnt lgkmcnt(1)
	v_add_f32_e32 v17, v24, v17
	s_waitcnt lgkmcnt(0)
	v_add_f32_e32 v24, v25, v43
	ds_bpermute_b32 v25, v39, v17
	ds_bpermute_b32 v43, v39, v24
	s_waitcnt lgkmcnt(1)
	v_add_f32_e32 v17, v17, v25
	s_waitcnt lgkmcnt(0)
	v_add_f32_e32 v25, v24, v43
	;; [unrolled: 6-line block ×3, first 2 shown]
	s_or_b32 exec_lo, exec_lo, s53
	s_and_saveexec_b32 s53, s4
	s_cbranch_execnz .LBB122_30
	s_branch .LBB122_31
.LBB122_49:                             ;   in Loop: Header=BB122_9 Depth=1
	ds_read_b64 v[26:27], v41
	s_or_b32 exec_lo, exec_lo, s53
	s_and_saveexec_b32 s53, s4
	s_cbranch_execz .LBB122_35
.LBB122_50:                             ;   in Loop: Header=BB122_9 Depth=1
	s_waitcnt lgkmcnt(0)
	ds_bpermute_b32 v17, v38, v26
	ds_bpermute_b32 v43, v38, v27
	s_waitcnt lgkmcnt(1)
	v_add_f32_e32 v17, v26, v17
	s_waitcnt lgkmcnt(0)
	v_add_f32_e32 v26, v27, v43
	ds_bpermute_b32 v27, v39, v17
	ds_bpermute_b32 v43, v39, v26
	s_waitcnt lgkmcnt(1)
	v_add_f32_e32 v17, v17, v27
	s_waitcnt lgkmcnt(0)
	v_add_f32_e32 v27, v26, v43
	;; [unrolled: 6-line block ×3, first 2 shown]
	s_or_b32 exec_lo, exec_lo, s53
	s_and_saveexec_b32 s53, s11
	s_cbranch_execz .LBB122_8
.LBB122_51:                             ;   in Loop: Header=BB122_9 Depth=1
	v_mul_f32_e32 v17, s15, v21
	v_mul_f32_e32 v44, s14, v21
	s_mul_hi_u32 s55, s7, s24
	s_mul_i32 s54, s7, s24
	v_mul_f32_e32 v21, s14, v23
	s_lshl_b64 s[54:55], s[54:55], 3
	v_fma_f32 v43, v20, s14, -v17
	v_fmac_f32_e32 v44, s15, v20
	s_add_u32 s54, s49, s54
	s_addc_u32 s55, s50, s55
	v_mul_f32_e32 v17, s15, v23
	v_mul_f32_e32 v23, s14, v25
	global_store_dwordx2 v16, v[43:44], s[54:55]
	s_or_b32 s54, s7, 1
	v_fmac_f32_e32 v21, s15, v22
	s_mul_hi_u32 s55, s54, s24
	s_mul_i32 s54, s54, s24
	v_fma_f32 v20, v22, s14, -v17
	s_lshl_b64 s[54:55], s[54:55], 3
	v_mul_f32_e32 v17, s15, v25
	s_add_u32 s54, s49, s54
	s_addc_u32 s55, s50, s55
	s_or_b32 s56, s7, 2
	s_waitcnt lgkmcnt(0)
	v_mul_f32_e32 v25, s14, v27
	s_mul_hi_u32 s57, s56, s24
	s_mul_i32 s56, s56, s24
	v_fma_f32 v22, v24, s14, -v17
	s_lshl_b64 s[56:57], s[56:57], 3
	v_mul_f32_e32 v17, s15, v27
	s_add_u32 s56, s49, s56
	s_addc_u32 s57, s50, s57
	s_or_b32 s58, s7, 3
	v_fmac_f32_e32 v23, s15, v24
	s_mul_hi_u32 s59, s58, s24
	s_mul_i32 s58, s58, s24
	v_fma_f32 v24, v26, s14, -v17
	v_fmac_f32_e32 v25, s15, v26
	s_lshl_b64 s[58:59], s[58:59], 3
	global_store_dwordx2 v16, v[20:21], s[54:55]
	s_add_u32 s54, s49, s58
	s_addc_u32 s55, s50, s59
	global_store_dwordx2 v16, v[22:23], s[56:57]
	global_store_dwordx2 v16, v[24:25], s[54:55]
	s_branch .LBB122_8
.LBB122_52:                             ;   in Loop: Header=BB122_9 Depth=1
	v_mov_b32_e32 v43, 0
	v_mov_b32_e32 v44, 0
	;; [unrolled: 1-line block ×8, first 2 shown]
.LBB122_53:                             ;   in Loop: Header=BB122_9 Depth=1
	s_or_b32 exec_lo, exec_lo, s54
	s_or_b32 exec_lo, exec_lo, s53
	s_and_saveexec_b32 s53, s4
	s_cbranch_execnz .LBB122_12
	s_branch .LBB122_13
.LBB122_54:
	s_mov_b32 s7, 0
.LBB122_55:
	s_cmp_ge_i32 s7, s13
	s_cbranch_scc1 .LBB122_77
; %bb.56:
	v_cmp_gt_u32_e64 s5, 24, v31
	v_mad_i64_i32 v[11:12], null, s28, v29, 0
	s_cmp_gt_i32 s25, 0
	s_mov_b32 s11, 0
	v_cndmask_b32_e64 v6, 0, 8, s5
	v_cmp_gt_u32_e64 s5, 28, v31
	s_mov_b32 s10, s6
	s_cselect_b32 s37, -1, 0
	s_lshl_b64 s[10:11], s[10:11], 3
	v_add_lshl_u32 v20, v6, v31, 2
	v_cndmask_b32_e64 v7, 0, 4, s5
	v_cmp_gt_u32_e64 s5, 30, v31
	v_mad_i64_i32 v[5:6], null, s28, v5, 0
	v_cmp_ge_i32_e32 vcc_lo, s12, v34
	v_add_lshl_u32 v21, v7, v31, 2
	v_cndmask_b32_e64 v8, 0, 2, s5
	v_cmp_ne_u32_e64 s5, 31, v31
	v_cmp_ge_i32_e64 s9, s12, v35
	s_add_u32 s12, s45, s10
	v_lshlrev_b64 v[13:14], 3, v[5:6]
	v_add_lshl_u32 v22, v8, v31, 2
	v_add_co_ci_u32_e64 v9, null, 0, v31, s5
	v_mad_i64_i32 v[7:8], null, s28, v32, 0
	v_add_co_u32 v5, s10, s33, v13
	v_lshlrev_b32_e32 v23, 2, v9
	v_mad_i64_i32 v[9:10], null, s28, v30, 0
	v_lshlrev_b64 v[11:12], 3, v[11:12]
	v_lshlrev_b64 v[7:8], 3, v[7:8]
	v_add_co_ci_u32_e64 v6, null, s44, v14, s10
	s_addc_u32 s36, s46, s11
	s_mul_i32 s11, s27, s7
	v_lshlrev_b64 v[9:10], 3, v[9:10]
	v_add_co_u32 v7, s10, s33, v7
	v_add_co_ci_u32_e64 v8, null, s44, v8, s10
	v_cmp_gt_u32_e64 s4, 32, v0
	v_add_co_u32 v9, s10, s33, v9
	v_add_co_ci_u32_e64 v10, null, s44, v10, s10
	v_add_co_u32 v11, s10, s33, v11
	s_and_b32 s33, s37, s9
	s_add_u32 s9, s22, s34
	v_add_co_ci_u32_e64 v12, null, s44, v12, s10
	s_addc_u32 s10, s23, s35
	s_add_u32 s9, s9, s30
	s_mul_hi_u32 s22, s26, s7
	s_addc_u32 s23, s10, s31
	s_add_i32 s11, s22, s11
	s_mul_i32 s10, s26, s7
	v_add_co_u32 v13, s9, s9, v13
	v_add_co_ci_u32_e64 v14, null, s23, v14, s9
	s_lshl_b64 s[22:23], s[10:11], 3
	s_lshl_b64 s[10:11], s[28:29], 3
	s_add_u32 s9, s20, s22
	s_addc_u32 s20, s21, s23
	s_add_u32 s9, s9, s18
	s_addc_u32 s18, s20, s19
	;; [unrolled: 2-line block ×3, first 2 shown]
	v_add_co_u32 v3, s9, s9, v3
	v_lshlrev_b32_e32 v18, 3, v28
	v_lshl_or_b32 v19, v31, 2, 64
	v_cmp_eq_u32_e64 s5, 0, v28
	v_and_b32_e32 v24, 56, v33
	v_cmp_gt_u32_e64 s8, 8, v0
	v_cmp_eq_u32_e64 s6, 0, v0
	v_add_co_ci_u32_e64 v4, null, s16, v4, s9
	v_mov_b32_e32 v15, 0
	s_lshl_b64 s[16:17], s[26:27], 3
	s_branch .LBB122_58
.LBB122_57:                             ;   in Loop: Header=BB122_58 Depth=1
	s_or_b32 exec_lo, exec_lo, s9
	v_add_co_u32 v3, s9, v3, s16
	v_add_co_ci_u32_e64 v4, null, s17, v4, s9
	s_add_i32 s7, s7, 1
	s_cmp_lt_i32 s7, s13
	s_cbranch_scc0 .LBB122_77
.LBB122_58:                             ; =>This Loop Header: Depth=1
                                        ;     Child Loop BB122_70 Depth 2
                                        ;     Child Loop BB122_72 Depth 2
                                        ; implicit-def: $vgpr0
                                        ; implicit-def: $vgpr25
	s_and_saveexec_b32 s9, vcc_lo
	s_xor_b32 s18, exec_lo, s9
	s_cbranch_execnz .LBB122_67
; %bb.59:                               ;   in Loop: Header=BB122_58 Depth=1
	s_andn2_saveexec_b32 s18, s18
	s_cbranch_execnz .LBB122_68
.LBB122_60:                             ;   in Loop: Header=BB122_58 Depth=1
	s_or_b32 exec_lo, exec_lo, s18
	s_and_saveexec_b32 s9, s4
	s_cbranch_execz .LBB122_62
.LBB122_61:                             ;   in Loop: Header=BB122_58 Depth=1
	s_waitcnt lgkmcnt(0)
	v_mov_b32_e32 v16, v15
	ds_write_b64 v18, v[15:16]
.LBB122_62:                             ;   in Loop: Header=BB122_58 Depth=1
	s_or_b32 exec_lo, exec_lo, s9
	s_waitcnt lgkmcnt(0)
	ds_bpermute_b32 v16, v19, v0
	ds_bpermute_b32 v17, v19, v25
	s_waitcnt lgkmcnt(0)
	s_waitcnt_vscnt null, 0x0
	s_barrier
	buffer_gl0_inv
	v_add_f32_e32 v0, v0, v16
	v_add_f32_e32 v16, v25, v17
	ds_bpermute_b32 v17, v20, v0
	ds_bpermute_b32 v25, v20, v16
	s_waitcnt lgkmcnt(1)
	v_add_f32_e32 v0, v0, v17
	s_waitcnt lgkmcnt(0)
	v_add_f32_e32 v16, v16, v25
	ds_bpermute_b32 v17, v21, v0
	ds_bpermute_b32 v25, v21, v16
	s_waitcnt lgkmcnt(1)
	v_add_f32_e32 v0, v0, v17
	s_waitcnt lgkmcnt(0)
	;; [unrolled: 6-line block ×3, first 2 shown]
	v_add_f32_e32 v16, v16, v25
	ds_bpermute_b32 v17, v23, v0
	ds_bpermute_b32 v25, v23, v16
	s_and_saveexec_b32 s9, s5
	s_cbranch_execz .LBB122_64
; %bb.63:                               ;   in Loop: Header=BB122_58 Depth=1
	s_waitcnt lgkmcnt(0)
	v_add_f32_e32 v26, v16, v25
	v_add_f32_e32 v25, v0, v17
	ds_write_b64 v24, v[25:26]
.LBB122_64:                             ;   in Loop: Header=BB122_58 Depth=1
	s_or_b32 exec_lo, exec_lo, s9
	s_waitcnt lgkmcnt(1)
	v_mov_b32_e32 v17, 0
	v_mov_b32_e32 v16, 0
	s_waitcnt lgkmcnt(0)
	s_barrier
	buffer_gl0_inv
	s_and_saveexec_b32 s9, s8
	s_cbranch_execnz .LBB122_74
; %bb.65:                               ;   in Loop: Header=BB122_58 Depth=1
	s_or_b32 exec_lo, exec_lo, s9
	s_and_saveexec_b32 s9, s4
	s_cbranch_execnz .LBB122_75
.LBB122_66:                             ;   in Loop: Header=BB122_58 Depth=1
	s_or_b32 exec_lo, exec_lo, s9
	s_and_saveexec_b32 s9, s6
	s_cbranch_execz .LBB122_57
	s_branch .LBB122_76
.LBB122_67:                             ;   in Loop: Header=BB122_58 Depth=1
	s_mul_i32 s9, s7, s27
	s_mul_hi_u32 s19, s7, s26
	s_mul_i32 s20, s7, s26
	s_add_i32 s21, s19, s9
	s_lshl_b64 s[20:21], s[20:21], 3
	s_waitcnt lgkmcnt(0)
	v_add_co_u32 v16, s9, v1, s20
	v_add_co_ci_u32_e64 v17, null, s21, v2, s9
	s_waitcnt lgkmcnt(0)
	global_load_dwordx4 v[25:28], v[16:17], off
	s_clause 0x1
	global_load_dwordx2 v[33:34], v[5:6], off
	global_load_dwordx2 v[35:36], v[7:8], off
	global_load_dwordx4 v[29:32], v[16:17], off offset:16
	s_clause 0x1
	global_load_dwordx2 v[16:17], v[9:10], off
	global_load_dwordx2 v[37:38], v[11:12], off
	s_waitcnt vmcnt(4)
	v_mul_f32_e32 v0, v34, v26
	v_mul_f32_e32 v26, v33, v26
	s_waitcnt vmcnt(3)
	v_mul_f32_e32 v39, v36, v28
	v_mul_f32_e32 v28, v35, v28
	s_waitcnt vmcnt(1)
	v_mul_f32_e32 v40, v17, v30
	v_fma_f32 v0, v33, v25, -v0
	v_fmac_f32_e32 v26, v34, v25
	v_mul_f32_e32 v30, v16, v30
	v_fma_f32 v39, v35, v27, -v39
	v_fmac_f32_e32 v28, v36, v27
	v_add_f32_e32 v0, 0, v0
	v_add_f32_e32 v26, 0, v26
	s_waitcnt vmcnt(0)
	v_mul_f32_e32 v25, v38, v32
	v_mul_f32_e32 v27, v37, v32
	v_fma_f32 v32, v16, v29, -v40
	v_fmac_f32_e32 v30, v17, v29
	v_add_f32_e32 v0, v0, v39
	v_add_f32_e32 v26, v26, v28
	v_fma_f32 v25, v37, v31, -v25
	v_fmac_f32_e32 v27, v38, v31
	buffer_store_dword v34, off, s[0:3], 0 offset:4
	v_add_f32_e32 v0, v0, v32
	v_add_f32_e32 v26, v26, v30
	buffer_store_dword v33, off, s[0:3], 0
	buffer_store_dword v36, off, s[0:3], 0 offset:12
	buffer_store_dword v35, off, s[0:3], 0 offset:8
	;; [unrolled: 1-line block ×6, first 2 shown]
	v_add_f32_e32 v0, v0, v25
	v_add_f32_e32 v25, v26, v27
	s_andn2_saveexec_b32 s18, s18
	s_cbranch_execz .LBB122_60
.LBB122_68:                             ;   in Loop: Header=BB122_58 Depth=1
	v_mov_b32_e32 v0, 0
	v_mov_b32_e32 v25, 0
	s_and_saveexec_b32 s19, s33
	s_cbranch_execz .LBB122_73
; %bb.69:                               ;   in Loop: Header=BB122_58 Depth=1
	s_waitcnt lgkmcnt(0)
	v_mov_b32_e32 v17, v14
	v_mov_b32_e32 v16, v13
	s_mov_b32 s20, 0
	s_mov_b32 s21, s25
.LBB122_70:                             ;   Parent Loop BB122_58 Depth=1
                                        ; =>  This Inner Loop Header: Depth=2
	s_waitcnt lgkmcnt(0)
	global_load_dwordx2 v[25:26], v[16:17], off
	v_add_co_u32 v16, s9, v16, s10
	v_mov_b32_e32 v0, s20
	v_add_co_ci_u32_e64 v17, null, s11, v17, s9
	s_add_i32 s21, s21, -1
	s_add_i32 s20, s20, 8
	s_cmp_eq_u32 s21, 0
	s_waitcnt vmcnt(0)
	buffer_store_dword v26, v0, s[0:3], 0 offen offset:4
	buffer_store_dword v25, v0, s[0:3], 0 offen
	s_cbranch_scc0 .LBB122_70
; %bb.71:                               ;   in Loop: Header=BB122_58 Depth=1
	v_mov_b32_e32 v17, v4
	v_mov_b32_e32 v0, 0
	;; [unrolled: 1-line block ×4, first 2 shown]
	s_mov_b32 s20, 0
	s_mov_b32 s21, s25
	.p2align	6
.LBB122_72:                             ;   Parent Loop BB122_58 Depth=1
                                        ; =>  This Inner Loop Header: Depth=2
	v_mov_b32_e32 v28, s20
	global_load_dwordx2 v[26:27], v[16:17], off
	v_add_co_u32 v16, s9, v16, 8
	v_add_co_ci_u32_e64 v17, null, 0, v17, s9
	s_clause 0x1
	buffer_load_dword v29, v28, s[0:3], 0 offen offset:4
	buffer_load_dword v28, v28, s[0:3], 0 offen
	s_add_i32 s21, s21, -1
	s_add_i32 s20, s20, 8
	s_cmp_lg_u32 s21, 0
	s_waitcnt vmcnt(1)
	v_mul_f32_e32 v30, v29, v27
	s_waitcnt vmcnt(0)
	v_mul_f32_e32 v27, v28, v27
	v_fma_f32 v28, v28, v26, -v30
	v_fmac_f32_e32 v27, v29, v26
	v_add_f32_e32 v0, v0, v28
	v_add_f32_e32 v25, v25, v27
	s_cbranch_scc1 .LBB122_72
.LBB122_73:                             ;   in Loop: Header=BB122_58 Depth=1
	s_or_b32 exec_lo, exec_lo, s19
	s_or_b32 exec_lo, exec_lo, s18
	s_and_saveexec_b32 s9, s4
	s_cbranch_execnz .LBB122_61
	s_branch .LBB122_62
.LBB122_74:                             ;   in Loop: Header=BB122_58 Depth=1
	ds_read_b64 v[16:17], v18
	s_or_b32 exec_lo, exec_lo, s9
	s_and_saveexec_b32 s9, s4
	s_cbranch_execz .LBB122_66
.LBB122_75:                             ;   in Loop: Header=BB122_58 Depth=1
	s_waitcnt lgkmcnt(0)
	ds_bpermute_b32 v0, v21, v16
	ds_bpermute_b32 v25, v21, v17
	s_waitcnt lgkmcnt(1)
	v_add_f32_e32 v0, v16, v0
	s_waitcnt lgkmcnt(0)
	v_add_f32_e32 v16, v17, v25
	ds_bpermute_b32 v17, v22, v0
	ds_bpermute_b32 v25, v22, v16
	s_waitcnt lgkmcnt(1)
	v_add_f32_e32 v0, v0, v17
	s_waitcnt lgkmcnt(0)
	v_add_f32_e32 v17, v16, v25
	;; [unrolled: 6-line block ×3, first 2 shown]
	s_or_b32 exec_lo, exec_lo, s9
	s_and_saveexec_b32 s9, s6
	s_cbranch_execz .LBB122_57
.LBB122_76:                             ;   in Loop: Header=BB122_58 Depth=1
	s_waitcnt lgkmcnt(0)
	v_mul_f32_e32 v0, s15, v17
	v_mul_f32_e32 v26, s14, v17
	s_mul_hi_u32 s19, s7, s24
	s_mul_i32 s18, s7, s24
	s_lshl_b64 s[18:19], s[18:19], 3
	v_fma_f32 v25, v16, s14, -v0
	v_fmac_f32_e32 v26, s15, v16
	s_add_u32 s18, s12, s18
	s_addc_u32 s19, s36, s19
	global_store_dwordx2 v15, v[25:26], s[18:19]
	s_branch .LBB122_57
.LBB122_77:
	s_endpgm
	.section	.rodata,"a",@progbits
	.p2align	6, 0x0
	.amdhsa_kernel _ZL23rocblas_gemvt_sn_kernelILb0ELi256ELi4El19rocblas_complex_numIfES1_S1_EviiT4_lPKT3_lilS5_lilPT5_i
		.amdhsa_group_segment_fixed_size 256
		.amdhsa_private_segment_fixed_size 48
		.amdhsa_kernarg_size 360
		.amdhsa_user_sgpr_count 6
		.amdhsa_user_sgpr_private_segment_buffer 1
		.amdhsa_user_sgpr_dispatch_ptr 0
		.amdhsa_user_sgpr_queue_ptr 0
		.amdhsa_user_sgpr_kernarg_segment_ptr 1
		.amdhsa_user_sgpr_dispatch_id 0
		.amdhsa_user_sgpr_flat_scratch_init 0
		.amdhsa_user_sgpr_private_segment_size 0
		.amdhsa_wavefront_size32 1
		.amdhsa_uses_dynamic_stack 0
		.amdhsa_system_sgpr_private_segment_wavefront_offset 1
		.amdhsa_system_sgpr_workgroup_id_x 1
		.amdhsa_system_sgpr_workgroup_id_y 0
		.amdhsa_system_sgpr_workgroup_id_z 1
		.amdhsa_system_sgpr_workgroup_info 0
		.amdhsa_system_vgpr_workitem_id 0
		.amdhsa_next_free_vgpr 87
		.amdhsa_next_free_sgpr 60
		.amdhsa_reserve_vcc 1
		.amdhsa_reserve_flat_scratch 0
		.amdhsa_float_round_mode_32 0
		.amdhsa_float_round_mode_16_64 0
		.amdhsa_float_denorm_mode_32 3
		.amdhsa_float_denorm_mode_16_64 3
		.amdhsa_dx10_clamp 1
		.amdhsa_ieee_mode 1
		.amdhsa_fp16_overflow 0
		.amdhsa_workgroup_processor_mode 1
		.amdhsa_memory_ordered 1
		.amdhsa_forward_progress 1
		.amdhsa_shared_vgpr_count 0
		.amdhsa_exception_fp_ieee_invalid_op 0
		.amdhsa_exception_fp_denorm_src 0
		.amdhsa_exception_fp_ieee_div_zero 0
		.amdhsa_exception_fp_ieee_overflow 0
		.amdhsa_exception_fp_ieee_underflow 0
		.amdhsa_exception_fp_ieee_inexact 0
		.amdhsa_exception_int_div_zero 0
	.end_amdhsa_kernel
	.section	.text._ZL23rocblas_gemvt_sn_kernelILb0ELi256ELi4El19rocblas_complex_numIfES1_S1_EviiT4_lPKT3_lilS5_lilPT5_i,"axG",@progbits,_ZL23rocblas_gemvt_sn_kernelILb0ELi256ELi4El19rocblas_complex_numIfES1_S1_EviiT4_lPKT3_lilS5_lilPT5_i,comdat
.Lfunc_end122:
	.size	_ZL23rocblas_gemvt_sn_kernelILb0ELi256ELi4El19rocblas_complex_numIfES1_S1_EviiT4_lPKT3_lilS5_lilPT5_i, .Lfunc_end122-_ZL23rocblas_gemvt_sn_kernelILb0ELi256ELi4El19rocblas_complex_numIfES1_S1_EviiT4_lPKT3_lilS5_lilPT5_i
                                        ; -- End function
	.set _ZL23rocblas_gemvt_sn_kernelILb0ELi256ELi4El19rocblas_complex_numIfES1_S1_EviiT4_lPKT3_lilS5_lilPT5_i.num_vgpr, 87
	.set _ZL23rocblas_gemvt_sn_kernelILb0ELi256ELi4El19rocblas_complex_numIfES1_S1_EviiT4_lPKT3_lilS5_lilPT5_i.num_agpr, 0
	.set _ZL23rocblas_gemvt_sn_kernelILb0ELi256ELi4El19rocblas_complex_numIfES1_S1_EviiT4_lPKT3_lilS5_lilPT5_i.numbered_sgpr, 60
	.set _ZL23rocblas_gemvt_sn_kernelILb0ELi256ELi4El19rocblas_complex_numIfES1_S1_EviiT4_lPKT3_lilS5_lilPT5_i.num_named_barrier, 0
	.set _ZL23rocblas_gemvt_sn_kernelILb0ELi256ELi4El19rocblas_complex_numIfES1_S1_EviiT4_lPKT3_lilS5_lilPT5_i.private_seg_size, 48
	.set _ZL23rocblas_gemvt_sn_kernelILb0ELi256ELi4El19rocblas_complex_numIfES1_S1_EviiT4_lPKT3_lilS5_lilPT5_i.uses_vcc, 1
	.set _ZL23rocblas_gemvt_sn_kernelILb0ELi256ELi4El19rocblas_complex_numIfES1_S1_EviiT4_lPKT3_lilS5_lilPT5_i.uses_flat_scratch, 0
	.set _ZL23rocblas_gemvt_sn_kernelILb0ELi256ELi4El19rocblas_complex_numIfES1_S1_EviiT4_lPKT3_lilS5_lilPT5_i.has_dyn_sized_stack, 0
	.set _ZL23rocblas_gemvt_sn_kernelILb0ELi256ELi4El19rocblas_complex_numIfES1_S1_EviiT4_lPKT3_lilS5_lilPT5_i.has_recursion, 0
	.set _ZL23rocblas_gemvt_sn_kernelILb0ELi256ELi4El19rocblas_complex_numIfES1_S1_EviiT4_lPKT3_lilS5_lilPT5_i.has_indirect_call, 0
	.section	.AMDGPU.csdata,"",@progbits
; Kernel info:
; codeLenInByte = 5560
; TotalNumSgprs: 62
; NumVgprs: 87
; ScratchSize: 48
; MemoryBound: 0
; FloatMode: 240
; IeeeMode: 1
; LDSByteSize: 256 bytes/workgroup (compile time only)
; SGPRBlocks: 0
; VGPRBlocks: 10
; NumSGPRsForWavesPerEU: 62
; NumVGPRsForWavesPerEU: 87
; Occupancy: 10
; WaveLimiterHint : 1
; COMPUTE_PGM_RSRC2:SCRATCH_EN: 1
; COMPUTE_PGM_RSRC2:USER_SGPR: 6
; COMPUTE_PGM_RSRC2:TRAP_HANDLER: 0
; COMPUTE_PGM_RSRC2:TGID_X_EN: 1
; COMPUTE_PGM_RSRC2:TGID_Y_EN: 0
; COMPUTE_PGM_RSRC2:TGID_Z_EN: 1
; COMPUTE_PGM_RSRC2:TIDIG_COMP_CNT: 0
	.section	.text._ZL23rocblas_gemvt_sn_reduceILi256ELi8E19rocblas_complex_numIfES1_S1_EviT2_lPT3_lilPT1_i,"axG",@progbits,_ZL23rocblas_gemvt_sn_reduceILi256ELi8E19rocblas_complex_numIfES1_S1_EviT2_lPT3_lilPT1_i,comdat
	.globl	_ZL23rocblas_gemvt_sn_reduceILi256ELi8E19rocblas_complex_numIfES1_S1_EviT2_lPT3_lilPT1_i ; -- Begin function _ZL23rocblas_gemvt_sn_reduceILi256ELi8E19rocblas_complex_numIfES1_S1_EviT2_lPT3_lilPT1_i
	.p2align	8
	.type	_ZL23rocblas_gemvt_sn_reduceILi256ELi8E19rocblas_complex_numIfES1_S1_EviT2_lPT3_lilPT1_i,@function
_ZL23rocblas_gemvt_sn_reduceILi256ELi8E19rocblas_complex_numIfES1_S1_EviT2_lPT3_lilPT1_i: ; @_ZL23rocblas_gemvt_sn_reduceILi256ELi8E19rocblas_complex_numIfES1_S1_EviT2_lPT3_lilPT1_i
; %bb.0:
	s_clause 0x2
	s_load_dwordx4 s[12:15], s[4:5], 0x0
	s_load_dword s0, s[4:5], 0x4c
	s_load_dwordx2 s[2:3], s[4:5], 0x38
	v_mov_b32_e32 v3, 0
	v_lshlrev_b32_e32 v5, 3, v0
	v_mov_b32_e32 v4, 0
	s_waitcnt lgkmcnt(0)
	s_ashr_i32 s6, s12, 31
	s_mul_i32 s9, s0, s8
	s_add_u32 s0, s4, 0x48
	s_addc_u32 s1, s5, 0
	s_lshr_b32 s10, s6, 29
	s_add_i32 s9, s9, s7
	s_add_i32 s10, s12, s10
	s_mul_i32 s11, s9, s6
	s_and_b32 s6, s10, -8
	s_mul_hi_u32 s10, s9, s12
	s_add_i32 s11, s10, s11
	s_mul_i32 s10, s9, s12
	s_mov_b32 s9, exec_lo
	v_cmpx_gt_i32_e64 s6, v5
	s_cbranch_execz .LBB123_4
; %bb.1:
	s_load_dword s0, s[0:1], 0xc
	v_lshlrev_b32_e32 v1, 6, v0
	s_lshl_b64 s[16:17], s[10:11], 3
	v_mov_b32_e32 v3, 0
	v_mov_b32_e32 v4, 0
	s_waitcnt lgkmcnt(0)
	s_and_b32 s0, s0, 0xffff
	s_lshl_b32 s1, s0, 3
	s_add_u32 s15, s2, s16
	s_addc_u32 s16, s3, s17
	v_add_co_u32 v1, s15, s15, v1
	v_add_co_ci_u32_e64 v2, null, s16, 0, s15
	s_mov_b32 s15, 0
	v_add_co_u32 v1, vcc_lo, v1, 60
	v_add_co_ci_u32_e64 v2, null, 0, v2, vcc_lo
	s_lshl_b32 s16, s0, 6
	s_inst_prefetch 0x1
	.p2align	6
.LBB123_2:                              ; =>This Inner Loop Header: Depth=1
	s_clause 0x3
	global_load_dwordx4 v[6:9], v[1:2], off offset:-60
	global_load_dwordx4 v[10:13], v[1:2], off offset:-44
	;; [unrolled: 1-line block ×4, first 2 shown]
	v_add_nc_u32_e32 v5, s1, v5
	v_add_co_u32 v1, vcc_lo, v1, s16
	v_add_co_ci_u32_e64 v2, null, 0, v2, vcc_lo
	v_cmp_le_i32_e64 s0, s6, v5
	s_or_b32 s15, s0, s15
	s_waitcnt vmcnt(3)
	v_add_f32_e32 v4, v4, v6
	v_add_f32_e32 v3, v3, v7
	v_add_f32_e32 v4, v4, v8
	v_add_f32_e32 v3, v3, v9
	s_waitcnt vmcnt(2)
	v_add_f32_e32 v4, v4, v10
	v_add_f32_e32 v3, v3, v11
	v_add_f32_e32 v4, v4, v12
	v_add_f32_e32 v3, v3, v13
	;; [unrolled: 5-line block ×4, first 2 shown]
	s_andn2_b32 exec_lo, exec_lo, s15
	s_cbranch_execnz .LBB123_2
; %bb.3:
	s_inst_prefetch 0x2
	s_or_b32 exec_lo, exec_lo, s15
.LBB123_4:
	s_or_b32 exec_lo, exec_lo, s9
	s_sub_i32 s0, s12, s6
	v_cmp_gt_u32_e32 vcc_lo, s0, v0
	s_and_saveexec_b32 s0, vcc_lo
	s_cbranch_execz .LBB123_6
; %bb.5:
	v_xad_u32 v1, v0, -1, s12
	v_mov_b32_e32 v2, 0
	s_lshl_b64 s[10:11], s[10:11], 3
	s_add_u32 s1, s2, s10
	s_addc_u32 s2, s3, s11
	v_lshlrev_b64 v[1:2], 3, v[1:2]
	v_add_co_u32 v1, vcc_lo, s1, v1
	v_add_co_ci_u32_e64 v2, null, s2, v2, vcc_lo
	global_load_dwordx2 v[1:2], v[1:2], off
	s_waitcnt vmcnt(0)
	v_add_f32_e32 v4, v4, v1
	v_add_f32_e32 v3, v3, v2
.LBB123_6:
	s_or_b32 exec_lo, exec_lo, s0
	v_and_b32_e32 v1, 31, v0
	v_cmp_gt_u32_e32 vcc_lo, 32, v0
	v_lshlrev_b32_e32 v5, 3, v1
	s_and_saveexec_b32 s0, vcc_lo
; %bb.7:
	v_mov_b32_e32 v6, 0
	v_mov_b32_e32 v7, v6
	ds_write_b64 v5, v[6:7]
; %bb.8:
	s_or_b32 exec_lo, exec_lo, s0
	v_mbcnt_lo_u32_b32 v2, -1, 0
	s_mov_b32 s1, exec_lo
	s_waitcnt lgkmcnt(0)
	s_barrier
	buffer_gl0_inv
	v_lshl_or_b32 v6, v2, 2, 64
	v_cmp_gt_u32_e64 s0, 24, v2
	ds_bpermute_b32 v7, v6, v4
	ds_bpermute_b32 v6, v6, v3
	v_cndmask_b32_e64 v8, 0, 8, s0
	v_cmp_gt_u32_e64 s0, 28, v2
	v_add_lshl_u32 v8, v8, v2, 2
	s_waitcnt lgkmcnt(1)
	v_add_f32_e32 v4, v4, v7
	s_waitcnt lgkmcnt(0)
	v_add_f32_e32 v6, v3, v6
	v_cndmask_b32_e64 v3, 0, 4, s0
	v_cmp_gt_u32_e64 s0, 30, v2
	ds_bpermute_b32 v7, v8, v4
	ds_bpermute_b32 v8, v8, v6
	v_add_lshl_u32 v3, v3, v2, 2
	s_waitcnt lgkmcnt(1)
	v_add_f32_e32 v7, v4, v7
	s_waitcnt lgkmcnt(0)
	v_add_f32_e32 v6, v6, v8
	v_cndmask_b32_e64 v4, 0, 2, s0
	v_cmp_ne_u32_e64 s0, 31, v2
	ds_bpermute_b32 v8, v3, v7
	ds_bpermute_b32 v9, v3, v6
	v_add_lshl_u32 v4, v4, v2, 2
	v_add_co_ci_u32_e64 v2, null, 0, v2, s0
	s_waitcnt lgkmcnt(1)
	v_add_f32_e32 v7, v7, v8
	s_waitcnt lgkmcnt(0)
	v_add_f32_e32 v8, v6, v9
	v_lshlrev_b32_e32 v6, 2, v2
	ds_bpermute_b32 v9, v4, v7
	ds_bpermute_b32 v10, v4, v8
	s_waitcnt lgkmcnt(1)
	v_add_f32_e32 v2, v7, v9
	s_waitcnt lgkmcnt(0)
	v_add_f32_e32 v8, v8, v10
	ds_bpermute_b32 v7, v6, v2
	ds_bpermute_b32 v9, v6, v8
	v_cmpx_eq_u32_e32 0, v1
	s_cbranch_execz .LBB123_10
; %bb.9:
	v_lshrrev_b32_e32 v1, 2, v0
	s_waitcnt lgkmcnt(0)
	v_add_f32_e32 v8, v8, v9
	v_add_f32_e32 v7, v2, v7
	v_and_b32_e32 v1, 56, v1
	ds_write_b64 v1, v[7:8]
.LBB123_10:
	s_or_b32 exec_lo, exec_lo, s1
	v_mov_b32_e32 v2, 0
	v_mov_b32_e32 v1, 0
	s_mov_b32 s1, exec_lo
	s_waitcnt lgkmcnt(0)
	s_barrier
	buffer_gl0_inv
	v_cmpx_gt_u32_e32 8, v0
; %bb.11:
	ds_read_b64 v[1:2], v5
; %bb.12:
	s_or_b32 exec_lo, exec_lo, s1
	s_and_saveexec_b32 s0, vcc_lo
	s_cbranch_execz .LBB123_14
; %bb.13:
	s_waitcnt lgkmcnt(0)
	ds_bpermute_b32 v5, v3, v1
	ds_bpermute_b32 v3, v3, v2
	s_waitcnt lgkmcnt(1)
	v_add_f32_e32 v1, v1, v5
	s_waitcnt lgkmcnt(0)
	v_add_f32_e32 v2, v2, v3
	ds_bpermute_b32 v3, v4, v1
	ds_bpermute_b32 v4, v4, v2
	s_waitcnt lgkmcnt(1)
	v_add_f32_e32 v1, v1, v3
	s_waitcnt lgkmcnt(0)
	v_add_f32_e32 v2, v2, v4
	;; [unrolled: 6-line block ×3, first 2 shown]
.LBB123_14:
	s_or_b32 exec_lo, exec_lo, s0
	s_mov_b32 s0, exec_lo
	v_cmpx_eq_u32_e32 0, v0
	s_cbranch_execz .LBB123_18
; %bb.15:
	s_clause 0x2
	s_load_dwordx2 s[10:11], s[4:5], 0x30
	s_load_dword s6, s[4:5], 0x28
	s_load_dwordx4 s[0:3], s[4:5], 0x18
	v_cmp_neq_f32_e64 s9, s13, 0
	s_waitcnt lgkmcnt(0)
	s_mul_i32 s5, s11, s8
	s_mul_hi_u32 s11, s10, s8
	s_mul_i32 s4, s10, s8
	s_add_i32 s5, s11, s5
	v_cmp_neq_f32_e64 s8, s14, 0
	s_lshl_b64 s[4:5], s[4:5], 3
	s_ashr_i32 s10, s6, 31
	s_add_u32 s4, s0, s4
	s_addc_u32 s5, s1, s5
	s_lshl_b64 s[0:1], s[2:3], 3
	s_mul_i32 s10, s10, s7
	s_add_u32 s2, s4, s0
	s_addc_u32 s3, s5, s1
	s_or_b32 s0, s9, s8
	s_mul_hi_u32 s1, s6, s7
	s_andn2_b32 vcc_lo, exec_lo, s0
	s_add_i32 s1, s1, s10
	s_mul_i32 s0, s6, s7
	s_cbranch_vccnz .LBB123_17
; %bb.16:
	s_lshl_b64 s[4:5], s[0:1], 3
	s_add_u32 s4, s2, s4
	s_addc_u32 s5, s3, s5
	s_load_dwordx2 s[4:5], s[4:5], 0x0
	s_waitcnt lgkmcnt(0)
	v_mul_f32_e64 v0, s14, s5
	v_mul_f32_e64 v3, s13, s5
	v_fma_f32 v0, s13, s4, -v0
	v_fmac_f32_e64 v3, s14, s4
	v_add_f32_e32 v1, v1, v0
	v_add_f32_e32 v2, v2, v3
.LBB123_17:
	s_lshl_b64 s[0:1], s[0:1], 3
	v_mov_b32_e32 v0, 0
	s_add_u32 s0, s2, s0
	s_addc_u32 s1, s3, s1
	global_store_dwordx2 v0, v[1:2], s[0:1]
.LBB123_18:
	s_endpgm
	.section	.rodata,"a",@progbits
	.p2align	6, 0x0
	.amdhsa_kernel _ZL23rocblas_gemvt_sn_reduceILi256ELi8E19rocblas_complex_numIfES1_S1_EviT2_lPT3_lilPT1_i
		.amdhsa_group_segment_fixed_size 256
		.amdhsa_private_segment_fixed_size 0
		.amdhsa_kernarg_size 328
		.amdhsa_user_sgpr_count 6
		.amdhsa_user_sgpr_private_segment_buffer 1
		.amdhsa_user_sgpr_dispatch_ptr 0
		.amdhsa_user_sgpr_queue_ptr 0
		.amdhsa_user_sgpr_kernarg_segment_ptr 1
		.amdhsa_user_sgpr_dispatch_id 0
		.amdhsa_user_sgpr_flat_scratch_init 0
		.amdhsa_user_sgpr_private_segment_size 0
		.amdhsa_wavefront_size32 1
		.amdhsa_uses_dynamic_stack 0
		.amdhsa_system_sgpr_private_segment_wavefront_offset 0
		.amdhsa_system_sgpr_workgroup_id_x 1
		.amdhsa_system_sgpr_workgroup_id_y 1
		.amdhsa_system_sgpr_workgroup_id_z 1
		.amdhsa_system_sgpr_workgroup_info 0
		.amdhsa_system_vgpr_workitem_id 0
		.amdhsa_next_free_vgpr 22
		.amdhsa_next_free_sgpr 18
		.amdhsa_reserve_vcc 1
		.amdhsa_reserve_flat_scratch 0
		.amdhsa_float_round_mode_32 0
		.amdhsa_float_round_mode_16_64 0
		.amdhsa_float_denorm_mode_32 3
		.amdhsa_float_denorm_mode_16_64 3
		.amdhsa_dx10_clamp 1
		.amdhsa_ieee_mode 1
		.amdhsa_fp16_overflow 0
		.amdhsa_workgroup_processor_mode 1
		.amdhsa_memory_ordered 1
		.amdhsa_forward_progress 1
		.amdhsa_shared_vgpr_count 0
		.amdhsa_exception_fp_ieee_invalid_op 0
		.amdhsa_exception_fp_denorm_src 0
		.amdhsa_exception_fp_ieee_div_zero 0
		.amdhsa_exception_fp_ieee_overflow 0
		.amdhsa_exception_fp_ieee_underflow 0
		.amdhsa_exception_fp_ieee_inexact 0
		.amdhsa_exception_int_div_zero 0
	.end_amdhsa_kernel
	.section	.text._ZL23rocblas_gemvt_sn_reduceILi256ELi8E19rocblas_complex_numIfES1_S1_EviT2_lPT3_lilPT1_i,"axG",@progbits,_ZL23rocblas_gemvt_sn_reduceILi256ELi8E19rocblas_complex_numIfES1_S1_EviT2_lPT3_lilPT1_i,comdat
.Lfunc_end123:
	.size	_ZL23rocblas_gemvt_sn_reduceILi256ELi8E19rocblas_complex_numIfES1_S1_EviT2_lPT3_lilPT1_i, .Lfunc_end123-_ZL23rocblas_gemvt_sn_reduceILi256ELi8E19rocblas_complex_numIfES1_S1_EviT2_lPT3_lilPT1_i
                                        ; -- End function
	.set _ZL23rocblas_gemvt_sn_reduceILi256ELi8E19rocblas_complex_numIfES1_S1_EviT2_lPT3_lilPT1_i.num_vgpr, 22
	.set _ZL23rocblas_gemvt_sn_reduceILi256ELi8E19rocblas_complex_numIfES1_S1_EviT2_lPT3_lilPT1_i.num_agpr, 0
	.set _ZL23rocblas_gemvt_sn_reduceILi256ELi8E19rocblas_complex_numIfES1_S1_EviT2_lPT3_lilPT1_i.numbered_sgpr, 18
	.set _ZL23rocblas_gemvt_sn_reduceILi256ELi8E19rocblas_complex_numIfES1_S1_EviT2_lPT3_lilPT1_i.num_named_barrier, 0
	.set _ZL23rocblas_gemvt_sn_reduceILi256ELi8E19rocblas_complex_numIfES1_S1_EviT2_lPT3_lilPT1_i.private_seg_size, 0
	.set _ZL23rocblas_gemvt_sn_reduceILi256ELi8E19rocblas_complex_numIfES1_S1_EviT2_lPT3_lilPT1_i.uses_vcc, 1
	.set _ZL23rocblas_gemvt_sn_reduceILi256ELi8E19rocblas_complex_numIfES1_S1_EviT2_lPT3_lilPT1_i.uses_flat_scratch, 0
	.set _ZL23rocblas_gemvt_sn_reduceILi256ELi8E19rocblas_complex_numIfES1_S1_EviT2_lPT3_lilPT1_i.has_dyn_sized_stack, 0
	.set _ZL23rocblas_gemvt_sn_reduceILi256ELi8E19rocblas_complex_numIfES1_S1_EviT2_lPT3_lilPT1_i.has_recursion, 0
	.set _ZL23rocblas_gemvt_sn_reduceILi256ELi8E19rocblas_complex_numIfES1_S1_EviT2_lPT3_lilPT1_i.has_indirect_call, 0
	.section	.AMDGPU.csdata,"",@progbits
; Kernel info:
; codeLenInByte = 1240
; TotalNumSgprs: 20
; NumVgprs: 22
; ScratchSize: 0
; MemoryBound: 0
; FloatMode: 240
; IeeeMode: 1
; LDSByteSize: 256 bytes/workgroup (compile time only)
; SGPRBlocks: 0
; VGPRBlocks: 2
; NumSGPRsForWavesPerEU: 20
; NumVGPRsForWavesPerEU: 22
; Occupancy: 16
; WaveLimiterHint : 0
; COMPUTE_PGM_RSRC2:SCRATCH_EN: 0
; COMPUTE_PGM_RSRC2:USER_SGPR: 6
; COMPUTE_PGM_RSRC2:TRAP_HANDLER: 0
; COMPUTE_PGM_RSRC2:TGID_X_EN: 1
; COMPUTE_PGM_RSRC2:TGID_Y_EN: 1
; COMPUTE_PGM_RSRC2:TGID_Z_EN: 1
; COMPUTE_PGM_RSRC2:TIDIG_COMP_CNT: 0
	.section	.text._ZL32rocblas_gemvt_warp_reduce_kernelILb0ELi256Ei19rocblas_complex_numIfEPKS1_S1_EviiT3_lPKT2_lT1_lS7_lS8_lS4_lPT4_lS8_li,"axG",@progbits,_ZL32rocblas_gemvt_warp_reduce_kernelILb0ELi256Ei19rocblas_complex_numIfEPKS1_S1_EviiT3_lPKT2_lT1_lS7_lS8_lS4_lPT4_lS8_li,comdat
	.globl	_ZL32rocblas_gemvt_warp_reduce_kernelILb0ELi256Ei19rocblas_complex_numIfEPKS1_S1_EviiT3_lPKT2_lT1_lS7_lS8_lS4_lPT4_lS8_li ; -- Begin function _ZL32rocblas_gemvt_warp_reduce_kernelILb0ELi256Ei19rocblas_complex_numIfEPKS1_S1_EviiT3_lPKT2_lT1_lS7_lS8_lS4_lPT4_lS8_li
	.p2align	8
	.type	_ZL32rocblas_gemvt_warp_reduce_kernelILb0ELi256Ei19rocblas_complex_numIfEPKS1_S1_EviiT3_lPKT2_lT1_lS7_lS8_lS4_lPT4_lS8_li,@function
_ZL32rocblas_gemvt_warp_reduce_kernelILb0ELi256Ei19rocblas_complex_numIfEPKS1_S1_EviiT3_lPKT2_lT1_lS7_lS8_lS4_lPT4_lS8_li: ; @_ZL32rocblas_gemvt_warp_reduce_kernelILb0ELi256Ei19rocblas_complex_numIfEPKS1_S1_EviiT3_lPKT2_lT1_lS7_lS8_lS4_lPT4_lS8_li
; %bb.0:
	s_clause 0x1
	s_load_dwordx8 s[8:15], s[4:5], 0x8
	s_load_dwordx8 s[16:23], s[4:5], 0x50
	s_waitcnt lgkmcnt(0)
	s_mul_i32 s1, s11, s7
	s_mul_hi_u32 s2, s10, s7
	s_mul_i32 s0, s10, s7
	s_add_i32 s1, s2, s1
	s_mul_hi_u32 s2, s20, s7
	s_lshl_b64 s[0:1], s[0:1], 3
	s_add_u32 s0, s8, s0
	s_addc_u32 s1, s9, s1
	s_load_dwordx2 s[8:9], s[0:1], 0x0
	s_mul_i32 s1, s21, s7
	s_mul_i32 s0, s20, s7
	s_add_i32 s1, s2, s1
	s_lshl_b64 s[0:1], s[0:1], 3
	s_add_u32 s0, s18, s0
	s_addc_u32 s1, s19, s1
	s_load_dwordx2 s[2:3], s[0:1], 0x0
	s_waitcnt lgkmcnt(0)
	v_cmp_neq_f32_e64 s0, s8, 0
	v_cmp_neq_f32_e64 s1, s9, 0
	s_or_b32 s0, s0, s1
	s_and_b32 vcc_lo, exec_lo, s0
	s_mov_b32 s0, -1
	s_cbranch_vccnz .LBB124_2
; %bb.1:
	v_cmp_neq_f32_e64 s0, s2, 1.0
	v_cmp_neq_f32_e64 s1, s3, 0
	s_or_b32 s0, s0, s1
.LBB124_2:
	s_andn2_b32 vcc_lo, exec_lo, s0
	s_cbranch_vccnz .LBB124_28
; %bb.3:
	s_clause 0x2
	s_load_dwordx2 s[0:1], s[4:5], 0x80
	s_load_dwordx2 s[10:11], s[4:5], 0x70
	s_load_dword s18, s[4:5], 0x78
	v_cmp_eq_u32_e32 vcc_lo, 0, v0
	s_waitcnt lgkmcnt(0)
	s_mul_i32 s1, s1, s7
	s_mul_hi_u32 s19, s0, s7
	s_mul_i32 s0, s0, s7
	s_add_i32 s1, s19, s1
	s_lshl_b64 s[0:1], s[0:1], 3
	s_add_u32 s19, s22, s0
	s_addc_u32 s20, s23, s1
	s_lshl_b64 s[0:1], s[10:11], 3
	s_add_u32 s10, s19, s0
	s_addc_u32 s11, s20, s1
	s_or_b32 s0, s8, s9
	s_bitset0_b32 s0, 31
	s_cmp_lg_u32 s0, 0
	s_mov_b32 s0, -1
	s_cbranch_scc1 .LBB124_9
; %bb.4:
	s_and_saveexec_b32 s19, vcc_lo
	s_cbranch_execz .LBB124_8
; %bb.5:
	v_cmp_neq_f32_e64 s0, s2, 0
	v_cmp_neq_f32_e64 s1, s3, 0
	v_mov_b32_e32 v2, 0
	v_mov_b32_e32 v3, 0
	;; [unrolled: 1-line block ×3, first 2 shown]
	s_or_b32 s1, s0, s1
	s_mul_i32 s0, s18, s6
	s_andn2_b32 vcc_lo, exec_lo, s1
	s_ashr_i32 s1, s0, 31
	s_cbranch_vccnz .LBB124_7
; %bb.6:
	s_lshl_b64 s[20:21], s[0:1], 3
	s_add_u32 s20, s10, s20
	s_addc_u32 s21, s11, s21
	s_load_dwordx2 s[20:21], s[20:21], 0x0
	s_waitcnt lgkmcnt(0)
	v_mul_f32_e64 v1, s3, s21
	v_mul_f32_e64 v2, s2, s21
	v_fma_f32 v1, s2, s20, -v1
	v_fmac_f32_e64 v2, s3, s20
.LBB124_7:
	s_lshl_b64 s[0:1], s[0:1], 3
	s_add_u32 s0, s10, s0
	s_addc_u32 s1, s11, s1
	global_store_dwordx2 v3, v[1:2], s[0:1]
.LBB124_8:
	s_or_b32 exec_lo, exec_lo, s19
	s_mov_b32 s0, 0
.LBB124_9:
	s_andn2_b32 vcc_lo, exec_lo, s0
	s_cbranch_vccnz .LBB124_28
; %bb.10:
	s_clause 0x3
	s_load_dwordx4 s[20:23], s[4:5], 0x30
	s_load_dwordx2 s[24:25], s[4:5], 0x40
	s_load_dword s1, s[4:5], 0x0
	s_load_dword s0, s[4:5], 0x28
	s_mul_i32 s17, s17, s7
	s_mul_hi_u32 s19, s16, s7
	s_mul_i32 s16, s16, s7
	s_add_i32 s17, s19, s17
	s_load_dword s4, s[4:5], 0x48
	s_lshl_b64 s[16:17], s[16:17], 3
	v_mov_b32_e32 v7, 0
	v_mov_b32_e32 v8, 0
	s_waitcnt lgkmcnt(0)
	s_add_u32 s5, s22, s16
	s_addc_u32 s22, s23, s17
	v_cmp_gt_i32_e32 vcc_lo, s1, v0
	s_lshl_b64 s[16:17], s[24:25], 3
	s_mul_i32 s19, s21, s7
	s_mul_hi_u32 s21, s20, s7
	s_add_u32 s5, s5, s16
	v_cndmask_b32_e32 v1, 0, v0, vcc_lo
	s_mul_i32 s20, s20, s7
	s_addc_u32 s7, s22, s17
	s_add_i32 s21, s21, s19
	s_lshl_b64 s[16:17], s[20:21], 3
	s_mul_i32 s20, s0, s6
	s_add_u32 s0, s12, s16
	v_lshlrev_b32_e32 v1, 3, v1
	s_addc_u32 s16, s13, s17
	s_lshl_b64 s[12:13], s[14:15], 3
	s_add_u32 s0, s0, s12
	s_addc_u32 s12, s16, s13
	v_add_co_u32 v1, s0, s0, v1
	s_ashr_i32 s13, s1, 31
	s_ashr_i32 s21, s20, 31
	v_add_co_ci_u32_e64 v2, null, s12, 0, s0
	s_lshr_b32 s0, s13, 24
	s_lshl_b64 s[12:13], s[20:21], 3
	s_add_i32 s0, s1, s0
	v_add_co_u32 v1, vcc_lo, v1, s12
	v_add_co_ci_u32_e64 v2, null, s13, v2, vcc_lo
	s_and_b32 s0, s0, 0xffffff00
	s_mov_b32 s13, 0
	s_mov_b32 s12, exec_lo
	v_cmpx_gt_i32_e64 s0, v0
	s_cbranch_execz .LBB124_14
; %bb.11:
	v_mul_lo_u32 v3, v0, s4
	v_mov_b32_e32 v6, v2
	v_mov_b32_e32 v7, 0
	;; [unrolled: 1-line block ×5, first 2 shown]
	s_lshl_b32 s14, s4, 8
	.p2align	6
.LBB124_12:                             ; =>This Inner Loop Header: Depth=1
	v_ashrrev_i32_e32 v4, 31, v3
	v_add_nc_u32_e32 v9, 0x100, v9
	v_lshlrev_b64 v[10:11], 3, v[3:4]
	v_add_nc_u32_e32 v3, s14, v3
	v_add_co_u32 v10, vcc_lo, s5, v10
	v_add_co_ci_u32_e64 v11, null, s7, v11, vcc_lo
	global_load_dwordx2 v[12:13], v[5:6], off
	global_load_dwordx2 v[10:11], v[10:11], off
	v_add_co_u32 v5, vcc_lo, 0x800, v5
	v_add_co_ci_u32_e64 v6, null, 0, v6, vcc_lo
	v_cmp_le_i32_e32 vcc_lo, s0, v9
	s_or_b32 s13, vcc_lo, s13
	s_waitcnt vmcnt(0)
	v_mul_f32_e32 v4, v11, v13
	v_mul_f32_e32 v13, v10, v13
	v_fma_f32 v4, v10, v12, -v4
	v_fmac_f32_e32 v13, v11, v12
	v_add_f32_e32 v8, v8, v4
	v_add_f32_e32 v7, v7, v13
	s_andn2_b32 exec_lo, exec_lo, s13
	s_cbranch_execnz .LBB124_12
; %bb.13:
	s_or_b32 exec_lo, exec_lo, s13
.LBB124_14:
	s_or_b32 exec_lo, exec_lo, s12
	v_add_nc_u32_e32 v3, s0, v0
	s_mov_b32 s12, exec_lo
	v_cmpx_gt_i32_e64 s1, v3
	s_cbranch_execz .LBB124_16
; %bb.15:
	v_mul_lo_u32 v3, s4, v3
	s_ashr_i32 s1, s0, 31
	s_lshl_b64 s[0:1], s[0:1], 3
	v_add_co_u32 v1, vcc_lo, v1, s0
	v_add_co_ci_u32_e64 v2, null, s1, v2, vcc_lo
	v_ashrrev_i32_e32 v4, 31, v3
	v_lshlrev_b64 v[3:4], 3, v[3:4]
	v_add_co_u32 v3, vcc_lo, s5, v3
	v_add_co_ci_u32_e64 v4, null, s7, v4, vcc_lo
	global_load_dwordx2 v[1:2], v[1:2], off
	global_load_dwordx2 v[3:4], v[3:4], off
	s_waitcnt vmcnt(0)
	v_mul_f32_e32 v5, v4, v2
	v_mul_f32_e32 v2, v3, v2
	v_fma_f32 v3, v3, v1, -v5
	v_fmac_f32_e32 v2, v4, v1
	v_add_f32_e32 v8, v8, v3
	v_add_f32_e32 v7, v7, v2
.LBB124_16:
	s_or_b32 exec_lo, exec_lo, s12
	v_and_b32_e32 v1, 31, v0
	v_cmp_gt_u32_e32 vcc_lo, 32, v0
	v_lshlrev_b32_e32 v3, 3, v1
	s_and_saveexec_b32 s0, vcc_lo
; %bb.17:
	v_mov_b32_e32 v4, 0
	v_mov_b32_e32 v5, v4
	ds_write_b64 v3, v[4:5]
; %bb.18:
	s_or_b32 exec_lo, exec_lo, s0
	v_mbcnt_lo_u32_b32 v2, -1, 0
	s_mov_b32 s1, exec_lo
	s_waitcnt lgkmcnt(0)
	s_waitcnt_vscnt null, 0x0
	s_barrier
	buffer_gl0_inv
	v_lshl_or_b32 v4, v2, 2, 64
	v_cmp_gt_u32_e64 s0, 24, v2
	ds_bpermute_b32 v5, v4, v8
	ds_bpermute_b32 v4, v4, v7
	v_cndmask_b32_e64 v6, 0, 8, s0
	v_cmp_gt_u32_e64 s0, 28, v2
	v_add_lshl_u32 v6, v6, v2, 2
	s_waitcnt lgkmcnt(1)
	v_add_f32_e32 v5, v8, v5
	s_waitcnt lgkmcnt(0)
	v_add_f32_e32 v7, v7, v4
	v_cndmask_b32_e64 v4, 0, 4, s0
	v_cmp_gt_u32_e64 s0, 30, v2
	ds_bpermute_b32 v8, v6, v5
	ds_bpermute_b32 v6, v6, v7
	v_add_lshl_u32 v4, v4, v2, 2
	s_waitcnt lgkmcnt(1)
	v_add_f32_e32 v8, v5, v8
	s_waitcnt lgkmcnt(0)
	v_add_f32_e32 v6, v7, v6
	v_cndmask_b32_e64 v5, 0, 2, s0
	v_cmp_ne_u32_e64 s0, 31, v2
	ds_bpermute_b32 v7, v4, v8
	ds_bpermute_b32 v9, v4, v6
	v_add_lshl_u32 v5, v5, v2, 2
	v_add_co_ci_u32_e64 v2, null, 0, v2, s0
	s_waitcnt lgkmcnt(1)
	v_add_f32_e32 v7, v8, v7
	s_waitcnt lgkmcnt(0)
	v_add_f32_e32 v8, v6, v9
	v_lshlrev_b32_e32 v6, 2, v2
	ds_bpermute_b32 v9, v5, v7
	ds_bpermute_b32 v10, v5, v8
	s_waitcnt lgkmcnt(1)
	v_add_f32_e32 v2, v7, v9
	s_waitcnt lgkmcnt(0)
	v_add_f32_e32 v8, v8, v10
	ds_bpermute_b32 v7, v6, v2
	ds_bpermute_b32 v9, v6, v8
	v_cmpx_eq_u32_e32 0, v1
	s_cbranch_execz .LBB124_20
; %bb.19:
	v_lshrrev_b32_e32 v1, 2, v0
	s_waitcnt lgkmcnt(0)
	v_add_f32_e32 v8, v8, v9
	v_add_f32_e32 v7, v2, v7
	v_and_b32_e32 v1, 56, v1
	ds_write_b64 v1, v[7:8]
.LBB124_20:
	s_or_b32 exec_lo, exec_lo, s1
	v_mov_b32_e32 v2, 0
	v_mov_b32_e32 v1, 0
	s_mov_b32 s1, exec_lo
	s_waitcnt lgkmcnt(0)
	s_barrier
	buffer_gl0_inv
	v_cmpx_gt_u32_e32 8, v0
; %bb.21:
	ds_read_b64 v[1:2], v3
; %bb.22:
	s_or_b32 exec_lo, exec_lo, s1
	s_and_saveexec_b32 s0, vcc_lo
	s_cbranch_execz .LBB124_24
; %bb.23:
	s_waitcnt lgkmcnt(0)
	ds_bpermute_b32 v3, v4, v1
	ds_bpermute_b32 v4, v4, v2
	s_waitcnt lgkmcnt(1)
	v_add_f32_e32 v1, v1, v3
	s_waitcnt lgkmcnt(0)
	v_add_f32_e32 v2, v2, v4
	ds_bpermute_b32 v3, v5, v1
	ds_bpermute_b32 v4, v5, v2
	s_waitcnt lgkmcnt(1)
	v_add_f32_e32 v1, v1, v3
	s_waitcnt lgkmcnt(0)
	v_add_f32_e32 v2, v2, v4
	;; [unrolled: 6-line block ×3, first 2 shown]
.LBB124_24:
	s_or_b32 exec_lo, exec_lo, s0
	s_mov_b32 s0, exec_lo
	v_cmpx_eq_u32_e32 0, v0
	s_cbranch_execz .LBB124_28
; %bb.25:
	s_waitcnt lgkmcnt(0)
	v_mul_f32_e32 v0, s9, v2
	v_mul_f32_e32 v3, s8, v2
	v_cmp_neq_f32_e64 s0, s2, 0
	v_cmp_neq_f32_e64 s1, s3, 0
	v_fma_f32 v2, v1, s8, -v0
	v_fmac_f32_e32 v3, s9, v1
	s_or_b32 s1, s0, s1
	s_mul_i32 s0, s18, s6
	s_andn2_b32 vcc_lo, exec_lo, s1
	s_ashr_i32 s1, s0, 31
	s_cbranch_vccnz .LBB124_27
; %bb.26:
	s_lshl_b64 s[4:5], s[0:1], 3
	v_mov_b32_e32 v0, 0
	s_add_u32 s4, s10, s4
	s_addc_u32 s5, s11, s5
	global_load_dwordx2 v[0:1], v0, s[4:5]
	s_waitcnt vmcnt(0)
	v_mul_f32_e32 v4, s3, v1
	v_mul_f32_e32 v1, s2, v1
	v_fma_f32 v4, s2, v0, -v4
	v_fmac_f32_e32 v1, s3, v0
	v_add_f32_e32 v2, v2, v4
	v_add_f32_e32 v3, v3, v1
.LBB124_27:
	s_lshl_b64 s[0:1], s[0:1], 3
	v_mov_b32_e32 v0, 0
	s_add_u32 s0, s10, s0
	s_addc_u32 s1, s11, s1
	global_store_dwordx2 v0, v[2:3], s[0:1]
.LBB124_28:
	s_endpgm
	.section	.rodata,"a",@progbits
	.p2align	6, 0x0
	.amdhsa_kernel _ZL32rocblas_gemvt_warp_reduce_kernelILb0ELi256Ei19rocblas_complex_numIfEPKS1_S1_EviiT3_lPKT2_lT1_lS7_lS8_lS4_lPT4_lS8_li
		.amdhsa_group_segment_fixed_size 256
		.amdhsa_private_segment_fixed_size 0
		.amdhsa_kernarg_size 140
		.amdhsa_user_sgpr_count 6
		.amdhsa_user_sgpr_private_segment_buffer 1
		.amdhsa_user_sgpr_dispatch_ptr 0
		.amdhsa_user_sgpr_queue_ptr 0
		.amdhsa_user_sgpr_kernarg_segment_ptr 1
		.amdhsa_user_sgpr_dispatch_id 0
		.amdhsa_user_sgpr_flat_scratch_init 0
		.amdhsa_user_sgpr_private_segment_size 0
		.amdhsa_wavefront_size32 1
		.amdhsa_uses_dynamic_stack 0
		.amdhsa_system_sgpr_private_segment_wavefront_offset 0
		.amdhsa_system_sgpr_workgroup_id_x 1
		.amdhsa_system_sgpr_workgroup_id_y 0
		.amdhsa_system_sgpr_workgroup_id_z 1
		.amdhsa_system_sgpr_workgroup_info 0
		.amdhsa_system_vgpr_workitem_id 0
		.amdhsa_next_free_vgpr 14
		.amdhsa_next_free_sgpr 26
		.amdhsa_reserve_vcc 1
		.amdhsa_reserve_flat_scratch 0
		.amdhsa_float_round_mode_32 0
		.amdhsa_float_round_mode_16_64 0
		.amdhsa_float_denorm_mode_32 3
		.amdhsa_float_denorm_mode_16_64 3
		.amdhsa_dx10_clamp 1
		.amdhsa_ieee_mode 1
		.amdhsa_fp16_overflow 0
		.amdhsa_workgroup_processor_mode 1
		.amdhsa_memory_ordered 1
		.amdhsa_forward_progress 1
		.amdhsa_shared_vgpr_count 0
		.amdhsa_exception_fp_ieee_invalid_op 0
		.amdhsa_exception_fp_denorm_src 0
		.amdhsa_exception_fp_ieee_div_zero 0
		.amdhsa_exception_fp_ieee_overflow 0
		.amdhsa_exception_fp_ieee_underflow 0
		.amdhsa_exception_fp_ieee_inexact 0
		.amdhsa_exception_int_div_zero 0
	.end_amdhsa_kernel
	.section	.text._ZL32rocblas_gemvt_warp_reduce_kernelILb0ELi256Ei19rocblas_complex_numIfEPKS1_S1_EviiT3_lPKT2_lT1_lS7_lS8_lS4_lPT4_lS8_li,"axG",@progbits,_ZL32rocblas_gemvt_warp_reduce_kernelILb0ELi256Ei19rocblas_complex_numIfEPKS1_S1_EviiT3_lPKT2_lT1_lS7_lS8_lS4_lPT4_lS8_li,comdat
.Lfunc_end124:
	.size	_ZL32rocblas_gemvt_warp_reduce_kernelILb0ELi256Ei19rocblas_complex_numIfEPKS1_S1_EviiT3_lPKT2_lT1_lS7_lS8_lS4_lPT4_lS8_li, .Lfunc_end124-_ZL32rocblas_gemvt_warp_reduce_kernelILb0ELi256Ei19rocblas_complex_numIfEPKS1_S1_EviiT3_lPKT2_lT1_lS7_lS8_lS4_lPT4_lS8_li
                                        ; -- End function
	.set _ZL32rocblas_gemvt_warp_reduce_kernelILb0ELi256Ei19rocblas_complex_numIfEPKS1_S1_EviiT3_lPKT2_lT1_lS7_lS8_lS4_lPT4_lS8_li.num_vgpr, 14
	.set _ZL32rocblas_gemvt_warp_reduce_kernelILb0ELi256Ei19rocblas_complex_numIfEPKS1_S1_EviiT3_lPKT2_lT1_lS7_lS8_lS4_lPT4_lS8_li.num_agpr, 0
	.set _ZL32rocblas_gemvt_warp_reduce_kernelILb0ELi256Ei19rocblas_complex_numIfEPKS1_S1_EviiT3_lPKT2_lT1_lS7_lS8_lS4_lPT4_lS8_li.numbered_sgpr, 26
	.set _ZL32rocblas_gemvt_warp_reduce_kernelILb0ELi256Ei19rocblas_complex_numIfEPKS1_S1_EviiT3_lPKT2_lT1_lS7_lS8_lS4_lPT4_lS8_li.num_named_barrier, 0
	.set _ZL32rocblas_gemvt_warp_reduce_kernelILb0ELi256Ei19rocblas_complex_numIfEPKS1_S1_EviiT3_lPKT2_lT1_lS7_lS8_lS4_lPT4_lS8_li.private_seg_size, 0
	.set _ZL32rocblas_gemvt_warp_reduce_kernelILb0ELi256Ei19rocblas_complex_numIfEPKS1_S1_EviiT3_lPKT2_lT1_lS7_lS8_lS4_lPT4_lS8_li.uses_vcc, 1
	.set _ZL32rocblas_gemvt_warp_reduce_kernelILb0ELi256Ei19rocblas_complex_numIfEPKS1_S1_EviiT3_lPKT2_lT1_lS7_lS8_lS4_lPT4_lS8_li.uses_flat_scratch, 0
	.set _ZL32rocblas_gemvt_warp_reduce_kernelILb0ELi256Ei19rocblas_complex_numIfEPKS1_S1_EviiT3_lPKT2_lT1_lS7_lS8_lS4_lPT4_lS8_li.has_dyn_sized_stack, 0
	.set _ZL32rocblas_gemvt_warp_reduce_kernelILb0ELi256Ei19rocblas_complex_numIfEPKS1_S1_EviiT3_lPKT2_lT1_lS7_lS8_lS4_lPT4_lS8_li.has_recursion, 0
	.set _ZL32rocblas_gemvt_warp_reduce_kernelILb0ELi256Ei19rocblas_complex_numIfEPKS1_S1_EviiT3_lPKT2_lT1_lS7_lS8_lS4_lPT4_lS8_li.has_indirect_call, 0
	.section	.AMDGPU.csdata,"",@progbits
; Kernel info:
; codeLenInByte = 1632
; TotalNumSgprs: 28
; NumVgprs: 14
; ScratchSize: 0
; MemoryBound: 0
; FloatMode: 240
; IeeeMode: 1
; LDSByteSize: 256 bytes/workgroup (compile time only)
; SGPRBlocks: 0
; VGPRBlocks: 1
; NumSGPRsForWavesPerEU: 28
; NumVGPRsForWavesPerEU: 14
; Occupancy: 16
; WaveLimiterHint : 1
; COMPUTE_PGM_RSRC2:SCRATCH_EN: 0
; COMPUTE_PGM_RSRC2:USER_SGPR: 6
; COMPUTE_PGM_RSRC2:TRAP_HANDLER: 0
; COMPUTE_PGM_RSRC2:TGID_X_EN: 1
; COMPUTE_PGM_RSRC2:TGID_Y_EN: 0
; COMPUTE_PGM_RSRC2:TGID_Z_EN: 1
; COMPUTE_PGM_RSRC2:TIDIG_COMP_CNT: 0
	.section	.text._ZL32rocblas_gemvt_warp_reduce_kernelILb0ELi256El19rocblas_complex_numIfEPKS1_S1_EviiT3_lPKT2_lT1_lS7_lS8_lS4_lPT4_lS8_li,"axG",@progbits,_ZL32rocblas_gemvt_warp_reduce_kernelILb0ELi256El19rocblas_complex_numIfEPKS1_S1_EviiT3_lPKT2_lT1_lS7_lS8_lS4_lPT4_lS8_li,comdat
	.globl	_ZL32rocblas_gemvt_warp_reduce_kernelILb0ELi256El19rocblas_complex_numIfEPKS1_S1_EviiT3_lPKT2_lT1_lS7_lS8_lS4_lPT4_lS8_li ; -- Begin function _ZL32rocblas_gemvt_warp_reduce_kernelILb0ELi256El19rocblas_complex_numIfEPKS1_S1_EviiT3_lPKT2_lT1_lS7_lS8_lS4_lPT4_lS8_li
	.p2align	8
	.type	_ZL32rocblas_gemvt_warp_reduce_kernelILb0ELi256El19rocblas_complex_numIfEPKS1_S1_EviiT3_lPKT2_lT1_lS7_lS8_lS4_lPT4_lS8_li,@function
_ZL32rocblas_gemvt_warp_reduce_kernelILb0ELi256El19rocblas_complex_numIfEPKS1_S1_EviiT3_lPKT2_lT1_lS7_lS8_lS4_lPT4_lS8_li: ; @_ZL32rocblas_gemvt_warp_reduce_kernelILb0ELi256El19rocblas_complex_numIfEPKS1_S1_EviiT3_lPKT2_lT1_lS7_lS8_lS4_lPT4_lS8_li
; %bb.0:
	s_clause 0x1
	s_load_dwordx16 s[36:51], s[4:5], 0x8
	s_load_dwordx16 s[8:23], s[4:5], 0x48
	s_waitcnt lgkmcnt(0)
	s_mul_i32 s1, s39, s7
	s_mul_hi_u32 s2, s38, s7
	s_mul_i32 s0, s38, s7
	s_add_i32 s1, s2, s1
	s_mul_hi_u32 s2, s14, s7
	s_lshl_b64 s[0:1], s[0:1], 3
	s_add_u32 s0, s36, s0
	s_addc_u32 s1, s37, s1
	s_load_dwordx2 s[24:25], s[0:1], 0x0
	s_mul_i32 s1, s15, s7
	s_mul_i32 s0, s14, s7
	s_add_i32 s1, s2, s1
	s_lshl_b64 s[0:1], s[0:1], 3
	s_add_u32 s0, s12, s0
	s_addc_u32 s1, s13, s1
	s_load_dwordx2 s[2:3], s[0:1], 0x0
	s_waitcnt lgkmcnt(0)
	v_cmp_neq_f32_e64 s0, s24, 0
	v_cmp_neq_f32_e64 s1, s25, 0
	s_or_b32 s0, s0, s1
	s_and_b32 vcc_lo, exec_lo, s0
	s_mov_b32 s0, -1
	s_cbranch_vccnz .LBB125_2
; %bb.1:
	v_cmp_neq_f32_e64 s0, s2, 1.0
	v_cmp_neq_f32_e64 s1, s3, 0
	s_or_b32 s0, s0, s1
.LBB125_2:
	s_andn2_b32 vcc_lo, exec_lo, s0
	s_cbranch_vccnz .LBB125_28
; %bb.3:
	s_mul_i32 s1, s23, s7
	s_mul_hi_u32 s12, s22, s7
	s_mul_i32 s0, s22, s7
	s_add_i32 s1, s12, s1
	v_cmp_eq_u32_e32 vcc_lo, 0, v0
	s_lshl_b64 s[0:1], s[0:1], 3
	s_add_u32 s12, s16, s0
	s_addc_u32 s13, s17, s1
	s_lshl_b64 s[0:1], s[18:19], 3
	s_add_u32 s14, s12, s0
	s_addc_u32 s15, s13, s1
	s_or_b32 s0, s24, s25
	s_bitset0_b32 s0, 31
	s_cmp_lg_u32 s0, 0
	s_mov_b32 s0, -1
	s_cbranch_scc1 .LBB125_9
; %bb.4:
	s_and_saveexec_b32 s12, vcc_lo
	s_cbranch_execz .LBB125_8
; %bb.5:
	v_cmp_neq_f32_e64 s0, s2, 0
	v_cmp_neq_f32_e64 s1, s3, 0
	s_ashr_i32 s13, s6, 31
	s_mul_hi_u32 s16, s20, s6
	v_mov_b32_e32 v2, 0
	v_mov_b32_e32 v3, 0
	s_or_b32 s0, s0, s1
	s_mul_i32 s1, s20, s13
	v_mov_b32_e32 v1, 0
	s_add_i32 s1, s16, s1
	s_mul_i32 s13, s21, s6
	s_andn2_b32 vcc_lo, exec_lo, s0
	s_add_i32 s1, s1, s13
	s_mul_i32 s0, s20, s6
	s_cbranch_vccnz .LBB125_7
; %bb.6:
	s_lshl_b64 s[16:17], s[0:1], 3
	s_add_u32 s16, s14, s16
	s_addc_u32 s17, s15, s17
	s_load_dwordx2 s[16:17], s[16:17], 0x0
	s_waitcnt lgkmcnt(0)
	v_mul_f32_e64 v1, s3, s17
	v_mul_f32_e64 v2, s2, s17
	v_fma_f32 v1, s2, s16, -v1
	v_fmac_f32_e64 v2, s3, s16
.LBB125_7:
	s_lshl_b64 s[0:1], s[0:1], 3
	s_add_u32 s0, s14, s0
	s_addc_u32 s1, s15, s1
	global_store_dwordx2 v3, v[1:2], s[0:1]
.LBB125_8:
	s_or_b32 exec_lo, exec_lo, s12
	s_mov_b32 s0, 0
.LBB125_9:
	s_andn2_b32 vcc_lo, exec_lo, s0
	s_cbranch_vccnz .LBB125_28
; %bb.10:
	s_load_dword s13, s[4:5], 0x0
	s_mul_i32 s4, s11, s7
	s_mul_i32 s1, s47, s7
	s_mul_hi_u32 s11, s46, s7
	s_mul_i32 s0, s46, s7
	s_add_i32 s1, s11, s1
	s_mul_hi_u32 s5, s10, s7
	s_lshl_b64 s[0:1], s[0:1], 3
	s_add_i32 s5, s5, s4
	s_add_u32 s4, s40, s0
	s_addc_u32 s11, s41, s1
	s_lshl_b64 s[0:1], s[42:43], 3
	s_mul_hi_u32 s12, s44, s6
	s_add_u32 s0, s4, s0
	s_addc_u32 s4, s11, s1
	s_ashr_i32 s1, s6, 31
	s_mul_i32 s11, s45, s6
	s_mul_i32 s16, s44, s1
	v_mov_b32_e32 v7, 0
	s_add_i32 s12, s12, s16
	s_waitcnt lgkmcnt(0)
	v_cmp_gt_i32_e32 vcc_lo, s13, v0
	s_mul_i32 s16, s44, s6
	s_add_i32 s17, s12, s11
	s_ashr_i32 s11, s13, 31
	s_lshl_b64 s[16:17], s[16:17], 3
	v_cndmask_b32_e32 v1, 0, v0, vcc_lo
	s_lshr_b32 s11, s11, 24
	v_mov_b32_e32 v8, 0
	s_add_i32 s11, s13, s11
	s_and_b32 s12, s11, 0xffffff00
	v_lshlrev_b32_e32 v1, 3, v1
	v_add_co_u32 v1, s0, s0, v1
	v_add_co_ci_u32_e64 v2, null, s4, 0, s0
	s_mul_i32 s4, s10, s7
	v_add_co_u32 v1, vcc_lo, v1, s16
	v_add_co_ci_u32_e64 v2, null, s17, v2, vcc_lo
	s_mov_b32 s16, 0
	s_mov_b32 s7, exec_lo
	v_cmpx_gt_i32_e64 s12, v0
	s_cbranch_execz .LBB125_14
; %bb.11:
	v_mad_u64_u32 v[5:6], null, s8, v0, 0
	s_lshl_b64 s[18:19], s[50:51], 3
	s_lshl_b64 s[10:11], s[4:5], 3
	s_add_u32 s0, s48, s18
	s_addc_u32 s17, s49, s19
	s_add_u32 s0, s0, s10
	s_addc_u32 s10, s17, s11
	v_mov_b32_e32 v3, v6
	v_mov_b32_e32 v7, 0
	;; [unrolled: 1-line block ×4, first 2 shown]
	v_mad_u64_u32 v[3:4], null, s9, v0, v[3:4]
	v_mov_b32_e32 v6, v3
	v_mov_b32_e32 v4, v2
	;; [unrolled: 1-line block ×3, first 2 shown]
	v_lshlrev_b64 v[5:6], 3, v[5:6]
	v_add_co_u32 v5, vcc_lo, s0, v5
	v_add_co_ci_u32_e64 v6, null, s10, v6, vcc_lo
	s_lshl_b64 s[10:11], s[8:9], 11
	v_add_co_u32 v5, vcc_lo, v5, 4
	v_add_co_ci_u32_e64 v6, null, 0, v6, vcc_lo
	.p2align	6
.LBB125_12:                             ; =>This Inner Loop Header: Depth=1
	global_load_dwordx2 v[10:11], v[3:4], off
	global_load_dwordx2 v[12:13], v[5:6], off offset:-4
	v_add_nc_u32_e32 v9, 0x100, v9
	v_add_co_u32 v3, vcc_lo, 0x800, v3
	v_add_co_ci_u32_e64 v4, null, 0, v4, vcc_lo
	v_add_co_u32 v5, vcc_lo, v5, s10
	v_cmp_le_i32_e64 s0, s12, v9
	v_add_co_ci_u32_e64 v6, null, s11, v6, vcc_lo
	s_or_b32 s16, s0, s16
	s_waitcnt vmcnt(0)
	v_mul_f32_e32 v14, v13, v11
	v_mul_f32_e32 v11, v12, v11
	v_fma_f32 v12, v12, v10, -v14
	v_fmac_f32_e32 v11, v13, v10
	v_add_f32_e32 v8, v8, v12
	v_add_f32_e32 v7, v7, v11
	s_andn2_b32 exec_lo, exec_lo, s16
	s_cbranch_execnz .LBB125_12
; %bb.13:
	s_or_b32 exec_lo, exec_lo, s16
.LBB125_14:
	s_or_b32 exec_lo, exec_lo, s7
	v_add_nc_u32_e32 v3, s12, v0
	s_mov_b32 s0, exec_lo
	v_cmpx_gt_i32_e64 s13, v3
	s_cbranch_execz .LBB125_16
; %bb.15:
	v_ashrrev_i32_e32 v5, 31, v3
	v_mul_lo_u32 v6, s9, v3
	v_mad_u64_u32 v[3:4], null, s8, v3, 0
	s_lshl_b64 s[4:5], s[4:5], 3
	v_mul_lo_u32 v5, s8, v5
	s_add_u32 s7, s48, s4
	s_addc_u32 s8, s49, s5
	s_lshl_b64 s[4:5], s[50:51], 3
	s_add_u32 s7, s7, s4
	s_addc_u32 s8, s8, s5
	s_ashr_i32 s13, s12, 31
	v_add3_u32 v4, v4, v5, v6
	s_lshl_b64 s[4:5], s[12:13], 3
	v_add_co_u32 v1, vcc_lo, v1, s4
	v_lshlrev_b64 v[3:4], 3, v[3:4]
	v_add_co_ci_u32_e64 v2, null, s5, v2, vcc_lo
	v_add_co_u32 v3, vcc_lo, s7, v3
	v_add_co_ci_u32_e64 v4, null, s8, v4, vcc_lo
	global_load_dwordx2 v[1:2], v[1:2], off
	global_load_dwordx2 v[3:4], v[3:4], off
	s_waitcnt vmcnt(0)
	v_mul_f32_e32 v5, v4, v2
	v_mul_f32_e32 v2, v3, v2
	v_fma_f32 v3, v3, v1, -v5
	v_fmac_f32_e32 v2, v4, v1
	v_add_f32_e32 v8, v8, v3
	v_add_f32_e32 v7, v7, v2
.LBB125_16:
	s_or_b32 exec_lo, exec_lo, s0
	v_and_b32_e32 v1, 31, v0
	v_cmp_gt_u32_e32 vcc_lo, 32, v0
	v_lshlrev_b32_e32 v3, 3, v1
	s_and_saveexec_b32 s0, vcc_lo
; %bb.17:
	v_mov_b32_e32 v4, 0
	v_mov_b32_e32 v5, v4
	ds_write_b64 v3, v[4:5]
; %bb.18:
	s_or_b32 exec_lo, exec_lo, s0
	v_mbcnt_lo_u32_b32 v2, -1, 0
	s_mov_b32 s4, exec_lo
	s_waitcnt lgkmcnt(0)
	s_waitcnt_vscnt null, 0x0
	s_barrier
	buffer_gl0_inv
	v_lshl_or_b32 v4, v2, 2, 64
	v_cmp_gt_u32_e64 s0, 24, v2
	ds_bpermute_b32 v5, v4, v8
	ds_bpermute_b32 v4, v4, v7
	v_cndmask_b32_e64 v6, 0, 8, s0
	v_cmp_gt_u32_e64 s0, 28, v2
	v_add_lshl_u32 v6, v6, v2, 2
	s_waitcnt lgkmcnt(1)
	v_add_f32_e32 v5, v8, v5
	s_waitcnt lgkmcnt(0)
	v_add_f32_e32 v7, v7, v4
	v_cndmask_b32_e64 v4, 0, 4, s0
	v_cmp_gt_u32_e64 s0, 30, v2
	ds_bpermute_b32 v8, v6, v5
	ds_bpermute_b32 v6, v6, v7
	v_add_lshl_u32 v4, v4, v2, 2
	s_waitcnt lgkmcnt(1)
	v_add_f32_e32 v8, v5, v8
	s_waitcnt lgkmcnt(0)
	v_add_f32_e32 v6, v7, v6
	v_cndmask_b32_e64 v5, 0, 2, s0
	v_cmp_ne_u32_e64 s0, 31, v2
	ds_bpermute_b32 v7, v4, v8
	ds_bpermute_b32 v9, v4, v6
	v_add_lshl_u32 v5, v5, v2, 2
	v_add_co_ci_u32_e64 v2, null, 0, v2, s0
	s_waitcnt lgkmcnt(1)
	v_add_f32_e32 v7, v8, v7
	s_waitcnt lgkmcnt(0)
	v_add_f32_e32 v8, v6, v9
	v_lshlrev_b32_e32 v6, 2, v2
	ds_bpermute_b32 v9, v5, v7
	ds_bpermute_b32 v10, v5, v8
	s_waitcnt lgkmcnt(1)
	v_add_f32_e32 v2, v7, v9
	s_waitcnt lgkmcnt(0)
	v_add_f32_e32 v8, v8, v10
	ds_bpermute_b32 v7, v6, v2
	ds_bpermute_b32 v9, v6, v8
	v_cmpx_eq_u32_e32 0, v1
	s_cbranch_execz .LBB125_20
; %bb.19:
	v_lshrrev_b32_e32 v1, 2, v0
	s_waitcnt lgkmcnt(0)
	v_add_f32_e32 v8, v8, v9
	v_add_f32_e32 v7, v2, v7
	v_and_b32_e32 v1, 56, v1
	ds_write_b64 v1, v[7:8]
.LBB125_20:
	s_or_b32 exec_lo, exec_lo, s4
	v_mov_b32_e32 v2, 0
	v_mov_b32_e32 v1, 0
	s_mov_b32 s4, exec_lo
	s_waitcnt lgkmcnt(0)
	s_barrier
	buffer_gl0_inv
	v_cmpx_gt_u32_e32 8, v0
; %bb.21:
	ds_read_b64 v[1:2], v3
; %bb.22:
	s_or_b32 exec_lo, exec_lo, s4
	s_and_saveexec_b32 s0, vcc_lo
	s_cbranch_execz .LBB125_24
; %bb.23:
	s_waitcnt lgkmcnt(0)
	ds_bpermute_b32 v3, v4, v1
	ds_bpermute_b32 v4, v4, v2
	s_waitcnt lgkmcnt(1)
	v_add_f32_e32 v1, v1, v3
	s_waitcnt lgkmcnt(0)
	v_add_f32_e32 v2, v2, v4
	ds_bpermute_b32 v3, v5, v1
	ds_bpermute_b32 v4, v5, v2
	s_waitcnt lgkmcnt(1)
	v_add_f32_e32 v1, v1, v3
	s_waitcnt lgkmcnt(0)
	v_add_f32_e32 v2, v2, v4
	;; [unrolled: 6-line block ×3, first 2 shown]
.LBB125_24:
	s_or_b32 exec_lo, exec_lo, s0
	s_mov_b32 s0, exec_lo
	v_cmpx_eq_u32_e32 0, v0
	s_cbranch_execz .LBB125_28
; %bb.25:
	v_cmp_neq_f32_e64 s0, s2, 0
	v_cmp_neq_f32_e64 s4, s3, 0
	s_waitcnt lgkmcnt(0)
	v_mul_f32_e32 v0, s25, v2
	v_mul_f32_e32 v4, s24, v2
	s_mul_i32 s1, s20, s1
	s_or_b32 s0, s0, s4
	s_mul_hi_u32 s4, s20, s6
	v_fma_f32 v3, v1, s24, -v0
	v_fmac_f32_e32 v4, s25, v1
	s_add_i32 s1, s4, s1
	s_mul_i32 s4, s21, s6
	s_andn2_b32 vcc_lo, exec_lo, s0
	s_add_i32 s1, s1, s4
	s_mul_i32 s0, s20, s6
	s_cbranch_vccnz .LBB125_27
; %bb.26:
	s_lshl_b64 s[4:5], s[0:1], 3
	v_mov_b32_e32 v0, 0
	s_add_u32 s4, s14, s4
	s_addc_u32 s5, s15, s5
	global_load_dwordx2 v[0:1], v0, s[4:5]
	s_waitcnt vmcnt(0)
	v_mul_f32_e32 v2, s3, v1
	v_mul_f32_e32 v1, s2, v1
	v_fma_f32 v2, s2, v0, -v2
	v_fmac_f32_e32 v1, s3, v0
	v_add_f32_e32 v3, v3, v2
	v_add_f32_e32 v4, v4, v1
.LBB125_27:
	s_lshl_b64 s[0:1], s[0:1], 3
	v_mov_b32_e32 v0, 0
	s_add_u32 s0, s14, s0
	s_addc_u32 s1, s15, s1
	global_store_dwordx2 v0, v[3:4], s[0:1]
.LBB125_28:
	s_endpgm
	.section	.rodata,"a",@progbits
	.p2align	6, 0x0
	.amdhsa_kernel _ZL32rocblas_gemvt_warp_reduce_kernelILb0ELi256El19rocblas_complex_numIfEPKS1_S1_EviiT3_lPKT2_lT1_lS7_lS8_lS4_lPT4_lS8_li
		.amdhsa_group_segment_fixed_size 256
		.amdhsa_private_segment_fixed_size 0
		.amdhsa_kernarg_size 140
		.amdhsa_user_sgpr_count 6
		.amdhsa_user_sgpr_private_segment_buffer 1
		.amdhsa_user_sgpr_dispatch_ptr 0
		.amdhsa_user_sgpr_queue_ptr 0
		.amdhsa_user_sgpr_kernarg_segment_ptr 1
		.amdhsa_user_sgpr_dispatch_id 0
		.amdhsa_user_sgpr_flat_scratch_init 0
		.amdhsa_user_sgpr_private_segment_size 0
		.amdhsa_wavefront_size32 1
		.amdhsa_uses_dynamic_stack 0
		.amdhsa_system_sgpr_private_segment_wavefront_offset 0
		.amdhsa_system_sgpr_workgroup_id_x 1
		.amdhsa_system_sgpr_workgroup_id_y 0
		.amdhsa_system_sgpr_workgroup_id_z 1
		.amdhsa_system_sgpr_workgroup_info 0
		.amdhsa_system_vgpr_workitem_id 0
		.amdhsa_next_free_vgpr 15
		.amdhsa_next_free_sgpr 52
		.amdhsa_reserve_vcc 1
		.amdhsa_reserve_flat_scratch 0
		.amdhsa_float_round_mode_32 0
		.amdhsa_float_round_mode_16_64 0
		.amdhsa_float_denorm_mode_32 3
		.amdhsa_float_denorm_mode_16_64 3
		.amdhsa_dx10_clamp 1
		.amdhsa_ieee_mode 1
		.amdhsa_fp16_overflow 0
		.amdhsa_workgroup_processor_mode 1
		.amdhsa_memory_ordered 1
		.amdhsa_forward_progress 1
		.amdhsa_shared_vgpr_count 0
		.amdhsa_exception_fp_ieee_invalid_op 0
		.amdhsa_exception_fp_denorm_src 0
		.amdhsa_exception_fp_ieee_div_zero 0
		.amdhsa_exception_fp_ieee_overflow 0
		.amdhsa_exception_fp_ieee_underflow 0
		.amdhsa_exception_fp_ieee_inexact 0
		.amdhsa_exception_int_div_zero 0
	.end_amdhsa_kernel
	.section	.text._ZL32rocblas_gemvt_warp_reduce_kernelILb0ELi256El19rocblas_complex_numIfEPKS1_S1_EviiT3_lPKT2_lT1_lS7_lS8_lS4_lPT4_lS8_li,"axG",@progbits,_ZL32rocblas_gemvt_warp_reduce_kernelILb0ELi256El19rocblas_complex_numIfEPKS1_S1_EviiT3_lPKT2_lT1_lS7_lS8_lS4_lPT4_lS8_li,comdat
.Lfunc_end125:
	.size	_ZL32rocblas_gemvt_warp_reduce_kernelILb0ELi256El19rocblas_complex_numIfEPKS1_S1_EviiT3_lPKT2_lT1_lS7_lS8_lS4_lPT4_lS8_li, .Lfunc_end125-_ZL32rocblas_gemvt_warp_reduce_kernelILb0ELi256El19rocblas_complex_numIfEPKS1_S1_EviiT3_lPKT2_lT1_lS7_lS8_lS4_lPT4_lS8_li
                                        ; -- End function
	.set _ZL32rocblas_gemvt_warp_reduce_kernelILb0ELi256El19rocblas_complex_numIfEPKS1_S1_EviiT3_lPKT2_lT1_lS7_lS8_lS4_lPT4_lS8_li.num_vgpr, 15
	.set _ZL32rocblas_gemvt_warp_reduce_kernelILb0ELi256El19rocblas_complex_numIfEPKS1_S1_EviiT3_lPKT2_lT1_lS7_lS8_lS4_lPT4_lS8_li.num_agpr, 0
	.set _ZL32rocblas_gemvt_warp_reduce_kernelILb0ELi256El19rocblas_complex_numIfEPKS1_S1_EviiT3_lPKT2_lT1_lS7_lS8_lS4_lPT4_lS8_li.numbered_sgpr, 52
	.set _ZL32rocblas_gemvt_warp_reduce_kernelILb0ELi256El19rocblas_complex_numIfEPKS1_S1_EviiT3_lPKT2_lT1_lS7_lS8_lS4_lPT4_lS8_li.num_named_barrier, 0
	.set _ZL32rocblas_gemvt_warp_reduce_kernelILb0ELi256El19rocblas_complex_numIfEPKS1_S1_EviiT3_lPKT2_lT1_lS7_lS8_lS4_lPT4_lS8_li.private_seg_size, 0
	.set _ZL32rocblas_gemvt_warp_reduce_kernelILb0ELi256El19rocblas_complex_numIfEPKS1_S1_EviiT3_lPKT2_lT1_lS7_lS8_lS4_lPT4_lS8_li.uses_vcc, 1
	.set _ZL32rocblas_gemvt_warp_reduce_kernelILb0ELi256El19rocblas_complex_numIfEPKS1_S1_EviiT3_lPKT2_lT1_lS7_lS8_lS4_lPT4_lS8_li.uses_flat_scratch, 0
	.set _ZL32rocblas_gemvt_warp_reduce_kernelILb0ELi256El19rocblas_complex_numIfEPKS1_S1_EviiT3_lPKT2_lT1_lS7_lS8_lS4_lPT4_lS8_li.has_dyn_sized_stack, 0
	.set _ZL32rocblas_gemvt_warp_reduce_kernelILb0ELi256El19rocblas_complex_numIfEPKS1_S1_EviiT3_lPKT2_lT1_lS7_lS8_lS4_lPT4_lS8_li.has_recursion, 0
	.set _ZL32rocblas_gemvt_warp_reduce_kernelILb0ELi256El19rocblas_complex_numIfEPKS1_S1_EviiT3_lPKT2_lT1_lS7_lS8_lS4_lPT4_lS8_li.has_indirect_call, 0
	.section	.AMDGPU.csdata,"",@progbits
; Kernel info:
; codeLenInByte = 1684
; TotalNumSgprs: 54
; NumVgprs: 15
; ScratchSize: 0
; MemoryBound: 0
; FloatMode: 240
; IeeeMode: 1
; LDSByteSize: 256 bytes/workgroup (compile time only)
; SGPRBlocks: 0
; VGPRBlocks: 1
; NumSGPRsForWavesPerEU: 54
; NumVGPRsForWavesPerEU: 15
; Occupancy: 16
; WaveLimiterHint : 0
; COMPUTE_PGM_RSRC2:SCRATCH_EN: 0
; COMPUTE_PGM_RSRC2:USER_SGPR: 6
; COMPUTE_PGM_RSRC2:TRAP_HANDLER: 0
; COMPUTE_PGM_RSRC2:TGID_X_EN: 1
; COMPUTE_PGM_RSRC2:TGID_Y_EN: 0
; COMPUTE_PGM_RSRC2:TGID_Z_EN: 1
; COMPUTE_PGM_RSRC2:TIDIG_COMP_CNT: 0
	.section	.text._ZL32rocblas_gemvt_warp_reduce_kernelILb0ELi256Ei19rocblas_complex_numIfES1_S1_EviiT3_lPKT2_lT1_lS5_lS6_lS2_lPT4_lS6_li,"axG",@progbits,_ZL32rocblas_gemvt_warp_reduce_kernelILb0ELi256Ei19rocblas_complex_numIfES1_S1_EviiT3_lPKT2_lT1_lS5_lS6_lS2_lPT4_lS6_li,comdat
	.globl	_ZL32rocblas_gemvt_warp_reduce_kernelILb0ELi256Ei19rocblas_complex_numIfES1_S1_EviiT3_lPKT2_lT1_lS5_lS6_lS2_lPT4_lS6_li ; -- Begin function _ZL32rocblas_gemvt_warp_reduce_kernelILb0ELi256Ei19rocblas_complex_numIfES1_S1_EviiT3_lPKT2_lT1_lS5_lS6_lS2_lPT4_lS6_li
	.p2align	8
	.type	_ZL32rocblas_gemvt_warp_reduce_kernelILb0ELi256Ei19rocblas_complex_numIfES1_S1_EviiT3_lPKT2_lT1_lS5_lS6_lS2_lPT4_lS6_li,@function
_ZL32rocblas_gemvt_warp_reduce_kernelILb0ELi256Ei19rocblas_complex_numIfES1_S1_EviiT3_lPKT2_lT1_lS5_lS6_lS2_lPT4_lS6_li: ; @_ZL32rocblas_gemvt_warp_reduce_kernelILb0ELi256Ei19rocblas_complex_numIfES1_S1_EviiT3_lPKT2_lT1_lS5_lS6_lS2_lPT4_lS6_li
; %bb.0:
	s_clause 0x1
	s_load_dwordx2 s[10:11], s[4:5], 0x8
	s_load_dwordx2 s[8:9], s[4:5], 0x58
	s_waitcnt lgkmcnt(0)
	v_cmp_neq_f32_e64 s0, s10, 0
	v_cmp_neq_f32_e64 s1, s11, 0
	s_or_b32 s0, s0, s1
	s_and_b32 vcc_lo, exec_lo, s0
	s_mov_b32 s0, -1
	s_cbranch_vccnz .LBB126_2
; %bb.1:
	v_cmp_neq_f32_e64 s0, s8, 1.0
	v_cmp_neq_f32_e64 s1, s9, 0
	s_or_b32 s0, s0, s1
.LBB126_2:
	s_andn2_b32 vcc_lo, exec_lo, s0
	s_cbranch_vccnz .LBB126_28
; %bb.3:
	s_clause 0x2
	s_load_dwordx2 s[12:13], s[4:5], 0x80
	s_load_dwordx4 s[0:3], s[4:5], 0x68
	s_load_dword s14, s[4:5], 0x78
	v_cmp_eq_u32_e32 vcc_lo, 0, v0
	s_waitcnt lgkmcnt(0)
	s_mul_i32 s13, s13, s7
	s_mul_hi_u32 s15, s12, s7
	s_mul_i32 s12, s12, s7
	s_add_i32 s13, s15, s13
	s_lshl_b64 s[12:13], s[12:13], 3
	s_add_u32 s12, s0, s12
	s_addc_u32 s13, s1, s13
	s_lshl_b64 s[0:1], s[2:3], 3
	s_add_u32 s12, s12, s0
	s_addc_u32 s13, s13, s1
	s_or_b32 s0, s10, s11
	s_bitset0_b32 s0, 31
	s_cmp_lg_u32 s0, 0
	s_mov_b32 s0, -1
	s_cbranch_scc1 .LBB126_9
; %bb.4:
	s_and_saveexec_b32 s2, vcc_lo
	s_cbranch_execz .LBB126_8
; %bb.5:
	v_cmp_neq_f32_e64 s0, s8, 0
	v_cmp_neq_f32_e64 s1, s9, 0
	v_mov_b32_e32 v2, 0
	v_mov_b32_e32 v3, 0
	;; [unrolled: 1-line block ×3, first 2 shown]
	s_or_b32 s1, s0, s1
	s_mul_i32 s0, s14, s6
	s_andn2_b32 vcc_lo, exec_lo, s1
	s_ashr_i32 s1, s0, 31
	s_cbranch_vccnz .LBB126_7
; %bb.6:
	s_lshl_b64 s[16:17], s[0:1], 3
	s_add_u32 s16, s12, s16
	s_addc_u32 s17, s13, s17
	s_load_dwordx2 s[16:17], s[16:17], 0x0
	s_waitcnt lgkmcnt(0)
	v_mul_f32_e64 v1, s9, s17
	v_mul_f32_e64 v2, s8, s17
	v_fma_f32 v1, s8, s16, -v1
	v_fmac_f32_e64 v2, s9, s16
.LBB126_7:
	s_lshl_b64 s[0:1], s[0:1], 3
	s_add_u32 s0, s12, s0
	s_addc_u32 s1, s13, s1
	global_store_dwordx2 v3, v[1:2], s[0:1]
.LBB126_8:
	s_or_b32 exec_lo, exec_lo, s2
	s_mov_b32 s0, 0
.LBB126_9:
	s_andn2_b32 vcc_lo, exec_lo, s0
	s_cbranch_vccnz .LBB126_28
; %bb.10:
	s_clause 0x6
	s_load_dwordx2 s[20:21], s[4:5], 0x50
	s_load_dwordx4 s[16:19], s[4:5], 0x30
	s_load_dwordx2 s[22:23], s[4:5], 0x40
	s_load_dword s15, s[4:5], 0x0
	s_load_dwordx4 s[0:3], s[4:5], 0x18
	s_load_dword s24, s[4:5], 0x28
	s_load_dword s4, s[4:5], 0x48
	v_mov_b32_e32 v7, 0
	v_mov_b32_e32 v8, 0
	s_waitcnt lgkmcnt(0)
	s_mul_i32 s5, s21, s7
	s_mul_hi_u32 s21, s20, s7
	s_mul_i32 s20, s20, s7
	s_add_i32 s21, s21, s5
	v_cmp_gt_i32_e32 vcc_lo, s15, v0
	s_lshl_b64 s[20:21], s[20:21], 3
	s_mul_i32 s17, s17, s7
	s_add_u32 s5, s18, s20
	s_addc_u32 s20, s19, s21
	s_lshl_b64 s[18:19], s[22:23], 3
	s_mul_hi_u32 s25, s16, s7
	s_add_u32 s5, s5, s18
	v_cndmask_b32_e32 v1, 0, v0, vcc_lo
	s_mul_i32 s16, s16, s7
	s_addc_u32 s7, s20, s19
	s_add_i32 s17, s25, s17
	s_mul_i32 s18, s24, s6
	s_lshl_b64 s[16:17], s[16:17], 3
	v_lshlrev_b32_e32 v1, 3, v1
	s_add_u32 s16, s0, s16
	s_addc_u32 s17, s1, s17
	s_lshl_b64 s[0:1], s[2:3], 3
	s_add_u32 s0, s16, s0
	s_addc_u32 s1, s17, s1
	s_ashr_i32 s2, s15, 31
	v_add_co_u32 v1, s0, s0, v1
	s_ashr_i32 s19, s18, 31
	s_lshr_b32 s2, s2, 24
	v_add_co_ci_u32_e64 v2, null, s1, 0, s0
	s_add_i32 s0, s15, s2
	s_lshl_b64 s[2:3], s[18:19], 3
	s_and_b32 s0, s0, 0xffffff00
	v_add_co_u32 v1, vcc_lo, v1, s2
	v_add_co_ci_u32_e64 v2, null, s3, v2, vcc_lo
	s_mov_b32 s2, 0
	s_mov_b32 s1, exec_lo
	v_cmpx_gt_i32_e64 s0, v0
	s_cbranch_execz .LBB126_14
; %bb.11:
	v_mul_lo_u32 v3, v0, s4
	v_mov_b32_e32 v6, v2
	v_mov_b32_e32 v7, 0
	;; [unrolled: 1-line block ×5, first 2 shown]
	s_lshl_b32 s3, s4, 8
	.p2align	6
.LBB126_12:                             ; =>This Inner Loop Header: Depth=1
	v_ashrrev_i32_e32 v4, 31, v3
	v_add_nc_u32_e32 v9, 0x100, v9
	v_lshlrev_b64 v[10:11], 3, v[3:4]
	v_add_nc_u32_e32 v3, s3, v3
	v_add_co_u32 v10, vcc_lo, s5, v10
	v_add_co_ci_u32_e64 v11, null, s7, v11, vcc_lo
	global_load_dwordx2 v[12:13], v[5:6], off
	global_load_dwordx2 v[10:11], v[10:11], off
	v_add_co_u32 v5, vcc_lo, 0x800, v5
	v_add_co_ci_u32_e64 v6, null, 0, v6, vcc_lo
	v_cmp_le_i32_e32 vcc_lo, s0, v9
	s_or_b32 s2, vcc_lo, s2
	s_waitcnt vmcnt(0)
	v_mul_f32_e32 v4, v11, v13
	v_mul_f32_e32 v13, v10, v13
	v_fma_f32 v4, v10, v12, -v4
	v_fmac_f32_e32 v13, v11, v12
	v_add_f32_e32 v8, v8, v4
	v_add_f32_e32 v7, v7, v13
	s_andn2_b32 exec_lo, exec_lo, s2
	s_cbranch_execnz .LBB126_12
; %bb.13:
	s_or_b32 exec_lo, exec_lo, s2
.LBB126_14:
	s_or_b32 exec_lo, exec_lo, s1
	v_add_nc_u32_e32 v3, s0, v0
	s_mov_b32 s2, exec_lo
	v_cmpx_gt_i32_e64 s15, v3
	s_cbranch_execz .LBB126_16
; %bb.15:
	v_mul_lo_u32 v3, s4, v3
	s_ashr_i32 s1, s0, 31
	s_lshl_b64 s[0:1], s[0:1], 3
	v_add_co_u32 v1, vcc_lo, v1, s0
	v_add_co_ci_u32_e64 v2, null, s1, v2, vcc_lo
	v_ashrrev_i32_e32 v4, 31, v3
	v_lshlrev_b64 v[3:4], 3, v[3:4]
	v_add_co_u32 v3, vcc_lo, s5, v3
	v_add_co_ci_u32_e64 v4, null, s7, v4, vcc_lo
	global_load_dwordx2 v[1:2], v[1:2], off
	global_load_dwordx2 v[3:4], v[3:4], off
	s_waitcnt vmcnt(0)
	v_mul_f32_e32 v5, v4, v2
	v_mul_f32_e32 v2, v3, v2
	v_fma_f32 v3, v3, v1, -v5
	v_fmac_f32_e32 v2, v4, v1
	v_add_f32_e32 v8, v8, v3
	v_add_f32_e32 v7, v7, v2
.LBB126_16:
	s_or_b32 exec_lo, exec_lo, s2
	v_and_b32_e32 v1, 31, v0
	v_cmp_gt_u32_e32 vcc_lo, 32, v0
	v_lshlrev_b32_e32 v3, 3, v1
	s_and_saveexec_b32 s0, vcc_lo
; %bb.17:
	v_mov_b32_e32 v4, 0
	v_mov_b32_e32 v5, v4
	ds_write_b64 v3, v[4:5]
; %bb.18:
	s_or_b32 exec_lo, exec_lo, s0
	v_mbcnt_lo_u32_b32 v2, -1, 0
	s_mov_b32 s1, exec_lo
	s_waitcnt lgkmcnt(0)
	s_waitcnt_vscnt null, 0x0
	s_barrier
	buffer_gl0_inv
	v_lshl_or_b32 v4, v2, 2, 64
	v_cmp_gt_u32_e64 s0, 24, v2
	ds_bpermute_b32 v5, v4, v8
	ds_bpermute_b32 v4, v4, v7
	v_cndmask_b32_e64 v6, 0, 8, s0
	v_cmp_gt_u32_e64 s0, 28, v2
	v_add_lshl_u32 v6, v6, v2, 2
	s_waitcnt lgkmcnt(1)
	v_add_f32_e32 v5, v8, v5
	s_waitcnt lgkmcnt(0)
	v_add_f32_e32 v7, v7, v4
	v_cndmask_b32_e64 v4, 0, 4, s0
	v_cmp_gt_u32_e64 s0, 30, v2
	ds_bpermute_b32 v8, v6, v5
	ds_bpermute_b32 v6, v6, v7
	v_add_lshl_u32 v4, v4, v2, 2
	s_waitcnt lgkmcnt(1)
	v_add_f32_e32 v8, v5, v8
	s_waitcnt lgkmcnt(0)
	v_add_f32_e32 v6, v7, v6
	v_cndmask_b32_e64 v5, 0, 2, s0
	v_cmp_ne_u32_e64 s0, 31, v2
	ds_bpermute_b32 v7, v4, v8
	ds_bpermute_b32 v9, v4, v6
	v_add_lshl_u32 v5, v5, v2, 2
	v_add_co_ci_u32_e64 v2, null, 0, v2, s0
	s_waitcnt lgkmcnt(1)
	v_add_f32_e32 v7, v8, v7
	s_waitcnt lgkmcnt(0)
	v_add_f32_e32 v8, v6, v9
	v_lshlrev_b32_e32 v6, 2, v2
	ds_bpermute_b32 v9, v5, v7
	ds_bpermute_b32 v10, v5, v8
	s_waitcnt lgkmcnt(1)
	v_add_f32_e32 v2, v7, v9
	s_waitcnt lgkmcnt(0)
	v_add_f32_e32 v8, v8, v10
	ds_bpermute_b32 v7, v6, v2
	ds_bpermute_b32 v9, v6, v8
	v_cmpx_eq_u32_e32 0, v1
	s_cbranch_execz .LBB126_20
; %bb.19:
	v_lshrrev_b32_e32 v1, 2, v0
	s_waitcnt lgkmcnt(0)
	v_add_f32_e32 v8, v8, v9
	v_add_f32_e32 v7, v2, v7
	v_and_b32_e32 v1, 56, v1
	ds_write_b64 v1, v[7:8]
.LBB126_20:
	s_or_b32 exec_lo, exec_lo, s1
	v_mov_b32_e32 v2, 0
	v_mov_b32_e32 v1, 0
	s_mov_b32 s1, exec_lo
	s_waitcnt lgkmcnt(0)
	s_barrier
	buffer_gl0_inv
	v_cmpx_gt_u32_e32 8, v0
; %bb.21:
	ds_read_b64 v[1:2], v3
; %bb.22:
	s_or_b32 exec_lo, exec_lo, s1
	s_and_saveexec_b32 s0, vcc_lo
	s_cbranch_execz .LBB126_24
; %bb.23:
	s_waitcnt lgkmcnt(0)
	ds_bpermute_b32 v3, v4, v1
	ds_bpermute_b32 v4, v4, v2
	s_waitcnt lgkmcnt(1)
	v_add_f32_e32 v1, v1, v3
	s_waitcnt lgkmcnt(0)
	v_add_f32_e32 v2, v2, v4
	ds_bpermute_b32 v3, v5, v1
	ds_bpermute_b32 v4, v5, v2
	s_waitcnt lgkmcnt(1)
	v_add_f32_e32 v1, v1, v3
	s_waitcnt lgkmcnt(0)
	v_add_f32_e32 v2, v2, v4
	;; [unrolled: 6-line block ×3, first 2 shown]
.LBB126_24:
	s_or_b32 exec_lo, exec_lo, s0
	s_mov_b32 s0, exec_lo
	v_cmpx_eq_u32_e32 0, v0
	s_cbranch_execz .LBB126_28
; %bb.25:
	s_waitcnt lgkmcnt(0)
	v_mul_f32_e32 v0, s11, v2
	v_mul_f32_e32 v3, s10, v2
	v_cmp_neq_f32_e64 s0, s8, 0
	v_cmp_neq_f32_e64 s1, s9, 0
	v_fma_f32 v2, v1, s10, -v0
	v_fmac_f32_e32 v3, s11, v1
	s_or_b32 s1, s0, s1
	s_mul_i32 s0, s14, s6
	s_andn2_b32 vcc_lo, exec_lo, s1
	s_ashr_i32 s1, s0, 31
	s_cbranch_vccnz .LBB126_27
; %bb.26:
	s_lshl_b64 s[2:3], s[0:1], 3
	v_mov_b32_e32 v0, 0
	s_add_u32 s2, s12, s2
	s_addc_u32 s3, s13, s3
	global_load_dwordx2 v[0:1], v0, s[2:3]
	s_waitcnt vmcnt(0)
	v_mul_f32_e32 v4, s9, v1
	v_mul_f32_e32 v1, s8, v1
	v_fma_f32 v4, s8, v0, -v4
	v_fmac_f32_e32 v1, s9, v0
	v_add_f32_e32 v2, v2, v4
	v_add_f32_e32 v3, v3, v1
.LBB126_27:
	s_lshl_b64 s[0:1], s[0:1], 3
	v_mov_b32_e32 v0, 0
	s_add_u32 s0, s12, s0
	s_addc_u32 s1, s13, s1
	global_store_dwordx2 v0, v[2:3], s[0:1]
.LBB126_28:
	s_endpgm
	.section	.rodata,"a",@progbits
	.p2align	6, 0x0
	.amdhsa_kernel _ZL32rocblas_gemvt_warp_reduce_kernelILb0ELi256Ei19rocblas_complex_numIfES1_S1_EviiT3_lPKT2_lT1_lS5_lS6_lS2_lPT4_lS6_li
		.amdhsa_group_segment_fixed_size 256
		.amdhsa_private_segment_fixed_size 0
		.amdhsa_kernarg_size 140
		.amdhsa_user_sgpr_count 6
		.amdhsa_user_sgpr_private_segment_buffer 1
		.amdhsa_user_sgpr_dispatch_ptr 0
		.amdhsa_user_sgpr_queue_ptr 0
		.amdhsa_user_sgpr_kernarg_segment_ptr 1
		.amdhsa_user_sgpr_dispatch_id 0
		.amdhsa_user_sgpr_flat_scratch_init 0
		.amdhsa_user_sgpr_private_segment_size 0
		.amdhsa_wavefront_size32 1
		.amdhsa_uses_dynamic_stack 0
		.amdhsa_system_sgpr_private_segment_wavefront_offset 0
		.amdhsa_system_sgpr_workgroup_id_x 1
		.amdhsa_system_sgpr_workgroup_id_y 0
		.amdhsa_system_sgpr_workgroup_id_z 1
		.amdhsa_system_sgpr_workgroup_info 0
		.amdhsa_system_vgpr_workitem_id 0
		.amdhsa_next_free_vgpr 14
		.amdhsa_next_free_sgpr 26
		.amdhsa_reserve_vcc 1
		.amdhsa_reserve_flat_scratch 0
		.amdhsa_float_round_mode_32 0
		.amdhsa_float_round_mode_16_64 0
		.amdhsa_float_denorm_mode_32 3
		.amdhsa_float_denorm_mode_16_64 3
		.amdhsa_dx10_clamp 1
		.amdhsa_ieee_mode 1
		.amdhsa_fp16_overflow 0
		.amdhsa_workgroup_processor_mode 1
		.amdhsa_memory_ordered 1
		.amdhsa_forward_progress 1
		.amdhsa_shared_vgpr_count 0
		.amdhsa_exception_fp_ieee_invalid_op 0
		.amdhsa_exception_fp_denorm_src 0
		.amdhsa_exception_fp_ieee_div_zero 0
		.amdhsa_exception_fp_ieee_overflow 0
		.amdhsa_exception_fp_ieee_underflow 0
		.amdhsa_exception_fp_ieee_inexact 0
		.amdhsa_exception_int_div_zero 0
	.end_amdhsa_kernel
	.section	.text._ZL32rocblas_gemvt_warp_reduce_kernelILb0ELi256Ei19rocblas_complex_numIfES1_S1_EviiT3_lPKT2_lT1_lS5_lS6_lS2_lPT4_lS6_li,"axG",@progbits,_ZL32rocblas_gemvt_warp_reduce_kernelILb0ELi256Ei19rocblas_complex_numIfES1_S1_EviiT3_lPKT2_lT1_lS5_lS6_lS2_lPT4_lS6_li,comdat
.Lfunc_end126:
	.size	_ZL32rocblas_gemvt_warp_reduce_kernelILb0ELi256Ei19rocblas_complex_numIfES1_S1_EviiT3_lPKT2_lT1_lS5_lS6_lS2_lPT4_lS6_li, .Lfunc_end126-_ZL32rocblas_gemvt_warp_reduce_kernelILb0ELi256Ei19rocblas_complex_numIfES1_S1_EviiT3_lPKT2_lT1_lS5_lS6_lS2_lPT4_lS6_li
                                        ; -- End function
	.set _ZL32rocblas_gemvt_warp_reduce_kernelILb0ELi256Ei19rocblas_complex_numIfES1_S1_EviiT3_lPKT2_lT1_lS5_lS6_lS2_lPT4_lS6_li.num_vgpr, 14
	.set _ZL32rocblas_gemvt_warp_reduce_kernelILb0ELi256Ei19rocblas_complex_numIfES1_S1_EviiT3_lPKT2_lT1_lS5_lS6_lS2_lPT4_lS6_li.num_agpr, 0
	.set _ZL32rocblas_gemvt_warp_reduce_kernelILb0ELi256Ei19rocblas_complex_numIfES1_S1_EviiT3_lPKT2_lT1_lS5_lS6_lS2_lPT4_lS6_li.numbered_sgpr, 26
	.set _ZL32rocblas_gemvt_warp_reduce_kernelILb0ELi256Ei19rocblas_complex_numIfES1_S1_EviiT3_lPKT2_lT1_lS5_lS6_lS2_lPT4_lS6_li.num_named_barrier, 0
	.set _ZL32rocblas_gemvt_warp_reduce_kernelILb0ELi256Ei19rocblas_complex_numIfES1_S1_EviiT3_lPKT2_lT1_lS5_lS6_lS2_lPT4_lS6_li.private_seg_size, 0
	.set _ZL32rocblas_gemvt_warp_reduce_kernelILb0ELi256Ei19rocblas_complex_numIfES1_S1_EviiT3_lPKT2_lT1_lS5_lS6_lS2_lPT4_lS6_li.uses_vcc, 1
	.set _ZL32rocblas_gemvt_warp_reduce_kernelILb0ELi256Ei19rocblas_complex_numIfES1_S1_EviiT3_lPKT2_lT1_lS5_lS6_lS2_lPT4_lS6_li.uses_flat_scratch, 0
	.set _ZL32rocblas_gemvt_warp_reduce_kernelILb0ELi256Ei19rocblas_complex_numIfES1_S1_EviiT3_lPKT2_lT1_lS5_lS6_lS2_lPT4_lS6_li.has_dyn_sized_stack, 0
	.set _ZL32rocblas_gemvt_warp_reduce_kernelILb0ELi256Ei19rocblas_complex_numIfES1_S1_EviiT3_lPKT2_lT1_lS5_lS6_lS2_lPT4_lS6_li.has_recursion, 0
	.set _ZL32rocblas_gemvt_warp_reduce_kernelILb0ELi256Ei19rocblas_complex_numIfES1_S1_EviiT3_lPKT2_lT1_lS5_lS6_lS2_lPT4_lS6_li.has_indirect_call, 0
	.section	.AMDGPU.csdata,"",@progbits
; Kernel info:
; codeLenInByte = 1568
; TotalNumSgprs: 28
; NumVgprs: 14
; ScratchSize: 0
; MemoryBound: 0
; FloatMode: 240
; IeeeMode: 1
; LDSByteSize: 256 bytes/workgroup (compile time only)
; SGPRBlocks: 0
; VGPRBlocks: 1
; NumSGPRsForWavesPerEU: 28
; NumVGPRsForWavesPerEU: 14
; Occupancy: 16
; WaveLimiterHint : 1
; COMPUTE_PGM_RSRC2:SCRATCH_EN: 0
; COMPUTE_PGM_RSRC2:USER_SGPR: 6
; COMPUTE_PGM_RSRC2:TRAP_HANDLER: 0
; COMPUTE_PGM_RSRC2:TGID_X_EN: 1
; COMPUTE_PGM_RSRC2:TGID_Y_EN: 0
; COMPUTE_PGM_RSRC2:TGID_Z_EN: 1
; COMPUTE_PGM_RSRC2:TIDIG_COMP_CNT: 0
	.section	.text._ZL32rocblas_gemvt_warp_reduce_kernelILb0ELi256El19rocblas_complex_numIfES1_S1_EviiT3_lPKT2_lT1_lS5_lS6_lS2_lPT4_lS6_li,"axG",@progbits,_ZL32rocblas_gemvt_warp_reduce_kernelILb0ELi256El19rocblas_complex_numIfES1_S1_EviiT3_lPKT2_lT1_lS5_lS6_lS2_lPT4_lS6_li,comdat
	.globl	_ZL32rocblas_gemvt_warp_reduce_kernelILb0ELi256El19rocblas_complex_numIfES1_S1_EviiT3_lPKT2_lT1_lS5_lS6_lS2_lPT4_lS6_li ; -- Begin function _ZL32rocblas_gemvt_warp_reduce_kernelILb0ELi256El19rocblas_complex_numIfES1_S1_EviiT3_lPKT2_lT1_lS5_lS6_lS2_lPT4_lS6_li
	.p2align	8
	.type	_ZL32rocblas_gemvt_warp_reduce_kernelILb0ELi256El19rocblas_complex_numIfES1_S1_EviiT3_lPKT2_lT1_lS5_lS6_lS2_lPT4_lS6_li,@function
_ZL32rocblas_gemvt_warp_reduce_kernelILb0ELi256El19rocblas_complex_numIfES1_S1_EviiT3_lPKT2_lT1_lS5_lS6_lS2_lPT4_lS6_li: ; @_ZL32rocblas_gemvt_warp_reduce_kernelILb0ELi256El19rocblas_complex_numIfES1_S1_EviiT3_lPKT2_lT1_lS5_lS6_lS2_lPT4_lS6_li
; %bb.0:
	s_clause 0x1
	s_load_dwordx2 s[28:29], s[4:5], 0x8
	s_load_dwordx2 s[2:3], s[4:5], 0x58
	s_waitcnt lgkmcnt(0)
	v_cmp_neq_f32_e64 s0, s28, 0
	v_cmp_neq_f32_e64 s1, s29, 0
	s_or_b32 s0, s0, s1
	s_and_b32 vcc_lo, exec_lo, s0
	s_mov_b32 s0, -1
	s_cbranch_vccnz .LBB127_2
; %bb.1:
	v_cmp_neq_f32_e64 s0, s2, 1.0
	v_cmp_neq_f32_e64 s1, s3, 0
	s_or_b32 s0, s0, s1
.LBB127_2:
	s_andn2_b32 vcc_lo, exec_lo, s0
	s_cbranch_vccnz .LBB127_28
; %bb.3:
	s_load_dwordx8 s[20:27], s[4:5], 0x68
	v_cmp_eq_u32_e32 vcc_lo, 0, v0
	s_waitcnt lgkmcnt(0)
	s_mul_i32 s1, s27, s7
	s_mul_hi_u32 s8, s26, s7
	s_mul_i32 s0, s26, s7
	s_add_i32 s1, s8, s1
	s_lshl_b64 s[0:1], s[0:1], 3
	s_add_u32 s8, s20, s0
	s_addc_u32 s9, s21, s1
	s_lshl_b64 s[0:1], s[22:23], 3
	s_add_u32 s26, s8, s0
	s_addc_u32 s27, s9, s1
	s_or_b32 s0, s28, s29
	s_bitset0_b32 s0, 31
	s_cmp_lg_u32 s0, 0
	s_mov_b32 s0, -1
	s_cbranch_scc1 .LBB127_9
; %bb.4:
	s_and_saveexec_b32 s8, vcc_lo
	s_cbranch_execz .LBB127_8
; %bb.5:
	v_cmp_neq_f32_e64 s0, s2, 0
	v_cmp_neq_f32_e64 s1, s3, 0
	s_ashr_i32 s9, s6, 31
	s_mul_hi_u32 s10, s24, s6
	v_mov_b32_e32 v2, 0
	v_mov_b32_e32 v3, 0
	s_or_b32 s0, s0, s1
	s_mul_i32 s1, s24, s9
	v_mov_b32_e32 v1, 0
	s_add_i32 s1, s10, s1
	s_mul_i32 s9, s25, s6
	s_andn2_b32 vcc_lo, exec_lo, s0
	s_add_i32 s1, s1, s9
	s_mul_i32 s0, s24, s6
	s_cbranch_vccnz .LBB127_7
; %bb.6:
	s_lshl_b64 s[10:11], s[0:1], 3
	s_add_u32 s10, s26, s10
	s_addc_u32 s11, s27, s11
	s_load_dwordx2 s[10:11], s[10:11], 0x0
	s_waitcnt lgkmcnt(0)
	v_mul_f32_e64 v1, s3, s11
	v_mul_f32_e64 v2, s2, s11
	v_fma_f32 v1, s2, s10, -v1
	v_fmac_f32_e64 v2, s3, s10
.LBB127_7:
	s_lshl_b64 s[0:1], s[0:1], 3
	s_add_u32 s0, s26, s0
	s_addc_u32 s1, s27, s1
	global_store_dwordx2 v3, v[1:2], s[0:1]
.LBB127_8:
	s_or_b32 exec_lo, exec_lo, s8
	s_mov_b32 s0, 0
.LBB127_9:
	s_andn2_b32 vcc_lo, exec_lo, s0
	s_cbranch_vccnz .LBB127_28
; %bb.10:
	s_clause 0x1
	s_load_dwordx16 s[8:23], s[4:5], 0x18
	s_load_dword s30, s[4:5], 0x0
	v_mov_b32_e32 v7, 0
	v_mov_b32_e32 v8, 0
	s_waitcnt lgkmcnt(0)
	s_mul_i32 s1, s15, s7
	v_cmp_gt_i32_e32 vcc_lo, s30, v0
	s_mul_hi_u32 s15, s14, s7
	s_mul_i32 s0, s14, s7
	s_add_i32 s1, s15, s1
	s_mul_i32 s4, s23, s7
	v_cndmask_b32_e32 v1, 0, v0, vcc_lo
	s_mul_hi_u32 s5, s22, s7
	s_lshl_b64 s[0:1], s[0:1], 3
	s_add_i32 s5, s5, s4
	s_add_u32 s4, s8, s0
	v_lshlrev_b32_e32 v1, 3, v1
	s_addc_u32 s8, s9, s1
	s_lshl_b64 s[0:1], s[10:11], 3
	s_mul_hi_u32 s23, s12, s6
	s_add_u32 s0, s4, s0
	s_addc_u32 s4, s8, s1
	s_ashr_i32 s1, s6, 31
	v_add_co_u32 v1, s0, s0, v1
	v_add_co_ci_u32_e64 v2, null, s4, 0, s0
	s_mul_i32 s0, s12, s1
	s_mul_i32 s13, s13, s6
	s_add_i32 s0, s23, s0
	s_mul_i32 s14, s12, s6
	s_add_i32 s15, s0, s13
	s_ashr_i32 s8, s30, 31
	s_lshl_b64 s[10:11], s[14:15], 3
	s_lshr_b32 s4, s8, 24
	v_add_co_u32 v1, s0, v1, s10
	v_add_co_ci_u32_e64 v2, null, s11, v2, s0
	s_add_i32 s4, s30, s4
	s_mov_b32 s9, 0
	s_and_b32 s8, s4, 0xffffff00
	s_mul_i32 s4, s22, s7
	s_mov_b32 s7, exec_lo
	v_cmpx_gt_i32_e64 s8, v0
	s_cbranch_execz .LBB127_14
; %bb.11:
	v_mad_u64_u32 v[5:6], null, s20, v0, 0
	s_lshl_b64 s[12:13], s[18:19], 3
	s_lshl_b64 s[10:11], s[4:5], 3
	s_add_u32 s0, s16, s12
	s_addc_u32 s12, s17, s13
	s_add_u32 s0, s0, s10
	s_addc_u32 s10, s12, s11
	v_mov_b32_e32 v3, v6
	v_mov_b32_e32 v7, 0
	;; [unrolled: 1-line block ×4, first 2 shown]
	v_mad_u64_u32 v[3:4], null, s21, v0, v[3:4]
	v_mov_b32_e32 v6, v3
	v_mov_b32_e32 v4, v2
	;; [unrolled: 1-line block ×3, first 2 shown]
	v_lshlrev_b64 v[5:6], 3, v[5:6]
	v_add_co_u32 v5, vcc_lo, s0, v5
	v_add_co_ci_u32_e64 v6, null, s10, v6, vcc_lo
	s_lshl_b64 s[10:11], s[20:21], 11
	v_add_co_u32 v5, vcc_lo, v5, 4
	v_add_co_ci_u32_e64 v6, null, 0, v6, vcc_lo
	.p2align	6
.LBB127_12:                             ; =>This Inner Loop Header: Depth=1
	global_load_dwordx2 v[10:11], v[3:4], off
	global_load_dwordx2 v[12:13], v[5:6], off offset:-4
	v_add_nc_u32_e32 v9, 0x100, v9
	v_add_co_u32 v3, vcc_lo, 0x800, v3
	v_add_co_ci_u32_e64 v4, null, 0, v4, vcc_lo
	v_add_co_u32 v5, vcc_lo, v5, s10
	v_cmp_le_i32_e64 s0, s8, v9
	v_add_co_ci_u32_e64 v6, null, s11, v6, vcc_lo
	s_or_b32 s9, s0, s9
	s_waitcnt vmcnt(0)
	v_mul_f32_e32 v14, v13, v11
	v_mul_f32_e32 v11, v12, v11
	v_fma_f32 v12, v12, v10, -v14
	v_fmac_f32_e32 v11, v13, v10
	v_add_f32_e32 v8, v8, v12
	v_add_f32_e32 v7, v7, v11
	s_andn2_b32 exec_lo, exec_lo, s9
	s_cbranch_execnz .LBB127_12
; %bb.13:
	s_or_b32 exec_lo, exec_lo, s9
.LBB127_14:
	s_or_b32 exec_lo, exec_lo, s7
	v_add_nc_u32_e32 v3, s8, v0
	s_mov_b32 s0, exec_lo
	v_cmpx_gt_i32_e64 s30, v3
	s_cbranch_execz .LBB127_16
; %bb.15:
	v_ashrrev_i32_e32 v5, 31, v3
	v_mul_lo_u32 v6, s21, v3
	v_mad_u64_u32 v[3:4], null, s20, v3, 0
	s_lshl_b64 s[4:5], s[4:5], 3
	v_mul_lo_u32 v5, s20, v5
	s_add_u32 s7, s16, s4
	s_addc_u32 s9, s17, s5
	s_lshl_b64 s[4:5], s[18:19], 3
	s_add_u32 s7, s7, s4
	s_addc_u32 s10, s9, s5
	s_ashr_i32 s9, s8, 31
	v_add3_u32 v4, v4, v5, v6
	s_lshl_b64 s[4:5], s[8:9], 3
	v_add_co_u32 v1, vcc_lo, v1, s4
	v_lshlrev_b64 v[3:4], 3, v[3:4]
	v_add_co_ci_u32_e64 v2, null, s5, v2, vcc_lo
	v_add_co_u32 v3, vcc_lo, s7, v3
	v_add_co_ci_u32_e64 v4, null, s10, v4, vcc_lo
	global_load_dwordx2 v[1:2], v[1:2], off
	global_load_dwordx2 v[3:4], v[3:4], off
	s_waitcnt vmcnt(0)
	v_mul_f32_e32 v5, v4, v2
	v_mul_f32_e32 v2, v3, v2
	v_fma_f32 v3, v3, v1, -v5
	v_fmac_f32_e32 v2, v4, v1
	v_add_f32_e32 v8, v8, v3
	v_add_f32_e32 v7, v7, v2
.LBB127_16:
	s_or_b32 exec_lo, exec_lo, s0
	v_and_b32_e32 v1, 31, v0
	v_cmp_gt_u32_e32 vcc_lo, 32, v0
	v_lshlrev_b32_e32 v3, 3, v1
	s_and_saveexec_b32 s0, vcc_lo
; %bb.17:
	v_mov_b32_e32 v4, 0
	v_mov_b32_e32 v5, v4
	ds_write_b64 v3, v[4:5]
; %bb.18:
	s_or_b32 exec_lo, exec_lo, s0
	v_mbcnt_lo_u32_b32 v2, -1, 0
	s_mov_b32 s4, exec_lo
	s_waitcnt lgkmcnt(0)
	s_waitcnt_vscnt null, 0x0
	s_barrier
	buffer_gl0_inv
	v_lshl_or_b32 v4, v2, 2, 64
	v_cmp_gt_u32_e64 s0, 24, v2
	ds_bpermute_b32 v5, v4, v8
	ds_bpermute_b32 v4, v4, v7
	v_cndmask_b32_e64 v6, 0, 8, s0
	v_cmp_gt_u32_e64 s0, 28, v2
	v_add_lshl_u32 v6, v6, v2, 2
	s_waitcnt lgkmcnt(1)
	v_add_f32_e32 v5, v8, v5
	s_waitcnt lgkmcnt(0)
	v_add_f32_e32 v7, v7, v4
	v_cndmask_b32_e64 v4, 0, 4, s0
	v_cmp_gt_u32_e64 s0, 30, v2
	ds_bpermute_b32 v8, v6, v5
	ds_bpermute_b32 v6, v6, v7
	v_add_lshl_u32 v4, v4, v2, 2
	s_waitcnt lgkmcnt(1)
	v_add_f32_e32 v8, v5, v8
	s_waitcnt lgkmcnt(0)
	v_add_f32_e32 v6, v7, v6
	v_cndmask_b32_e64 v5, 0, 2, s0
	v_cmp_ne_u32_e64 s0, 31, v2
	ds_bpermute_b32 v7, v4, v8
	ds_bpermute_b32 v9, v4, v6
	v_add_lshl_u32 v5, v5, v2, 2
	v_add_co_ci_u32_e64 v2, null, 0, v2, s0
	s_waitcnt lgkmcnt(1)
	v_add_f32_e32 v7, v8, v7
	s_waitcnt lgkmcnt(0)
	v_add_f32_e32 v8, v6, v9
	v_lshlrev_b32_e32 v6, 2, v2
	ds_bpermute_b32 v9, v5, v7
	ds_bpermute_b32 v10, v5, v8
	s_waitcnt lgkmcnt(1)
	v_add_f32_e32 v2, v7, v9
	s_waitcnt lgkmcnt(0)
	v_add_f32_e32 v8, v8, v10
	ds_bpermute_b32 v7, v6, v2
	ds_bpermute_b32 v9, v6, v8
	v_cmpx_eq_u32_e32 0, v1
	s_cbranch_execz .LBB127_20
; %bb.19:
	v_lshrrev_b32_e32 v1, 2, v0
	s_waitcnt lgkmcnt(0)
	v_add_f32_e32 v8, v8, v9
	v_add_f32_e32 v7, v2, v7
	v_and_b32_e32 v1, 56, v1
	ds_write_b64 v1, v[7:8]
.LBB127_20:
	s_or_b32 exec_lo, exec_lo, s4
	v_mov_b32_e32 v2, 0
	v_mov_b32_e32 v1, 0
	s_mov_b32 s4, exec_lo
	s_waitcnt lgkmcnt(0)
	s_barrier
	buffer_gl0_inv
	v_cmpx_gt_u32_e32 8, v0
; %bb.21:
	ds_read_b64 v[1:2], v3
; %bb.22:
	s_or_b32 exec_lo, exec_lo, s4
	s_and_saveexec_b32 s0, vcc_lo
	s_cbranch_execz .LBB127_24
; %bb.23:
	s_waitcnt lgkmcnt(0)
	ds_bpermute_b32 v3, v4, v1
	ds_bpermute_b32 v4, v4, v2
	s_waitcnt lgkmcnt(1)
	v_add_f32_e32 v1, v1, v3
	s_waitcnt lgkmcnt(0)
	v_add_f32_e32 v2, v2, v4
	ds_bpermute_b32 v3, v5, v1
	ds_bpermute_b32 v4, v5, v2
	s_waitcnt lgkmcnt(1)
	v_add_f32_e32 v1, v1, v3
	s_waitcnt lgkmcnt(0)
	v_add_f32_e32 v2, v2, v4
	;; [unrolled: 6-line block ×3, first 2 shown]
.LBB127_24:
	s_or_b32 exec_lo, exec_lo, s0
	s_mov_b32 s0, exec_lo
	v_cmpx_eq_u32_e32 0, v0
	s_cbranch_execz .LBB127_28
; %bb.25:
	v_cmp_neq_f32_e64 s0, s2, 0
	v_cmp_neq_f32_e64 s4, s3, 0
	s_waitcnt lgkmcnt(0)
	v_mul_f32_e32 v0, s29, v2
	v_mul_f32_e32 v4, s28, v2
	s_mul_i32 s1, s24, s1
	s_or_b32 s0, s0, s4
	s_mul_hi_u32 s4, s24, s6
	v_fma_f32 v3, v1, s28, -v0
	v_fmac_f32_e32 v4, s29, v1
	s_add_i32 s1, s4, s1
	s_mul_i32 s4, s25, s6
	s_andn2_b32 vcc_lo, exec_lo, s0
	s_add_i32 s1, s1, s4
	s_mul_i32 s0, s24, s6
	s_cbranch_vccnz .LBB127_27
; %bb.26:
	s_lshl_b64 s[4:5], s[0:1], 3
	v_mov_b32_e32 v0, 0
	s_add_u32 s4, s26, s4
	s_addc_u32 s5, s27, s5
	global_load_dwordx2 v[0:1], v0, s[4:5]
	s_waitcnt vmcnt(0)
	v_mul_f32_e32 v2, s3, v1
	v_mul_f32_e32 v1, s2, v1
	v_fma_f32 v2, s2, v0, -v2
	v_fmac_f32_e32 v1, s3, v0
	v_add_f32_e32 v3, v3, v2
	v_add_f32_e32 v4, v4, v1
.LBB127_27:
	s_lshl_b64 s[0:1], s[0:1], 3
	v_mov_b32_e32 v0, 0
	s_add_u32 s0, s26, s0
	s_addc_u32 s1, s27, s1
	global_store_dwordx2 v0, v[3:4], s[0:1]
.LBB127_28:
	s_endpgm
	.section	.rodata,"a",@progbits
	.p2align	6, 0x0
	.amdhsa_kernel _ZL32rocblas_gemvt_warp_reduce_kernelILb0ELi256El19rocblas_complex_numIfES1_S1_EviiT3_lPKT2_lT1_lS5_lS6_lS2_lPT4_lS6_li
		.amdhsa_group_segment_fixed_size 256
		.amdhsa_private_segment_fixed_size 0
		.amdhsa_kernarg_size 140
		.amdhsa_user_sgpr_count 6
		.amdhsa_user_sgpr_private_segment_buffer 1
		.amdhsa_user_sgpr_dispatch_ptr 0
		.amdhsa_user_sgpr_queue_ptr 0
		.amdhsa_user_sgpr_kernarg_segment_ptr 1
		.amdhsa_user_sgpr_dispatch_id 0
		.amdhsa_user_sgpr_flat_scratch_init 0
		.amdhsa_user_sgpr_private_segment_size 0
		.amdhsa_wavefront_size32 1
		.amdhsa_uses_dynamic_stack 0
		.amdhsa_system_sgpr_private_segment_wavefront_offset 0
		.amdhsa_system_sgpr_workgroup_id_x 1
		.amdhsa_system_sgpr_workgroup_id_y 0
		.amdhsa_system_sgpr_workgroup_id_z 1
		.amdhsa_system_sgpr_workgroup_info 0
		.amdhsa_system_vgpr_workitem_id 0
		.amdhsa_next_free_vgpr 15
		.amdhsa_next_free_sgpr 31
		.amdhsa_reserve_vcc 1
		.amdhsa_reserve_flat_scratch 0
		.amdhsa_float_round_mode_32 0
		.amdhsa_float_round_mode_16_64 0
		.amdhsa_float_denorm_mode_32 3
		.amdhsa_float_denorm_mode_16_64 3
		.amdhsa_dx10_clamp 1
		.amdhsa_ieee_mode 1
		.amdhsa_fp16_overflow 0
		.amdhsa_workgroup_processor_mode 1
		.amdhsa_memory_ordered 1
		.amdhsa_forward_progress 1
		.amdhsa_shared_vgpr_count 0
		.amdhsa_exception_fp_ieee_invalid_op 0
		.amdhsa_exception_fp_denorm_src 0
		.amdhsa_exception_fp_ieee_div_zero 0
		.amdhsa_exception_fp_ieee_overflow 0
		.amdhsa_exception_fp_ieee_underflow 0
		.amdhsa_exception_fp_ieee_inexact 0
		.amdhsa_exception_int_div_zero 0
	.end_amdhsa_kernel
	.section	.text._ZL32rocblas_gemvt_warp_reduce_kernelILb0ELi256El19rocblas_complex_numIfES1_S1_EviiT3_lPKT2_lT1_lS5_lS6_lS2_lPT4_lS6_li,"axG",@progbits,_ZL32rocblas_gemvt_warp_reduce_kernelILb0ELi256El19rocblas_complex_numIfES1_S1_EviiT3_lPKT2_lT1_lS5_lS6_lS2_lPT4_lS6_li,comdat
.Lfunc_end127:
	.size	_ZL32rocblas_gemvt_warp_reduce_kernelILb0ELi256El19rocblas_complex_numIfES1_S1_EviiT3_lPKT2_lT1_lS5_lS6_lS2_lPT4_lS6_li, .Lfunc_end127-_ZL32rocblas_gemvt_warp_reduce_kernelILb0ELi256El19rocblas_complex_numIfES1_S1_EviiT3_lPKT2_lT1_lS5_lS6_lS2_lPT4_lS6_li
                                        ; -- End function
	.set _ZL32rocblas_gemvt_warp_reduce_kernelILb0ELi256El19rocblas_complex_numIfES1_S1_EviiT3_lPKT2_lT1_lS5_lS6_lS2_lPT4_lS6_li.num_vgpr, 15
	.set _ZL32rocblas_gemvt_warp_reduce_kernelILb0ELi256El19rocblas_complex_numIfES1_S1_EviiT3_lPKT2_lT1_lS5_lS6_lS2_lPT4_lS6_li.num_agpr, 0
	.set _ZL32rocblas_gemvt_warp_reduce_kernelILb0ELi256El19rocblas_complex_numIfES1_S1_EviiT3_lPKT2_lT1_lS5_lS6_lS2_lPT4_lS6_li.numbered_sgpr, 31
	.set _ZL32rocblas_gemvt_warp_reduce_kernelILb0ELi256El19rocblas_complex_numIfES1_S1_EviiT3_lPKT2_lT1_lS5_lS6_lS2_lPT4_lS6_li.num_named_barrier, 0
	.set _ZL32rocblas_gemvt_warp_reduce_kernelILb0ELi256El19rocblas_complex_numIfES1_S1_EviiT3_lPKT2_lT1_lS5_lS6_lS2_lPT4_lS6_li.private_seg_size, 0
	.set _ZL32rocblas_gemvt_warp_reduce_kernelILb0ELi256El19rocblas_complex_numIfES1_S1_EviiT3_lPKT2_lT1_lS5_lS6_lS2_lPT4_lS6_li.uses_vcc, 1
	.set _ZL32rocblas_gemvt_warp_reduce_kernelILb0ELi256El19rocblas_complex_numIfES1_S1_EviiT3_lPKT2_lT1_lS5_lS6_lS2_lPT4_lS6_li.uses_flat_scratch, 0
	.set _ZL32rocblas_gemvt_warp_reduce_kernelILb0ELi256El19rocblas_complex_numIfES1_S1_EviiT3_lPKT2_lT1_lS5_lS6_lS2_lPT4_lS6_li.has_dyn_sized_stack, 0
	.set _ZL32rocblas_gemvt_warp_reduce_kernelILb0ELi256El19rocblas_complex_numIfES1_S1_EviiT3_lPKT2_lT1_lS5_lS6_lS2_lPT4_lS6_li.has_recursion, 0
	.set _ZL32rocblas_gemvt_warp_reduce_kernelILb0ELi256El19rocblas_complex_numIfES1_S1_EviiT3_lPKT2_lT1_lS5_lS6_lS2_lPT4_lS6_li.has_indirect_call, 0
	.section	.AMDGPU.csdata,"",@progbits
; Kernel info:
; codeLenInByte = 1684
; TotalNumSgprs: 33
; NumVgprs: 15
; ScratchSize: 0
; MemoryBound: 0
; FloatMode: 240
; IeeeMode: 1
; LDSByteSize: 256 bytes/workgroup (compile time only)
; SGPRBlocks: 0
; VGPRBlocks: 1
; NumSGPRsForWavesPerEU: 33
; NumVGPRsForWavesPerEU: 15
; Occupancy: 16
; WaveLimiterHint : 1
; COMPUTE_PGM_RSRC2:SCRATCH_EN: 0
; COMPUTE_PGM_RSRC2:USER_SGPR: 6
; COMPUTE_PGM_RSRC2:TRAP_HANDLER: 0
; COMPUTE_PGM_RSRC2:TGID_X_EN: 1
; COMPUTE_PGM_RSRC2:TGID_Y_EN: 0
; COMPUTE_PGM_RSRC2:TGID_Z_EN: 1
; COMPUTE_PGM_RSRC2:TIDIG_COMP_CNT: 0
	.section	.text._ZL20rocblas_gemvt_kernelILb0ELi256E19rocblas_complex_numIfEPKS1_S1_EviiT2_lPKT1_lilS7_lilS4_lPT3_lili,"axG",@progbits,_ZL20rocblas_gemvt_kernelILb0ELi256E19rocblas_complex_numIfEPKS1_S1_EviiT2_lPKT1_lilS7_lilS4_lPT3_lili,comdat
	.globl	_ZL20rocblas_gemvt_kernelILb0ELi256E19rocblas_complex_numIfEPKS1_S1_EviiT2_lPKT1_lilS7_lilS4_lPT3_lili ; -- Begin function _ZL20rocblas_gemvt_kernelILb0ELi256E19rocblas_complex_numIfEPKS1_S1_EviiT2_lPKT1_lilS7_lilS4_lPT3_lili
	.p2align	8
	.type	_ZL20rocblas_gemvt_kernelILb0ELi256E19rocblas_complex_numIfEPKS1_S1_EviiT2_lPKT1_lilS7_lilS4_lPT3_lili,@function
_ZL20rocblas_gemvt_kernelILb0ELi256E19rocblas_complex_numIfEPKS1_S1_EviiT2_lPKT1_lilS7_lilS4_lPT3_lili: ; @_ZL20rocblas_gemvt_kernelILb0ELi256E19rocblas_complex_numIfEPKS1_S1_EviiT2_lPKT1_lilS7_lilS4_lPT3_lili
; %bb.0:
	s_clause 0x1
	s_load_dwordx8 s[8:15], s[4:5], 0x8
	s_load_dwordx8 s[16:23], s[4:5], 0x50
	s_waitcnt lgkmcnt(0)
	s_mul_i32 s1, s11, s7
	s_mul_hi_u32 s2, s10, s7
	s_mul_i32 s0, s10, s7
	s_add_i32 s1, s2, s1
	s_mul_hi_u32 s2, s20, s7
	s_lshl_b64 s[0:1], s[0:1], 3
	s_add_u32 s0, s8, s0
	s_addc_u32 s1, s9, s1
	s_load_dwordx2 s[10:11], s[0:1], 0x0
	s_mul_i32 s1, s21, s7
	s_mul_i32 s0, s20, s7
	s_add_i32 s1, s2, s1
	s_lshl_b64 s[0:1], s[0:1], 3
	s_add_u32 s0, s18, s0
	s_addc_u32 s1, s19, s1
	s_load_dwordx2 s[8:9], s[0:1], 0x0
	s_waitcnt lgkmcnt(0)
	v_cmp_neq_f32_e64 s0, s10, 0
	v_cmp_neq_f32_e64 s1, s11, 0
	s_or_b32 s0, s0, s1
	s_and_b32 vcc_lo, exec_lo, s0
	s_mov_b32 s0, -1
	s_cbranch_vccnz .LBB128_2
; %bb.1:
	v_cmp_neq_f32_e64 s0, s8, 1.0
	v_cmp_neq_f32_e64 s1, s9, 0
	s_or_b32 s0, s0, s1
.LBB128_2:
	s_andn2_b32 vcc_lo, exec_lo, s0
	s_cbranch_vccnz .LBB128_35
; %bb.3:
	s_clause 0x2
	s_load_dwordx2 s[0:1], s[4:5], 0x80
	s_load_dwordx2 s[2:3], s[4:5], 0x70
	s_load_dword s24, s[4:5], 0x78
	v_cmp_eq_u32_e32 vcc_lo, 0, v0
	s_waitcnt lgkmcnt(0)
	s_mul_i32 s1, s1, s7
	s_mul_hi_u32 s18, s0, s7
	s_mul_i32 s0, s0, s7
	s_add_i32 s1, s18, s1
	s_lshl_b64 s[0:1], s[0:1], 3
	s_add_u32 s18, s22, s0
	s_addc_u32 s19, s23, s1
	s_lshl_b64 s[0:1], s[2:3], 3
	s_add_u32 s20, s18, s0
	s_addc_u32 s21, s19, s1
	s_or_b32 s0, s10, s11
	s_bitset0_b32 s0, 31
	s_cmp_lg_u32 s0, 0
	s_mov_b32 s0, -1
	s_cbranch_scc1 .LBB128_9
; %bb.4:
	s_and_saveexec_b32 s2, vcc_lo
	s_cbranch_execz .LBB128_8
; %bb.5:
	v_cmp_neq_f32_e64 s0, s8, 0
	v_cmp_neq_f32_e64 s1, s9, 0
	v_mov_b32_e32 v2, 0
	v_mov_b32_e32 v3, 0
	;; [unrolled: 1-line block ×3, first 2 shown]
	s_or_b32 s0, s0, s1
	s_mul_hi_i32 s1, s24, s6
	s_andn2_b32 vcc_lo, exec_lo, s0
	s_mul_i32 s0, s24, s6
	s_cbranch_vccnz .LBB128_7
; %bb.6:
	s_lshl_b64 s[18:19], s[0:1], 3
	s_add_u32 s18, s20, s18
	s_addc_u32 s19, s21, s19
	s_load_dwordx2 s[18:19], s[18:19], 0x0
	s_waitcnt lgkmcnt(0)
	v_mul_f32_e64 v1, s9, s19
	v_mul_f32_e64 v2, s8, s19
	v_fma_f32 v1, s8, s18, -v1
	v_fmac_f32_e64 v2, s9, s18
.LBB128_7:
	s_lshl_b64 s[0:1], s[0:1], 3
	s_add_u32 s0, s20, s0
	s_addc_u32 s1, s21, s1
	global_store_dwordx2 v3, v[1:2], s[0:1]
.LBB128_8:
	s_or_b32 exec_lo, exec_lo, s2
	s_mov_b32 s0, 0
.LBB128_9:
	s_andn2_b32 vcc_lo, exec_lo, s0
	s_cbranch_vccnz .LBB128_35
; %bb.10:
	s_clause 0x4
	s_load_dwordx4 s[0:3], s[4:5], 0x30
	s_load_dword s22, s[4:5], 0x0
	s_load_dword s23, s[4:5], 0x28
	s_load_dwordx2 s[18:19], s[4:5], 0x40
	s_load_dword s4, s[4:5], 0x48
	s_mul_i32 s17, s17, s7
	s_mul_hi_u32 s25, s16, s7
	s_mul_i32 s16, s16, s7
	s_add_i32 s17, s25, s17
	v_mov_b32_e32 v2, 0
	s_waitcnt lgkmcnt(0)
	s_mul_i32 s1, s1, s7
	v_cmp_gt_i32_e32 vcc_lo, s22, v0
	s_mul_hi_u32 s5, s0, s7
	s_mul_i32 s0, s0, s7
	s_add_i32 s1, s5, s1
	s_mul_hi_i32 s27, s23, s6
	v_cndmask_b32_e32 v1, 0, v0, vcc_lo
	s_lshl_b64 s[0:1], s[0:1], 3
	s_mul_i32 s26, s23, s6
	s_add_u32 s5, s12, s0
	s_addc_u32 s7, s13, s1
	v_lshlrev_b32_e32 v1, 3, v1
	s_lshl_b64 s[0:1], s[14:15], 3
	s_add_u32 s5, s5, s0
	s_addc_u32 s7, s7, s1
	v_add_co_u32 v1, s5, s5, v1
	v_add_co_ci_u32_e64 v4, null, s7, 0, s5
	s_ashr_i32 s12, s22, 31
	s_lshl_b64 s[0:1], s[26:27], 3
	s_lshr_b32 s12, s12, 24
	v_add_co_u32 v3, vcc_lo, v1, s0
	s_add_i32 s5, s22, s12
	v_add_co_ci_u32_e64 v4, null, s1, v4, vcc_lo
	v_mov_b32_e32 v1, v2
	s_and_b32 s0, s5, 0xffffff00
	s_cmpk_lt_i32 s22, 0x100
	s_mov_b32 s1, 0
	s_cbranch_scc1 .LBB128_13
; %bb.11:
	v_mad_i64_i32 v[5:6], null, s4, v0, 0
	s_lshl_b64 s[14:15], s[18:19], 3
	s_ashr_i32 s5, s4, 31
	s_lshl_b64 s[12:13], s[16:17], 3
	s_add_u32 s7, s2, s14
	s_addc_u32 s14, s3, s15
	s_add_u32 s7, s7, s12
	v_lshlrev_b64 v[5:6], 3, v[5:6]
	s_addc_u32 s12, s14, s13
	v_mov_b32_e32 v2, 0
	v_add_co_u32 v1, vcc_lo, s7, v5
	v_add_co_ci_u32_e64 v8, null, s12, v6, vcc_lo
	v_mov_b32_e32 v6, v4
	v_add_co_u32 v7, vcc_lo, v1, 4
	v_mov_b32_e32 v5, v3
	v_add_co_ci_u32_e64 v8, null, 0, v8, vcc_lo
	v_mov_b32_e32 v1, v2
	s_lshl_b64 s[12:13], s[4:5], 11
	.p2align	6
.LBB128_12:                             ; =>This Inner Loop Header: Depth=1
	global_load_dwordx2 v[9:10], v[5:6], off
	global_load_dwordx2 v[11:12], v[7:8], off offset:-4
	v_add_co_u32 v7, vcc_lo, v7, s12
	v_add_co_ci_u32_e64 v8, null, s13, v8, vcc_lo
	v_add_co_u32 v5, vcc_lo, 0x800, v5
	v_add_co_ci_u32_e64 v6, null, 0, v6, vcc_lo
	s_addk_i32 s1, 0x100
	s_cmp_ge_i32 s1, s0
	s_waitcnt vmcnt(0)
	v_mul_f32_e32 v13, v12, v10
	v_mul_f32_e32 v10, v11, v10
	v_fma_f32 v11, v11, v9, -v13
	v_fmac_f32_e32 v10, v12, v9
	v_add_f32_e32 v1, v1, v11
	v_add_f32_e32 v2, v2, v10
	s_cbranch_scc0 .LBB128_12
.LBB128_13:
	v_add_nc_u32_e32 v5, s0, v0
	s_mov_b32 s5, exec_lo
	v_cmpx_gt_i32_e64 s22, v5
	s_cbranch_execz .LBB128_15
; %bb.14:
	v_mad_i64_i32 v[5:6], null, s4, v5, 0
	s_lshl_b64 s[12:13], s[16:17], 3
	s_add_u32 s1, s2, s12
	s_addc_u32 s7, s3, s13
	s_lshl_b64 s[2:3], s[18:19], 3
	s_add_u32 s2, s1, s2
	s_addc_u32 s3, s7, s3
	s_ashr_i32 s1, s0, 31
	v_lshlrev_b64 v[5:6], 3, v[5:6]
	s_lshl_b64 s[0:1], s[0:1], 3
	v_add_co_u32 v3, vcc_lo, v3, s0
	v_add_co_ci_u32_e64 v4, null, s1, v4, vcc_lo
	v_add_co_u32 v5, vcc_lo, s2, v5
	v_add_co_ci_u32_e64 v6, null, s3, v6, vcc_lo
	global_load_dwordx2 v[3:4], v[3:4], off
	global_load_dwordx2 v[5:6], v[5:6], off
	s_waitcnt vmcnt(0)
	v_mul_f32_e32 v7, v6, v4
	v_mul_f32_e32 v4, v5, v4
	v_fma_f32 v5, v5, v3, -v7
	v_fmac_f32_e32 v4, v6, v3
	v_add_f32_e32 v1, v1, v5
	v_add_f32_e32 v2, v2, v4
.LBB128_15:
	s_or_b32 exec_lo, exec_lo, s5
	v_lshlrev_b32_e32 v3, 3, v0
	s_mov_b32 s0, exec_lo
	ds_write_b64 v3, v[1:2]
	s_waitcnt lgkmcnt(0)
	s_waitcnt_vscnt null, 0x0
	s_barrier
	buffer_gl0_inv
	v_cmpx_gt_u32_e32 0x80, v0
	s_cbranch_execz .LBB128_17
; %bb.16:
	ds_read2st64_b64 v[4:7], v3 offset1:2
	s_waitcnt lgkmcnt(0)
	v_add_f32_e32 v1, v6, v4
	v_add_f32_e32 v2, v7, v5
	ds_write_b64 v3, v[1:2]
.LBB128_17:
	s_or_b32 exec_lo, exec_lo, s0
	s_mov_b32 s0, exec_lo
	s_waitcnt lgkmcnt(0)
	s_barrier
	buffer_gl0_inv
	v_cmpx_gt_u32_e32 64, v0
	s_cbranch_execz .LBB128_19
; %bb.18:
	ds_read2st64_b64 v[4:7], v3 offset1:1
	s_waitcnt lgkmcnt(0)
	v_add_f32_e32 v1, v6, v4
	v_add_f32_e32 v2, v7, v5
	ds_write_b64 v3, v[1:2]
.LBB128_19:
	s_or_b32 exec_lo, exec_lo, s0
	s_mov_b32 s0, exec_lo
	s_waitcnt lgkmcnt(0)
	s_barrier
	buffer_gl0_inv
	v_cmpx_gt_u32_e32 32, v0
	s_cbranch_execz .LBB128_21
; %bb.20:
	ds_read2_b64 v[4:7], v3 offset1:32
	s_waitcnt lgkmcnt(0)
	v_add_f32_e32 v1, v6, v4
	v_add_f32_e32 v2, v7, v5
	ds_write_b64 v3, v[1:2]
.LBB128_21:
	s_or_b32 exec_lo, exec_lo, s0
	s_mov_b32 s0, exec_lo
	s_waitcnt lgkmcnt(0)
	s_barrier
	buffer_gl0_inv
	v_cmpx_gt_u32_e32 16, v0
	s_cbranch_execz .LBB128_23
; %bb.22:
	ds_read2_b64 v[4:7], v3 offset1:16
	s_waitcnt lgkmcnt(0)
	v_add_f32_e32 v1, v6, v4
	v_add_f32_e32 v2, v7, v5
	ds_write_b64 v3, v[1:2]
.LBB128_23:
	;; [unrolled: 14-line block ×5, first 2 shown]
	s_or_b32 exec_lo, exec_lo, s0
	v_cmp_eq_u32_e32 vcc_lo, 0, v0
	s_waitcnt lgkmcnt(0)
	s_barrier
	buffer_gl0_inv
	s_and_saveexec_b32 s0, vcc_lo
	s_cbranch_execz .LBB128_31
; %bb.30:
	v_mov_b32_e32 v4, 0
	ds_read_b128 v[0:3], v4
	s_waitcnt lgkmcnt(0)
	v_add_f32_e32 v0, v2, v0
	v_add_f32_e32 v1, v3, v1
	ds_write_b64 v4, v[0:1]
.LBB128_31:
	s_or_b32 exec_lo, exec_lo, s0
	s_waitcnt lgkmcnt(0)
	s_barrier
	buffer_gl0_inv
	s_and_saveexec_b32 s0, vcc_lo
	s_cbranch_execz .LBB128_35
; %bb.32:
	v_mov_b32_e32 v2, 0
	v_cmp_neq_f32_e64 s0, s8, 0
	v_cmp_neq_f32_e64 s1, s9, 0
	ds_read_b64 v[3:4], v2
	s_or_b32 s0, s0, s1
	s_mul_hi_i32 s1, s24, s6
	s_andn2_b32 vcc_lo, exec_lo, s0
	s_mul_i32 s0, s24, s6
	s_waitcnt lgkmcnt(0)
	v_mul_f32_e32 v0, s11, v4
	v_mul_f32_e32 v1, s10, v4
	v_fma_f32 v0, v3, s10, -v0
	v_fmac_f32_e32 v1, s11, v3
	s_cbranch_vccnz .LBB128_34
; %bb.33:
	s_lshl_b64 s[2:3], s[0:1], 3
	s_add_u32 s2, s20, s2
	s_addc_u32 s3, s21, s3
	global_load_dwordx2 v[3:4], v2, s[2:3]
	s_waitcnt vmcnt(0)
	v_mul_f32_e32 v5, s9, v4
	v_mul_f32_e32 v4, s8, v4
	v_fma_f32 v5, s8, v3, -v5
	v_fmac_f32_e32 v4, s9, v3
	v_add_f32_e32 v0, v0, v5
	v_add_f32_e32 v1, v1, v4
.LBB128_34:
	s_lshl_b64 s[0:1], s[0:1], 3
	s_add_u32 s0, s20, s0
	s_addc_u32 s1, s21, s1
	global_store_dwordx2 v2, v[0:1], s[0:1]
.LBB128_35:
	s_endpgm
	.section	.rodata,"a",@progbits
	.p2align	6, 0x0
	.amdhsa_kernel _ZL20rocblas_gemvt_kernelILb0ELi256E19rocblas_complex_numIfEPKS1_S1_EviiT2_lPKT1_lilS7_lilS4_lPT3_lili
		.amdhsa_group_segment_fixed_size 2048
		.amdhsa_private_segment_fixed_size 0
		.amdhsa_kernarg_size 140
		.amdhsa_user_sgpr_count 6
		.amdhsa_user_sgpr_private_segment_buffer 1
		.amdhsa_user_sgpr_dispatch_ptr 0
		.amdhsa_user_sgpr_queue_ptr 0
		.amdhsa_user_sgpr_kernarg_segment_ptr 1
		.amdhsa_user_sgpr_dispatch_id 0
		.amdhsa_user_sgpr_flat_scratch_init 0
		.amdhsa_user_sgpr_private_segment_size 0
		.amdhsa_wavefront_size32 1
		.amdhsa_uses_dynamic_stack 0
		.amdhsa_system_sgpr_private_segment_wavefront_offset 0
		.amdhsa_system_sgpr_workgroup_id_x 1
		.amdhsa_system_sgpr_workgroup_id_y 0
		.amdhsa_system_sgpr_workgroup_id_z 1
		.amdhsa_system_sgpr_workgroup_info 0
		.amdhsa_system_vgpr_workitem_id 0
		.amdhsa_next_free_vgpr 14
		.amdhsa_next_free_sgpr 28
		.amdhsa_reserve_vcc 1
		.amdhsa_reserve_flat_scratch 0
		.amdhsa_float_round_mode_32 0
		.amdhsa_float_round_mode_16_64 0
		.amdhsa_float_denorm_mode_32 3
		.amdhsa_float_denorm_mode_16_64 3
		.amdhsa_dx10_clamp 1
		.amdhsa_ieee_mode 1
		.amdhsa_fp16_overflow 0
		.amdhsa_workgroup_processor_mode 1
		.amdhsa_memory_ordered 1
		.amdhsa_forward_progress 1
		.amdhsa_shared_vgpr_count 0
		.amdhsa_exception_fp_ieee_invalid_op 0
		.amdhsa_exception_fp_denorm_src 0
		.amdhsa_exception_fp_ieee_div_zero 0
		.amdhsa_exception_fp_ieee_overflow 0
		.amdhsa_exception_fp_ieee_underflow 0
		.amdhsa_exception_fp_ieee_inexact 0
		.amdhsa_exception_int_div_zero 0
	.end_amdhsa_kernel
	.section	.text._ZL20rocblas_gemvt_kernelILb0ELi256E19rocblas_complex_numIfEPKS1_S1_EviiT2_lPKT1_lilS7_lilS4_lPT3_lili,"axG",@progbits,_ZL20rocblas_gemvt_kernelILb0ELi256E19rocblas_complex_numIfEPKS1_S1_EviiT2_lPKT1_lilS7_lilS4_lPT3_lili,comdat
.Lfunc_end128:
	.size	_ZL20rocblas_gemvt_kernelILb0ELi256E19rocblas_complex_numIfEPKS1_S1_EviiT2_lPKT1_lilS7_lilS4_lPT3_lili, .Lfunc_end128-_ZL20rocblas_gemvt_kernelILb0ELi256E19rocblas_complex_numIfEPKS1_S1_EviiT2_lPKT1_lilS7_lilS4_lPT3_lili
                                        ; -- End function
	.set _ZL20rocblas_gemvt_kernelILb0ELi256E19rocblas_complex_numIfEPKS1_S1_EviiT2_lPKT1_lilS7_lilS4_lPT3_lili.num_vgpr, 14
	.set _ZL20rocblas_gemvt_kernelILb0ELi256E19rocblas_complex_numIfEPKS1_S1_EviiT2_lPKT1_lilS7_lilS4_lPT3_lili.num_agpr, 0
	.set _ZL20rocblas_gemvt_kernelILb0ELi256E19rocblas_complex_numIfEPKS1_S1_EviiT2_lPKT1_lilS7_lilS4_lPT3_lili.numbered_sgpr, 28
	.set _ZL20rocblas_gemvt_kernelILb0ELi256E19rocblas_complex_numIfEPKS1_S1_EviiT2_lPKT1_lilS7_lilS4_lPT3_lili.num_named_barrier, 0
	.set _ZL20rocblas_gemvt_kernelILb0ELi256E19rocblas_complex_numIfEPKS1_S1_EviiT2_lPKT1_lilS7_lilS4_lPT3_lili.private_seg_size, 0
	.set _ZL20rocblas_gemvt_kernelILb0ELi256E19rocblas_complex_numIfEPKS1_S1_EviiT2_lPKT1_lilS7_lilS4_lPT3_lili.uses_vcc, 1
	.set _ZL20rocblas_gemvt_kernelILb0ELi256E19rocblas_complex_numIfEPKS1_S1_EviiT2_lPKT1_lilS7_lilS4_lPT3_lili.uses_flat_scratch, 0
	.set _ZL20rocblas_gemvt_kernelILb0ELi256E19rocblas_complex_numIfEPKS1_S1_EviiT2_lPKT1_lilS7_lilS4_lPT3_lili.has_dyn_sized_stack, 0
	.set _ZL20rocblas_gemvt_kernelILb0ELi256E19rocblas_complex_numIfEPKS1_S1_EviiT2_lPKT1_lilS7_lilS4_lPT3_lili.has_recursion, 0
	.set _ZL20rocblas_gemvt_kernelILb0ELi256E19rocblas_complex_numIfEPKS1_S1_EviiT2_lPKT1_lilS7_lilS4_lPT3_lili.has_indirect_call, 0
	.section	.AMDGPU.csdata,"",@progbits
; Kernel info:
; codeLenInByte = 1628
; TotalNumSgprs: 30
; NumVgprs: 14
; ScratchSize: 0
; MemoryBound: 0
; FloatMode: 240
; IeeeMode: 1
; LDSByteSize: 2048 bytes/workgroup (compile time only)
; SGPRBlocks: 0
; VGPRBlocks: 1
; NumSGPRsForWavesPerEU: 30
; NumVGPRsForWavesPerEU: 14
; Occupancy: 16
; WaveLimiterHint : 1
; COMPUTE_PGM_RSRC2:SCRATCH_EN: 0
; COMPUTE_PGM_RSRC2:USER_SGPR: 6
; COMPUTE_PGM_RSRC2:TRAP_HANDLER: 0
; COMPUTE_PGM_RSRC2:TGID_X_EN: 1
; COMPUTE_PGM_RSRC2:TGID_Y_EN: 0
; COMPUTE_PGM_RSRC2:TGID_Z_EN: 1
; COMPUTE_PGM_RSRC2:TIDIG_COMP_CNT: 0
	.section	.text._ZL20rocblas_gemvt_kernelILb0ELi256E19rocblas_complex_numIfES1_S1_EviiT2_lPKT1_lilS5_lilS2_lPT3_lili,"axG",@progbits,_ZL20rocblas_gemvt_kernelILb0ELi256E19rocblas_complex_numIfES1_S1_EviiT2_lPKT1_lilS5_lilS2_lPT3_lili,comdat
	.globl	_ZL20rocblas_gemvt_kernelILb0ELi256E19rocblas_complex_numIfES1_S1_EviiT2_lPKT1_lilS5_lilS2_lPT3_lili ; -- Begin function _ZL20rocblas_gemvt_kernelILb0ELi256E19rocblas_complex_numIfES1_S1_EviiT2_lPKT1_lilS5_lilS2_lPT3_lili
	.p2align	8
	.type	_ZL20rocblas_gemvt_kernelILb0ELi256E19rocblas_complex_numIfES1_S1_EviiT2_lPKT1_lilS5_lilS2_lPT3_lili,@function
_ZL20rocblas_gemvt_kernelILb0ELi256E19rocblas_complex_numIfES1_S1_EviiT2_lPKT1_lilS5_lilS2_lPT3_lili: ; @_ZL20rocblas_gemvt_kernelILb0ELi256E19rocblas_complex_numIfES1_S1_EviiT2_lPKT1_lilS5_lilS2_lPT3_lili
; %bb.0:
	s_clause 0x1
	s_load_dwordx2 s[10:11], s[4:5], 0x8
	s_load_dwordx2 s[8:9], s[4:5], 0x58
	s_waitcnt lgkmcnt(0)
	v_cmp_neq_f32_e64 s0, s10, 0
	v_cmp_neq_f32_e64 s1, s11, 0
	s_or_b32 s0, s0, s1
	s_and_b32 vcc_lo, exec_lo, s0
	s_mov_b32 s0, -1
	s_cbranch_vccnz .LBB129_2
; %bb.1:
	v_cmp_neq_f32_e64 s0, s8, 1.0
	v_cmp_neq_f32_e64 s1, s9, 0
	s_or_b32 s0, s0, s1
.LBB129_2:
	s_andn2_b32 vcc_lo, exec_lo, s0
	s_cbranch_vccnz .LBB129_35
; %bb.3:
	s_clause 0x2
	s_load_dwordx2 s[12:13], s[4:5], 0x80
	s_load_dwordx4 s[0:3], s[4:5], 0x68
	s_load_dword s20, s[4:5], 0x78
	v_cmp_eq_u32_e32 vcc_lo, 0, v0
	s_waitcnt lgkmcnt(0)
	s_mul_i32 s13, s13, s7
	s_mul_hi_u32 s14, s12, s7
	s_mul_i32 s12, s12, s7
	s_add_i32 s13, s14, s13
	s_lshl_b64 s[12:13], s[12:13], 3
	s_add_u32 s12, s0, s12
	s_addc_u32 s13, s1, s13
	s_lshl_b64 s[0:1], s[2:3], 3
	s_add_u32 s18, s12, s0
	s_addc_u32 s19, s13, s1
	s_or_b32 s0, s10, s11
	s_bitset0_b32 s0, 31
	s_cmp_lg_u32 s0, 0
	s_mov_b32 s0, -1
	s_cbranch_scc1 .LBB129_9
; %bb.4:
	s_and_saveexec_b32 s2, vcc_lo
	s_cbranch_execz .LBB129_8
; %bb.5:
	v_cmp_neq_f32_e64 s0, s8, 0
	v_cmp_neq_f32_e64 s1, s9, 0
	v_mov_b32_e32 v2, 0
	v_mov_b32_e32 v3, 0
	;; [unrolled: 1-line block ×3, first 2 shown]
	s_or_b32 s0, s0, s1
	s_mul_hi_i32 s1, s20, s6
	s_andn2_b32 vcc_lo, exec_lo, s0
	s_mul_i32 s0, s20, s6
	s_cbranch_vccnz .LBB129_7
; %bb.6:
	s_lshl_b64 s[12:13], s[0:1], 3
	s_add_u32 s12, s18, s12
	s_addc_u32 s13, s19, s13
	s_load_dwordx2 s[12:13], s[12:13], 0x0
	s_waitcnt lgkmcnt(0)
	v_mul_f32_e64 v1, s9, s13
	v_mul_f32_e64 v2, s8, s13
	v_fma_f32 v1, s8, s12, -v1
	v_fmac_f32_e64 v2, s9, s12
.LBB129_7:
	s_lshl_b64 s[0:1], s[0:1], 3
	s_add_u32 s0, s18, s0
	s_addc_u32 s1, s19, s1
	global_store_dwordx2 v3, v[1:2], s[0:1]
.LBB129_8:
	s_or_b32 exec_lo, exec_lo, s2
	s_mov_b32 s0, 0
.LBB129_9:
	s_andn2_b32 vcc_lo, exec_lo, s0
	s_cbranch_vccnz .LBB129_35
; %bb.10:
	s_clause 0x6
	s_load_dwordx2 s[14:15], s[4:5], 0x50
	s_load_dwordx4 s[0:3], s[4:5], 0x30
	s_load_dword s21, s[4:5], 0x0
	s_load_dword s16, s[4:5], 0x28
	s_load_dwordx4 s[24:27], s[4:5], 0x18
	s_load_dwordx2 s[12:13], s[4:5], 0x40
	s_load_dword s4, s[4:5], 0x48
	v_mov_b32_e32 v2, 0
	s_waitcnt lgkmcnt(0)
	s_mul_i32 s5, s15, s7
	s_mul_i32 s1, s1, s7
	v_cmp_gt_i32_e32 vcc_lo, s21, v0
	s_mul_hi_u32 s22, s0, s7
	s_mul_i32 s0, s0, s7
	s_add_i32 s1, s22, s1
	s_mul_hi_u32 s15, s14, s7
	v_cndmask_b32_e32 v1, 0, v0, vcc_lo
	s_lshl_b64 s[0:1], s[0:1], 3
	s_add_i32 s15, s15, s5
	s_add_u32 s5, s24, s0
	s_mul_i32 s14, s14, s7
	v_lshlrev_b32_e32 v1, 3, v1
	s_addc_u32 s7, s25, s1
	s_lshl_b64 s[0:1], s[26:27], 3
	s_mul_hi_i32 s17, s16, s6
	s_add_u32 s5, s5, s0
	s_addc_u32 s7, s7, s1
	v_add_co_u32 v1, s5, s5, v1
	s_mul_i32 s16, s16, s6
	v_add_co_ci_u32_e64 v4, null, s7, 0, s5
	s_lshl_b64 s[0:1], s[16:17], 3
	s_ashr_i32 s16, s21, 31
	v_add_co_u32 v3, vcc_lo, v1, s0
	s_lshr_b32 s5, s16, 24
	v_add_co_ci_u32_e64 v4, null, s1, v4, vcc_lo
	s_add_i32 s0, s21, s5
	v_mov_b32_e32 v1, v2
	s_and_b32 s0, s0, 0xffffff00
	s_cmpk_lt_i32 s21, 0x100
	s_mov_b32 s1, 0
	s_cbranch_scc1 .LBB129_13
; %bb.11:
	v_mad_i64_i32 v[5:6], null, s4, v0, 0
	s_lshl_b64 s[22:23], s[12:13], 3
	s_ashr_i32 s5, s4, 31
	s_lshl_b64 s[16:17], s[14:15], 3
	s_add_u32 s7, s2, s22
	s_addc_u32 s22, s3, s23
	s_add_u32 s7, s7, s16
	v_lshlrev_b64 v[5:6], 3, v[5:6]
	s_addc_u32 s16, s22, s17
	v_mov_b32_e32 v2, 0
	v_add_co_u32 v1, vcc_lo, s7, v5
	v_add_co_ci_u32_e64 v8, null, s16, v6, vcc_lo
	v_mov_b32_e32 v6, v4
	v_add_co_u32 v7, vcc_lo, v1, 4
	v_mov_b32_e32 v5, v3
	v_add_co_ci_u32_e64 v8, null, 0, v8, vcc_lo
	v_mov_b32_e32 v1, v2
	s_lshl_b64 s[16:17], s[4:5], 11
	.p2align	6
.LBB129_12:                             ; =>This Inner Loop Header: Depth=1
	global_load_dwordx2 v[9:10], v[5:6], off
	global_load_dwordx2 v[11:12], v[7:8], off offset:-4
	v_add_co_u32 v7, vcc_lo, v7, s16
	v_add_co_ci_u32_e64 v8, null, s17, v8, vcc_lo
	v_add_co_u32 v5, vcc_lo, 0x800, v5
	v_add_co_ci_u32_e64 v6, null, 0, v6, vcc_lo
	s_addk_i32 s1, 0x100
	s_cmp_ge_i32 s1, s0
	s_waitcnt vmcnt(0)
	v_mul_f32_e32 v13, v12, v10
	v_mul_f32_e32 v10, v11, v10
	v_fma_f32 v11, v11, v9, -v13
	v_fmac_f32_e32 v10, v12, v9
	v_add_f32_e32 v1, v1, v11
	v_add_f32_e32 v2, v2, v10
	s_cbranch_scc0 .LBB129_12
.LBB129_13:
	v_add_nc_u32_e32 v5, s0, v0
	s_mov_b32 s5, exec_lo
	v_cmpx_gt_i32_e64 s21, v5
	s_cbranch_execz .LBB129_15
; %bb.14:
	v_mad_i64_i32 v[5:6], null, s4, v5, 0
	s_lshl_b64 s[14:15], s[14:15], 3
	s_add_u32 s1, s2, s14
	s_addc_u32 s7, s3, s15
	s_lshl_b64 s[2:3], s[12:13], 3
	s_add_u32 s2, s1, s2
	s_addc_u32 s3, s7, s3
	s_ashr_i32 s1, s0, 31
	v_lshlrev_b64 v[5:6], 3, v[5:6]
	s_lshl_b64 s[0:1], s[0:1], 3
	v_add_co_u32 v3, vcc_lo, v3, s0
	v_add_co_ci_u32_e64 v4, null, s1, v4, vcc_lo
	v_add_co_u32 v5, vcc_lo, s2, v5
	v_add_co_ci_u32_e64 v6, null, s3, v6, vcc_lo
	global_load_dwordx2 v[3:4], v[3:4], off
	global_load_dwordx2 v[5:6], v[5:6], off
	s_waitcnt vmcnt(0)
	v_mul_f32_e32 v7, v6, v4
	v_mul_f32_e32 v4, v5, v4
	v_fma_f32 v5, v5, v3, -v7
	v_fmac_f32_e32 v4, v6, v3
	v_add_f32_e32 v1, v1, v5
	v_add_f32_e32 v2, v2, v4
.LBB129_15:
	s_or_b32 exec_lo, exec_lo, s5
	v_lshlrev_b32_e32 v3, 3, v0
	s_mov_b32 s0, exec_lo
	ds_write_b64 v3, v[1:2]
	s_waitcnt lgkmcnt(0)
	s_waitcnt_vscnt null, 0x0
	s_barrier
	buffer_gl0_inv
	v_cmpx_gt_u32_e32 0x80, v0
	s_cbranch_execz .LBB129_17
; %bb.16:
	ds_read2st64_b64 v[4:7], v3 offset1:2
	s_waitcnt lgkmcnt(0)
	v_add_f32_e32 v1, v6, v4
	v_add_f32_e32 v2, v7, v5
	ds_write_b64 v3, v[1:2]
.LBB129_17:
	s_or_b32 exec_lo, exec_lo, s0
	s_mov_b32 s0, exec_lo
	s_waitcnt lgkmcnt(0)
	s_barrier
	buffer_gl0_inv
	v_cmpx_gt_u32_e32 64, v0
	s_cbranch_execz .LBB129_19
; %bb.18:
	ds_read2st64_b64 v[4:7], v3 offset1:1
	s_waitcnt lgkmcnt(0)
	v_add_f32_e32 v1, v6, v4
	v_add_f32_e32 v2, v7, v5
	ds_write_b64 v3, v[1:2]
.LBB129_19:
	s_or_b32 exec_lo, exec_lo, s0
	s_mov_b32 s0, exec_lo
	s_waitcnt lgkmcnt(0)
	s_barrier
	buffer_gl0_inv
	v_cmpx_gt_u32_e32 32, v0
	s_cbranch_execz .LBB129_21
; %bb.20:
	ds_read2_b64 v[4:7], v3 offset1:32
	s_waitcnt lgkmcnt(0)
	v_add_f32_e32 v1, v6, v4
	v_add_f32_e32 v2, v7, v5
	ds_write_b64 v3, v[1:2]
.LBB129_21:
	s_or_b32 exec_lo, exec_lo, s0
	s_mov_b32 s0, exec_lo
	s_waitcnt lgkmcnt(0)
	s_barrier
	buffer_gl0_inv
	v_cmpx_gt_u32_e32 16, v0
	s_cbranch_execz .LBB129_23
; %bb.22:
	ds_read2_b64 v[4:7], v3 offset1:16
	s_waitcnt lgkmcnt(0)
	v_add_f32_e32 v1, v6, v4
	v_add_f32_e32 v2, v7, v5
	ds_write_b64 v3, v[1:2]
.LBB129_23:
	s_or_b32 exec_lo, exec_lo, s0
	s_mov_b32 s0, exec_lo
	s_waitcnt lgkmcnt(0)
	s_barrier
	buffer_gl0_inv
	v_cmpx_gt_u32_e32 8, v0
	s_cbranch_execz .LBB129_25
; %bb.24:
	ds_read2_b64 v[4:7], v3 offset1:8
	s_waitcnt lgkmcnt(0)
	v_add_f32_e32 v1, v6, v4
	v_add_f32_e32 v2, v7, v5
	ds_write_b64 v3, v[1:2]
.LBB129_25:
	s_or_b32 exec_lo, exec_lo, s0
	s_mov_b32 s0, exec_lo
	s_waitcnt lgkmcnt(0)
	s_barrier
	buffer_gl0_inv
	v_cmpx_gt_u32_e32 4, v0
	s_cbranch_execz .LBB129_27
; %bb.26:
	ds_read2_b64 v[4:7], v3 offset1:4
	s_waitcnt lgkmcnt(0)
	v_add_f32_e32 v1, v6, v4
	v_add_f32_e32 v2, v7, v5
	ds_write_b64 v3, v[1:2]
.LBB129_27:
	s_or_b32 exec_lo, exec_lo, s0
	s_mov_b32 s0, exec_lo
	s_waitcnt lgkmcnt(0)
	s_barrier
	buffer_gl0_inv
	v_cmpx_gt_u32_e32 2, v0
	s_cbranch_execz .LBB129_29
; %bb.28:
	ds_read2_b64 v[4:7], v3 offset1:2
	s_waitcnt lgkmcnt(0)
	v_add_f32_e32 v1, v6, v4
	v_add_f32_e32 v2, v7, v5
	ds_write_b64 v3, v[1:2]
.LBB129_29:
	s_or_b32 exec_lo, exec_lo, s0
	v_cmp_eq_u32_e32 vcc_lo, 0, v0
	s_waitcnt lgkmcnt(0)
	s_barrier
	buffer_gl0_inv
	s_and_saveexec_b32 s0, vcc_lo
	s_cbranch_execz .LBB129_31
; %bb.30:
	v_mov_b32_e32 v4, 0
	ds_read_b128 v[0:3], v4
	s_waitcnt lgkmcnt(0)
	v_add_f32_e32 v0, v2, v0
	v_add_f32_e32 v1, v3, v1
	ds_write_b64 v4, v[0:1]
.LBB129_31:
	s_or_b32 exec_lo, exec_lo, s0
	s_waitcnt lgkmcnt(0)
	s_barrier
	buffer_gl0_inv
	s_and_saveexec_b32 s0, vcc_lo
	s_cbranch_execz .LBB129_35
; %bb.32:
	v_mov_b32_e32 v2, 0
	v_cmp_neq_f32_e64 s0, s8, 0
	v_cmp_neq_f32_e64 s1, s9, 0
	ds_read_b64 v[3:4], v2
	s_or_b32 s0, s0, s1
	s_mul_hi_i32 s1, s20, s6
	s_andn2_b32 vcc_lo, exec_lo, s0
	s_mul_i32 s0, s20, s6
	s_waitcnt lgkmcnt(0)
	v_mul_f32_e32 v0, s11, v4
	v_mul_f32_e32 v1, s10, v4
	v_fma_f32 v0, v3, s10, -v0
	v_fmac_f32_e32 v1, s11, v3
	s_cbranch_vccnz .LBB129_34
; %bb.33:
	s_lshl_b64 s[2:3], s[0:1], 3
	s_add_u32 s2, s18, s2
	s_addc_u32 s3, s19, s3
	global_load_dwordx2 v[3:4], v2, s[2:3]
	s_waitcnt vmcnt(0)
	v_mul_f32_e32 v5, s9, v4
	v_mul_f32_e32 v4, s8, v4
	v_fma_f32 v5, s8, v3, -v5
	v_fmac_f32_e32 v4, s9, v3
	v_add_f32_e32 v0, v0, v5
	v_add_f32_e32 v1, v1, v4
.LBB129_34:
	s_lshl_b64 s[0:1], s[0:1], 3
	s_add_u32 s0, s18, s0
	s_addc_u32 s1, s19, s1
	global_store_dwordx2 v2, v[0:1], s[0:1]
.LBB129_35:
	s_endpgm
	.section	.rodata,"a",@progbits
	.p2align	6, 0x0
	.amdhsa_kernel _ZL20rocblas_gemvt_kernelILb0ELi256E19rocblas_complex_numIfES1_S1_EviiT2_lPKT1_lilS5_lilS2_lPT3_lili
		.amdhsa_group_segment_fixed_size 2048
		.amdhsa_private_segment_fixed_size 0
		.amdhsa_kernarg_size 140
		.amdhsa_user_sgpr_count 6
		.amdhsa_user_sgpr_private_segment_buffer 1
		.amdhsa_user_sgpr_dispatch_ptr 0
		.amdhsa_user_sgpr_queue_ptr 0
		.amdhsa_user_sgpr_kernarg_segment_ptr 1
		.amdhsa_user_sgpr_dispatch_id 0
		.amdhsa_user_sgpr_flat_scratch_init 0
		.amdhsa_user_sgpr_private_segment_size 0
		.amdhsa_wavefront_size32 1
		.amdhsa_uses_dynamic_stack 0
		.amdhsa_system_sgpr_private_segment_wavefront_offset 0
		.amdhsa_system_sgpr_workgroup_id_x 1
		.amdhsa_system_sgpr_workgroup_id_y 0
		.amdhsa_system_sgpr_workgroup_id_z 1
		.amdhsa_system_sgpr_workgroup_info 0
		.amdhsa_system_vgpr_workitem_id 0
		.amdhsa_next_free_vgpr 14
		.amdhsa_next_free_sgpr 28
		.amdhsa_reserve_vcc 1
		.amdhsa_reserve_flat_scratch 0
		.amdhsa_float_round_mode_32 0
		.amdhsa_float_round_mode_16_64 0
		.amdhsa_float_denorm_mode_32 3
		.amdhsa_float_denorm_mode_16_64 3
		.amdhsa_dx10_clamp 1
		.amdhsa_ieee_mode 1
		.amdhsa_fp16_overflow 0
		.amdhsa_workgroup_processor_mode 1
		.amdhsa_memory_ordered 1
		.amdhsa_forward_progress 1
		.amdhsa_shared_vgpr_count 0
		.amdhsa_exception_fp_ieee_invalid_op 0
		.amdhsa_exception_fp_denorm_src 0
		.amdhsa_exception_fp_ieee_div_zero 0
		.amdhsa_exception_fp_ieee_overflow 0
		.amdhsa_exception_fp_ieee_underflow 0
		.amdhsa_exception_fp_ieee_inexact 0
		.amdhsa_exception_int_div_zero 0
	.end_amdhsa_kernel
	.section	.text._ZL20rocblas_gemvt_kernelILb0ELi256E19rocblas_complex_numIfES1_S1_EviiT2_lPKT1_lilS5_lilS2_lPT3_lili,"axG",@progbits,_ZL20rocblas_gemvt_kernelILb0ELi256E19rocblas_complex_numIfES1_S1_EviiT2_lPKT1_lilS5_lilS2_lPT3_lili,comdat
.Lfunc_end129:
	.size	_ZL20rocblas_gemvt_kernelILb0ELi256E19rocblas_complex_numIfES1_S1_EviiT2_lPKT1_lilS5_lilS2_lPT3_lili, .Lfunc_end129-_ZL20rocblas_gemvt_kernelILb0ELi256E19rocblas_complex_numIfES1_S1_EviiT2_lPKT1_lilS5_lilS2_lPT3_lili
                                        ; -- End function
	.set _ZL20rocblas_gemvt_kernelILb0ELi256E19rocblas_complex_numIfES1_S1_EviiT2_lPKT1_lilS5_lilS2_lPT3_lili.num_vgpr, 14
	.set _ZL20rocblas_gemvt_kernelILb0ELi256E19rocblas_complex_numIfES1_S1_EviiT2_lPKT1_lilS5_lilS2_lPT3_lili.num_agpr, 0
	.set _ZL20rocblas_gemvt_kernelILb0ELi256E19rocblas_complex_numIfES1_S1_EviiT2_lPKT1_lilS5_lilS2_lPT3_lili.numbered_sgpr, 28
	.set _ZL20rocblas_gemvt_kernelILb0ELi256E19rocblas_complex_numIfES1_S1_EviiT2_lPKT1_lilS5_lilS2_lPT3_lili.num_named_barrier, 0
	.set _ZL20rocblas_gemvt_kernelILb0ELi256E19rocblas_complex_numIfES1_S1_EviiT2_lPKT1_lilS5_lilS2_lPT3_lili.private_seg_size, 0
	.set _ZL20rocblas_gemvt_kernelILb0ELi256E19rocblas_complex_numIfES1_S1_EviiT2_lPKT1_lilS5_lilS2_lPT3_lili.uses_vcc, 1
	.set _ZL20rocblas_gemvt_kernelILb0ELi256E19rocblas_complex_numIfES1_S1_EviiT2_lPKT1_lilS5_lilS2_lPT3_lili.uses_flat_scratch, 0
	.set _ZL20rocblas_gemvt_kernelILb0ELi256E19rocblas_complex_numIfES1_S1_EviiT2_lPKT1_lilS5_lilS2_lPT3_lili.has_dyn_sized_stack, 0
	.set _ZL20rocblas_gemvt_kernelILb0ELi256E19rocblas_complex_numIfES1_S1_EviiT2_lPKT1_lilS5_lilS2_lPT3_lili.has_recursion, 0
	.set _ZL20rocblas_gemvt_kernelILb0ELi256E19rocblas_complex_numIfES1_S1_EviiT2_lPKT1_lilS5_lilS2_lPT3_lili.has_indirect_call, 0
	.section	.AMDGPU.csdata,"",@progbits
; Kernel info:
; codeLenInByte = 1564
; TotalNumSgprs: 30
; NumVgprs: 14
; ScratchSize: 0
; MemoryBound: 0
; FloatMode: 240
; IeeeMode: 1
; LDSByteSize: 2048 bytes/workgroup (compile time only)
; SGPRBlocks: 0
; VGPRBlocks: 1
; NumSGPRsForWavesPerEU: 30
; NumVGPRsForWavesPerEU: 14
; Occupancy: 16
; WaveLimiterHint : 1
; COMPUTE_PGM_RSRC2:SCRATCH_EN: 0
; COMPUTE_PGM_RSRC2:USER_SGPR: 6
; COMPUTE_PGM_RSRC2:TRAP_HANDLER: 0
; COMPUTE_PGM_RSRC2:TGID_X_EN: 1
; COMPUTE_PGM_RSRC2:TGID_Y_EN: 0
; COMPUTE_PGM_RSRC2:TGID_Z_EN: 1
; COMPUTE_PGM_RSRC2:TIDIG_COMP_CNT: 0
	.section	.text._ZL32rocblas_gemvt_warp_reduce_kernelILb0ELi1024Ei19rocblas_complex_numIfEPKS1_S1_EviiT3_lPKT2_lT1_lS7_lS8_lS4_lPT4_lS8_li,"axG",@progbits,_ZL32rocblas_gemvt_warp_reduce_kernelILb0ELi1024Ei19rocblas_complex_numIfEPKS1_S1_EviiT3_lPKT2_lT1_lS7_lS8_lS4_lPT4_lS8_li,comdat
	.globl	_ZL32rocblas_gemvt_warp_reduce_kernelILb0ELi1024Ei19rocblas_complex_numIfEPKS1_S1_EviiT3_lPKT2_lT1_lS7_lS8_lS4_lPT4_lS8_li ; -- Begin function _ZL32rocblas_gemvt_warp_reduce_kernelILb0ELi1024Ei19rocblas_complex_numIfEPKS1_S1_EviiT3_lPKT2_lT1_lS7_lS8_lS4_lPT4_lS8_li
	.p2align	8
	.type	_ZL32rocblas_gemvt_warp_reduce_kernelILb0ELi1024Ei19rocblas_complex_numIfEPKS1_S1_EviiT3_lPKT2_lT1_lS7_lS8_lS4_lPT4_lS8_li,@function
_ZL32rocblas_gemvt_warp_reduce_kernelILb0ELi1024Ei19rocblas_complex_numIfEPKS1_S1_EviiT3_lPKT2_lT1_lS7_lS8_lS4_lPT4_lS8_li: ; @_ZL32rocblas_gemvt_warp_reduce_kernelILb0ELi1024Ei19rocblas_complex_numIfEPKS1_S1_EviiT3_lPKT2_lT1_lS7_lS8_lS4_lPT4_lS8_li
; %bb.0:
	s_clause 0x1
	s_load_dwordx8 s[8:15], s[4:5], 0x8
	s_load_dwordx8 s[16:23], s[4:5], 0x50
	s_waitcnt lgkmcnt(0)
	s_mul_i32 s1, s11, s7
	s_mul_hi_u32 s2, s10, s7
	s_mul_i32 s0, s10, s7
	s_add_i32 s1, s2, s1
	s_mul_hi_u32 s2, s20, s7
	s_lshl_b64 s[0:1], s[0:1], 3
	s_add_u32 s0, s8, s0
	s_addc_u32 s1, s9, s1
	s_load_dwordx2 s[8:9], s[0:1], 0x0
	s_mul_i32 s1, s21, s7
	s_mul_i32 s0, s20, s7
	s_add_i32 s1, s2, s1
	s_lshl_b64 s[0:1], s[0:1], 3
	s_add_u32 s0, s18, s0
	s_addc_u32 s1, s19, s1
	s_load_dwordx2 s[2:3], s[0:1], 0x0
	s_waitcnt lgkmcnt(0)
	v_cmp_neq_f32_e64 s0, s8, 0
	v_cmp_neq_f32_e64 s1, s9, 0
	s_or_b32 s0, s0, s1
	s_and_b32 vcc_lo, exec_lo, s0
	s_mov_b32 s0, -1
	s_cbranch_vccnz .LBB130_2
; %bb.1:
	v_cmp_neq_f32_e64 s0, s2, 1.0
	v_cmp_neq_f32_e64 s1, s3, 0
	s_or_b32 s0, s0, s1
.LBB130_2:
	s_andn2_b32 vcc_lo, exec_lo, s0
	s_cbranch_vccnz .LBB130_28
; %bb.3:
	s_clause 0x2
	s_load_dwordx2 s[0:1], s[4:5], 0x80
	s_load_dwordx2 s[10:11], s[4:5], 0x70
	s_load_dword s18, s[4:5], 0x78
	v_cmp_eq_u32_e32 vcc_lo, 0, v0
	s_waitcnt lgkmcnt(0)
	s_mul_i32 s1, s1, s7
	s_mul_hi_u32 s19, s0, s7
	s_mul_i32 s0, s0, s7
	s_add_i32 s1, s19, s1
	s_lshl_b64 s[0:1], s[0:1], 3
	s_add_u32 s19, s22, s0
	s_addc_u32 s20, s23, s1
	s_lshl_b64 s[0:1], s[10:11], 3
	s_add_u32 s10, s19, s0
	s_addc_u32 s11, s20, s1
	s_or_b32 s0, s8, s9
	s_bitset0_b32 s0, 31
	s_cmp_lg_u32 s0, 0
	s_mov_b32 s0, -1
	s_cbranch_scc1 .LBB130_9
; %bb.4:
	s_and_saveexec_b32 s19, vcc_lo
	s_cbranch_execz .LBB130_8
; %bb.5:
	v_cmp_neq_f32_e64 s0, s2, 0
	v_cmp_neq_f32_e64 s1, s3, 0
	v_mov_b32_e32 v2, 0
	v_mov_b32_e32 v3, 0
	;; [unrolled: 1-line block ×3, first 2 shown]
	s_or_b32 s1, s0, s1
	s_mul_i32 s0, s18, s6
	s_andn2_b32 vcc_lo, exec_lo, s1
	s_ashr_i32 s1, s0, 31
	s_cbranch_vccnz .LBB130_7
; %bb.6:
	s_lshl_b64 s[20:21], s[0:1], 3
	s_add_u32 s20, s10, s20
	s_addc_u32 s21, s11, s21
	s_load_dwordx2 s[20:21], s[20:21], 0x0
	s_waitcnt lgkmcnt(0)
	v_mul_f32_e64 v1, s3, s21
	v_mul_f32_e64 v2, s2, s21
	v_fma_f32 v1, s2, s20, -v1
	v_fmac_f32_e64 v2, s3, s20
.LBB130_7:
	s_lshl_b64 s[0:1], s[0:1], 3
	s_add_u32 s0, s10, s0
	s_addc_u32 s1, s11, s1
	global_store_dwordx2 v3, v[1:2], s[0:1]
.LBB130_8:
	s_or_b32 exec_lo, exec_lo, s19
	s_mov_b32 s0, 0
.LBB130_9:
	s_andn2_b32 vcc_lo, exec_lo, s0
	s_cbranch_vccnz .LBB130_28
; %bb.10:
	s_clause 0x3
	s_load_dwordx4 s[20:23], s[4:5], 0x30
	s_load_dwordx2 s[24:25], s[4:5], 0x40
	s_load_dword s1, s[4:5], 0x0
	s_load_dword s0, s[4:5], 0x28
	s_mul_i32 s17, s17, s7
	s_mul_hi_u32 s19, s16, s7
	s_mul_i32 s16, s16, s7
	s_add_i32 s17, s19, s17
	s_load_dword s4, s[4:5], 0x48
	s_lshl_b64 s[16:17], s[16:17], 3
	v_mov_b32_e32 v7, 0
	v_mov_b32_e32 v8, 0
	s_waitcnt lgkmcnt(0)
	s_add_u32 s5, s22, s16
	s_addc_u32 s22, s23, s17
	v_cmp_gt_i32_e32 vcc_lo, s1, v0
	s_lshl_b64 s[16:17], s[24:25], 3
	s_mul_i32 s19, s21, s7
	s_mul_hi_u32 s21, s20, s7
	s_add_u32 s5, s5, s16
	v_cndmask_b32_e32 v1, 0, v0, vcc_lo
	s_mul_i32 s20, s20, s7
	s_addc_u32 s7, s22, s17
	s_add_i32 s21, s21, s19
	s_lshl_b64 s[16:17], s[20:21], 3
	s_mul_i32 s20, s0, s6
	s_add_u32 s0, s12, s16
	v_lshlrev_b32_e32 v1, 3, v1
	s_addc_u32 s16, s13, s17
	s_lshl_b64 s[12:13], s[14:15], 3
	s_add_u32 s0, s0, s12
	s_addc_u32 s12, s16, s13
	v_add_co_u32 v1, s0, s0, v1
	s_ashr_i32 s13, s1, 31
	s_ashr_i32 s21, s20, 31
	v_add_co_ci_u32_e64 v2, null, s12, 0, s0
	s_lshr_b32 s0, s13, 22
	s_lshl_b64 s[12:13], s[20:21], 3
	s_add_i32 s0, s1, s0
	v_add_co_u32 v1, vcc_lo, v1, s12
	v_add_co_ci_u32_e64 v2, null, s13, v2, vcc_lo
	s_and_b32 s0, s0, 0xfffffc00
	s_mov_b32 s13, 0
	s_mov_b32 s12, exec_lo
	v_cmpx_gt_i32_e64 s0, v0
	s_cbranch_execz .LBB130_14
; %bb.11:
	v_mul_lo_u32 v3, v0, s4
	v_mov_b32_e32 v6, v2
	v_mov_b32_e32 v7, 0
	;; [unrolled: 1-line block ×5, first 2 shown]
	s_lshl_b32 s14, s4, 10
	.p2align	6
.LBB130_12:                             ; =>This Inner Loop Header: Depth=1
	v_ashrrev_i32_e32 v4, 31, v3
	v_add_nc_u32_e32 v9, 0x400, v9
	v_lshlrev_b64 v[10:11], 3, v[3:4]
	v_add_nc_u32_e32 v3, s14, v3
	v_add_co_u32 v10, vcc_lo, s5, v10
	v_add_co_ci_u32_e64 v11, null, s7, v11, vcc_lo
	global_load_dwordx2 v[12:13], v[5:6], off
	global_load_dwordx2 v[10:11], v[10:11], off
	v_add_co_u32 v5, vcc_lo, 0x2000, v5
	v_add_co_ci_u32_e64 v6, null, 0, v6, vcc_lo
	v_cmp_le_i32_e32 vcc_lo, s0, v9
	s_or_b32 s13, vcc_lo, s13
	s_waitcnt vmcnt(0)
	v_mul_f32_e32 v4, v11, v13
	v_mul_f32_e32 v13, v10, v13
	v_fma_f32 v4, v10, v12, -v4
	v_fmac_f32_e32 v13, v11, v12
	v_add_f32_e32 v8, v8, v4
	v_add_f32_e32 v7, v7, v13
	s_andn2_b32 exec_lo, exec_lo, s13
	s_cbranch_execnz .LBB130_12
; %bb.13:
	s_or_b32 exec_lo, exec_lo, s13
.LBB130_14:
	s_or_b32 exec_lo, exec_lo, s12
	v_or_b32_e32 v3, s0, v0
	s_mov_b32 s12, exec_lo
	v_cmpx_gt_i32_e64 s1, v3
	s_cbranch_execz .LBB130_16
; %bb.15:
	v_mul_lo_u32 v3, s4, v3
	s_ashr_i32 s1, s0, 31
	s_lshl_b64 s[0:1], s[0:1], 3
	v_add_co_u32 v1, vcc_lo, v1, s0
	v_add_co_ci_u32_e64 v2, null, s1, v2, vcc_lo
	v_ashrrev_i32_e32 v4, 31, v3
	v_lshlrev_b64 v[3:4], 3, v[3:4]
	v_add_co_u32 v3, vcc_lo, s5, v3
	v_add_co_ci_u32_e64 v4, null, s7, v4, vcc_lo
	global_load_dwordx2 v[1:2], v[1:2], off
	global_load_dwordx2 v[3:4], v[3:4], off
	s_waitcnt vmcnt(0)
	v_mul_f32_e32 v5, v4, v2
	v_mul_f32_e32 v2, v3, v2
	v_fma_f32 v3, v3, v1, -v5
	v_fmac_f32_e32 v2, v4, v1
	v_add_f32_e32 v8, v8, v3
	v_add_f32_e32 v7, v7, v2
.LBB130_16:
	s_or_b32 exec_lo, exec_lo, s12
	v_and_b32_e32 v1, 31, v0
	v_cmp_gt_u32_e32 vcc_lo, 32, v0
	v_lshlrev_b32_e32 v5, 3, v1
	s_and_saveexec_b32 s0, vcc_lo
; %bb.17:
	v_mov_b32_e32 v2, 0
	v_mov_b32_e32 v3, v2
	ds_write_b64 v5, v[2:3]
; %bb.18:
	s_or_b32 exec_lo, exec_lo, s0
	v_mbcnt_lo_u32_b32 v2, -1, 0
	s_mov_b32 s1, exec_lo
	s_waitcnt lgkmcnt(0)
	s_waitcnt_vscnt null, 0x0
	s_barrier
	buffer_gl0_inv
	v_lshl_or_b32 v3, v2, 2, 64
	v_cmp_gt_u32_e64 s0, 24, v2
	ds_bpermute_b32 v6, v3, v8
	ds_bpermute_b32 v9, v3, v7
	v_cndmask_b32_e64 v4, 0, 8, s0
	v_cmp_gt_u32_e64 s0, 28, v2
	v_add_lshl_u32 v4, v4, v2, 2
	s_waitcnt lgkmcnt(1)
	v_add_f32_e32 v8, v8, v6
	s_waitcnt lgkmcnt(0)
	v_add_f32_e32 v7, v7, v9
	v_cndmask_b32_e64 v6, 0, 4, s0
	v_cmp_gt_u32_e64 s0, 30, v2
	ds_bpermute_b32 v9, v4, v8
	ds_bpermute_b32 v10, v4, v7
	v_add_lshl_u32 v6, v6, v2, 2
	s_waitcnt lgkmcnt(1)
	v_add_f32_e32 v8, v8, v9
	s_waitcnt lgkmcnt(0)
	v_add_f32_e32 v9, v7, v10
	v_cndmask_b32_e64 v7, 0, 2, s0
	v_cmp_ne_u32_e64 s0, 31, v2
	ds_bpermute_b32 v10, v6, v8
	ds_bpermute_b32 v11, v6, v9
	v_add_lshl_u32 v7, v7, v2, 2
	v_add_co_ci_u32_e64 v2, null, 0, v2, s0
	s_waitcnt lgkmcnt(1)
	v_add_f32_e32 v10, v8, v10
	s_waitcnt lgkmcnt(0)
	v_add_f32_e32 v9, v9, v11
	v_lshlrev_b32_e32 v8, 2, v2
	ds_bpermute_b32 v11, v7, v10
	ds_bpermute_b32 v12, v7, v9
	s_waitcnt lgkmcnt(1)
	v_add_f32_e32 v2, v10, v11
	s_waitcnt lgkmcnt(0)
	v_add_f32_e32 v10, v9, v12
	ds_bpermute_b32 v9, v8, v2
	ds_bpermute_b32 v11, v8, v10
	v_cmpx_eq_u32_e32 0, v1
	s_cbranch_execz .LBB130_20
; %bb.19:
	v_lshrrev_b32_e32 v1, 2, v0
	s_waitcnt lgkmcnt(0)
	v_add_f32_e32 v10, v10, v11
	v_add_f32_e32 v9, v2, v9
	v_and_b32_e32 v1, 0xf8, v1
	ds_write_b64 v1, v[9:10]
.LBB130_20:
	s_or_b32 exec_lo, exec_lo, s1
	v_mov_b32_e32 v2, 0
	v_mov_b32_e32 v1, 0
	s_waitcnt lgkmcnt(0)
	s_barrier
	buffer_gl0_inv
	s_and_saveexec_b32 s0, vcc_lo
; %bb.21:
	ds_read_b64 v[1:2], v5
; %bb.22:
	s_or_b32 exec_lo, exec_lo, s0
	s_and_saveexec_b32 s0, vcc_lo
	s_cbranch_execz .LBB130_24
; %bb.23:
	s_waitcnt lgkmcnt(0)
	ds_bpermute_b32 v5, v3, v1
	ds_bpermute_b32 v3, v3, v2
	s_waitcnt lgkmcnt(1)
	v_add_f32_e32 v1, v1, v5
	s_waitcnt lgkmcnt(0)
	v_add_f32_e32 v2, v2, v3
	ds_bpermute_b32 v3, v4, v1
	ds_bpermute_b32 v4, v4, v2
	s_waitcnt lgkmcnt(1)
	v_add_f32_e32 v1, v1, v3
	s_waitcnt lgkmcnt(0)
	v_add_f32_e32 v2, v2, v4
	;; [unrolled: 6-line block ×5, first 2 shown]
.LBB130_24:
	s_or_b32 exec_lo, exec_lo, s0
	s_mov_b32 s0, exec_lo
	v_cmpx_eq_u32_e32 0, v0
	s_cbranch_execz .LBB130_28
; %bb.25:
	s_waitcnt lgkmcnt(0)
	v_mul_f32_e32 v0, s9, v2
	v_mul_f32_e32 v3, s8, v2
	v_cmp_neq_f32_e64 s0, s2, 0
	v_cmp_neq_f32_e64 s1, s3, 0
	v_fma_f32 v2, v1, s8, -v0
	v_fmac_f32_e32 v3, s9, v1
	s_or_b32 s1, s0, s1
	s_mul_i32 s0, s18, s6
	s_andn2_b32 vcc_lo, exec_lo, s1
	s_ashr_i32 s1, s0, 31
	s_cbranch_vccnz .LBB130_27
; %bb.26:
	s_lshl_b64 s[4:5], s[0:1], 3
	v_mov_b32_e32 v0, 0
	s_add_u32 s4, s10, s4
	s_addc_u32 s5, s11, s5
	global_load_dwordx2 v[0:1], v0, s[4:5]
	s_waitcnt vmcnt(0)
	v_mul_f32_e32 v4, s3, v1
	v_mul_f32_e32 v1, s2, v1
	v_fma_f32 v4, s2, v0, -v4
	v_fmac_f32_e32 v1, s3, v0
	v_add_f32_e32 v2, v2, v4
	v_add_f32_e32 v3, v3, v1
.LBB130_27:
	s_lshl_b64 s[0:1], s[0:1], 3
	v_mov_b32_e32 v0, 0
	s_add_u32 s0, s10, s0
	s_addc_u32 s1, s11, s1
	global_store_dwordx2 v0, v[2:3], s[0:1]
.LBB130_28:
	s_endpgm
	.section	.rodata,"a",@progbits
	.p2align	6, 0x0
	.amdhsa_kernel _ZL32rocblas_gemvt_warp_reduce_kernelILb0ELi1024Ei19rocblas_complex_numIfEPKS1_S1_EviiT3_lPKT2_lT1_lS7_lS8_lS4_lPT4_lS8_li
		.amdhsa_group_segment_fixed_size 256
		.amdhsa_private_segment_fixed_size 0
		.amdhsa_kernarg_size 140
		.amdhsa_user_sgpr_count 6
		.amdhsa_user_sgpr_private_segment_buffer 1
		.amdhsa_user_sgpr_dispatch_ptr 0
		.amdhsa_user_sgpr_queue_ptr 0
		.amdhsa_user_sgpr_kernarg_segment_ptr 1
		.amdhsa_user_sgpr_dispatch_id 0
		.amdhsa_user_sgpr_flat_scratch_init 0
		.amdhsa_user_sgpr_private_segment_size 0
		.amdhsa_wavefront_size32 1
		.amdhsa_uses_dynamic_stack 0
		.amdhsa_system_sgpr_private_segment_wavefront_offset 0
		.amdhsa_system_sgpr_workgroup_id_x 1
		.amdhsa_system_sgpr_workgroup_id_y 0
		.amdhsa_system_sgpr_workgroup_id_z 1
		.amdhsa_system_sgpr_workgroup_info 0
		.amdhsa_system_vgpr_workitem_id 0
		.amdhsa_next_free_vgpr 14
		.amdhsa_next_free_sgpr 26
		.amdhsa_reserve_vcc 1
		.amdhsa_reserve_flat_scratch 0
		.amdhsa_float_round_mode_32 0
		.amdhsa_float_round_mode_16_64 0
		.amdhsa_float_denorm_mode_32 3
		.amdhsa_float_denorm_mode_16_64 3
		.amdhsa_dx10_clamp 1
		.amdhsa_ieee_mode 1
		.amdhsa_fp16_overflow 0
		.amdhsa_workgroup_processor_mode 1
		.amdhsa_memory_ordered 1
		.amdhsa_forward_progress 1
		.amdhsa_shared_vgpr_count 0
		.amdhsa_exception_fp_ieee_invalid_op 0
		.amdhsa_exception_fp_denorm_src 0
		.amdhsa_exception_fp_ieee_div_zero 0
		.amdhsa_exception_fp_ieee_overflow 0
		.amdhsa_exception_fp_ieee_underflow 0
		.amdhsa_exception_fp_ieee_inexact 0
		.amdhsa_exception_int_div_zero 0
	.end_amdhsa_kernel
	.section	.text._ZL32rocblas_gemvt_warp_reduce_kernelILb0ELi1024Ei19rocblas_complex_numIfEPKS1_S1_EviiT3_lPKT2_lT1_lS7_lS8_lS4_lPT4_lS8_li,"axG",@progbits,_ZL32rocblas_gemvt_warp_reduce_kernelILb0ELi1024Ei19rocblas_complex_numIfEPKS1_S1_EviiT3_lPKT2_lT1_lS7_lS8_lS4_lPT4_lS8_li,comdat
.Lfunc_end130:
	.size	_ZL32rocblas_gemvt_warp_reduce_kernelILb0ELi1024Ei19rocblas_complex_numIfEPKS1_S1_EviiT3_lPKT2_lT1_lS7_lS8_lS4_lPT4_lS8_li, .Lfunc_end130-_ZL32rocblas_gemvt_warp_reduce_kernelILb0ELi1024Ei19rocblas_complex_numIfEPKS1_S1_EviiT3_lPKT2_lT1_lS7_lS8_lS4_lPT4_lS8_li
                                        ; -- End function
	.set _ZL32rocblas_gemvt_warp_reduce_kernelILb0ELi1024Ei19rocblas_complex_numIfEPKS1_S1_EviiT3_lPKT2_lT1_lS7_lS8_lS4_lPT4_lS8_li.num_vgpr, 14
	.set _ZL32rocblas_gemvt_warp_reduce_kernelILb0ELi1024Ei19rocblas_complex_numIfEPKS1_S1_EviiT3_lPKT2_lT1_lS7_lS8_lS4_lPT4_lS8_li.num_agpr, 0
	.set _ZL32rocblas_gemvt_warp_reduce_kernelILb0ELi1024Ei19rocblas_complex_numIfEPKS1_S1_EviiT3_lPKT2_lT1_lS7_lS8_lS4_lPT4_lS8_li.numbered_sgpr, 26
	.set _ZL32rocblas_gemvt_warp_reduce_kernelILb0ELi1024Ei19rocblas_complex_numIfEPKS1_S1_EviiT3_lPKT2_lT1_lS7_lS8_lS4_lPT4_lS8_li.num_named_barrier, 0
	.set _ZL32rocblas_gemvt_warp_reduce_kernelILb0ELi1024Ei19rocblas_complex_numIfEPKS1_S1_EviiT3_lPKT2_lT1_lS7_lS8_lS4_lPT4_lS8_li.private_seg_size, 0
	.set _ZL32rocblas_gemvt_warp_reduce_kernelILb0ELi1024Ei19rocblas_complex_numIfEPKS1_S1_EviiT3_lPKT2_lT1_lS7_lS8_lS4_lPT4_lS8_li.uses_vcc, 1
	.set _ZL32rocblas_gemvt_warp_reduce_kernelILb0ELi1024Ei19rocblas_complex_numIfEPKS1_S1_EviiT3_lPKT2_lT1_lS7_lS8_lS4_lPT4_lS8_li.uses_flat_scratch, 0
	.set _ZL32rocblas_gemvt_warp_reduce_kernelILb0ELi1024Ei19rocblas_complex_numIfEPKS1_S1_EviiT3_lPKT2_lT1_lS7_lS8_lS4_lPT4_lS8_li.has_dyn_sized_stack, 0
	.set _ZL32rocblas_gemvt_warp_reduce_kernelILb0ELi1024Ei19rocblas_complex_numIfEPKS1_S1_EviiT3_lPKT2_lT1_lS7_lS8_lS4_lPT4_lS8_li.has_recursion, 0
	.set _ZL32rocblas_gemvt_warp_reduce_kernelILb0ELi1024Ei19rocblas_complex_numIfEPKS1_S1_EviiT3_lPKT2_lT1_lS7_lS8_lS4_lPT4_lS8_li.has_indirect_call, 0
	.section	.AMDGPU.csdata,"",@progbits
; Kernel info:
; codeLenInByte = 1696
; TotalNumSgprs: 28
; NumVgprs: 14
; ScratchSize: 0
; MemoryBound: 0
; FloatMode: 240
; IeeeMode: 1
; LDSByteSize: 256 bytes/workgroup (compile time only)
; SGPRBlocks: 0
; VGPRBlocks: 1
; NumSGPRsForWavesPerEU: 28
; NumVGPRsForWavesPerEU: 14
; Occupancy: 16
; WaveLimiterHint : 1
; COMPUTE_PGM_RSRC2:SCRATCH_EN: 0
; COMPUTE_PGM_RSRC2:USER_SGPR: 6
; COMPUTE_PGM_RSRC2:TRAP_HANDLER: 0
; COMPUTE_PGM_RSRC2:TGID_X_EN: 1
; COMPUTE_PGM_RSRC2:TGID_Y_EN: 0
; COMPUTE_PGM_RSRC2:TGID_Z_EN: 1
; COMPUTE_PGM_RSRC2:TIDIG_COMP_CNT: 0
	.section	.text._ZL32rocblas_gemvt_warp_reduce_kernelILb0ELi1024El19rocblas_complex_numIfEPKS1_S1_EviiT3_lPKT2_lT1_lS7_lS8_lS4_lPT4_lS8_li,"axG",@progbits,_ZL32rocblas_gemvt_warp_reduce_kernelILb0ELi1024El19rocblas_complex_numIfEPKS1_S1_EviiT3_lPKT2_lT1_lS7_lS8_lS4_lPT4_lS8_li,comdat
	.globl	_ZL32rocblas_gemvt_warp_reduce_kernelILb0ELi1024El19rocblas_complex_numIfEPKS1_S1_EviiT3_lPKT2_lT1_lS7_lS8_lS4_lPT4_lS8_li ; -- Begin function _ZL32rocblas_gemvt_warp_reduce_kernelILb0ELi1024El19rocblas_complex_numIfEPKS1_S1_EviiT3_lPKT2_lT1_lS7_lS8_lS4_lPT4_lS8_li
	.p2align	8
	.type	_ZL32rocblas_gemvt_warp_reduce_kernelILb0ELi1024El19rocblas_complex_numIfEPKS1_S1_EviiT3_lPKT2_lT1_lS7_lS8_lS4_lPT4_lS8_li,@function
_ZL32rocblas_gemvt_warp_reduce_kernelILb0ELi1024El19rocblas_complex_numIfEPKS1_S1_EviiT3_lPKT2_lT1_lS7_lS8_lS4_lPT4_lS8_li: ; @_ZL32rocblas_gemvt_warp_reduce_kernelILb0ELi1024El19rocblas_complex_numIfEPKS1_S1_EviiT3_lPKT2_lT1_lS7_lS8_lS4_lPT4_lS8_li
; %bb.0:
	s_clause 0x1
	s_load_dwordx16 s[36:51], s[4:5], 0x8
	s_load_dwordx16 s[8:23], s[4:5], 0x48
	s_waitcnt lgkmcnt(0)
	s_mul_i32 s1, s39, s7
	s_mul_hi_u32 s2, s38, s7
	s_mul_i32 s0, s38, s7
	s_add_i32 s1, s2, s1
	s_mul_hi_u32 s2, s14, s7
	s_lshl_b64 s[0:1], s[0:1], 3
	s_add_u32 s0, s36, s0
	s_addc_u32 s1, s37, s1
	s_load_dwordx2 s[24:25], s[0:1], 0x0
	s_mul_i32 s1, s15, s7
	s_mul_i32 s0, s14, s7
	s_add_i32 s1, s2, s1
	s_lshl_b64 s[0:1], s[0:1], 3
	s_add_u32 s0, s12, s0
	s_addc_u32 s1, s13, s1
	s_load_dwordx2 s[2:3], s[0:1], 0x0
	s_waitcnt lgkmcnt(0)
	v_cmp_neq_f32_e64 s0, s24, 0
	v_cmp_neq_f32_e64 s1, s25, 0
	s_or_b32 s0, s0, s1
	s_and_b32 vcc_lo, exec_lo, s0
	s_mov_b32 s0, -1
	s_cbranch_vccnz .LBB131_2
; %bb.1:
	v_cmp_neq_f32_e64 s0, s2, 1.0
	v_cmp_neq_f32_e64 s1, s3, 0
	s_or_b32 s0, s0, s1
.LBB131_2:
	s_andn2_b32 vcc_lo, exec_lo, s0
	s_cbranch_vccnz .LBB131_28
; %bb.3:
	s_mul_i32 s1, s23, s7
	s_mul_hi_u32 s12, s22, s7
	s_mul_i32 s0, s22, s7
	s_add_i32 s1, s12, s1
	v_cmp_eq_u32_e32 vcc_lo, 0, v0
	s_lshl_b64 s[0:1], s[0:1], 3
	s_add_u32 s12, s16, s0
	s_addc_u32 s13, s17, s1
	s_lshl_b64 s[0:1], s[18:19], 3
	s_add_u32 s14, s12, s0
	s_addc_u32 s15, s13, s1
	s_or_b32 s0, s24, s25
	s_bitset0_b32 s0, 31
	s_cmp_lg_u32 s0, 0
	s_mov_b32 s0, -1
	s_cbranch_scc1 .LBB131_9
; %bb.4:
	s_and_saveexec_b32 s12, vcc_lo
	s_cbranch_execz .LBB131_8
; %bb.5:
	v_cmp_neq_f32_e64 s0, s2, 0
	v_cmp_neq_f32_e64 s1, s3, 0
	s_ashr_i32 s13, s6, 31
	s_mul_hi_u32 s16, s20, s6
	v_mov_b32_e32 v2, 0
	v_mov_b32_e32 v3, 0
	s_or_b32 s0, s0, s1
	s_mul_i32 s1, s20, s13
	v_mov_b32_e32 v1, 0
	s_add_i32 s1, s16, s1
	s_mul_i32 s13, s21, s6
	s_andn2_b32 vcc_lo, exec_lo, s0
	s_add_i32 s1, s1, s13
	s_mul_i32 s0, s20, s6
	s_cbranch_vccnz .LBB131_7
; %bb.6:
	s_lshl_b64 s[16:17], s[0:1], 3
	s_add_u32 s16, s14, s16
	s_addc_u32 s17, s15, s17
	s_load_dwordx2 s[16:17], s[16:17], 0x0
	s_waitcnt lgkmcnt(0)
	v_mul_f32_e64 v1, s3, s17
	v_mul_f32_e64 v2, s2, s17
	v_fma_f32 v1, s2, s16, -v1
	v_fmac_f32_e64 v2, s3, s16
.LBB131_7:
	s_lshl_b64 s[0:1], s[0:1], 3
	s_add_u32 s0, s14, s0
	s_addc_u32 s1, s15, s1
	global_store_dwordx2 v3, v[1:2], s[0:1]
.LBB131_8:
	s_or_b32 exec_lo, exec_lo, s12
	s_mov_b32 s0, 0
.LBB131_9:
	s_andn2_b32 vcc_lo, exec_lo, s0
	s_cbranch_vccnz .LBB131_28
; %bb.10:
	s_load_dword s13, s[4:5], 0x0
	s_mul_i32 s4, s11, s7
	s_mul_i32 s1, s47, s7
	s_mul_hi_u32 s11, s46, s7
	s_mul_i32 s0, s46, s7
	s_add_i32 s1, s11, s1
	s_mul_hi_u32 s5, s10, s7
	s_lshl_b64 s[0:1], s[0:1], 3
	s_add_i32 s5, s5, s4
	s_add_u32 s4, s40, s0
	s_addc_u32 s11, s41, s1
	s_lshl_b64 s[0:1], s[42:43], 3
	s_mul_hi_u32 s12, s44, s6
	s_add_u32 s0, s4, s0
	s_addc_u32 s4, s11, s1
	s_ashr_i32 s1, s6, 31
	s_mul_i32 s11, s45, s6
	s_mul_i32 s16, s44, s1
	v_mov_b32_e32 v7, 0
	s_add_i32 s12, s12, s16
	s_waitcnt lgkmcnt(0)
	v_cmp_gt_i32_e32 vcc_lo, s13, v0
	s_mul_i32 s16, s44, s6
	s_add_i32 s17, s12, s11
	s_ashr_i32 s11, s13, 31
	s_lshl_b64 s[16:17], s[16:17], 3
	v_cndmask_b32_e32 v1, 0, v0, vcc_lo
	s_lshr_b32 s11, s11, 22
	v_mov_b32_e32 v8, 0
	s_add_i32 s11, s13, s11
	s_and_b32 s12, s11, 0xfffffc00
	v_lshlrev_b32_e32 v1, 3, v1
	v_add_co_u32 v1, s0, s0, v1
	v_add_co_ci_u32_e64 v2, null, s4, 0, s0
	s_mul_i32 s4, s10, s7
	v_add_co_u32 v1, vcc_lo, v1, s16
	v_add_co_ci_u32_e64 v2, null, s17, v2, vcc_lo
	s_mov_b32 s16, 0
	s_mov_b32 s7, exec_lo
	v_cmpx_gt_i32_e64 s12, v0
	s_cbranch_execz .LBB131_14
; %bb.11:
	v_mad_u64_u32 v[5:6], null, s8, v0, 0
	s_lshl_b64 s[18:19], s[50:51], 3
	s_lshl_b64 s[10:11], s[4:5], 3
	s_add_u32 s0, s48, s18
	s_addc_u32 s17, s49, s19
	s_add_u32 s0, s0, s10
	s_addc_u32 s10, s17, s11
	v_mov_b32_e32 v3, v6
	v_mov_b32_e32 v7, 0
	;; [unrolled: 1-line block ×4, first 2 shown]
	v_mad_u64_u32 v[3:4], null, s9, v0, v[3:4]
	v_mov_b32_e32 v6, v3
	v_mov_b32_e32 v4, v2
	v_mov_b32_e32 v3, v1
	v_lshlrev_b64 v[5:6], 3, v[5:6]
	v_add_co_u32 v5, vcc_lo, s0, v5
	v_add_co_ci_u32_e64 v6, null, s10, v6, vcc_lo
	s_lshl_b64 s[10:11], s[8:9], 13
	v_add_co_u32 v5, vcc_lo, v5, 4
	v_add_co_ci_u32_e64 v6, null, 0, v6, vcc_lo
	.p2align	6
.LBB131_12:                             ; =>This Inner Loop Header: Depth=1
	global_load_dwordx2 v[10:11], v[3:4], off
	global_load_dwordx2 v[12:13], v[5:6], off offset:-4
	v_add_nc_u32_e32 v9, 0x400, v9
	v_add_co_u32 v3, vcc_lo, 0x2000, v3
	v_add_co_ci_u32_e64 v4, null, 0, v4, vcc_lo
	v_add_co_u32 v5, vcc_lo, v5, s10
	v_cmp_le_i32_e64 s0, s12, v9
	v_add_co_ci_u32_e64 v6, null, s11, v6, vcc_lo
	s_or_b32 s16, s0, s16
	s_waitcnt vmcnt(0)
	v_mul_f32_e32 v14, v13, v11
	v_mul_f32_e32 v11, v12, v11
	v_fma_f32 v12, v12, v10, -v14
	v_fmac_f32_e32 v11, v13, v10
	v_add_f32_e32 v8, v8, v12
	v_add_f32_e32 v7, v7, v11
	s_andn2_b32 exec_lo, exec_lo, s16
	s_cbranch_execnz .LBB131_12
; %bb.13:
	s_or_b32 exec_lo, exec_lo, s16
.LBB131_14:
	s_or_b32 exec_lo, exec_lo, s7
	v_or_b32_e32 v3, s12, v0
	s_mov_b32 s0, exec_lo
	v_cmpx_gt_i32_e64 s13, v3
	s_cbranch_execz .LBB131_16
; %bb.15:
	v_ashrrev_i32_e32 v5, 31, v3
	v_mul_lo_u32 v6, s9, v3
	v_mad_u64_u32 v[3:4], null, s8, v3, 0
	s_lshl_b64 s[4:5], s[4:5], 3
	v_mul_lo_u32 v5, s8, v5
	s_add_u32 s7, s48, s4
	s_addc_u32 s8, s49, s5
	s_lshl_b64 s[4:5], s[50:51], 3
	s_add_u32 s7, s7, s4
	s_addc_u32 s8, s8, s5
	s_ashr_i32 s13, s12, 31
	v_add3_u32 v4, v4, v5, v6
	s_lshl_b64 s[4:5], s[12:13], 3
	v_add_co_u32 v1, vcc_lo, v1, s4
	v_lshlrev_b64 v[3:4], 3, v[3:4]
	v_add_co_ci_u32_e64 v2, null, s5, v2, vcc_lo
	v_add_co_u32 v3, vcc_lo, s7, v3
	v_add_co_ci_u32_e64 v4, null, s8, v4, vcc_lo
	global_load_dwordx2 v[1:2], v[1:2], off
	global_load_dwordx2 v[3:4], v[3:4], off
	s_waitcnt vmcnt(0)
	v_mul_f32_e32 v5, v4, v2
	v_mul_f32_e32 v2, v3, v2
	v_fma_f32 v3, v3, v1, -v5
	v_fmac_f32_e32 v2, v4, v1
	v_add_f32_e32 v8, v8, v3
	v_add_f32_e32 v7, v7, v2
.LBB131_16:
	s_or_b32 exec_lo, exec_lo, s0
	v_and_b32_e32 v1, 31, v0
	v_cmp_gt_u32_e32 vcc_lo, 32, v0
	v_lshlrev_b32_e32 v5, 3, v1
	s_and_saveexec_b32 s0, vcc_lo
; %bb.17:
	v_mov_b32_e32 v2, 0
	v_mov_b32_e32 v3, v2
	ds_write_b64 v5, v[2:3]
; %bb.18:
	s_or_b32 exec_lo, exec_lo, s0
	v_mbcnt_lo_u32_b32 v2, -1, 0
	s_mov_b32 s4, exec_lo
	s_waitcnt lgkmcnt(0)
	s_waitcnt_vscnt null, 0x0
	s_barrier
	buffer_gl0_inv
	v_lshl_or_b32 v3, v2, 2, 64
	v_cmp_gt_u32_e64 s0, 24, v2
	ds_bpermute_b32 v6, v3, v8
	ds_bpermute_b32 v9, v3, v7
	v_cndmask_b32_e64 v4, 0, 8, s0
	v_cmp_gt_u32_e64 s0, 28, v2
	v_add_lshl_u32 v4, v4, v2, 2
	s_waitcnt lgkmcnt(1)
	v_add_f32_e32 v8, v8, v6
	s_waitcnt lgkmcnt(0)
	v_add_f32_e32 v7, v7, v9
	v_cndmask_b32_e64 v6, 0, 4, s0
	v_cmp_gt_u32_e64 s0, 30, v2
	ds_bpermute_b32 v9, v4, v8
	ds_bpermute_b32 v10, v4, v7
	v_add_lshl_u32 v6, v6, v2, 2
	s_waitcnt lgkmcnt(1)
	v_add_f32_e32 v8, v8, v9
	s_waitcnt lgkmcnt(0)
	v_add_f32_e32 v9, v7, v10
	v_cndmask_b32_e64 v7, 0, 2, s0
	v_cmp_ne_u32_e64 s0, 31, v2
	ds_bpermute_b32 v10, v6, v8
	ds_bpermute_b32 v11, v6, v9
	v_add_lshl_u32 v7, v7, v2, 2
	v_add_co_ci_u32_e64 v2, null, 0, v2, s0
	s_waitcnt lgkmcnt(1)
	v_add_f32_e32 v10, v8, v10
	s_waitcnt lgkmcnt(0)
	v_add_f32_e32 v9, v9, v11
	v_lshlrev_b32_e32 v8, 2, v2
	ds_bpermute_b32 v11, v7, v10
	ds_bpermute_b32 v12, v7, v9
	s_waitcnt lgkmcnt(1)
	v_add_f32_e32 v2, v10, v11
	s_waitcnt lgkmcnt(0)
	v_add_f32_e32 v10, v9, v12
	ds_bpermute_b32 v9, v8, v2
	ds_bpermute_b32 v11, v8, v10
	v_cmpx_eq_u32_e32 0, v1
	s_cbranch_execz .LBB131_20
; %bb.19:
	v_lshrrev_b32_e32 v1, 2, v0
	s_waitcnt lgkmcnt(0)
	v_add_f32_e32 v10, v10, v11
	v_add_f32_e32 v9, v2, v9
	v_and_b32_e32 v1, 0xf8, v1
	ds_write_b64 v1, v[9:10]
.LBB131_20:
	s_or_b32 exec_lo, exec_lo, s4
	v_mov_b32_e32 v2, 0
	v_mov_b32_e32 v1, 0
	s_waitcnt lgkmcnt(0)
	s_barrier
	buffer_gl0_inv
	s_and_saveexec_b32 s0, vcc_lo
; %bb.21:
	ds_read_b64 v[1:2], v5
; %bb.22:
	s_or_b32 exec_lo, exec_lo, s0
	s_and_saveexec_b32 s0, vcc_lo
	s_cbranch_execz .LBB131_24
; %bb.23:
	s_waitcnt lgkmcnt(0)
	ds_bpermute_b32 v5, v3, v1
	ds_bpermute_b32 v3, v3, v2
	s_waitcnt lgkmcnt(1)
	v_add_f32_e32 v1, v1, v5
	s_waitcnt lgkmcnt(0)
	v_add_f32_e32 v2, v2, v3
	ds_bpermute_b32 v3, v4, v1
	ds_bpermute_b32 v4, v4, v2
	s_waitcnt lgkmcnt(1)
	v_add_f32_e32 v1, v1, v3
	s_waitcnt lgkmcnt(0)
	v_add_f32_e32 v2, v2, v4
	ds_bpermute_b32 v3, v6, v1
	ds_bpermute_b32 v4, v6, v2
	s_waitcnt lgkmcnt(1)
	v_add_f32_e32 v1, v1, v3
	s_waitcnt lgkmcnt(0)
	v_add_f32_e32 v2, v2, v4
	ds_bpermute_b32 v3, v7, v1
	ds_bpermute_b32 v4, v7, v2
	s_waitcnt lgkmcnt(1)
	v_add_f32_e32 v1, v1, v3
	s_waitcnt lgkmcnt(0)
	v_add_f32_e32 v2, v2, v4
	ds_bpermute_b32 v3, v8, v1
	ds_bpermute_b32 v4, v8, v2
	s_waitcnt lgkmcnt(1)
	v_add_f32_e32 v1, v1, v3
	s_waitcnt lgkmcnt(0)
	v_add_f32_e32 v2, v2, v4
.LBB131_24:
	s_or_b32 exec_lo, exec_lo, s0
	s_mov_b32 s0, exec_lo
	v_cmpx_eq_u32_e32 0, v0
	s_cbranch_execz .LBB131_28
; %bb.25:
	v_cmp_neq_f32_e64 s0, s2, 0
	v_cmp_neq_f32_e64 s4, s3, 0
	s_waitcnt lgkmcnt(0)
	v_mul_f32_e32 v0, s25, v2
	v_mul_f32_e32 v4, s24, v2
	s_mul_i32 s1, s20, s1
	s_or_b32 s0, s0, s4
	s_mul_hi_u32 s4, s20, s6
	v_fma_f32 v3, v1, s24, -v0
	v_fmac_f32_e32 v4, s25, v1
	s_add_i32 s1, s4, s1
	s_mul_i32 s4, s21, s6
	s_andn2_b32 vcc_lo, exec_lo, s0
	s_add_i32 s1, s1, s4
	s_mul_i32 s0, s20, s6
	s_cbranch_vccnz .LBB131_27
; %bb.26:
	s_lshl_b64 s[4:5], s[0:1], 3
	v_mov_b32_e32 v0, 0
	s_add_u32 s4, s14, s4
	s_addc_u32 s5, s15, s5
	global_load_dwordx2 v[0:1], v0, s[4:5]
	s_waitcnt vmcnt(0)
	v_mul_f32_e32 v2, s3, v1
	v_mul_f32_e32 v1, s2, v1
	v_fma_f32 v2, s2, v0, -v2
	v_fmac_f32_e32 v1, s3, v0
	v_add_f32_e32 v3, v3, v2
	v_add_f32_e32 v4, v4, v1
.LBB131_27:
	s_lshl_b64 s[0:1], s[0:1], 3
	v_mov_b32_e32 v0, 0
	s_add_u32 s0, s14, s0
	s_addc_u32 s1, s15, s1
	global_store_dwordx2 v0, v[3:4], s[0:1]
.LBB131_28:
	s_endpgm
	.section	.rodata,"a",@progbits
	.p2align	6, 0x0
	.amdhsa_kernel _ZL32rocblas_gemvt_warp_reduce_kernelILb0ELi1024El19rocblas_complex_numIfEPKS1_S1_EviiT3_lPKT2_lT1_lS7_lS8_lS4_lPT4_lS8_li
		.amdhsa_group_segment_fixed_size 256
		.amdhsa_private_segment_fixed_size 0
		.amdhsa_kernarg_size 140
		.amdhsa_user_sgpr_count 6
		.amdhsa_user_sgpr_private_segment_buffer 1
		.amdhsa_user_sgpr_dispatch_ptr 0
		.amdhsa_user_sgpr_queue_ptr 0
		.amdhsa_user_sgpr_kernarg_segment_ptr 1
		.amdhsa_user_sgpr_dispatch_id 0
		.amdhsa_user_sgpr_flat_scratch_init 0
		.amdhsa_user_sgpr_private_segment_size 0
		.amdhsa_wavefront_size32 1
		.amdhsa_uses_dynamic_stack 0
		.amdhsa_system_sgpr_private_segment_wavefront_offset 0
		.amdhsa_system_sgpr_workgroup_id_x 1
		.amdhsa_system_sgpr_workgroup_id_y 0
		.amdhsa_system_sgpr_workgroup_id_z 1
		.amdhsa_system_sgpr_workgroup_info 0
		.amdhsa_system_vgpr_workitem_id 0
		.amdhsa_next_free_vgpr 15
		.amdhsa_next_free_sgpr 52
		.amdhsa_reserve_vcc 1
		.amdhsa_reserve_flat_scratch 0
		.amdhsa_float_round_mode_32 0
		.amdhsa_float_round_mode_16_64 0
		.amdhsa_float_denorm_mode_32 3
		.amdhsa_float_denorm_mode_16_64 3
		.amdhsa_dx10_clamp 1
		.amdhsa_ieee_mode 1
		.amdhsa_fp16_overflow 0
		.amdhsa_workgroup_processor_mode 1
		.amdhsa_memory_ordered 1
		.amdhsa_forward_progress 1
		.amdhsa_shared_vgpr_count 0
		.amdhsa_exception_fp_ieee_invalid_op 0
		.amdhsa_exception_fp_denorm_src 0
		.amdhsa_exception_fp_ieee_div_zero 0
		.amdhsa_exception_fp_ieee_overflow 0
		.amdhsa_exception_fp_ieee_underflow 0
		.amdhsa_exception_fp_ieee_inexact 0
		.amdhsa_exception_int_div_zero 0
	.end_amdhsa_kernel
	.section	.text._ZL32rocblas_gemvt_warp_reduce_kernelILb0ELi1024El19rocblas_complex_numIfEPKS1_S1_EviiT3_lPKT2_lT1_lS7_lS8_lS4_lPT4_lS8_li,"axG",@progbits,_ZL32rocblas_gemvt_warp_reduce_kernelILb0ELi1024El19rocblas_complex_numIfEPKS1_S1_EviiT3_lPKT2_lT1_lS7_lS8_lS4_lPT4_lS8_li,comdat
.Lfunc_end131:
	.size	_ZL32rocblas_gemvt_warp_reduce_kernelILb0ELi1024El19rocblas_complex_numIfEPKS1_S1_EviiT3_lPKT2_lT1_lS7_lS8_lS4_lPT4_lS8_li, .Lfunc_end131-_ZL32rocblas_gemvt_warp_reduce_kernelILb0ELi1024El19rocblas_complex_numIfEPKS1_S1_EviiT3_lPKT2_lT1_lS7_lS8_lS4_lPT4_lS8_li
                                        ; -- End function
	.set _ZL32rocblas_gemvt_warp_reduce_kernelILb0ELi1024El19rocblas_complex_numIfEPKS1_S1_EviiT3_lPKT2_lT1_lS7_lS8_lS4_lPT4_lS8_li.num_vgpr, 15
	.set _ZL32rocblas_gemvt_warp_reduce_kernelILb0ELi1024El19rocblas_complex_numIfEPKS1_S1_EviiT3_lPKT2_lT1_lS7_lS8_lS4_lPT4_lS8_li.num_agpr, 0
	.set _ZL32rocblas_gemvt_warp_reduce_kernelILb0ELi1024El19rocblas_complex_numIfEPKS1_S1_EviiT3_lPKT2_lT1_lS7_lS8_lS4_lPT4_lS8_li.numbered_sgpr, 52
	.set _ZL32rocblas_gemvt_warp_reduce_kernelILb0ELi1024El19rocblas_complex_numIfEPKS1_S1_EviiT3_lPKT2_lT1_lS7_lS8_lS4_lPT4_lS8_li.num_named_barrier, 0
	.set _ZL32rocblas_gemvt_warp_reduce_kernelILb0ELi1024El19rocblas_complex_numIfEPKS1_S1_EviiT3_lPKT2_lT1_lS7_lS8_lS4_lPT4_lS8_li.private_seg_size, 0
	.set _ZL32rocblas_gemvt_warp_reduce_kernelILb0ELi1024El19rocblas_complex_numIfEPKS1_S1_EviiT3_lPKT2_lT1_lS7_lS8_lS4_lPT4_lS8_li.uses_vcc, 1
	.set _ZL32rocblas_gemvt_warp_reduce_kernelILb0ELi1024El19rocblas_complex_numIfEPKS1_S1_EviiT3_lPKT2_lT1_lS7_lS8_lS4_lPT4_lS8_li.uses_flat_scratch, 0
	.set _ZL32rocblas_gemvt_warp_reduce_kernelILb0ELi1024El19rocblas_complex_numIfEPKS1_S1_EviiT3_lPKT2_lT1_lS7_lS8_lS4_lPT4_lS8_li.has_dyn_sized_stack, 0
	.set _ZL32rocblas_gemvt_warp_reduce_kernelILb0ELi1024El19rocblas_complex_numIfEPKS1_S1_EviiT3_lPKT2_lT1_lS7_lS8_lS4_lPT4_lS8_li.has_recursion, 0
	.set _ZL32rocblas_gemvt_warp_reduce_kernelILb0ELi1024El19rocblas_complex_numIfEPKS1_S1_EviiT3_lPKT2_lT1_lS7_lS8_lS4_lPT4_lS8_li.has_indirect_call, 0
	.section	.AMDGPU.csdata,"",@progbits
; Kernel info:
; codeLenInByte = 1748
; TotalNumSgprs: 54
; NumVgprs: 15
; ScratchSize: 0
; MemoryBound: 0
; FloatMode: 240
; IeeeMode: 1
; LDSByteSize: 256 bytes/workgroup (compile time only)
; SGPRBlocks: 0
; VGPRBlocks: 1
; NumSGPRsForWavesPerEU: 54
; NumVGPRsForWavesPerEU: 15
; Occupancy: 16
; WaveLimiterHint : 0
; COMPUTE_PGM_RSRC2:SCRATCH_EN: 0
; COMPUTE_PGM_RSRC2:USER_SGPR: 6
; COMPUTE_PGM_RSRC2:TRAP_HANDLER: 0
; COMPUTE_PGM_RSRC2:TGID_X_EN: 1
; COMPUTE_PGM_RSRC2:TGID_Y_EN: 0
; COMPUTE_PGM_RSRC2:TGID_Z_EN: 1
; COMPUTE_PGM_RSRC2:TIDIG_COMP_CNT: 0
	.section	.text._ZL32rocblas_gemvt_warp_reduce_kernelILb0ELi1024Ei19rocblas_complex_numIfES1_S1_EviiT3_lPKT2_lT1_lS5_lS6_lS2_lPT4_lS6_li,"axG",@progbits,_ZL32rocblas_gemvt_warp_reduce_kernelILb0ELi1024Ei19rocblas_complex_numIfES1_S1_EviiT3_lPKT2_lT1_lS5_lS6_lS2_lPT4_lS6_li,comdat
	.globl	_ZL32rocblas_gemvt_warp_reduce_kernelILb0ELi1024Ei19rocblas_complex_numIfES1_S1_EviiT3_lPKT2_lT1_lS5_lS6_lS2_lPT4_lS6_li ; -- Begin function _ZL32rocblas_gemvt_warp_reduce_kernelILb0ELi1024Ei19rocblas_complex_numIfES1_S1_EviiT3_lPKT2_lT1_lS5_lS6_lS2_lPT4_lS6_li
	.p2align	8
	.type	_ZL32rocblas_gemvt_warp_reduce_kernelILb0ELi1024Ei19rocblas_complex_numIfES1_S1_EviiT3_lPKT2_lT1_lS5_lS6_lS2_lPT4_lS6_li,@function
_ZL32rocblas_gemvt_warp_reduce_kernelILb0ELi1024Ei19rocblas_complex_numIfES1_S1_EviiT3_lPKT2_lT1_lS5_lS6_lS2_lPT4_lS6_li: ; @_ZL32rocblas_gemvt_warp_reduce_kernelILb0ELi1024Ei19rocblas_complex_numIfES1_S1_EviiT3_lPKT2_lT1_lS5_lS6_lS2_lPT4_lS6_li
; %bb.0:
	s_clause 0x1
	s_load_dwordx2 s[10:11], s[4:5], 0x8
	s_load_dwordx2 s[8:9], s[4:5], 0x58
	s_waitcnt lgkmcnt(0)
	v_cmp_neq_f32_e64 s0, s10, 0
	v_cmp_neq_f32_e64 s1, s11, 0
	s_or_b32 s0, s0, s1
	s_and_b32 vcc_lo, exec_lo, s0
	s_mov_b32 s0, -1
	s_cbranch_vccnz .LBB132_2
; %bb.1:
	v_cmp_neq_f32_e64 s0, s8, 1.0
	v_cmp_neq_f32_e64 s1, s9, 0
	s_or_b32 s0, s0, s1
.LBB132_2:
	s_andn2_b32 vcc_lo, exec_lo, s0
	s_cbranch_vccnz .LBB132_28
; %bb.3:
	s_clause 0x2
	s_load_dwordx2 s[12:13], s[4:5], 0x80
	s_load_dwordx4 s[0:3], s[4:5], 0x68
	s_load_dword s14, s[4:5], 0x78
	v_cmp_eq_u32_e32 vcc_lo, 0, v0
	s_waitcnt lgkmcnt(0)
	s_mul_i32 s13, s13, s7
	s_mul_hi_u32 s15, s12, s7
	s_mul_i32 s12, s12, s7
	s_add_i32 s13, s15, s13
	s_lshl_b64 s[12:13], s[12:13], 3
	s_add_u32 s12, s0, s12
	s_addc_u32 s13, s1, s13
	s_lshl_b64 s[0:1], s[2:3], 3
	s_add_u32 s12, s12, s0
	s_addc_u32 s13, s13, s1
	s_or_b32 s0, s10, s11
	s_bitset0_b32 s0, 31
	s_cmp_lg_u32 s0, 0
	s_mov_b32 s0, -1
	s_cbranch_scc1 .LBB132_9
; %bb.4:
	s_and_saveexec_b32 s2, vcc_lo
	s_cbranch_execz .LBB132_8
; %bb.5:
	v_cmp_neq_f32_e64 s0, s8, 0
	v_cmp_neq_f32_e64 s1, s9, 0
	v_mov_b32_e32 v2, 0
	v_mov_b32_e32 v3, 0
	;; [unrolled: 1-line block ×3, first 2 shown]
	s_or_b32 s1, s0, s1
	s_mul_i32 s0, s14, s6
	s_andn2_b32 vcc_lo, exec_lo, s1
	s_ashr_i32 s1, s0, 31
	s_cbranch_vccnz .LBB132_7
; %bb.6:
	s_lshl_b64 s[16:17], s[0:1], 3
	s_add_u32 s16, s12, s16
	s_addc_u32 s17, s13, s17
	s_load_dwordx2 s[16:17], s[16:17], 0x0
	s_waitcnt lgkmcnt(0)
	v_mul_f32_e64 v1, s9, s17
	v_mul_f32_e64 v2, s8, s17
	v_fma_f32 v1, s8, s16, -v1
	v_fmac_f32_e64 v2, s9, s16
.LBB132_7:
	s_lshl_b64 s[0:1], s[0:1], 3
	s_add_u32 s0, s12, s0
	s_addc_u32 s1, s13, s1
	global_store_dwordx2 v3, v[1:2], s[0:1]
.LBB132_8:
	s_or_b32 exec_lo, exec_lo, s2
	s_mov_b32 s0, 0
.LBB132_9:
	s_andn2_b32 vcc_lo, exec_lo, s0
	s_cbranch_vccnz .LBB132_28
; %bb.10:
	s_clause 0x6
	s_load_dwordx2 s[20:21], s[4:5], 0x50
	s_load_dwordx4 s[16:19], s[4:5], 0x30
	s_load_dwordx2 s[22:23], s[4:5], 0x40
	s_load_dword s15, s[4:5], 0x0
	s_load_dwordx4 s[0:3], s[4:5], 0x18
	s_load_dword s24, s[4:5], 0x28
	s_load_dword s4, s[4:5], 0x48
	v_mov_b32_e32 v7, 0
	v_mov_b32_e32 v8, 0
	s_waitcnt lgkmcnt(0)
	s_mul_i32 s5, s21, s7
	s_mul_hi_u32 s21, s20, s7
	s_mul_i32 s20, s20, s7
	s_add_i32 s21, s21, s5
	v_cmp_gt_i32_e32 vcc_lo, s15, v0
	s_lshl_b64 s[20:21], s[20:21], 3
	s_mul_i32 s17, s17, s7
	s_add_u32 s5, s18, s20
	s_addc_u32 s20, s19, s21
	s_lshl_b64 s[18:19], s[22:23], 3
	s_mul_hi_u32 s25, s16, s7
	s_add_u32 s5, s5, s18
	v_cndmask_b32_e32 v1, 0, v0, vcc_lo
	s_mul_i32 s16, s16, s7
	s_addc_u32 s7, s20, s19
	s_add_i32 s17, s25, s17
	s_mul_i32 s18, s24, s6
	s_lshl_b64 s[16:17], s[16:17], 3
	v_lshlrev_b32_e32 v1, 3, v1
	s_add_u32 s16, s0, s16
	s_addc_u32 s17, s1, s17
	s_lshl_b64 s[0:1], s[2:3], 3
	s_add_u32 s0, s16, s0
	s_addc_u32 s1, s17, s1
	s_ashr_i32 s2, s15, 31
	v_add_co_u32 v1, s0, s0, v1
	s_ashr_i32 s19, s18, 31
	s_lshr_b32 s2, s2, 22
	v_add_co_ci_u32_e64 v2, null, s1, 0, s0
	s_add_i32 s0, s15, s2
	s_lshl_b64 s[2:3], s[18:19], 3
	s_and_b32 s0, s0, 0xfffffc00
	v_add_co_u32 v1, vcc_lo, v1, s2
	v_add_co_ci_u32_e64 v2, null, s3, v2, vcc_lo
	s_mov_b32 s2, 0
	s_mov_b32 s1, exec_lo
	v_cmpx_gt_i32_e64 s0, v0
	s_cbranch_execz .LBB132_14
; %bb.11:
	v_mul_lo_u32 v3, v0, s4
	v_mov_b32_e32 v6, v2
	v_mov_b32_e32 v7, 0
	v_mov_b32_e32 v5, v1
	v_mov_b32_e32 v9, v0
	v_mov_b32_e32 v8, 0
	s_lshl_b32 s3, s4, 10
	.p2align	6
.LBB132_12:                             ; =>This Inner Loop Header: Depth=1
	v_ashrrev_i32_e32 v4, 31, v3
	v_add_nc_u32_e32 v9, 0x400, v9
	v_lshlrev_b64 v[10:11], 3, v[3:4]
	v_add_nc_u32_e32 v3, s3, v3
	v_add_co_u32 v10, vcc_lo, s5, v10
	v_add_co_ci_u32_e64 v11, null, s7, v11, vcc_lo
	global_load_dwordx2 v[12:13], v[5:6], off
	global_load_dwordx2 v[10:11], v[10:11], off
	v_add_co_u32 v5, vcc_lo, 0x2000, v5
	v_add_co_ci_u32_e64 v6, null, 0, v6, vcc_lo
	v_cmp_le_i32_e32 vcc_lo, s0, v9
	s_or_b32 s2, vcc_lo, s2
	s_waitcnt vmcnt(0)
	v_mul_f32_e32 v4, v11, v13
	v_mul_f32_e32 v13, v10, v13
	v_fma_f32 v4, v10, v12, -v4
	v_fmac_f32_e32 v13, v11, v12
	v_add_f32_e32 v8, v8, v4
	v_add_f32_e32 v7, v7, v13
	s_andn2_b32 exec_lo, exec_lo, s2
	s_cbranch_execnz .LBB132_12
; %bb.13:
	s_or_b32 exec_lo, exec_lo, s2
.LBB132_14:
	s_or_b32 exec_lo, exec_lo, s1
	v_or_b32_e32 v3, s0, v0
	s_mov_b32 s2, exec_lo
	v_cmpx_gt_i32_e64 s15, v3
	s_cbranch_execz .LBB132_16
; %bb.15:
	v_mul_lo_u32 v3, s4, v3
	s_ashr_i32 s1, s0, 31
	s_lshl_b64 s[0:1], s[0:1], 3
	v_add_co_u32 v1, vcc_lo, v1, s0
	v_add_co_ci_u32_e64 v2, null, s1, v2, vcc_lo
	v_ashrrev_i32_e32 v4, 31, v3
	v_lshlrev_b64 v[3:4], 3, v[3:4]
	v_add_co_u32 v3, vcc_lo, s5, v3
	v_add_co_ci_u32_e64 v4, null, s7, v4, vcc_lo
	global_load_dwordx2 v[1:2], v[1:2], off
	global_load_dwordx2 v[3:4], v[3:4], off
	s_waitcnt vmcnt(0)
	v_mul_f32_e32 v5, v4, v2
	v_mul_f32_e32 v2, v3, v2
	v_fma_f32 v3, v3, v1, -v5
	v_fmac_f32_e32 v2, v4, v1
	v_add_f32_e32 v8, v8, v3
	v_add_f32_e32 v7, v7, v2
.LBB132_16:
	s_or_b32 exec_lo, exec_lo, s2
	v_and_b32_e32 v1, 31, v0
	v_cmp_gt_u32_e32 vcc_lo, 32, v0
	v_lshlrev_b32_e32 v5, 3, v1
	s_and_saveexec_b32 s0, vcc_lo
; %bb.17:
	v_mov_b32_e32 v2, 0
	v_mov_b32_e32 v3, v2
	ds_write_b64 v5, v[2:3]
; %bb.18:
	s_or_b32 exec_lo, exec_lo, s0
	v_mbcnt_lo_u32_b32 v2, -1, 0
	s_mov_b32 s1, exec_lo
	s_waitcnt lgkmcnt(0)
	s_waitcnt_vscnt null, 0x0
	s_barrier
	buffer_gl0_inv
	v_lshl_or_b32 v3, v2, 2, 64
	v_cmp_gt_u32_e64 s0, 24, v2
	ds_bpermute_b32 v6, v3, v8
	ds_bpermute_b32 v9, v3, v7
	v_cndmask_b32_e64 v4, 0, 8, s0
	v_cmp_gt_u32_e64 s0, 28, v2
	v_add_lshl_u32 v4, v4, v2, 2
	s_waitcnt lgkmcnt(1)
	v_add_f32_e32 v8, v8, v6
	s_waitcnt lgkmcnt(0)
	v_add_f32_e32 v7, v7, v9
	v_cndmask_b32_e64 v6, 0, 4, s0
	v_cmp_gt_u32_e64 s0, 30, v2
	ds_bpermute_b32 v9, v4, v8
	ds_bpermute_b32 v10, v4, v7
	v_add_lshl_u32 v6, v6, v2, 2
	s_waitcnt lgkmcnt(1)
	v_add_f32_e32 v8, v8, v9
	s_waitcnt lgkmcnt(0)
	v_add_f32_e32 v9, v7, v10
	v_cndmask_b32_e64 v7, 0, 2, s0
	v_cmp_ne_u32_e64 s0, 31, v2
	ds_bpermute_b32 v10, v6, v8
	ds_bpermute_b32 v11, v6, v9
	v_add_lshl_u32 v7, v7, v2, 2
	v_add_co_ci_u32_e64 v2, null, 0, v2, s0
	s_waitcnt lgkmcnt(1)
	v_add_f32_e32 v10, v8, v10
	s_waitcnt lgkmcnt(0)
	v_add_f32_e32 v9, v9, v11
	v_lshlrev_b32_e32 v8, 2, v2
	ds_bpermute_b32 v11, v7, v10
	ds_bpermute_b32 v12, v7, v9
	s_waitcnt lgkmcnt(1)
	v_add_f32_e32 v2, v10, v11
	s_waitcnt lgkmcnt(0)
	v_add_f32_e32 v10, v9, v12
	ds_bpermute_b32 v9, v8, v2
	ds_bpermute_b32 v11, v8, v10
	v_cmpx_eq_u32_e32 0, v1
	s_cbranch_execz .LBB132_20
; %bb.19:
	v_lshrrev_b32_e32 v1, 2, v0
	s_waitcnt lgkmcnt(0)
	v_add_f32_e32 v10, v10, v11
	v_add_f32_e32 v9, v2, v9
	v_and_b32_e32 v1, 0xf8, v1
	ds_write_b64 v1, v[9:10]
.LBB132_20:
	s_or_b32 exec_lo, exec_lo, s1
	v_mov_b32_e32 v2, 0
	v_mov_b32_e32 v1, 0
	s_waitcnt lgkmcnt(0)
	s_barrier
	buffer_gl0_inv
	s_and_saveexec_b32 s0, vcc_lo
; %bb.21:
	ds_read_b64 v[1:2], v5
; %bb.22:
	s_or_b32 exec_lo, exec_lo, s0
	s_and_saveexec_b32 s0, vcc_lo
	s_cbranch_execz .LBB132_24
; %bb.23:
	s_waitcnt lgkmcnt(0)
	ds_bpermute_b32 v5, v3, v1
	ds_bpermute_b32 v3, v3, v2
	s_waitcnt lgkmcnt(1)
	v_add_f32_e32 v1, v1, v5
	s_waitcnt lgkmcnt(0)
	v_add_f32_e32 v2, v2, v3
	ds_bpermute_b32 v3, v4, v1
	ds_bpermute_b32 v4, v4, v2
	s_waitcnt lgkmcnt(1)
	v_add_f32_e32 v1, v1, v3
	s_waitcnt lgkmcnt(0)
	v_add_f32_e32 v2, v2, v4
	;; [unrolled: 6-line block ×5, first 2 shown]
.LBB132_24:
	s_or_b32 exec_lo, exec_lo, s0
	s_mov_b32 s0, exec_lo
	v_cmpx_eq_u32_e32 0, v0
	s_cbranch_execz .LBB132_28
; %bb.25:
	s_waitcnt lgkmcnt(0)
	v_mul_f32_e32 v0, s11, v2
	v_mul_f32_e32 v3, s10, v2
	v_cmp_neq_f32_e64 s0, s8, 0
	v_cmp_neq_f32_e64 s1, s9, 0
	v_fma_f32 v2, v1, s10, -v0
	v_fmac_f32_e32 v3, s11, v1
	s_or_b32 s1, s0, s1
	s_mul_i32 s0, s14, s6
	s_andn2_b32 vcc_lo, exec_lo, s1
	s_ashr_i32 s1, s0, 31
	s_cbranch_vccnz .LBB132_27
; %bb.26:
	s_lshl_b64 s[2:3], s[0:1], 3
	v_mov_b32_e32 v0, 0
	s_add_u32 s2, s12, s2
	s_addc_u32 s3, s13, s3
	global_load_dwordx2 v[0:1], v0, s[2:3]
	s_waitcnt vmcnt(0)
	v_mul_f32_e32 v4, s9, v1
	v_mul_f32_e32 v1, s8, v1
	v_fma_f32 v4, s8, v0, -v4
	v_fmac_f32_e32 v1, s9, v0
	v_add_f32_e32 v2, v2, v4
	v_add_f32_e32 v3, v3, v1
.LBB132_27:
	s_lshl_b64 s[0:1], s[0:1], 3
	v_mov_b32_e32 v0, 0
	s_add_u32 s0, s12, s0
	s_addc_u32 s1, s13, s1
	global_store_dwordx2 v0, v[2:3], s[0:1]
.LBB132_28:
	s_endpgm
	.section	.rodata,"a",@progbits
	.p2align	6, 0x0
	.amdhsa_kernel _ZL32rocblas_gemvt_warp_reduce_kernelILb0ELi1024Ei19rocblas_complex_numIfES1_S1_EviiT3_lPKT2_lT1_lS5_lS6_lS2_lPT4_lS6_li
		.amdhsa_group_segment_fixed_size 256
		.amdhsa_private_segment_fixed_size 0
		.amdhsa_kernarg_size 140
		.amdhsa_user_sgpr_count 6
		.amdhsa_user_sgpr_private_segment_buffer 1
		.amdhsa_user_sgpr_dispatch_ptr 0
		.amdhsa_user_sgpr_queue_ptr 0
		.amdhsa_user_sgpr_kernarg_segment_ptr 1
		.amdhsa_user_sgpr_dispatch_id 0
		.amdhsa_user_sgpr_flat_scratch_init 0
		.amdhsa_user_sgpr_private_segment_size 0
		.amdhsa_wavefront_size32 1
		.amdhsa_uses_dynamic_stack 0
		.amdhsa_system_sgpr_private_segment_wavefront_offset 0
		.amdhsa_system_sgpr_workgroup_id_x 1
		.amdhsa_system_sgpr_workgroup_id_y 0
		.amdhsa_system_sgpr_workgroup_id_z 1
		.amdhsa_system_sgpr_workgroup_info 0
		.amdhsa_system_vgpr_workitem_id 0
		.amdhsa_next_free_vgpr 14
		.amdhsa_next_free_sgpr 26
		.amdhsa_reserve_vcc 1
		.amdhsa_reserve_flat_scratch 0
		.amdhsa_float_round_mode_32 0
		.amdhsa_float_round_mode_16_64 0
		.amdhsa_float_denorm_mode_32 3
		.amdhsa_float_denorm_mode_16_64 3
		.amdhsa_dx10_clamp 1
		.amdhsa_ieee_mode 1
		.amdhsa_fp16_overflow 0
		.amdhsa_workgroup_processor_mode 1
		.amdhsa_memory_ordered 1
		.amdhsa_forward_progress 1
		.amdhsa_shared_vgpr_count 0
		.amdhsa_exception_fp_ieee_invalid_op 0
		.amdhsa_exception_fp_denorm_src 0
		.amdhsa_exception_fp_ieee_div_zero 0
		.amdhsa_exception_fp_ieee_overflow 0
		.amdhsa_exception_fp_ieee_underflow 0
		.amdhsa_exception_fp_ieee_inexact 0
		.amdhsa_exception_int_div_zero 0
	.end_amdhsa_kernel
	.section	.text._ZL32rocblas_gemvt_warp_reduce_kernelILb0ELi1024Ei19rocblas_complex_numIfES1_S1_EviiT3_lPKT2_lT1_lS5_lS6_lS2_lPT4_lS6_li,"axG",@progbits,_ZL32rocblas_gemvt_warp_reduce_kernelILb0ELi1024Ei19rocblas_complex_numIfES1_S1_EviiT3_lPKT2_lT1_lS5_lS6_lS2_lPT4_lS6_li,comdat
.Lfunc_end132:
	.size	_ZL32rocblas_gemvt_warp_reduce_kernelILb0ELi1024Ei19rocblas_complex_numIfES1_S1_EviiT3_lPKT2_lT1_lS5_lS6_lS2_lPT4_lS6_li, .Lfunc_end132-_ZL32rocblas_gemvt_warp_reduce_kernelILb0ELi1024Ei19rocblas_complex_numIfES1_S1_EviiT3_lPKT2_lT1_lS5_lS6_lS2_lPT4_lS6_li
                                        ; -- End function
	.set _ZL32rocblas_gemvt_warp_reduce_kernelILb0ELi1024Ei19rocblas_complex_numIfES1_S1_EviiT3_lPKT2_lT1_lS5_lS6_lS2_lPT4_lS6_li.num_vgpr, 14
	.set _ZL32rocblas_gemvt_warp_reduce_kernelILb0ELi1024Ei19rocblas_complex_numIfES1_S1_EviiT3_lPKT2_lT1_lS5_lS6_lS2_lPT4_lS6_li.num_agpr, 0
	.set _ZL32rocblas_gemvt_warp_reduce_kernelILb0ELi1024Ei19rocblas_complex_numIfES1_S1_EviiT3_lPKT2_lT1_lS5_lS6_lS2_lPT4_lS6_li.numbered_sgpr, 26
	.set _ZL32rocblas_gemvt_warp_reduce_kernelILb0ELi1024Ei19rocblas_complex_numIfES1_S1_EviiT3_lPKT2_lT1_lS5_lS6_lS2_lPT4_lS6_li.num_named_barrier, 0
	.set _ZL32rocblas_gemvt_warp_reduce_kernelILb0ELi1024Ei19rocblas_complex_numIfES1_S1_EviiT3_lPKT2_lT1_lS5_lS6_lS2_lPT4_lS6_li.private_seg_size, 0
	.set _ZL32rocblas_gemvt_warp_reduce_kernelILb0ELi1024Ei19rocblas_complex_numIfES1_S1_EviiT3_lPKT2_lT1_lS5_lS6_lS2_lPT4_lS6_li.uses_vcc, 1
	.set _ZL32rocblas_gemvt_warp_reduce_kernelILb0ELi1024Ei19rocblas_complex_numIfES1_S1_EviiT3_lPKT2_lT1_lS5_lS6_lS2_lPT4_lS6_li.uses_flat_scratch, 0
	.set _ZL32rocblas_gemvt_warp_reduce_kernelILb0ELi1024Ei19rocblas_complex_numIfES1_S1_EviiT3_lPKT2_lT1_lS5_lS6_lS2_lPT4_lS6_li.has_dyn_sized_stack, 0
	.set _ZL32rocblas_gemvt_warp_reduce_kernelILb0ELi1024Ei19rocblas_complex_numIfES1_S1_EviiT3_lPKT2_lT1_lS5_lS6_lS2_lPT4_lS6_li.has_recursion, 0
	.set _ZL32rocblas_gemvt_warp_reduce_kernelILb0ELi1024Ei19rocblas_complex_numIfES1_S1_EviiT3_lPKT2_lT1_lS5_lS6_lS2_lPT4_lS6_li.has_indirect_call, 0
	.section	.AMDGPU.csdata,"",@progbits
; Kernel info:
; codeLenInByte = 1632
; TotalNumSgprs: 28
; NumVgprs: 14
; ScratchSize: 0
; MemoryBound: 0
; FloatMode: 240
; IeeeMode: 1
; LDSByteSize: 256 bytes/workgroup (compile time only)
; SGPRBlocks: 0
; VGPRBlocks: 1
; NumSGPRsForWavesPerEU: 28
; NumVGPRsForWavesPerEU: 14
; Occupancy: 16
; WaveLimiterHint : 1
; COMPUTE_PGM_RSRC2:SCRATCH_EN: 0
; COMPUTE_PGM_RSRC2:USER_SGPR: 6
; COMPUTE_PGM_RSRC2:TRAP_HANDLER: 0
; COMPUTE_PGM_RSRC2:TGID_X_EN: 1
; COMPUTE_PGM_RSRC2:TGID_Y_EN: 0
; COMPUTE_PGM_RSRC2:TGID_Z_EN: 1
; COMPUTE_PGM_RSRC2:TIDIG_COMP_CNT: 0
	.section	.text._ZL32rocblas_gemvt_warp_reduce_kernelILb0ELi1024El19rocblas_complex_numIfES1_S1_EviiT3_lPKT2_lT1_lS5_lS6_lS2_lPT4_lS6_li,"axG",@progbits,_ZL32rocblas_gemvt_warp_reduce_kernelILb0ELi1024El19rocblas_complex_numIfES1_S1_EviiT3_lPKT2_lT1_lS5_lS6_lS2_lPT4_lS6_li,comdat
	.globl	_ZL32rocblas_gemvt_warp_reduce_kernelILb0ELi1024El19rocblas_complex_numIfES1_S1_EviiT3_lPKT2_lT1_lS5_lS6_lS2_lPT4_lS6_li ; -- Begin function _ZL32rocblas_gemvt_warp_reduce_kernelILb0ELi1024El19rocblas_complex_numIfES1_S1_EviiT3_lPKT2_lT1_lS5_lS6_lS2_lPT4_lS6_li
	.p2align	8
	.type	_ZL32rocblas_gemvt_warp_reduce_kernelILb0ELi1024El19rocblas_complex_numIfES1_S1_EviiT3_lPKT2_lT1_lS5_lS6_lS2_lPT4_lS6_li,@function
_ZL32rocblas_gemvt_warp_reduce_kernelILb0ELi1024El19rocblas_complex_numIfES1_S1_EviiT3_lPKT2_lT1_lS5_lS6_lS2_lPT4_lS6_li: ; @_ZL32rocblas_gemvt_warp_reduce_kernelILb0ELi1024El19rocblas_complex_numIfES1_S1_EviiT3_lPKT2_lT1_lS5_lS6_lS2_lPT4_lS6_li
; %bb.0:
	s_clause 0x1
	s_load_dwordx2 s[28:29], s[4:5], 0x8
	s_load_dwordx2 s[2:3], s[4:5], 0x58
	s_waitcnt lgkmcnt(0)
	v_cmp_neq_f32_e64 s0, s28, 0
	v_cmp_neq_f32_e64 s1, s29, 0
	s_or_b32 s0, s0, s1
	s_and_b32 vcc_lo, exec_lo, s0
	s_mov_b32 s0, -1
	s_cbranch_vccnz .LBB133_2
; %bb.1:
	v_cmp_neq_f32_e64 s0, s2, 1.0
	v_cmp_neq_f32_e64 s1, s3, 0
	s_or_b32 s0, s0, s1
.LBB133_2:
	s_andn2_b32 vcc_lo, exec_lo, s0
	s_cbranch_vccnz .LBB133_28
; %bb.3:
	s_load_dwordx8 s[20:27], s[4:5], 0x68
	v_cmp_eq_u32_e32 vcc_lo, 0, v0
	s_waitcnt lgkmcnt(0)
	s_mul_i32 s1, s27, s7
	s_mul_hi_u32 s8, s26, s7
	s_mul_i32 s0, s26, s7
	s_add_i32 s1, s8, s1
	s_lshl_b64 s[0:1], s[0:1], 3
	s_add_u32 s8, s20, s0
	s_addc_u32 s9, s21, s1
	s_lshl_b64 s[0:1], s[22:23], 3
	s_add_u32 s26, s8, s0
	s_addc_u32 s27, s9, s1
	s_or_b32 s0, s28, s29
	s_bitset0_b32 s0, 31
	s_cmp_lg_u32 s0, 0
	s_mov_b32 s0, -1
	s_cbranch_scc1 .LBB133_9
; %bb.4:
	s_and_saveexec_b32 s8, vcc_lo
	s_cbranch_execz .LBB133_8
; %bb.5:
	v_cmp_neq_f32_e64 s0, s2, 0
	v_cmp_neq_f32_e64 s1, s3, 0
	s_ashr_i32 s9, s6, 31
	s_mul_hi_u32 s10, s24, s6
	v_mov_b32_e32 v2, 0
	v_mov_b32_e32 v3, 0
	s_or_b32 s0, s0, s1
	s_mul_i32 s1, s24, s9
	v_mov_b32_e32 v1, 0
	s_add_i32 s1, s10, s1
	s_mul_i32 s9, s25, s6
	s_andn2_b32 vcc_lo, exec_lo, s0
	s_add_i32 s1, s1, s9
	s_mul_i32 s0, s24, s6
	s_cbranch_vccnz .LBB133_7
; %bb.6:
	s_lshl_b64 s[10:11], s[0:1], 3
	s_add_u32 s10, s26, s10
	s_addc_u32 s11, s27, s11
	s_load_dwordx2 s[10:11], s[10:11], 0x0
	s_waitcnt lgkmcnt(0)
	v_mul_f32_e64 v1, s3, s11
	v_mul_f32_e64 v2, s2, s11
	v_fma_f32 v1, s2, s10, -v1
	v_fmac_f32_e64 v2, s3, s10
.LBB133_7:
	s_lshl_b64 s[0:1], s[0:1], 3
	s_add_u32 s0, s26, s0
	s_addc_u32 s1, s27, s1
	global_store_dwordx2 v3, v[1:2], s[0:1]
.LBB133_8:
	s_or_b32 exec_lo, exec_lo, s8
	s_mov_b32 s0, 0
.LBB133_9:
	s_andn2_b32 vcc_lo, exec_lo, s0
	s_cbranch_vccnz .LBB133_28
; %bb.10:
	s_clause 0x1
	s_load_dwordx16 s[8:23], s[4:5], 0x18
	s_load_dword s30, s[4:5], 0x0
	v_mov_b32_e32 v7, 0
	v_mov_b32_e32 v8, 0
	s_waitcnt lgkmcnt(0)
	s_mul_i32 s1, s15, s7
	v_cmp_gt_i32_e32 vcc_lo, s30, v0
	s_mul_hi_u32 s15, s14, s7
	s_mul_i32 s0, s14, s7
	s_add_i32 s1, s15, s1
	s_mul_i32 s4, s23, s7
	v_cndmask_b32_e32 v1, 0, v0, vcc_lo
	s_mul_hi_u32 s5, s22, s7
	s_lshl_b64 s[0:1], s[0:1], 3
	s_add_i32 s5, s5, s4
	s_add_u32 s4, s8, s0
	v_lshlrev_b32_e32 v1, 3, v1
	s_addc_u32 s8, s9, s1
	s_lshl_b64 s[0:1], s[10:11], 3
	s_mul_hi_u32 s23, s12, s6
	s_add_u32 s0, s4, s0
	s_addc_u32 s4, s8, s1
	s_ashr_i32 s1, s6, 31
	v_add_co_u32 v1, s0, s0, v1
	v_add_co_ci_u32_e64 v2, null, s4, 0, s0
	s_mul_i32 s0, s12, s1
	s_mul_i32 s13, s13, s6
	s_add_i32 s0, s23, s0
	s_mul_i32 s14, s12, s6
	s_add_i32 s15, s0, s13
	s_ashr_i32 s8, s30, 31
	s_lshl_b64 s[10:11], s[14:15], 3
	s_lshr_b32 s4, s8, 22
	v_add_co_u32 v1, s0, v1, s10
	v_add_co_ci_u32_e64 v2, null, s11, v2, s0
	s_add_i32 s4, s30, s4
	s_mov_b32 s9, 0
	s_and_b32 s8, s4, 0xfffffc00
	s_mul_i32 s4, s22, s7
	s_mov_b32 s7, exec_lo
	v_cmpx_gt_i32_e64 s8, v0
	s_cbranch_execz .LBB133_14
; %bb.11:
	v_mad_u64_u32 v[5:6], null, s20, v0, 0
	s_lshl_b64 s[12:13], s[18:19], 3
	s_lshl_b64 s[10:11], s[4:5], 3
	s_add_u32 s0, s16, s12
	s_addc_u32 s12, s17, s13
	s_add_u32 s0, s0, s10
	s_addc_u32 s10, s12, s11
	v_mov_b32_e32 v3, v6
	v_mov_b32_e32 v7, 0
	;; [unrolled: 1-line block ×4, first 2 shown]
	v_mad_u64_u32 v[3:4], null, s21, v0, v[3:4]
	v_mov_b32_e32 v6, v3
	v_mov_b32_e32 v4, v2
	;; [unrolled: 1-line block ×3, first 2 shown]
	v_lshlrev_b64 v[5:6], 3, v[5:6]
	v_add_co_u32 v5, vcc_lo, s0, v5
	v_add_co_ci_u32_e64 v6, null, s10, v6, vcc_lo
	s_lshl_b64 s[10:11], s[20:21], 13
	v_add_co_u32 v5, vcc_lo, v5, 4
	v_add_co_ci_u32_e64 v6, null, 0, v6, vcc_lo
	.p2align	6
.LBB133_12:                             ; =>This Inner Loop Header: Depth=1
	global_load_dwordx2 v[10:11], v[3:4], off
	global_load_dwordx2 v[12:13], v[5:6], off offset:-4
	v_add_nc_u32_e32 v9, 0x400, v9
	v_add_co_u32 v3, vcc_lo, 0x2000, v3
	v_add_co_ci_u32_e64 v4, null, 0, v4, vcc_lo
	v_add_co_u32 v5, vcc_lo, v5, s10
	v_cmp_le_i32_e64 s0, s8, v9
	v_add_co_ci_u32_e64 v6, null, s11, v6, vcc_lo
	s_or_b32 s9, s0, s9
	s_waitcnt vmcnt(0)
	v_mul_f32_e32 v14, v13, v11
	v_mul_f32_e32 v11, v12, v11
	v_fma_f32 v12, v12, v10, -v14
	v_fmac_f32_e32 v11, v13, v10
	v_add_f32_e32 v8, v8, v12
	v_add_f32_e32 v7, v7, v11
	s_andn2_b32 exec_lo, exec_lo, s9
	s_cbranch_execnz .LBB133_12
; %bb.13:
	s_or_b32 exec_lo, exec_lo, s9
.LBB133_14:
	s_or_b32 exec_lo, exec_lo, s7
	v_or_b32_e32 v3, s8, v0
	s_mov_b32 s0, exec_lo
	v_cmpx_gt_i32_e64 s30, v3
	s_cbranch_execz .LBB133_16
; %bb.15:
	v_ashrrev_i32_e32 v5, 31, v3
	v_mul_lo_u32 v6, s21, v3
	v_mad_u64_u32 v[3:4], null, s20, v3, 0
	s_lshl_b64 s[4:5], s[4:5], 3
	v_mul_lo_u32 v5, s20, v5
	s_add_u32 s7, s16, s4
	s_addc_u32 s9, s17, s5
	s_lshl_b64 s[4:5], s[18:19], 3
	s_add_u32 s7, s7, s4
	s_addc_u32 s10, s9, s5
	s_ashr_i32 s9, s8, 31
	v_add3_u32 v4, v4, v5, v6
	s_lshl_b64 s[4:5], s[8:9], 3
	v_add_co_u32 v1, vcc_lo, v1, s4
	v_lshlrev_b64 v[3:4], 3, v[3:4]
	v_add_co_ci_u32_e64 v2, null, s5, v2, vcc_lo
	v_add_co_u32 v3, vcc_lo, s7, v3
	v_add_co_ci_u32_e64 v4, null, s10, v4, vcc_lo
	global_load_dwordx2 v[1:2], v[1:2], off
	global_load_dwordx2 v[3:4], v[3:4], off
	s_waitcnt vmcnt(0)
	v_mul_f32_e32 v5, v4, v2
	v_mul_f32_e32 v2, v3, v2
	v_fma_f32 v3, v3, v1, -v5
	v_fmac_f32_e32 v2, v4, v1
	v_add_f32_e32 v8, v8, v3
	v_add_f32_e32 v7, v7, v2
.LBB133_16:
	s_or_b32 exec_lo, exec_lo, s0
	v_and_b32_e32 v1, 31, v0
	v_cmp_gt_u32_e32 vcc_lo, 32, v0
	v_lshlrev_b32_e32 v5, 3, v1
	s_and_saveexec_b32 s0, vcc_lo
; %bb.17:
	v_mov_b32_e32 v2, 0
	v_mov_b32_e32 v3, v2
	ds_write_b64 v5, v[2:3]
; %bb.18:
	s_or_b32 exec_lo, exec_lo, s0
	v_mbcnt_lo_u32_b32 v2, -1, 0
	s_mov_b32 s4, exec_lo
	s_waitcnt lgkmcnt(0)
	s_waitcnt_vscnt null, 0x0
	s_barrier
	buffer_gl0_inv
	v_lshl_or_b32 v3, v2, 2, 64
	v_cmp_gt_u32_e64 s0, 24, v2
	ds_bpermute_b32 v6, v3, v8
	ds_bpermute_b32 v9, v3, v7
	v_cndmask_b32_e64 v4, 0, 8, s0
	v_cmp_gt_u32_e64 s0, 28, v2
	v_add_lshl_u32 v4, v4, v2, 2
	s_waitcnt lgkmcnt(1)
	v_add_f32_e32 v8, v8, v6
	s_waitcnt lgkmcnt(0)
	v_add_f32_e32 v7, v7, v9
	v_cndmask_b32_e64 v6, 0, 4, s0
	v_cmp_gt_u32_e64 s0, 30, v2
	ds_bpermute_b32 v9, v4, v8
	ds_bpermute_b32 v10, v4, v7
	v_add_lshl_u32 v6, v6, v2, 2
	s_waitcnt lgkmcnt(1)
	v_add_f32_e32 v8, v8, v9
	s_waitcnt lgkmcnt(0)
	v_add_f32_e32 v9, v7, v10
	v_cndmask_b32_e64 v7, 0, 2, s0
	v_cmp_ne_u32_e64 s0, 31, v2
	ds_bpermute_b32 v10, v6, v8
	ds_bpermute_b32 v11, v6, v9
	v_add_lshl_u32 v7, v7, v2, 2
	v_add_co_ci_u32_e64 v2, null, 0, v2, s0
	s_waitcnt lgkmcnt(1)
	v_add_f32_e32 v10, v8, v10
	s_waitcnt lgkmcnt(0)
	v_add_f32_e32 v9, v9, v11
	v_lshlrev_b32_e32 v8, 2, v2
	ds_bpermute_b32 v11, v7, v10
	ds_bpermute_b32 v12, v7, v9
	s_waitcnt lgkmcnt(1)
	v_add_f32_e32 v2, v10, v11
	s_waitcnt lgkmcnt(0)
	v_add_f32_e32 v10, v9, v12
	ds_bpermute_b32 v9, v8, v2
	ds_bpermute_b32 v11, v8, v10
	v_cmpx_eq_u32_e32 0, v1
	s_cbranch_execz .LBB133_20
; %bb.19:
	v_lshrrev_b32_e32 v1, 2, v0
	s_waitcnt lgkmcnt(0)
	v_add_f32_e32 v10, v10, v11
	v_add_f32_e32 v9, v2, v9
	v_and_b32_e32 v1, 0xf8, v1
	ds_write_b64 v1, v[9:10]
.LBB133_20:
	s_or_b32 exec_lo, exec_lo, s4
	v_mov_b32_e32 v2, 0
	v_mov_b32_e32 v1, 0
	s_waitcnt lgkmcnt(0)
	s_barrier
	buffer_gl0_inv
	s_and_saveexec_b32 s0, vcc_lo
; %bb.21:
	ds_read_b64 v[1:2], v5
; %bb.22:
	s_or_b32 exec_lo, exec_lo, s0
	s_and_saveexec_b32 s0, vcc_lo
	s_cbranch_execz .LBB133_24
; %bb.23:
	s_waitcnt lgkmcnt(0)
	ds_bpermute_b32 v5, v3, v1
	ds_bpermute_b32 v3, v3, v2
	s_waitcnt lgkmcnt(1)
	v_add_f32_e32 v1, v1, v5
	s_waitcnt lgkmcnt(0)
	v_add_f32_e32 v2, v2, v3
	ds_bpermute_b32 v3, v4, v1
	ds_bpermute_b32 v4, v4, v2
	s_waitcnt lgkmcnt(1)
	v_add_f32_e32 v1, v1, v3
	s_waitcnt lgkmcnt(0)
	v_add_f32_e32 v2, v2, v4
	;; [unrolled: 6-line block ×5, first 2 shown]
.LBB133_24:
	s_or_b32 exec_lo, exec_lo, s0
	s_mov_b32 s0, exec_lo
	v_cmpx_eq_u32_e32 0, v0
	s_cbranch_execz .LBB133_28
; %bb.25:
	v_cmp_neq_f32_e64 s0, s2, 0
	v_cmp_neq_f32_e64 s4, s3, 0
	s_waitcnt lgkmcnt(0)
	v_mul_f32_e32 v0, s29, v2
	v_mul_f32_e32 v4, s28, v2
	s_mul_i32 s1, s24, s1
	s_or_b32 s0, s0, s4
	s_mul_hi_u32 s4, s24, s6
	v_fma_f32 v3, v1, s28, -v0
	v_fmac_f32_e32 v4, s29, v1
	s_add_i32 s1, s4, s1
	s_mul_i32 s4, s25, s6
	s_andn2_b32 vcc_lo, exec_lo, s0
	s_add_i32 s1, s1, s4
	s_mul_i32 s0, s24, s6
	s_cbranch_vccnz .LBB133_27
; %bb.26:
	s_lshl_b64 s[4:5], s[0:1], 3
	v_mov_b32_e32 v0, 0
	s_add_u32 s4, s26, s4
	s_addc_u32 s5, s27, s5
	global_load_dwordx2 v[0:1], v0, s[4:5]
	s_waitcnt vmcnt(0)
	v_mul_f32_e32 v2, s3, v1
	v_mul_f32_e32 v1, s2, v1
	v_fma_f32 v2, s2, v0, -v2
	v_fmac_f32_e32 v1, s3, v0
	v_add_f32_e32 v3, v3, v2
	v_add_f32_e32 v4, v4, v1
.LBB133_27:
	s_lshl_b64 s[0:1], s[0:1], 3
	v_mov_b32_e32 v0, 0
	s_add_u32 s0, s26, s0
	s_addc_u32 s1, s27, s1
	global_store_dwordx2 v0, v[3:4], s[0:1]
.LBB133_28:
	s_endpgm
	.section	.rodata,"a",@progbits
	.p2align	6, 0x0
	.amdhsa_kernel _ZL32rocblas_gemvt_warp_reduce_kernelILb0ELi1024El19rocblas_complex_numIfES1_S1_EviiT3_lPKT2_lT1_lS5_lS6_lS2_lPT4_lS6_li
		.amdhsa_group_segment_fixed_size 256
		.amdhsa_private_segment_fixed_size 0
		.amdhsa_kernarg_size 140
		.amdhsa_user_sgpr_count 6
		.amdhsa_user_sgpr_private_segment_buffer 1
		.amdhsa_user_sgpr_dispatch_ptr 0
		.amdhsa_user_sgpr_queue_ptr 0
		.amdhsa_user_sgpr_kernarg_segment_ptr 1
		.amdhsa_user_sgpr_dispatch_id 0
		.amdhsa_user_sgpr_flat_scratch_init 0
		.amdhsa_user_sgpr_private_segment_size 0
		.amdhsa_wavefront_size32 1
		.amdhsa_uses_dynamic_stack 0
		.amdhsa_system_sgpr_private_segment_wavefront_offset 0
		.amdhsa_system_sgpr_workgroup_id_x 1
		.amdhsa_system_sgpr_workgroup_id_y 0
		.amdhsa_system_sgpr_workgroup_id_z 1
		.amdhsa_system_sgpr_workgroup_info 0
		.amdhsa_system_vgpr_workitem_id 0
		.amdhsa_next_free_vgpr 15
		.amdhsa_next_free_sgpr 31
		.amdhsa_reserve_vcc 1
		.amdhsa_reserve_flat_scratch 0
		.amdhsa_float_round_mode_32 0
		.amdhsa_float_round_mode_16_64 0
		.amdhsa_float_denorm_mode_32 3
		.amdhsa_float_denorm_mode_16_64 3
		.amdhsa_dx10_clamp 1
		.amdhsa_ieee_mode 1
		.amdhsa_fp16_overflow 0
		.amdhsa_workgroup_processor_mode 1
		.amdhsa_memory_ordered 1
		.amdhsa_forward_progress 1
		.amdhsa_shared_vgpr_count 0
		.amdhsa_exception_fp_ieee_invalid_op 0
		.amdhsa_exception_fp_denorm_src 0
		.amdhsa_exception_fp_ieee_div_zero 0
		.amdhsa_exception_fp_ieee_overflow 0
		.amdhsa_exception_fp_ieee_underflow 0
		.amdhsa_exception_fp_ieee_inexact 0
		.amdhsa_exception_int_div_zero 0
	.end_amdhsa_kernel
	.section	.text._ZL32rocblas_gemvt_warp_reduce_kernelILb0ELi1024El19rocblas_complex_numIfES1_S1_EviiT3_lPKT2_lT1_lS5_lS6_lS2_lPT4_lS6_li,"axG",@progbits,_ZL32rocblas_gemvt_warp_reduce_kernelILb0ELi1024El19rocblas_complex_numIfES1_S1_EviiT3_lPKT2_lT1_lS5_lS6_lS2_lPT4_lS6_li,comdat
.Lfunc_end133:
	.size	_ZL32rocblas_gemvt_warp_reduce_kernelILb0ELi1024El19rocblas_complex_numIfES1_S1_EviiT3_lPKT2_lT1_lS5_lS6_lS2_lPT4_lS6_li, .Lfunc_end133-_ZL32rocblas_gemvt_warp_reduce_kernelILb0ELi1024El19rocblas_complex_numIfES1_S1_EviiT3_lPKT2_lT1_lS5_lS6_lS2_lPT4_lS6_li
                                        ; -- End function
	.set _ZL32rocblas_gemvt_warp_reduce_kernelILb0ELi1024El19rocblas_complex_numIfES1_S1_EviiT3_lPKT2_lT1_lS5_lS6_lS2_lPT4_lS6_li.num_vgpr, 15
	.set _ZL32rocblas_gemvt_warp_reduce_kernelILb0ELi1024El19rocblas_complex_numIfES1_S1_EviiT3_lPKT2_lT1_lS5_lS6_lS2_lPT4_lS6_li.num_agpr, 0
	.set _ZL32rocblas_gemvt_warp_reduce_kernelILb0ELi1024El19rocblas_complex_numIfES1_S1_EviiT3_lPKT2_lT1_lS5_lS6_lS2_lPT4_lS6_li.numbered_sgpr, 31
	.set _ZL32rocblas_gemvt_warp_reduce_kernelILb0ELi1024El19rocblas_complex_numIfES1_S1_EviiT3_lPKT2_lT1_lS5_lS6_lS2_lPT4_lS6_li.num_named_barrier, 0
	.set _ZL32rocblas_gemvt_warp_reduce_kernelILb0ELi1024El19rocblas_complex_numIfES1_S1_EviiT3_lPKT2_lT1_lS5_lS6_lS2_lPT4_lS6_li.private_seg_size, 0
	.set _ZL32rocblas_gemvt_warp_reduce_kernelILb0ELi1024El19rocblas_complex_numIfES1_S1_EviiT3_lPKT2_lT1_lS5_lS6_lS2_lPT4_lS6_li.uses_vcc, 1
	.set _ZL32rocblas_gemvt_warp_reduce_kernelILb0ELi1024El19rocblas_complex_numIfES1_S1_EviiT3_lPKT2_lT1_lS5_lS6_lS2_lPT4_lS6_li.uses_flat_scratch, 0
	.set _ZL32rocblas_gemvt_warp_reduce_kernelILb0ELi1024El19rocblas_complex_numIfES1_S1_EviiT3_lPKT2_lT1_lS5_lS6_lS2_lPT4_lS6_li.has_dyn_sized_stack, 0
	.set _ZL32rocblas_gemvt_warp_reduce_kernelILb0ELi1024El19rocblas_complex_numIfES1_S1_EviiT3_lPKT2_lT1_lS5_lS6_lS2_lPT4_lS6_li.has_recursion, 0
	.set _ZL32rocblas_gemvt_warp_reduce_kernelILb0ELi1024El19rocblas_complex_numIfES1_S1_EviiT3_lPKT2_lT1_lS5_lS6_lS2_lPT4_lS6_li.has_indirect_call, 0
	.section	.AMDGPU.csdata,"",@progbits
; Kernel info:
; codeLenInByte = 1748
; TotalNumSgprs: 33
; NumVgprs: 15
; ScratchSize: 0
; MemoryBound: 0
; FloatMode: 240
; IeeeMode: 1
; LDSByteSize: 256 bytes/workgroup (compile time only)
; SGPRBlocks: 0
; VGPRBlocks: 1
; NumSGPRsForWavesPerEU: 33
; NumVGPRsForWavesPerEU: 15
; Occupancy: 16
; WaveLimiterHint : 1
; COMPUTE_PGM_RSRC2:SCRATCH_EN: 0
; COMPUTE_PGM_RSRC2:USER_SGPR: 6
; COMPUTE_PGM_RSRC2:TRAP_HANDLER: 0
; COMPUTE_PGM_RSRC2:TGID_X_EN: 1
; COMPUTE_PGM_RSRC2:TGID_Y_EN: 0
; COMPUTE_PGM_RSRC2:TGID_Z_EN: 1
; COMPUTE_PGM_RSRC2:TIDIG_COMP_CNT: 0
	.section	.text._ZL22rocblas_gemvtsm_kernelILb1ELi256E19rocblas_complex_numIfEPKS1_S1_EviiT2_lPKT1_lilS7_lilS4_lPT3_lil,"axG",@progbits,_ZL22rocblas_gemvtsm_kernelILb1ELi256E19rocblas_complex_numIfEPKS1_S1_EviiT2_lPKT1_lilS7_lilS4_lPT3_lil,comdat
	.globl	_ZL22rocblas_gemvtsm_kernelILb1ELi256E19rocblas_complex_numIfEPKS1_S1_EviiT2_lPKT1_lilS7_lilS4_lPT3_lil ; -- Begin function _ZL22rocblas_gemvtsm_kernelILb1ELi256E19rocblas_complex_numIfEPKS1_S1_EviiT2_lPKT1_lilS7_lilS4_lPT3_lil
	.p2align	8
	.type	_ZL22rocblas_gemvtsm_kernelILb1ELi256E19rocblas_complex_numIfEPKS1_S1_EviiT2_lPKT1_lilS7_lilS4_lPT3_lil,@function
_ZL22rocblas_gemvtsm_kernelILb1ELi256E19rocblas_complex_numIfEPKS1_S1_EviiT2_lPKT1_lilS7_lilS4_lPT3_lil: ; @_ZL22rocblas_gemvtsm_kernelILb1ELi256E19rocblas_complex_numIfEPKS1_S1_EviiT2_lPKT1_lilS7_lilS4_lPT3_lil
; %bb.0:
	s_clause 0x1
	s_load_dwordx8 s[8:15], s[4:5], 0x8
	s_load_dwordx8 s[16:23], s[4:5], 0x50
	s_waitcnt lgkmcnt(0)
	s_mul_i32 s1, s11, s6
	s_mul_hi_u32 s2, s10, s6
	s_mul_i32 s0, s10, s6
	s_add_i32 s1, s2, s1
	s_mul_hi_u32 s2, s20, s6
	s_lshl_b64 s[0:1], s[0:1], 3
	s_add_u32 s0, s8, s0
	s_addc_u32 s1, s9, s1
	s_load_dwordx2 s[24:25], s[0:1], 0x0
	s_mul_i32 s1, s21, s6
	s_mul_i32 s0, s20, s6
	s_add_i32 s1, s2, s1
	s_lshl_b64 s[0:1], s[0:1], 3
	s_add_u32 s0, s18, s0
	s_addc_u32 s1, s19, s1
	s_load_dwordx2 s[8:9], s[0:1], 0x0
	s_waitcnt lgkmcnt(0)
	v_cmp_neq_f32_e64 s0, s24, 0
	v_cmp_neq_f32_e64 s1, s25, 0
	s_or_b32 s0, s0, s1
	s_and_b32 vcc_lo, exec_lo, s0
	s_mov_b32 s0, -1
	s_cbranch_vccnz .LBB134_2
; %bb.1:
	v_cmp_neq_f32_e64 s0, s8, 1.0
	v_cmp_neq_f32_e64 s1, s9, 0
	s_or_b32 s0, s0, s1
.LBB134_2:
	s_andn2_b32 vcc_lo, exec_lo, s0
	s_cbranch_vccnz .LBB134_36
; %bb.3:
	s_clause 0x3
	s_load_dwordx2 s[0:1], s[4:5], 0x80
	s_load_dwordx2 s[20:21], s[4:5], 0x70
	s_load_dword s10, s[4:5], 0x78
	s_load_dwordx2 s[18:19], s[4:5], 0x0
	s_or_b32 s2, s24, s25
	s_bitset0_b32 s2, 31
	s_waitcnt lgkmcnt(0)
	s_mul_i32 s1, s1, s6
	s_mul_hi_u32 s3, s0, s6
	s_mul_i32 s26, s0, s6
	s_add_i32 s27, s3, s1
	s_cmp_lg_u32 s2, 0
	s_mov_b32 s0, -1
	s_cbranch_scc1 .LBB134_18
; %bb.4:
	v_cmp_neq_f32_e64 s0, s8, 0
	v_cmp_neq_f32_e64 s1, s9, 0
	s_or_b32 s0, s0, s1
	s_cmp_gt_i32 s19, 0
	s_cselect_b32 s2, -1, 0
	s_and_b32 vcc_lo, exec_lo, s0
	s_mov_b32 s0, -1
	s_cbranch_vccnz .LBB134_11
; %bb.5:
	s_andn2_b32 vcc_lo, exec_lo, s2
	s_cbranch_vccnz .LBB134_10
; %bb.6:
	v_mad_i64_i32 v[1:2], null, s10, v0, 0
	s_lshl_b64 s[28:29], s[20:21], 3
	s_ashr_i32 s11, s10, 31
	s_lshl_b64 s[0:1], s[26:27], 3
	s_add_u32 s3, s22, s28
	s_addc_u32 s7, s23, s29
	s_add_u32 s0, s3, s0
	v_lshlrev_b64 v[1:2], 3, v[1:2]
	s_addc_u32 s1, s7, s1
	v_mov_b32_e32 v3, 0
	s_mov_b32 s3, 0
	v_add_co_u32 v1, vcc_lo, s0, v1
	v_add_co_ci_u32_e64 v2, null, s1, v2, vcc_lo
	s_lshl_b64 s[0:1], s[10:11], 11
	v_add_co_u32 v1, vcc_lo, v1, 4
	v_add_co_ci_u32_e64 v2, null, 0, v2, vcc_lo
	s_branch .LBB134_8
	.p2align	6
.LBB134_7:                              ;   in Loop: Header=BB134_8 Depth=1
	s_or_b32 exec_lo, exec_lo, s7
	v_add_co_u32 v1, vcc_lo, v1, s0
	v_add_co_ci_u32_e64 v2, null, s1, v2, vcc_lo
	s_addk_i32 s3, 0x100
	s_cmp_ge_i32 s3, s19
	s_cbranch_scc1 .LBB134_10
.LBB134_8:                              ; =>This Inner Loop Header: Depth=1
	v_add_nc_u32_e32 v4, s3, v0
	s_mov_b32 s7, exec_lo
	v_cmpx_gt_i32_e64 s19, v4
	s_cbranch_execz .LBB134_7
; %bb.9:                                ;   in Loop: Header=BB134_8 Depth=1
	v_mov_b32_e32 v4, v3
	global_store_dwordx2 v[1:2], v[3:4], off offset:-4
	s_branch .LBB134_7
.LBB134_10:
	s_mov_b32 s0, 0
.LBB134_11:
	s_andn2_b32 vcc_lo, exec_lo, s0
	s_cbranch_vccnz .LBB134_17
; %bb.12:
	s_andn2_b32 vcc_lo, exec_lo, s2
	s_cbranch_vccnz .LBB134_17
; %bb.13:
	v_mad_i64_i32 v[1:2], null, s10, v0, 0
	s_lshl_b64 s[2:3], s[20:21], 3
	s_ashr_i32 s11, s10, 31
	s_lshl_b64 s[0:1], s[26:27], 3
	s_add_u32 s2, s22, s2
	s_addc_u32 s3, s23, s3
	s_add_u32 s0, s2, s0
	v_lshlrev_b64 v[1:2], 3, v[1:2]
	s_addc_u32 s1, s3, s1
	s_mov_b32 s2, 0
	v_add_co_u32 v1, vcc_lo, s0, v1
	v_add_co_ci_u32_e64 v2, null, s1, v2, vcc_lo
	s_lshl_b64 s[0:1], s[10:11], 11
	v_add_co_u32 v1, vcc_lo, v1, 4
	v_add_co_ci_u32_e64 v2, null, 0, v2, vcc_lo
	s_branch .LBB134_15
	.p2align	6
.LBB134_14:                             ;   in Loop: Header=BB134_15 Depth=1
	s_or_b32 exec_lo, exec_lo, s3
	v_add_co_u32 v1, vcc_lo, v1, s0
	v_add_co_ci_u32_e64 v2, null, s1, v2, vcc_lo
	s_addk_i32 s2, 0x100
	s_cmp_ge_i32 s2, s19
	s_cbranch_scc1 .LBB134_17
.LBB134_15:                             ; =>This Inner Loop Header: Depth=1
	v_add_nc_u32_e32 v3, s2, v0
	s_mov_b32 s3, exec_lo
	v_cmpx_gt_i32_e64 s19, v3
	s_cbranch_execz .LBB134_14
; %bb.16:                               ;   in Loop: Header=BB134_15 Depth=1
	global_load_dwordx2 v[3:4], v[1:2], off offset:-4
	s_waitcnt vmcnt(0)
	v_mul_f32_e32 v6, s9, v4
	v_mul_f32_e32 v5, s8, v4
	v_fma_f32 v4, s8, v3, -v6
	v_fmac_f32_e32 v5, s9, v3
	global_store_dwordx2 v[1:2], v[4:5], off offset:-4
	s_branch .LBB134_14
.LBB134_17:
	s_mov_b32 s0, 0
.LBB134_18:
	s_andn2_b32 vcc_lo, exec_lo, s0
	s_cbranch_vccnz .LBB134_36
; %bb.19:
	s_clause 0x1
	s_load_dwordx4 s[0:3], s[4:5], 0x30
	s_load_dwordx2 s[28:29], s[4:5], 0x40
	s_mov_b32 s7, exec_lo
	v_cmpx_gt_i32_e64 s18, v0
	s_cbranch_execz .LBB134_21
; %bb.20:
	s_load_dword s11, s[4:5], 0x48
	s_mul_i32 s17, s17, s6
	s_mul_hi_u32 s30, s16, s6
	s_mul_i32 s16, s16, s6
	s_add_i32 s17, s30, s17
	s_lshl_b64 s[16:17], s[16:17], 3
	s_waitcnt lgkmcnt(0)
	v_mad_i64_i32 v[1:2], null, s11, v0, 0
	s_add_u32 s11, s2, s16
	s_addc_u32 s16, s3, s17
	s_lshl_b64 s[2:3], s[28:29], 3
	s_add_u32 s2, s11, s2
	s_addc_u32 s3, s16, s3
	v_lshlrev_b64 v[1:2], 3, v[1:2]
	v_add_co_u32 v1, vcc_lo, s2, v1
	v_add_co_ci_u32_e64 v2, null, s3, v2, vcc_lo
	global_load_dwordx2 v[1:2], v[1:2], off
	s_waitcnt vmcnt(0)
	v_mul_f32_e32 v4, s25, v2
	v_mul_f32_e32 v3, s24, v2
	v_fma_f32 v2, v1, s24, -v4
	v_fmac_f32_e32 v3, s25, v1
	v_lshlrev_b32_e32 v1, 3, v0
	ds_write_b64 v1, v[2:3]
.LBB134_21:
	s_or_b32 exec_lo, exec_lo, s7
	s_cmp_lt_i32 s19, 1
	s_waitcnt lgkmcnt(0)
	s_waitcnt_vscnt null, 0x0
	s_barrier
	buffer_gl0_inv
	s_cbranch_scc1 .LBB134_36
; %bb.22:
	s_load_dword s2, s[4:5], 0x28
	s_lshl_b64 s[4:5], s[26:27], 3
	v_cmp_neq_f32_e64 s3, s8, 0
	v_cmp_neq_f32_e64 s7, s9, 0
	s_add_u32 s11, s22, s4
	s_addc_u32 s16, s23, s5
	s_lshl_b64 s[4:5], s[20:21], 3
	s_mul_i32 s1, s1, s6
	s_add_u32 s4, s11, s4
	s_mul_hi_u32 s24, s0, s6
	s_mul_i32 s0, s0, s6
	s_addc_u32 s5, s16, s5
	s_ashr_i32 s6, s10, 31
	s_or_b32 s7, s3, s7
	s_waitcnt lgkmcnt(0)
	s_ashr_i32 s3, s2, 31
	s_cmp_gt_i32 s18, 0
	v_mad_i64_i32 v[1:2], null, s2, v0, 0
	s_cselect_b32 s11, -1, 0
	s_and_b32 s16, s18, 7
	s_cmp_gt_u32 s18, 7
	s_cselect_b32 s17, -1, 0
	s_and_b32 s18, s18, 0x7ffffff8
	s_cmp_lg_u32 s16, 0
	v_lshlrev_b64 v[1:2], 3, v[1:2]
	s_cselect_b32 s20, -1, 0
	s_add_i32 s1, s24, s1
	s_lshl_b64 s[14:15], s[14:15], 3
	s_lshl_b64 s[0:1], s[0:1], 3
	s_add_u32 s12, s12, s14
	s_addc_u32 s13, s13, s15
	s_add_u32 s0, s12, s0
	s_addc_u32 s1, s13, s1
	v_add_co_u32 v9, vcc_lo, s0, v1
	v_add_co_ci_u32_e64 v10, null, s1, v2, vcc_lo
	s_mov_b32 s1, 0
	v_add_co_u32 v1, vcc_lo, v9, 60
	v_add_co_ci_u32_e64 v2, null, 0, v10, vcc_lo
	s_lshl_b64 s[2:3], s[2:3], 11
	s_mov_b32 s12, 0
	s_branch .LBB134_25
.LBB134_23:                             ;   in Loop: Header=BB134_25 Depth=1
	v_add_co_u32 v3, vcc_lo, s4, v3
	v_add_co_ci_u32_e64 v4, null, s5, v4, vcc_lo
	global_store_dwordx2 v[3:4], v[5:6], off
.LBB134_24:                             ;   in Loop: Header=BB134_25 Depth=1
	s_or_b32 exec_lo, exec_lo, s13
	v_add_co_u32 v1, vcc_lo, v1, s2
	v_add_co_ci_u32_e64 v2, null, s3, v2, vcc_lo
	v_add_co_u32 v9, vcc_lo, v9, s2
	v_add_co_ci_u32_e64 v10, null, s3, v10, vcc_lo
	s_addk_i32 s12, 0x100
	s_cmp_ge_i32 s12, s19
	s_cbranch_scc1 .LBB134_36
.LBB134_25:                             ; =>This Loop Header: Depth=1
                                        ;     Child Loop BB134_31 Depth 2
                                        ;     Child Loop BB134_35 Depth 2
	v_add_nc_u32_e32 v3, s12, v0
	s_mov_b32 s13, exec_lo
	v_cmpx_gt_i32_e64 s19, v3
	s_cbranch_execz .LBB134_24
; %bb.26:                               ;   in Loop: Header=BB134_25 Depth=1
	v_mad_u64_u32 v[6:7], null, v3, s10, 0
	s_andn2_b32 vcc_lo, exec_lo, s7
	v_mov_b32_e32 v4, v7
	v_mad_u64_u32 v[3:4], null, v3, s6, v[4:5]
	v_mov_b32_e32 v5, 0
	v_mov_b32_e32 v7, v3
	v_lshlrev_b64 v[3:4], 3, v[6:7]
	v_mov_b32_e32 v6, 0
	s_cbranch_vccnz .LBB134_28
; %bb.27:                               ;   in Loop: Header=BB134_25 Depth=1
	v_add_co_u32 v5, vcc_lo, s4, v3
	v_add_co_ci_u32_e64 v6, null, s5, v4, vcc_lo
	global_load_dwordx2 v[7:8], v[5:6], off
	s_waitcnt vmcnt(0)
	v_mul_f32_e32 v5, s9, v8
	v_mul_f32_e32 v6, s8, v8
	v_fma_f32 v5, s8, v7, -v5
	v_fmac_f32_e32 v6, s9, v7
.LBB134_28:                             ;   in Loop: Header=BB134_25 Depth=1
	s_andn2_b32 vcc_lo, exec_lo, s11
	s_cbranch_vccnz .LBB134_23
; %bb.29:                               ;   in Loop: Header=BB134_25 Depth=1
	s_andn2_b32 vcc_lo, exec_lo, s17
	s_mov_b32 s0, 0
	s_cbranch_vccnz .LBB134_33
; %bb.30:                               ;   in Loop: Header=BB134_25 Depth=1
	v_mov_b32_e32 v8, v2
	v_mov_b32_e32 v7, v1
	s_mov_b32 s14, 0
.LBB134_31:                             ;   Parent Loop BB134_25 Depth=1
                                        ; =>  This Inner Loop Header: Depth=2
	s_clause 0x3
	global_load_dwordx4 v[11:14], v[7:8], off offset:-60
	global_load_dwordx4 v[15:18], v[7:8], off offset:-44
	;; [unrolled: 1-line block ×4, first 2 shown]
	v_mov_b32_e32 v39, s0
	v_add_co_u32 v7, vcc_lo, v7, 64
	v_add_co_ci_u32_e64 v8, null, 0, v8, vcc_lo
	ds_read_b128 v[27:30], v39
	ds_read_b128 v[31:34], v39 offset:16
	ds_read_b128 v[35:38], v39 offset:32
	;; [unrolled: 1-line block ×3, first 2 shown]
	s_add_i32 s14, s14, 8
	s_add_i32 s0, s0, 64
	s_cmp_eq_u32 s18, s14
	s_waitcnt vmcnt(3) lgkmcnt(3)
	v_mul_f32_e32 v43, v12, v28
	v_mul_f32_e32 v12, v12, v27
	;; [unrolled: 1-line block ×4, first 2 shown]
	s_waitcnt vmcnt(2) lgkmcnt(2)
	v_mul_f32_e32 v45, v16, v32
	v_fmac_f32_e32 v43, v11, v27
	v_fma_f32 v11, v11, v28, -v12
	v_mul_f32_e32 v16, v16, v31
	v_fmac_f32_e32 v44, v13, v29
	v_fma_f32 v12, v13, v30, -v14
	v_add_f32_e32 v5, v5, v43
	v_add_f32_e32 v6, v6, v11
	v_mul_f32_e32 v46, v18, v34
	v_mul_f32_e32 v18, v18, v33
	v_fmac_f32_e32 v45, v15, v31
	v_fma_f32 v11, v15, v32, -v16
	v_add_f32_e32 v5, v5, v44
	v_add_f32_e32 v6, v6, v12
	s_waitcnt vmcnt(1) lgkmcnt(1)
	v_mul_f32_e32 v47, v20, v36
	v_mul_f32_e32 v20, v20, v35
	v_fmac_f32_e32 v46, v17, v33
	v_fma_f32 v12, v17, v34, -v18
	v_add_f32_e32 v5, v5, v45
	v_add_f32_e32 v6, v6, v11
	v_mul_f32_e32 v48, v22, v38
	v_mul_f32_e32 v22, v22, v37
	v_fmac_f32_e32 v47, v19, v35
	v_fma_f32 v11, v19, v36, -v20
	v_add_f32_e32 v5, v5, v46
	v_add_f32_e32 v6, v6, v12
	s_waitcnt vmcnt(0) lgkmcnt(0)
	v_mul_f32_e32 v49, v24, v40
	v_mul_f32_e32 v24, v24, v39
	v_fmac_f32_e32 v48, v21, v37
	v_fma_f32 v12, v21, v38, -v22
	v_add_f32_e32 v5, v5, v47
	v_add_f32_e32 v6, v6, v11
	v_mul_f32_e32 v50, v26, v42
	v_mul_f32_e32 v26, v26, v41
	v_fmac_f32_e32 v49, v23, v39
	v_fma_f32 v11, v23, v40, -v24
	v_add_f32_e32 v5, v5, v48
	v_add_f32_e32 v6, v6, v12
	v_fmac_f32_e32 v50, v25, v41
	v_fma_f32 v12, v25, v42, -v26
	v_add_f32_e32 v5, v5, v49
	v_add_f32_e32 v6, v6, v11
	;; [unrolled: 1-line block ×4, first 2 shown]
	s_cbranch_scc0 .LBB134_31
; %bb.32:                               ;   in Loop: Header=BB134_25 Depth=1
	s_mov_b32 s0, s18
.LBB134_33:                             ;   in Loop: Header=BB134_25 Depth=1
	s_andn2_b32 vcc_lo, exec_lo, s20
	s_cbranch_vccnz .LBB134_23
; %bb.34:                               ;   in Loop: Header=BB134_25 Depth=1
	s_lshl_b64 s[14:15], s[0:1], 3
	s_lshl_b32 s0, s0, 3
	v_add_co_u32 v7, vcc_lo, v9, s14
	v_add_co_ci_u32_e64 v8, null, s15, v10, vcc_lo
	s_mov_b32 s14, s16
	.p2align	6
.LBB134_35:                             ;   Parent Loop BB134_25 Depth=1
                                        ; =>  This Inner Loop Header: Depth=2
	global_load_dwordx2 v[11:12], v[7:8], off
	v_mov_b32_e32 v13, s0
	v_add_co_u32 v7, vcc_lo, v7, 8
	v_add_co_ci_u32_e64 v8, null, 0, v8, vcc_lo
	ds_read_b64 v[13:14], v13
	s_add_i32 s14, s14, -1
	s_add_i32 s0, s0, 8
	s_cmp_lg_u32 s14, 0
	s_waitcnt vmcnt(0) lgkmcnt(0)
	v_mul_f32_e32 v15, v12, v14
	v_mul_f32_e32 v12, v12, v13
	v_fmac_f32_e32 v15, v11, v13
	v_fma_f32 v11, v11, v14, -v12
	v_add_f32_e32 v5, v5, v15
	v_add_f32_e32 v6, v6, v11
	s_cbranch_scc1 .LBB134_35
	s_branch .LBB134_23
.LBB134_36:
	s_endpgm
	.section	.rodata,"a",@progbits
	.p2align	6, 0x0
	.amdhsa_kernel _ZL22rocblas_gemvtsm_kernelILb1ELi256E19rocblas_complex_numIfEPKS1_S1_EviiT2_lPKT1_lilS7_lilS4_lPT3_lil
		.amdhsa_group_segment_fixed_size 512
		.amdhsa_private_segment_fixed_size 0
		.amdhsa_kernarg_size 136
		.amdhsa_user_sgpr_count 6
		.amdhsa_user_sgpr_private_segment_buffer 1
		.amdhsa_user_sgpr_dispatch_ptr 0
		.amdhsa_user_sgpr_queue_ptr 0
		.amdhsa_user_sgpr_kernarg_segment_ptr 1
		.amdhsa_user_sgpr_dispatch_id 0
		.amdhsa_user_sgpr_flat_scratch_init 0
		.amdhsa_user_sgpr_private_segment_size 0
		.amdhsa_wavefront_size32 1
		.amdhsa_uses_dynamic_stack 0
		.amdhsa_system_sgpr_private_segment_wavefront_offset 0
		.amdhsa_system_sgpr_workgroup_id_x 1
		.amdhsa_system_sgpr_workgroup_id_y 0
		.amdhsa_system_sgpr_workgroup_id_z 0
		.amdhsa_system_sgpr_workgroup_info 0
		.amdhsa_system_vgpr_workitem_id 0
		.amdhsa_next_free_vgpr 51
		.amdhsa_next_free_sgpr 31
		.amdhsa_reserve_vcc 1
		.amdhsa_reserve_flat_scratch 0
		.amdhsa_float_round_mode_32 0
		.amdhsa_float_round_mode_16_64 0
		.amdhsa_float_denorm_mode_32 3
		.amdhsa_float_denorm_mode_16_64 3
		.amdhsa_dx10_clamp 1
		.amdhsa_ieee_mode 1
		.amdhsa_fp16_overflow 0
		.amdhsa_workgroup_processor_mode 1
		.amdhsa_memory_ordered 1
		.amdhsa_forward_progress 1
		.amdhsa_shared_vgpr_count 0
		.amdhsa_exception_fp_ieee_invalid_op 0
		.amdhsa_exception_fp_denorm_src 0
		.amdhsa_exception_fp_ieee_div_zero 0
		.amdhsa_exception_fp_ieee_overflow 0
		.amdhsa_exception_fp_ieee_underflow 0
		.amdhsa_exception_fp_ieee_inexact 0
		.amdhsa_exception_int_div_zero 0
	.end_amdhsa_kernel
	.section	.text._ZL22rocblas_gemvtsm_kernelILb1ELi256E19rocblas_complex_numIfEPKS1_S1_EviiT2_lPKT1_lilS7_lilS4_lPT3_lil,"axG",@progbits,_ZL22rocblas_gemvtsm_kernelILb1ELi256E19rocblas_complex_numIfEPKS1_S1_EviiT2_lPKT1_lilS7_lilS4_lPT3_lil,comdat
.Lfunc_end134:
	.size	_ZL22rocblas_gemvtsm_kernelILb1ELi256E19rocblas_complex_numIfEPKS1_S1_EviiT2_lPKT1_lilS7_lilS4_lPT3_lil, .Lfunc_end134-_ZL22rocblas_gemvtsm_kernelILb1ELi256E19rocblas_complex_numIfEPKS1_S1_EviiT2_lPKT1_lilS7_lilS4_lPT3_lil
                                        ; -- End function
	.set _ZL22rocblas_gemvtsm_kernelILb1ELi256E19rocblas_complex_numIfEPKS1_S1_EviiT2_lPKT1_lilS7_lilS4_lPT3_lil.num_vgpr, 51
	.set _ZL22rocblas_gemvtsm_kernelILb1ELi256E19rocblas_complex_numIfEPKS1_S1_EviiT2_lPKT1_lilS7_lilS4_lPT3_lil.num_agpr, 0
	.set _ZL22rocblas_gemvtsm_kernelILb1ELi256E19rocblas_complex_numIfEPKS1_S1_EviiT2_lPKT1_lilS7_lilS4_lPT3_lil.numbered_sgpr, 31
	.set _ZL22rocblas_gemvtsm_kernelILb1ELi256E19rocblas_complex_numIfEPKS1_S1_EviiT2_lPKT1_lilS7_lilS4_lPT3_lil.num_named_barrier, 0
	.set _ZL22rocblas_gemvtsm_kernelILb1ELi256E19rocblas_complex_numIfEPKS1_S1_EviiT2_lPKT1_lilS7_lilS4_lPT3_lil.private_seg_size, 0
	.set _ZL22rocblas_gemvtsm_kernelILb1ELi256E19rocblas_complex_numIfEPKS1_S1_EviiT2_lPKT1_lilS7_lilS4_lPT3_lil.uses_vcc, 1
	.set _ZL22rocblas_gemvtsm_kernelILb1ELi256E19rocblas_complex_numIfEPKS1_S1_EviiT2_lPKT1_lilS7_lilS4_lPT3_lil.uses_flat_scratch, 0
	.set _ZL22rocblas_gemvtsm_kernelILb1ELi256E19rocblas_complex_numIfEPKS1_S1_EviiT2_lPKT1_lilS7_lilS4_lPT3_lil.has_dyn_sized_stack, 0
	.set _ZL22rocblas_gemvtsm_kernelILb1ELi256E19rocblas_complex_numIfEPKS1_S1_EviiT2_lPKT1_lilS7_lilS4_lPT3_lil.has_recursion, 0
	.set _ZL22rocblas_gemvtsm_kernelILb1ELi256E19rocblas_complex_numIfEPKS1_S1_EviiT2_lPKT1_lilS7_lilS4_lPT3_lil.has_indirect_call, 0
	.section	.AMDGPU.csdata,"",@progbits
; Kernel info:
; codeLenInByte = 1820
; TotalNumSgprs: 33
; NumVgprs: 51
; ScratchSize: 0
; MemoryBound: 0
; FloatMode: 240
; IeeeMode: 1
; LDSByteSize: 512 bytes/workgroup (compile time only)
; SGPRBlocks: 0
; VGPRBlocks: 6
; NumSGPRsForWavesPerEU: 33
; NumVGPRsForWavesPerEU: 51
; Occupancy: 16
; WaveLimiterHint : 1
; COMPUTE_PGM_RSRC2:SCRATCH_EN: 0
; COMPUTE_PGM_RSRC2:USER_SGPR: 6
; COMPUTE_PGM_RSRC2:TRAP_HANDLER: 0
; COMPUTE_PGM_RSRC2:TGID_X_EN: 1
; COMPUTE_PGM_RSRC2:TGID_Y_EN: 0
; COMPUTE_PGM_RSRC2:TGID_Z_EN: 0
; COMPUTE_PGM_RSRC2:TIDIG_COMP_CNT: 0
	.section	.text._ZL22rocblas_gemvtsm_kernelILb1ELi256E19rocblas_complex_numIfES1_S1_EviiT2_lPKT1_lilS5_lilS2_lPT3_lil,"axG",@progbits,_ZL22rocblas_gemvtsm_kernelILb1ELi256E19rocblas_complex_numIfES1_S1_EviiT2_lPKT1_lilS5_lilS2_lPT3_lil,comdat
	.globl	_ZL22rocblas_gemvtsm_kernelILb1ELi256E19rocblas_complex_numIfES1_S1_EviiT2_lPKT1_lilS5_lilS2_lPT3_lil ; -- Begin function _ZL22rocblas_gemvtsm_kernelILb1ELi256E19rocblas_complex_numIfES1_S1_EviiT2_lPKT1_lilS5_lilS2_lPT3_lil
	.p2align	8
	.type	_ZL22rocblas_gemvtsm_kernelILb1ELi256E19rocblas_complex_numIfES1_S1_EviiT2_lPKT1_lilS5_lilS2_lPT3_lil,@function
_ZL22rocblas_gemvtsm_kernelILb1ELi256E19rocblas_complex_numIfES1_S1_EviiT2_lPKT1_lilS5_lilS2_lPT3_lil: ; @_ZL22rocblas_gemvtsm_kernelILb1ELi256E19rocblas_complex_numIfES1_S1_EviiT2_lPKT1_lilS5_lilS2_lPT3_lil
; %bb.0:
	s_clause 0x1
	s_load_dwordx4 s[0:3], s[4:5], 0x0
	s_load_dwordx2 s[20:21], s[4:5], 0x58
	s_waitcnt lgkmcnt(0)
	v_cmp_neq_f32_e64 s7, s2, 0
	v_cmp_neq_f32_e64 s8, s3, 0
	s_or_b32 s7, s7, s8
	s_and_b32 vcc_lo, exec_lo, s7
	s_mov_b32 s7, -1
	s_cbranch_vccnz .LBB135_2
; %bb.1:
	v_cmp_neq_f32_e64 s7, s20, 1.0
	v_cmp_neq_f32_e64 s8, s21, 0
	s_or_b32 s7, s7, s8
.LBB135_2:
	s_andn2_b32 vcc_lo, exec_lo, s7
	s_cbranch_vccnz .LBB135_36
; %bb.3:
	s_clause 0x2
	s_load_dwordx2 s[12:13], s[4:5], 0x80
	s_load_dwordx4 s[8:11], s[4:5], 0x68
	s_load_dword s22, s[4:5], 0x78
	s_or_b32 s7, s2, s3
	s_bitset0_b32 s7, 31
	s_waitcnt lgkmcnt(0)
	s_mul_i32 s13, s13, s6
	s_mul_hi_u32 s14, s12, s6
	s_mul_i32 s24, s12, s6
	s_add_i32 s25, s14, s13
	s_cmp_lg_u32 s7, 0
	s_mov_b32 s7, -1
	s_cbranch_scc1 .LBB135_18
; %bb.4:
	v_cmp_neq_f32_e64 s7, s20, 0
	v_cmp_neq_f32_e64 s12, s21, 0
	s_or_b32 s12, s7, s12
	s_cmp_gt_i32 s1, 0
	s_cselect_b32 s7, -1, 0
	s_and_b32 vcc_lo, exec_lo, s12
	s_mov_b32 s12, -1
	s_cbranch_vccnz .LBB135_11
; %bb.5:
	s_andn2_b32 vcc_lo, exec_lo, s7
	s_cbranch_vccnz .LBB135_10
; %bb.6:
	v_mad_i64_i32 v[1:2], null, s22, v0, 0
	s_lshl_b64 s[14:15], s[10:11], 3
	s_ashr_i32 s23, s22, 31
	s_lshl_b64 s[12:13], s[24:25], 3
	s_add_u32 s14, s8, s14
	s_addc_u32 s15, s9, s15
	s_add_u32 s12, s14, s12
	v_lshlrev_b64 v[1:2], 3, v[1:2]
	s_addc_u32 s13, s15, s13
	v_mov_b32_e32 v3, 0
	s_mov_b32 s14, 0
	v_add_co_u32 v1, vcc_lo, s12, v1
	v_add_co_ci_u32_e64 v2, null, s13, v2, vcc_lo
	s_lshl_b64 s[12:13], s[22:23], 11
	v_add_co_u32 v1, vcc_lo, v1, 4
	v_add_co_ci_u32_e64 v2, null, 0, v2, vcc_lo
	s_branch .LBB135_8
	.p2align	6
.LBB135_7:                              ;   in Loop: Header=BB135_8 Depth=1
	s_or_b32 exec_lo, exec_lo, s15
	v_add_co_u32 v1, vcc_lo, v1, s12
	v_add_co_ci_u32_e64 v2, null, s13, v2, vcc_lo
	s_addk_i32 s14, 0x100
	s_cmp_ge_i32 s14, s1
	s_cbranch_scc1 .LBB135_10
.LBB135_8:                              ; =>This Inner Loop Header: Depth=1
	v_add_nc_u32_e32 v4, s14, v0
	s_mov_b32 s15, exec_lo
	v_cmpx_gt_i32_e64 s1, v4
	s_cbranch_execz .LBB135_7
; %bb.9:                                ;   in Loop: Header=BB135_8 Depth=1
	v_mov_b32_e32 v4, v3
	global_store_dwordx2 v[1:2], v[3:4], off offset:-4
	s_branch .LBB135_7
.LBB135_10:
	s_mov_b32 s12, 0
.LBB135_11:
	s_andn2_b32 vcc_lo, exec_lo, s12
	s_cbranch_vccnz .LBB135_17
; %bb.12:
	s_andn2_b32 vcc_lo, exec_lo, s7
	s_cbranch_vccnz .LBB135_17
; %bb.13:
	v_mad_i64_i32 v[1:2], null, s22, v0, 0
	s_lshl_b64 s[14:15], s[10:11], 3
	s_ashr_i32 s23, s22, 31
	s_lshl_b64 s[12:13], s[24:25], 3
	s_add_u32 s7, s8, s14
	s_addc_u32 s14, s9, s15
	s_add_u32 s7, s7, s12
	v_lshlrev_b64 v[1:2], 3, v[1:2]
	s_addc_u32 s12, s14, s13
	v_add_co_u32 v1, vcc_lo, s7, v1
	v_add_co_ci_u32_e64 v2, null, s12, v2, vcc_lo
	s_lshl_b64 s[12:13], s[22:23], 11
	v_add_co_u32 v1, vcc_lo, v1, 4
	v_add_co_ci_u32_e64 v2, null, 0, v2, vcc_lo
	s_mov_b32 s7, 0
	s_branch .LBB135_15
	.p2align	6
.LBB135_14:                             ;   in Loop: Header=BB135_15 Depth=1
	s_or_b32 exec_lo, exec_lo, s14
	v_add_co_u32 v1, vcc_lo, v1, s12
	v_add_co_ci_u32_e64 v2, null, s13, v2, vcc_lo
	s_addk_i32 s7, 0x100
	s_cmp_ge_i32 s7, s1
	s_cbranch_scc1 .LBB135_17
.LBB135_15:                             ; =>This Inner Loop Header: Depth=1
	v_add_nc_u32_e32 v3, s7, v0
	s_mov_b32 s14, exec_lo
	v_cmpx_gt_i32_e64 s1, v3
	s_cbranch_execz .LBB135_14
; %bb.16:                               ;   in Loop: Header=BB135_15 Depth=1
	global_load_dwordx2 v[3:4], v[1:2], off offset:-4
	s_waitcnt vmcnt(0)
	v_mul_f32_e32 v6, s21, v4
	v_mul_f32_e32 v5, s20, v4
	v_fma_f32 v4, s20, v3, -v6
	v_fmac_f32_e32 v5, s21, v3
	global_store_dwordx2 v[1:2], v[4:5], off offset:-4
	s_branch .LBB135_14
.LBB135_17:
	s_mov_b32 s7, 0
.LBB135_18:
	s_andn2_b32 vcc_lo, exec_lo, s7
	s_cbranch_vccnz .LBB135_36
; %bb.19:
	s_clause 0x1
	s_load_dwordx4 s[12:15], s[4:5], 0x30
	s_load_dwordx2 s[16:17], s[4:5], 0x40
	s_mov_b32 s7, exec_lo
	v_cmpx_gt_i32_e64 s0, v0
	s_cbranch_execz .LBB135_21
; %bb.20:
	s_clause 0x1
	s_load_dwordx2 s[18:19], s[4:5], 0x50
	s_load_dword s23, s[4:5], 0x48
	s_waitcnt lgkmcnt(0)
	s_mul_i32 s19, s19, s6
	v_mad_i64_i32 v[1:2], null, s23, v0, 0
	s_mul_hi_u32 s26, s18, s6
	s_mul_i32 s18, s18, s6
	s_add_i32 s19, s26, s19
	s_lshl_b64 s[18:19], s[18:19], 3
	s_add_u32 s18, s14, s18
	v_lshlrev_b64 v[1:2], 3, v[1:2]
	s_addc_u32 s19, s15, s19
	s_lshl_b64 s[14:15], s[16:17], 3
	s_add_u32 s14, s18, s14
	s_addc_u32 s15, s19, s15
	v_add_co_u32 v1, vcc_lo, s14, v1
	v_add_co_ci_u32_e64 v2, null, s15, v2, vcc_lo
	global_load_dwordx2 v[1:2], v[1:2], off
	s_waitcnt vmcnt(0)
	v_mul_f32_e32 v4, s3, v2
	v_mul_f32_e32 v3, s2, v2
	v_fma_f32 v2, v1, s2, -v4
	v_fmac_f32_e32 v3, s3, v1
	v_lshlrev_b32_e32 v1, 3, v0
	ds_write_b64 v1, v[2:3]
.LBB135_21:
	s_or_b32 exec_lo, exec_lo, s7
	s_cmp_lt_i32 s1, 1
	s_waitcnt lgkmcnt(0)
	s_waitcnt_vscnt null, 0x0
	s_barrier
	buffer_gl0_inv
	s_cbranch_scc1 .LBB135_36
; %bb.22:
	s_clause 0x1
	s_load_dword s14, s[4:5], 0x28
	s_load_dwordx4 s[16:19], s[4:5], 0x18
	s_lshl_b64 s[2:3], s[24:25], 3
	v_cmp_neq_f32_e64 s4, s20, 0
	v_cmp_neq_f32_e64 s5, s21, 0
	s_add_u32 s7, s8, s2
	s_addc_u32 s8, s9, s3
	s_lshl_b64 s[2:3], s[10:11], 3
	s_mul_i32 s23, s13, s6
	s_add_u32 s7, s7, s2
	s_addc_u32 s8, s8, s3
	s_ashr_i32 s9, s22, 31
	s_or_b32 s10, s4, s5
	s_mul_hi_u32 s24, s12, s6
	s_mul_i32 s2, s12, s6
	s_waitcnt lgkmcnt(0)
	s_ashr_i32 s15, s14, 31
	s_cmp_gt_i32 s0, 0
	v_mad_i64_i32 v[1:2], null, s14, v0, 0
	s_cselect_b32 s11, -1, 0
	s_and_b32 s13, s0, 7
	s_cmp_gt_u32 s0, 7
	s_cselect_b32 s6, -1, 0
	s_and_b32 s0, s0, 0x7ffffff8
	s_cmp_lg_u32 s13, 0
	v_lshlrev_b64 v[1:2], 3, v[1:2]
	s_cselect_b32 s12, -1, 0
	s_add_i32 s3, s24, s23
	s_lshl_b64 s[4:5], s[18:19], 3
	s_lshl_b64 s[2:3], s[2:3], 3
	s_add_u32 s4, s16, s4
	s_addc_u32 s5, s17, s5
	s_add_u32 s2, s4, s2
	s_addc_u32 s3, s5, s3
	v_add_co_u32 v9, vcc_lo, s2, v1
	v_add_co_ci_u32_e64 v10, null, s3, v2, vcc_lo
	s_mov_b32 s3, 0
	v_add_co_u32 v1, vcc_lo, v9, 60
	v_add_co_ci_u32_e64 v2, null, 0, v10, vcc_lo
	s_lshl_b64 s[4:5], s[14:15], 11
	s_mov_b32 s14, 0
	s_branch .LBB135_25
.LBB135_23:                             ;   in Loop: Header=BB135_25 Depth=1
	v_add_co_u32 v3, vcc_lo, s7, v3
	v_add_co_ci_u32_e64 v4, null, s8, v4, vcc_lo
	global_store_dwordx2 v[3:4], v[5:6], off
.LBB135_24:                             ;   in Loop: Header=BB135_25 Depth=1
	s_or_b32 exec_lo, exec_lo, s15
	v_add_co_u32 v1, vcc_lo, v1, s4
	v_add_co_ci_u32_e64 v2, null, s5, v2, vcc_lo
	v_add_co_u32 v9, vcc_lo, v9, s4
	v_add_co_ci_u32_e64 v10, null, s5, v10, vcc_lo
	s_addk_i32 s14, 0x100
	s_cmp_ge_i32 s14, s1
	s_cbranch_scc1 .LBB135_36
.LBB135_25:                             ; =>This Loop Header: Depth=1
                                        ;     Child Loop BB135_31 Depth 2
                                        ;     Child Loop BB135_35 Depth 2
	v_add_nc_u32_e32 v3, s14, v0
	s_mov_b32 s15, exec_lo
	v_cmpx_gt_i32_e64 s1, v3
	s_cbranch_execz .LBB135_24
; %bb.26:                               ;   in Loop: Header=BB135_25 Depth=1
	v_mad_u64_u32 v[6:7], null, v3, s22, 0
	s_andn2_b32 vcc_lo, exec_lo, s10
	v_mov_b32_e32 v4, v7
	v_mad_u64_u32 v[3:4], null, v3, s9, v[4:5]
	v_mov_b32_e32 v5, 0
	v_mov_b32_e32 v7, v3
	v_lshlrev_b64 v[3:4], 3, v[6:7]
	v_mov_b32_e32 v6, 0
	s_cbranch_vccnz .LBB135_28
; %bb.27:                               ;   in Loop: Header=BB135_25 Depth=1
	v_add_co_u32 v5, vcc_lo, s7, v3
	v_add_co_ci_u32_e64 v6, null, s8, v4, vcc_lo
	global_load_dwordx2 v[7:8], v[5:6], off
	s_waitcnt vmcnt(0)
	v_mul_f32_e32 v5, s21, v8
	v_mul_f32_e32 v6, s20, v8
	v_fma_f32 v5, s20, v7, -v5
	v_fmac_f32_e32 v6, s21, v7
.LBB135_28:                             ;   in Loop: Header=BB135_25 Depth=1
	s_andn2_b32 vcc_lo, exec_lo, s11
	s_cbranch_vccnz .LBB135_23
; %bb.29:                               ;   in Loop: Header=BB135_25 Depth=1
	s_andn2_b32 vcc_lo, exec_lo, s6
	s_mov_b32 s2, 0
	s_cbranch_vccnz .LBB135_33
; %bb.30:                               ;   in Loop: Header=BB135_25 Depth=1
	v_mov_b32_e32 v8, v2
	v_mov_b32_e32 v7, v1
	s_mov_b32 s16, 0
.LBB135_31:                             ;   Parent Loop BB135_25 Depth=1
                                        ; =>  This Inner Loop Header: Depth=2
	s_clause 0x3
	global_load_dwordx4 v[11:14], v[7:8], off offset:-60
	global_load_dwordx4 v[15:18], v[7:8], off offset:-44
	;; [unrolled: 1-line block ×4, first 2 shown]
	v_mov_b32_e32 v39, s2
	v_add_co_u32 v7, vcc_lo, v7, 64
	v_add_co_ci_u32_e64 v8, null, 0, v8, vcc_lo
	ds_read_b128 v[27:30], v39
	ds_read_b128 v[31:34], v39 offset:16
	ds_read_b128 v[35:38], v39 offset:32
	;; [unrolled: 1-line block ×3, first 2 shown]
	s_add_i32 s16, s16, 8
	s_add_i32 s2, s2, 64
	s_cmp_eq_u32 s0, s16
	s_waitcnt vmcnt(3) lgkmcnt(3)
	v_mul_f32_e32 v43, v12, v28
	v_mul_f32_e32 v12, v12, v27
	;; [unrolled: 1-line block ×4, first 2 shown]
	s_waitcnt vmcnt(2) lgkmcnt(2)
	v_mul_f32_e32 v45, v16, v32
	v_fmac_f32_e32 v43, v11, v27
	v_fma_f32 v11, v11, v28, -v12
	v_mul_f32_e32 v16, v16, v31
	v_fmac_f32_e32 v44, v13, v29
	v_fma_f32 v12, v13, v30, -v14
	v_add_f32_e32 v5, v5, v43
	v_add_f32_e32 v6, v6, v11
	v_mul_f32_e32 v46, v18, v34
	v_mul_f32_e32 v18, v18, v33
	v_fmac_f32_e32 v45, v15, v31
	v_fma_f32 v11, v15, v32, -v16
	v_add_f32_e32 v5, v5, v44
	v_add_f32_e32 v6, v6, v12
	s_waitcnt vmcnt(1) lgkmcnt(1)
	v_mul_f32_e32 v47, v20, v36
	v_mul_f32_e32 v20, v20, v35
	v_fmac_f32_e32 v46, v17, v33
	v_fma_f32 v12, v17, v34, -v18
	v_add_f32_e32 v5, v5, v45
	v_add_f32_e32 v6, v6, v11
	v_mul_f32_e32 v48, v22, v38
	v_mul_f32_e32 v22, v22, v37
	v_fmac_f32_e32 v47, v19, v35
	v_fma_f32 v11, v19, v36, -v20
	v_add_f32_e32 v5, v5, v46
	v_add_f32_e32 v6, v6, v12
	s_waitcnt vmcnt(0) lgkmcnt(0)
	v_mul_f32_e32 v49, v24, v40
	v_mul_f32_e32 v24, v24, v39
	v_fmac_f32_e32 v48, v21, v37
	v_fma_f32 v12, v21, v38, -v22
	v_add_f32_e32 v5, v5, v47
	v_add_f32_e32 v6, v6, v11
	v_mul_f32_e32 v50, v26, v42
	v_mul_f32_e32 v26, v26, v41
	v_fmac_f32_e32 v49, v23, v39
	v_fma_f32 v11, v23, v40, -v24
	v_add_f32_e32 v5, v5, v48
	v_add_f32_e32 v6, v6, v12
	v_fmac_f32_e32 v50, v25, v41
	v_fma_f32 v12, v25, v42, -v26
	v_add_f32_e32 v5, v5, v49
	v_add_f32_e32 v6, v6, v11
	;; [unrolled: 1-line block ×4, first 2 shown]
	s_cbranch_scc0 .LBB135_31
; %bb.32:                               ;   in Loop: Header=BB135_25 Depth=1
	s_mov_b32 s2, s0
.LBB135_33:                             ;   in Loop: Header=BB135_25 Depth=1
	s_andn2_b32 vcc_lo, exec_lo, s12
	s_cbranch_vccnz .LBB135_23
; %bb.34:                               ;   in Loop: Header=BB135_25 Depth=1
	s_lshl_b64 s[16:17], s[2:3], 3
	s_lshl_b32 s2, s2, 3
	v_add_co_u32 v7, vcc_lo, v9, s16
	v_add_co_ci_u32_e64 v8, null, s17, v10, vcc_lo
	s_mov_b32 s16, s13
	.p2align	6
.LBB135_35:                             ;   Parent Loop BB135_25 Depth=1
                                        ; =>  This Inner Loop Header: Depth=2
	global_load_dwordx2 v[11:12], v[7:8], off
	v_mov_b32_e32 v13, s2
	v_add_co_u32 v7, vcc_lo, v7, 8
	v_add_co_ci_u32_e64 v8, null, 0, v8, vcc_lo
	ds_read_b64 v[13:14], v13
	s_add_i32 s16, s16, -1
	s_add_i32 s2, s2, 8
	s_cmp_lg_u32 s16, 0
	s_waitcnt vmcnt(0) lgkmcnt(0)
	v_mul_f32_e32 v15, v12, v14
	v_mul_f32_e32 v12, v12, v13
	v_fmac_f32_e32 v15, v11, v13
	v_fma_f32 v11, v11, v14, -v12
	v_add_f32_e32 v5, v5, v15
	v_add_f32_e32 v6, v6, v11
	s_cbranch_scc1 .LBB135_35
	s_branch .LBB135_23
.LBB135_36:
	s_endpgm
	.section	.rodata,"a",@progbits
	.p2align	6, 0x0
	.amdhsa_kernel _ZL22rocblas_gemvtsm_kernelILb1ELi256E19rocblas_complex_numIfES1_S1_EviiT2_lPKT1_lilS5_lilS2_lPT3_lil
		.amdhsa_group_segment_fixed_size 512
		.amdhsa_private_segment_fixed_size 0
		.amdhsa_kernarg_size 136
		.amdhsa_user_sgpr_count 6
		.amdhsa_user_sgpr_private_segment_buffer 1
		.amdhsa_user_sgpr_dispatch_ptr 0
		.amdhsa_user_sgpr_queue_ptr 0
		.amdhsa_user_sgpr_kernarg_segment_ptr 1
		.amdhsa_user_sgpr_dispatch_id 0
		.amdhsa_user_sgpr_flat_scratch_init 0
		.amdhsa_user_sgpr_private_segment_size 0
		.amdhsa_wavefront_size32 1
		.amdhsa_uses_dynamic_stack 0
		.amdhsa_system_sgpr_private_segment_wavefront_offset 0
		.amdhsa_system_sgpr_workgroup_id_x 1
		.amdhsa_system_sgpr_workgroup_id_y 0
		.amdhsa_system_sgpr_workgroup_id_z 0
		.amdhsa_system_sgpr_workgroup_info 0
		.amdhsa_system_vgpr_workitem_id 0
		.amdhsa_next_free_vgpr 51
		.amdhsa_next_free_sgpr 27
		.amdhsa_reserve_vcc 1
		.amdhsa_reserve_flat_scratch 0
		.amdhsa_float_round_mode_32 0
		.amdhsa_float_round_mode_16_64 0
		.amdhsa_float_denorm_mode_32 3
		.amdhsa_float_denorm_mode_16_64 3
		.amdhsa_dx10_clamp 1
		.amdhsa_ieee_mode 1
		.amdhsa_fp16_overflow 0
		.amdhsa_workgroup_processor_mode 1
		.amdhsa_memory_ordered 1
		.amdhsa_forward_progress 1
		.amdhsa_shared_vgpr_count 0
		.amdhsa_exception_fp_ieee_invalid_op 0
		.amdhsa_exception_fp_denorm_src 0
		.amdhsa_exception_fp_ieee_div_zero 0
		.amdhsa_exception_fp_ieee_overflow 0
		.amdhsa_exception_fp_ieee_underflow 0
		.amdhsa_exception_fp_ieee_inexact 0
		.amdhsa_exception_int_div_zero 0
	.end_amdhsa_kernel
	.section	.text._ZL22rocblas_gemvtsm_kernelILb1ELi256E19rocblas_complex_numIfES1_S1_EviiT2_lPKT1_lilS5_lilS2_lPT3_lil,"axG",@progbits,_ZL22rocblas_gemvtsm_kernelILb1ELi256E19rocblas_complex_numIfES1_S1_EviiT2_lPKT1_lilS5_lilS2_lPT3_lil,comdat
.Lfunc_end135:
	.size	_ZL22rocblas_gemvtsm_kernelILb1ELi256E19rocblas_complex_numIfES1_S1_EviiT2_lPKT1_lilS5_lilS2_lPT3_lil, .Lfunc_end135-_ZL22rocblas_gemvtsm_kernelILb1ELi256E19rocblas_complex_numIfES1_S1_EviiT2_lPKT1_lilS5_lilS2_lPT3_lil
                                        ; -- End function
	.set _ZL22rocblas_gemvtsm_kernelILb1ELi256E19rocblas_complex_numIfES1_S1_EviiT2_lPKT1_lilS5_lilS2_lPT3_lil.num_vgpr, 51
	.set _ZL22rocblas_gemvtsm_kernelILb1ELi256E19rocblas_complex_numIfES1_S1_EviiT2_lPKT1_lilS5_lilS2_lPT3_lil.num_agpr, 0
	.set _ZL22rocblas_gemvtsm_kernelILb1ELi256E19rocblas_complex_numIfES1_S1_EviiT2_lPKT1_lilS5_lilS2_lPT3_lil.numbered_sgpr, 27
	.set _ZL22rocblas_gemvtsm_kernelILb1ELi256E19rocblas_complex_numIfES1_S1_EviiT2_lPKT1_lilS5_lilS2_lPT3_lil.num_named_barrier, 0
	.set _ZL22rocblas_gemvtsm_kernelILb1ELi256E19rocblas_complex_numIfES1_S1_EviiT2_lPKT1_lilS5_lilS2_lPT3_lil.private_seg_size, 0
	.set _ZL22rocblas_gemvtsm_kernelILb1ELi256E19rocblas_complex_numIfES1_S1_EviiT2_lPKT1_lilS5_lilS2_lPT3_lil.uses_vcc, 1
	.set _ZL22rocblas_gemvtsm_kernelILb1ELi256E19rocblas_complex_numIfES1_S1_EviiT2_lPKT1_lilS5_lilS2_lPT3_lil.uses_flat_scratch, 0
	.set _ZL22rocblas_gemvtsm_kernelILb1ELi256E19rocblas_complex_numIfES1_S1_EviiT2_lPKT1_lilS5_lilS2_lPT3_lil.has_dyn_sized_stack, 0
	.set _ZL22rocblas_gemvtsm_kernelILb1ELi256E19rocblas_complex_numIfES1_S1_EviiT2_lPKT1_lilS5_lilS2_lPT3_lil.has_recursion, 0
	.set _ZL22rocblas_gemvtsm_kernelILb1ELi256E19rocblas_complex_numIfES1_S1_EviiT2_lPKT1_lilS5_lilS2_lPT3_lil.has_indirect_call, 0
	.section	.AMDGPU.csdata,"",@progbits
; Kernel info:
; codeLenInByte = 1756
; TotalNumSgprs: 29
; NumVgprs: 51
; ScratchSize: 0
; MemoryBound: 0
; FloatMode: 240
; IeeeMode: 1
; LDSByteSize: 512 bytes/workgroup (compile time only)
; SGPRBlocks: 0
; VGPRBlocks: 6
; NumSGPRsForWavesPerEU: 29
; NumVGPRsForWavesPerEU: 51
; Occupancy: 16
; WaveLimiterHint : 1
; COMPUTE_PGM_RSRC2:SCRATCH_EN: 0
; COMPUTE_PGM_RSRC2:USER_SGPR: 6
; COMPUTE_PGM_RSRC2:TRAP_HANDLER: 0
; COMPUTE_PGM_RSRC2:TGID_X_EN: 1
; COMPUTE_PGM_RSRC2:TGID_Y_EN: 0
; COMPUTE_PGM_RSRC2:TGID_Z_EN: 0
; COMPUTE_PGM_RSRC2:TIDIG_COMP_CNT: 0
	.section	.text._ZL23rocblas_gemvt_sn_kernelILb1ELi256ELi4Ei19rocblas_complex_numIfEPKS1_S1_EviiT4_lPKT3_lilS7_lilPT5_i,"axG",@progbits,_ZL23rocblas_gemvt_sn_kernelILb1ELi256ELi4Ei19rocblas_complex_numIfEPKS1_S1_EviiT4_lPKT3_lilS7_lilPT5_i,comdat
	.globl	_ZL23rocblas_gemvt_sn_kernelILb1ELi256ELi4Ei19rocblas_complex_numIfEPKS1_S1_EviiT4_lPKT3_lilS7_lilPT5_i ; -- Begin function _ZL23rocblas_gemvt_sn_kernelILb1ELi256ELi4Ei19rocblas_complex_numIfEPKS1_S1_EviiT4_lPKT3_lilS7_lilPT5_i
	.p2align	8
	.type	_ZL23rocblas_gemvt_sn_kernelILb1ELi256ELi4Ei19rocblas_complex_numIfEPKS1_S1_EviiT4_lPKT3_lilS7_lilPT5_i,@function
_ZL23rocblas_gemvt_sn_kernelILb1ELi256ELi4Ei19rocblas_complex_numIfEPKS1_S1_EviiT4_lPKT3_lilS7_lilPT5_i: ; @_ZL23rocblas_gemvt_sn_kernelILb1ELi256ELi4Ei19rocblas_complex_numIfEPKS1_S1_EviiT4_lPKT3_lilS7_lilPT5_i
; %bb.0:
	s_add_u32 s0, s0, s8
	s_clause 0x1
	s_load_dwordx8 s[8:15], s[4:5], 0x8
	s_load_dwordx2 s[16:17], s[4:5], 0x0
	s_addc_u32 s1, s1, 0
	s_mov_b32 s19, 0
	v_cmp_eq_u32_e32 vcc_lo, 0, v0
	s_waitcnt lgkmcnt(0)
	s_mul_i32 s11, s11, s7
	s_mul_hi_u32 s18, s10, s7
	s_mul_i32 s10, s10, s7
	s_add_i32 s11, s18, s11
	s_load_dword s18, s[4:5], 0x68
	s_lshl_b64 s[10:11], s[10:11], 3
	s_mul_hi_u32 s22, s17, s7
	s_add_u32 s8, s8, s10
	s_addc_u32 s9, s9, s11
	s_load_dwordx2 s[20:21], s[8:9], 0x0
	s_load_dwordx4 s[8:11], s[4:5], 0x50
	s_ashr_i32 s28, s17, 31
	s_mul_i32 s24, s17, s7
	s_mul_i32 s23, s28, s7
	s_add_i32 s22, s22, s23
	s_waitcnt lgkmcnt(0)
	s_mul_hi_u32 s23, s24, s18
	s_mul_i32 s22, s22, s18
	s_add_i32 s23, s23, s22
	s_mul_i32 s22, s24, s18
	s_or_b32 s25, s20, s21
	s_mov_b32 s24, -1
	s_bitset0_b32 s25, 31
	s_cmp_lg_u32 s25, 0
	s_cbranch_scc1 .LBB136_5
; %bb.1:
	s_cmp_gt_i32 s17, 0
	s_cselect_b32 s24, -1, 0
	s_and_b32 s24, vcc_lo, s24
	s_and_saveexec_b32 s29, s24
	s_cbranch_execz .LBB136_4
; %bb.2:
	s_mov_b32 s24, s7
	s_mov_b32 s7, 0
	v_mov_b32_e32 v1, 0
	s_lshl_b64 s[26:27], s[22:23], 3
	s_lshl_b64 s[30:31], s[6:7], 3
	s_mov_b32 s7, s24
	s_add_u32 s24, s26, s30
	s_addc_u32 s25, s27, s31
	s_add_u32 s24, s10, s24
	v_mov_b32_e32 v2, v1
	s_addc_u32 s25, s11, s25
	s_add_u32 s24, s24, 4
	s_addc_u32 s25, s25, 0
	s_lshl_b64 s[26:27], s[18:19], 3
	s_mov_b32 s19, s17
.LBB136_3:                              ; =>This Inner Loop Header: Depth=1
	s_add_i32 s19, s19, -1
	global_store_dwordx2 v1, v[1:2], s[24:25] offset:-4
	s_add_u32 s24, s24, s26
	s_addc_u32 s25, s25, s27
	s_cmp_eq_u32 s19, 0
	s_cbranch_scc0 .LBB136_3
.LBB136_4:
	s_or_b32 exec_lo, exec_lo, s29
	s_mov_b32 s24, 0
.LBB136_5:
	s_andn2_b32 vcc_lo, exec_lo, s24
	s_cbranch_vccnz .LBB136_77
; %bb.6:
	s_clause 0x1
	s_load_dwordx4 s[24:27], s[4:5], 0x30
	s_load_dwordx2 s[30:31], s[4:5], 0x40
	s_mul_i32 s9, s9, s7
	s_mul_hi_u32 s19, s8, s7
	s_mul_i32 s8, s8, s7
	s_add_i32 s9, s19, s9
	s_clause 0x1
	s_load_dword s19, s[4:5], 0x48
	s_load_dword s37, s[4:5], 0x28
	s_lshl_b64 s[8:9], s[8:9], 3
	v_and_b32_e32 v26, 31, v0
	v_cmp_gt_u32_e64 s4, 32, v0
	v_mbcnt_lo_u32_b32 v27, -1, 0
	v_lshrrev_b32_e32 v28, 2, v0
	s_waitcnt lgkmcnt(0)
	s_add_u32 s26, s26, s8
	s_addc_u32 s27, s27, s9
	s_lshl_b64 s[8:9], s[30:31], 3
	s_mul_i32 s25, s25, s7
	s_add_u32 s33, s26, s8
	s_addc_u32 s36, s27, s9
	s_lshl_b64 s[8:9], s[22:23], 3
	s_mul_hi_u32 s29, s24, s7
	s_add_u32 s40, s10, s8
	s_mul_i32 s22, s24, s7
	s_addc_u32 s11, s11, s9
	s_add_i32 s23, s29, s25
	s_lshl_b64 s[22:23], s[22:23], 3
	s_add_u32 s5, s12, s22
	s_addc_u32 s7, s13, s23
	s_lshl_b64 s[14:15], s[14:15], 3
	s_add_u32 s8, s5, s14
	s_addc_u32 s7, s7, s15
	s_lshl_b32 s5, s6, 10
	s_ashr_i32 s9, s16, 31
	v_lshl_or_b32 v2, v0, 2, s5
	s_lshr_b32 s9, s9, 30
	s_lshr_b32 s10, s28, 30
	s_add_i32 s9, s16, s9
	s_add_i32 s10, s17, s10
	v_ashrrev_i32_e32 v3, 31, v2
	s_and_b32 s9, s9, -4
	v_mul_lo_u32 v1, s19, v2
	s_sub_i32 s38, s16, s9
	v_cmp_gt_u32_e64 s5, 8, v0
	v_lshlrev_b64 v[3:4], 3, v[2:3]
	v_add_nc_u32_e32 v29, 4, v2
	v_add_nc_u32_e32 v30, s38, v2
	s_and_b32 s41, s10, -4
	s_cmp_lt_i32 s41, 1
	v_add_co_u32 v24, vcc_lo, s8, v3
	v_add_co_ci_u32_e64 v25, null, s7, v4, vcc_lo
	s_cbranch_scc1 .LBB136_54
; %bb.7:
	v_cmp_gt_u32_e32 vcc_lo, 24, v27
	v_mul_lo_u32 v5, s19, v2
	s_cmp_gt_i32 s38, 0
	v_cmp_ge_i32_e64 s7, s16, v29
	s_cselect_b32 s42, -1, 0
	v_cndmask_b32_e64 v6, 0, 8, vcc_lo
	v_cmp_gt_u32_e32 vcc_lo, 28, v27
	s_lshl_b32 s43, s37, 2
	s_lshl_b32 s44, s37, 1
	s_add_u32 s24, s22, s14
	v_add_lshl_u32 v2, v6, v27, 2
	v_cndmask_b32_e64 v7, 0, 4, vcc_lo
	v_cmp_gt_u32_e32 vcc_lo, 30, v27
	v_ashrrev_i32_e32 v6, 31, v5
	s_addc_u32 s26, s23, s15
	s_add_u32 s24, s12, s24
	v_add_lshl_u32 v32, v7, v27, 2
	v_cndmask_b32_e64 v8, 0, 2, vcc_lo
	v_cmp_ne_u32_e32 vcc_lo, 31, v27
	v_add_nc_u32_e32 v7, s19, v5
	v_lshlrev_b64 v[11:12], 3, v[5:6]
	s_addc_u32 s26, s13, s26
	v_add_lshl_u32 v33, v8, v27, 2
	v_add_co_ci_u32_e64 v9, null, 0, v27, vcc_lo
	v_ashrrev_i32_e32 v8, 31, v7
	v_add_co_u32 v6, vcc_lo, s33, v11
	v_lshlrev_b32_e32 v34, 2, v9
	v_add_nc_u32_e32 v9, s19, v7
	v_lshlrev_b64 v[13:14], 3, v[7:8]
	v_add_co_ci_u32_e64 v7, null, s36, v12, vcc_lo
	v_cmp_ge_i32_e64 s8, s16, v30
	v_add_nc_u32_e32 v15, s19, v9
	v_ashrrev_i32_e32 v10, 31, v9
	v_add_co_u32 v8, vcc_lo, s33, v13
	v_lshl_or_b32 v31, v27, 2, 64
	v_ashrrev_i32_e32 v16, 31, v15
	v_lshlrev_b64 v[10:11], 3, v[9:10]
	v_add_co_ci_u32_e64 v9, null, s36, v14, vcc_lo
	v_cmp_eq_u32_e64 s9, 0, v26
	v_lshlrev_b64 v[12:13], 3, v[15:16]
	v_lshlrev_b32_e32 v35, 3, v26
	v_add_co_u32 v10, vcc_lo, s33, v10
	v_add_co_ci_u32_e64 v11, null, s36, v11, vcc_lo
	v_add_co_u32 v12, vcc_lo, s33, v12
	v_add_co_ci_u32_e64 v13, null, s36, v13, vcc_lo
	;; [unrolled: 2-line block ×3, first 2 shown]
	v_and_b32_e32 v36, 56, v28
	v_add_co_u32 v37, vcc_lo, v14, 4
	v_cmp_eq_u32_e64 s10, 0, v0
	v_add_co_ci_u32_e64 v38, null, 0, v15, vcc_lo
	v_mov_b32_e32 v14, 0
	s_mov_b32 s25, 0
	s_mul_i32 s45, s37, 3
	s_mov_b32 s26, s25
	s_mov_b32 s46, s37
	;; [unrolled: 1-line block ×3, first 2 shown]
	s_branch .LBB136_9
.LBB136_8:                              ;   in Loop: Header=BB136_9 Depth=1
	s_or_b32 exec_lo, exec_lo, s27
	s_add_i32 s39, s39, 4
	s_add_i32 s46, s46, s43
	;; [unrolled: 1-line block ×5, first 2 shown]
	s_cmp_ge_i32 s39, s41
	s_cbranch_scc1 .LBB136_55
.LBB136_9:                              ; =>This Loop Header: Depth=1
                                        ;     Child Loop BB136_40 Depth 2
                                        ;     Child Loop BB136_42 Depth 2
                                        ; implicit-def: $vgpr17
                                        ; implicit-def: $vgpr39
                                        ; implicit-def: $vgpr18
                                        ; implicit-def: $vgpr19
                                        ; implicit-def: $vgpr20
                                        ; implicit-def: $vgpr21
                                        ; implicit-def: $vgpr23
                                        ; implicit-def: $vgpr22
	s_and_saveexec_b32 s24, s7
	s_xor_b32 s24, exec_lo, s24
	s_cbranch_execnz .LBB136_36
; %bb.10:                               ;   in Loop: Header=BB136_9 Depth=1
	s_andn2_saveexec_b32 s24, s24
	s_cbranch_execnz .LBB136_37
.LBB136_11:                             ;   in Loop: Header=BB136_9 Depth=1
	s_or_b32 exec_lo, exec_lo, s24
	s_and_saveexec_b32 s24, s4
.LBB136_12:                             ;   in Loop: Header=BB136_9 Depth=1
	v_mov_b32_e32 v15, v14
	ds_write_b64 v35, v[14:15]
.LBB136_13:                             ;   in Loop: Header=BB136_9 Depth=1
	s_or_b32 exec_lo, exec_lo, s24
	ds_bpermute_b32 v15, v31, v17
	ds_bpermute_b32 v16, v31, v39
	s_waitcnt lgkmcnt(0)
	s_waitcnt_vscnt null, 0x0
	s_barrier
	buffer_gl0_inv
	v_add_f32_e32 v15, v17, v15
	v_add_f32_e32 v16, v39, v16
	ds_bpermute_b32 v17, v2, v15
	ds_bpermute_b32 v39, v2, v16
	s_waitcnt lgkmcnt(1)
	v_add_f32_e32 v15, v15, v17
	s_waitcnt lgkmcnt(0)
	v_add_f32_e32 v16, v16, v39
	ds_bpermute_b32 v17, v32, v15
	ds_bpermute_b32 v39, v32, v16
	s_waitcnt lgkmcnt(1)
	v_add_f32_e32 v15, v15, v17
	s_waitcnt lgkmcnt(0)
	v_add_f32_e32 v16, v16, v39
	ds_bpermute_b32 v17, v33, v15
	ds_bpermute_b32 v39, v33, v16
	s_waitcnt lgkmcnt(1)
	v_add_f32_e32 v15, v15, v17
	s_waitcnt lgkmcnt(0)
	v_add_f32_e32 v16, v16, v39
	ds_bpermute_b32 v17, v34, v15
	ds_bpermute_b32 v39, v34, v16
	s_and_saveexec_b32 s24, s9
	s_cbranch_execz .LBB136_15
; %bb.14:                               ;   in Loop: Header=BB136_9 Depth=1
	s_waitcnt lgkmcnt(0)
	v_add_f32_e32 v16, v16, v39
	v_add_f32_e32 v15, v15, v17
	ds_write_b64 v36, v[15:16]
.LBB136_15:                             ;   in Loop: Header=BB136_9 Depth=1
	s_or_b32 exec_lo, exec_lo, s24
	s_waitcnt lgkmcnt(1)
	v_mov_b32_e32 v17, 0
	v_mov_b32_e32 v16, 0
	s_waitcnt lgkmcnt(0)
	s_barrier
	buffer_gl0_inv
	s_and_saveexec_b32 s24, s5
	s_cbranch_execnz .LBB136_43
; %bb.16:                               ;   in Loop: Header=BB136_9 Depth=1
	s_or_b32 exec_lo, exec_lo, s24
	s_and_saveexec_b32 s24, s4
	s_cbranch_execnz .LBB136_44
.LBB136_17:                             ;   in Loop: Header=BB136_9 Depth=1
	s_or_b32 exec_lo, exec_lo, s24
	s_and_saveexec_b32 s24, s4
.LBB136_18:                             ;   in Loop: Header=BB136_9 Depth=1
	v_mov_b32_e32 v15, v14
	ds_write_b64 v35, v[14:15]
.LBB136_19:                             ;   in Loop: Header=BB136_9 Depth=1
	s_or_b32 exec_lo, exec_lo, s24
	ds_bpermute_b32 v15, v31, v18
	ds_bpermute_b32 v39, v31, v19
	s_waitcnt lgkmcnt(0)
	s_barrier
	buffer_gl0_inv
	v_add_f32_e32 v15, v18, v15
	v_add_f32_e32 v18, v19, v39
	ds_bpermute_b32 v19, v2, v15
	ds_bpermute_b32 v39, v2, v18
	s_waitcnt lgkmcnt(1)
	v_add_f32_e32 v15, v15, v19
	s_waitcnt lgkmcnt(0)
	v_add_f32_e32 v18, v18, v39
	ds_bpermute_b32 v19, v32, v15
	ds_bpermute_b32 v39, v32, v18
	s_waitcnt lgkmcnt(1)
	v_add_f32_e32 v15, v15, v19
	s_waitcnt lgkmcnt(0)
	;; [unrolled: 6-line block ×3, first 2 shown]
	v_add_f32_e32 v18, v18, v39
	ds_bpermute_b32 v19, v34, v15
	ds_bpermute_b32 v39, v34, v18
	s_and_saveexec_b32 s24, s9
	s_cbranch_execz .LBB136_21
; %bb.20:                               ;   in Loop: Header=BB136_9 Depth=1
	s_waitcnt lgkmcnt(0)
	v_add_f32_e32 v40, v18, v39
	v_add_f32_e32 v39, v15, v19
	ds_write_b64 v36, v[39:40]
.LBB136_21:                             ;   in Loop: Header=BB136_9 Depth=1
	s_or_b32 exec_lo, exec_lo, s24
	s_waitcnt lgkmcnt(1)
	v_mov_b32_e32 v19, 0
	v_mov_b32_e32 v18, 0
	s_waitcnt lgkmcnt(0)
	s_barrier
	buffer_gl0_inv
	s_and_saveexec_b32 s24, s5
	s_cbranch_execnz .LBB136_45
; %bb.22:                               ;   in Loop: Header=BB136_9 Depth=1
	s_or_b32 exec_lo, exec_lo, s24
	s_and_saveexec_b32 s24, s4
	s_cbranch_execnz .LBB136_46
.LBB136_23:                             ;   in Loop: Header=BB136_9 Depth=1
	s_or_b32 exec_lo, exec_lo, s24
	s_and_saveexec_b32 s24, s4
.LBB136_24:                             ;   in Loop: Header=BB136_9 Depth=1
	v_mov_b32_e32 v15, v14
	ds_write_b64 v35, v[14:15]
.LBB136_25:                             ;   in Loop: Header=BB136_9 Depth=1
	s_or_b32 exec_lo, exec_lo, s24
	ds_bpermute_b32 v15, v31, v20
	ds_bpermute_b32 v39, v31, v21
	s_waitcnt lgkmcnt(0)
	s_barrier
	buffer_gl0_inv
	v_add_f32_e32 v15, v20, v15
	v_add_f32_e32 v20, v21, v39
	ds_bpermute_b32 v21, v2, v15
	ds_bpermute_b32 v39, v2, v20
	s_waitcnt lgkmcnt(1)
	v_add_f32_e32 v15, v15, v21
	s_waitcnt lgkmcnt(0)
	v_add_f32_e32 v20, v20, v39
	ds_bpermute_b32 v21, v32, v15
	ds_bpermute_b32 v39, v32, v20
	s_waitcnt lgkmcnt(1)
	v_add_f32_e32 v15, v15, v21
	s_waitcnt lgkmcnt(0)
	;; [unrolled: 6-line block ×3, first 2 shown]
	v_add_f32_e32 v20, v20, v39
	ds_bpermute_b32 v21, v34, v15
	ds_bpermute_b32 v39, v34, v20
	s_and_saveexec_b32 s24, s9
	s_cbranch_execz .LBB136_27
; %bb.26:                               ;   in Loop: Header=BB136_9 Depth=1
	s_waitcnt lgkmcnt(0)
	v_add_f32_e32 v40, v20, v39
	v_add_f32_e32 v39, v15, v21
	ds_write_b64 v36, v[39:40]
.LBB136_27:                             ;   in Loop: Header=BB136_9 Depth=1
	s_or_b32 exec_lo, exec_lo, s24
	s_waitcnt lgkmcnt(1)
	v_mov_b32_e32 v21, 0
	v_mov_b32_e32 v20, 0
	s_waitcnt lgkmcnt(0)
	s_barrier
	buffer_gl0_inv
	s_and_saveexec_b32 s24, s5
	s_cbranch_execnz .LBB136_47
; %bb.28:                               ;   in Loop: Header=BB136_9 Depth=1
	s_or_b32 exec_lo, exec_lo, s24
	s_and_saveexec_b32 s24, s4
	s_cbranch_execnz .LBB136_48
.LBB136_29:                             ;   in Loop: Header=BB136_9 Depth=1
	s_or_b32 exec_lo, exec_lo, s24
	s_and_saveexec_b32 s24, s4
.LBB136_30:                             ;   in Loop: Header=BB136_9 Depth=1
	v_mov_b32_e32 v15, v14
	ds_write_b64 v35, v[14:15]
.LBB136_31:                             ;   in Loop: Header=BB136_9 Depth=1
	s_or_b32 exec_lo, exec_lo, s24
	ds_bpermute_b32 v15, v31, v23
	ds_bpermute_b32 v39, v31, v22
	s_waitcnt lgkmcnt(0)
	s_barrier
	buffer_gl0_inv
	v_add_f32_e32 v15, v23, v15
	v_add_f32_e32 v22, v22, v39
	ds_bpermute_b32 v23, v2, v15
	ds_bpermute_b32 v39, v2, v22
	s_waitcnt lgkmcnt(1)
	v_add_f32_e32 v15, v15, v23
	s_waitcnt lgkmcnt(0)
	v_add_f32_e32 v22, v22, v39
	ds_bpermute_b32 v23, v32, v15
	ds_bpermute_b32 v39, v32, v22
	s_waitcnt lgkmcnt(1)
	v_add_f32_e32 v15, v15, v23
	s_waitcnt lgkmcnt(0)
	;; [unrolled: 6-line block ×3, first 2 shown]
	v_add_f32_e32 v22, v22, v39
	ds_bpermute_b32 v23, v34, v15
	ds_bpermute_b32 v39, v34, v22
	s_and_saveexec_b32 s24, s9
	s_cbranch_execz .LBB136_33
; %bb.32:                               ;   in Loop: Header=BB136_9 Depth=1
	s_waitcnt lgkmcnt(0)
	v_add_f32_e32 v40, v22, v39
	v_add_f32_e32 v39, v15, v23
	ds_write_b64 v36, v[39:40]
.LBB136_33:                             ;   in Loop: Header=BB136_9 Depth=1
	s_or_b32 exec_lo, exec_lo, s24
	s_waitcnt lgkmcnt(1)
	v_mov_b32_e32 v23, 0
	v_mov_b32_e32 v22, 0
	s_waitcnt lgkmcnt(0)
	s_barrier
	buffer_gl0_inv
	s_and_saveexec_b32 s24, s5
	s_cbranch_execnz .LBB136_49
; %bb.34:                               ;   in Loop: Header=BB136_9 Depth=1
	s_or_b32 exec_lo, exec_lo, s24
	s_and_saveexec_b32 s24, s4
	s_cbranch_execnz .LBB136_50
.LBB136_35:                             ;   in Loop: Header=BB136_9 Depth=1
	s_or_b32 exec_lo, exec_lo, s24
	s_and_saveexec_b32 s27, s10
	s_cbranch_execz .LBB136_8
	s_branch .LBB136_51
.LBB136_36:                             ;   in Loop: Header=BB136_9 Depth=1
	s_mul_i32 s28, s39, s37
	s_clause 0x1
	global_load_dwordx2 v[63:64], v[6:7], off
	global_load_dwordx2 v[65:66], v[8:9], off
	s_ashr_i32 s29, s28, 31
	s_lshl_b64 s[30:31], s[28:29], 3
	s_add_i32 s28, s28, s37
	v_add_co_u32 v19, vcc_lo, v24, s30
	s_ashr_i32 s29, s28, 31
	v_add_co_ci_u32_e64 v20, null, s31, v25, vcc_lo
	s_lshl_b64 s[30:31], s[28:29], 3
	s_add_i32 s28, s28, s37
	v_add_co_u32 v43, vcc_lo, v24, s30
	s_ashr_i32 s29, s28, 31
	v_add_co_ci_u32_e64 v44, null, s31, v25, vcc_lo
	;; [unrolled: 5-line block ×3, first 2 shown]
	s_lshl_b64 s[28:29], s[28:29], 3
	global_load_dwordx4 v[15:18], v[19:20], off offset:16
	s_waitcnt lgkmcnt(0)
	global_load_dwordx4 v[19:22], v[19:20], off
	v_add_co_u32 v59, vcc_lo, v24, s28
	s_clause 0x1
	global_load_dwordx2 v[67:68], v[10:11], off
	global_load_dwordx2 v[69:70], v[12:13], off
	v_add_co_ci_u32_e64 v60, null, s29, v25, vcc_lo
	s_clause 0x5
	global_load_dwordx4 v[39:42], v[43:44], off
	global_load_dwordx4 v[43:46], v[43:44], off offset:16
	global_load_dwordx4 v[47:50], v[51:52], off
	global_load_dwordx4 v[51:54], v[51:52], off offset:16
	;; [unrolled: 2-line block ×3, first 2 shown]
	s_waitcnt vmcnt(11)
	buffer_store_dword v64, off, s[0:3], 0 offset:4
	buffer_store_dword v63, off, s[0:3], 0
	s_waitcnt vmcnt(10)
	buffer_store_dword v66, off, s[0:3], 0 offset:12
	buffer_store_dword v65, off, s[0:3], 0 offset:8
	s_waitcnt vmcnt(7)
	buffer_store_dword v68, off, s[0:3], 0 offset:20
	buffer_store_dword v67, off, s[0:3], 0 offset:16
	s_waitcnt vmcnt(6)
	buffer_store_dword v70, off, s[0:3], 0 offset:28
	buffer_store_dword v69, off, s[0:3], 0 offset:24
	v_mul_f32_e32 v23, v20, v64
	v_mul_f32_e32 v20, v20, v63
	;; [unrolled: 1-line block ×8, first 2 shown]
	s_waitcnt vmcnt(5)
	v_mul_f32_e32 v74, v40, v64
	v_mul_f32_e32 v40, v40, v63
	;; [unrolled: 1-line block ×4, first 2 shown]
	s_waitcnt vmcnt(4)
	v_mul_f32_e32 v76, v68, v44
	v_mul_f32_e32 v44, v67, v44
	s_waitcnt vmcnt(3)
	v_mul_f32_e32 v78, v48, v64
	v_mul_f32_e32 v48, v48, v63
	v_fmac_f32_e32 v23, v19, v63
	v_fma_f32 v19, v19, v64, -v20
	v_fmac_f32_e32 v72, v67, v15
	v_fma_f32 v15, v68, v15, -v16
	;; [unrolled: 2-line block ×3, first 2 shown]
	s_waitcnt vmcnt(1)
	v_mul_f32_e32 v17, v56, v64
	v_mul_f32_e32 v18, v56, v63
	;; [unrolled: 1-line block ×4, first 2 shown]
	v_fmac_f32_e32 v71, v21, v65
	v_fma_f32 v20, v21, v66, -v22
	v_mul_f32_e32 v21, v58, v66
	v_mul_f32_e32 v22, v58, v65
	v_fmac_f32_e32 v74, v39, v63
	v_fma_f32 v39, v39, v64, -v40
	v_fmac_f32_e32 v75, v41, v65
	v_fma_f32 v40, v41, v66, -v42
	;; [unrolled: 2-line block ×4, first 2 shown]
	v_add_f32_e32 v19, 0, v19
	v_fmac_f32_e32 v17, v55, v63
	v_fma_f32 v18, v55, v64, -v18
	v_mul_f32_e32 v77, v70, v46
	v_mul_f32_e32 v46, v69, v46
	;; [unrolled: 1-line block ×4, first 2 shown]
	s_waitcnt vmcnt(0)
	v_mul_f32_e32 v56, v68, v60
	v_mul_f32_e32 v58, v67, v60
	v_fmac_f32_e32 v79, v49, v65
	v_fma_f32 v44, v49, v66, -v50
	v_add_f32_e32 v23, 0, v23
	v_fmac_f32_e32 v21, v57, v65
	v_fma_f32 v22, v57, v66, -v22
	v_add_f32_e32 v49, 0, v74
	v_add_f32_e32 v39, 0, v39
	;; [unrolled: 1-line block ×7, first 2 shown]
	v_mul_f32_e32 v81, v70, v54
	v_mul_f32_e32 v54, v69, v54
	;; [unrolled: 1-line block ×4, first 2 shown]
	v_fmac_f32_e32 v77, v69, v45
	v_fma_f32 v42, v70, v45, -v46
	v_fmac_f32_e32 v80, v67, v51
	v_fma_f32 v45, v68, v51, -v52
	;; [unrolled: 2-line block ×3, first 2 shown]
	v_add_f32_e32 v23, v23, v71
	v_add_f32_e32 v20, v49, v75
	;; [unrolled: 1-line block ×8, first 2 shown]
	v_fmac_f32_e32 v81, v69, v53
	v_fma_f32 v46, v70, v53, -v54
	v_fmac_f32_e32 v60, v69, v61
	v_fma_f32 v48, v70, v61, -v62
	v_add_f32_e32 v23, v23, v72
	v_add_f32_e32 v20, v20, v76
	;; [unrolled: 1-line block ×15, first 2 shown]
	s_andn2_saveexec_b32 s24, s24
	s_cbranch_execz .LBB136_11
.LBB136_37:                             ;   in Loop: Header=BB136_9 Depth=1
	v_mov_b32_e32 v17, 0
	v_mov_b32_e32 v39, 0
	;; [unrolled: 1-line block ×6, first 2 shown]
	s_waitcnt lgkmcnt(0)
	v_mov_b32_e32 v23, 0
	v_mov_b32_e32 v22, 0
	s_and_saveexec_b32 s47, s8
	s_cbranch_execz .LBB136_53
; %bb.38:                               ;   in Loop: Header=BB136_9 Depth=1
	s_andn2_b32 vcc_lo, exec_lo, s42
	s_cbranch_vccnz .LBB136_52
; %bb.39:                               ;   in Loop: Header=BB136_9 Depth=1
	v_mov_b32_e32 v15, v5
	s_mov_b32 s27, 0
	s_mov_b32 s28, s38
	.p2align	6
.LBB136_40:                             ;   Parent Loop BB136_9 Depth=1
                                        ; =>  This Inner Loop Header: Depth=2
	v_ashrrev_i32_e32 v16, 31, v15
	v_mov_b32_e32 v18, s27
	s_add_i32 s28, s28, -1
	s_add_i32 s27, s27, 8
	s_cmp_eq_u32 s28, 0
	v_lshlrev_b64 v[16:17], 3, v[15:16]
	v_add_nc_u32_e32 v15, s19, v15
	v_add_co_u32 v16, vcc_lo, s33, v16
	v_add_co_ci_u32_e64 v17, null, s36, v17, vcc_lo
	global_load_dwordx2 v[16:17], v[16:17], off
	s_waitcnt vmcnt(0)
	buffer_store_dword v17, v18, s[0:3], 0 offen offset:4
	buffer_store_dword v16, v18, s[0:3], 0 offen
	s_cbranch_scc0 .LBB136_40
; %bb.41:                               ;   in Loop: Header=BB136_9 Depth=1
	s_ashr_i32 s27, s26, 31
	v_mov_b32_e32 v22, 0
	s_lshl_b64 s[28:29], s[26:27], 3
	v_mov_b32_e32 v23, 0
	v_add_co_u32 v15, vcc_lo, v37, s28
	v_add_co_ci_u32_e64 v16, null, s29, v38, vcc_lo
	v_mov_b32_e32 v21, 0
	v_mov_b32_e32 v20, 0
	;; [unrolled: 1-line block ×6, first 2 shown]
	s_mov_b32 s27, 0
	s_mov_b32 s28, s45
	s_mov_b32 s30, s44
	s_mov_b32 s34, s46
	s_mov_b32 s48, s38
.LBB136_42:                             ;   Parent Loop BB136_9 Depth=1
                                        ; =>  This Inner Loop Header: Depth=2
	s_ashr_i32 s35, s34, 31
	s_ashr_i32 s31, s30, 31
	s_lshl_b64 s[50:51], s[34:35], 3
	s_ashr_i32 s29, s28, 31
	s_lshl_b64 s[52:53], s[30:31], 3
	v_add_co_u32 v42, vcc_lo, v24, s50
	s_lshl_b64 s[54:55], s[28:29], 3
	v_add_co_ci_u32_e64 v43, null, s51, v25, vcc_lo
	v_add_co_u32 v44, vcc_lo, v24, s52
	v_mov_b32_e32 v48, s27
	v_add_co_ci_u32_e64 v45, null, s53, v25, vcc_lo
	v_add_co_u32 v46, vcc_lo, v24, s54
	v_add_co_ci_u32_e64 v47, null, s55, v25, vcc_lo
	global_load_dwordx2 v[40:41], v[15:16], off offset:-4
	s_clause 0x1
	buffer_load_dword v49, v48, s[0:3], 0 offen offset:4
	buffer_load_dword v48, v48, s[0:3], 0 offen
	s_clause 0x2
	global_load_dwordx2 v[42:43], v[42:43], off
	global_load_dwordx2 v[44:45], v[44:45], off
	;; [unrolled: 1-line block ×3, first 2 shown]
	v_add_co_u32 v15, vcc_lo, v15, 8
	v_add_co_ci_u32_e64 v16, null, 0, v16, vcc_lo
	s_add_i32 s48, s48, -1
	s_add_i32 s27, s27, 8
	s_add_i32 s34, s34, 1
	;; [unrolled: 1-line block ×4, first 2 shown]
	s_cmp_lg_u32 s48, 0
	s_waitcnt vmcnt(4)
	v_mul_f32_e32 v50, v49, v41
	s_waitcnt vmcnt(3)
	v_mul_f32_e32 v41, v48, v41
	;; [unrolled: 2-line block ×3, first 2 shown]
	v_mul_f32_e32 v43, v48, v43
	s_waitcnt vmcnt(1)
	v_mul_f32_e32 v52, v49, v45
	v_mul_f32_e32 v45, v48, v45
	s_waitcnt vmcnt(0)
	v_mul_f32_e32 v53, v49, v47
	v_mul_f32_e32 v47, v48, v47
	v_fmac_f32_e32 v50, v48, v40
	v_fma_f32 v40, v49, v40, -v41
	v_fmac_f32_e32 v51, v48, v42
	v_fma_f32 v41, v49, v42, -v43
	;; [unrolled: 2-line block ×4, first 2 shown]
	v_add_f32_e32 v17, v17, v50
	v_add_f32_e32 v39, v39, v40
	;; [unrolled: 1-line block ×8, first 2 shown]
	s_cbranch_scc1 .LBB136_42
	s_branch .LBB136_53
.LBB136_43:                             ;   in Loop: Header=BB136_9 Depth=1
	ds_read_b64 v[16:17], v35
	s_or_b32 exec_lo, exec_lo, s24
	s_and_saveexec_b32 s24, s4
	s_cbranch_execz .LBB136_17
.LBB136_44:                             ;   in Loop: Header=BB136_9 Depth=1
	s_waitcnt lgkmcnt(0)
	ds_bpermute_b32 v15, v32, v16
	ds_bpermute_b32 v39, v32, v17
	s_waitcnt lgkmcnt(1)
	v_add_f32_e32 v15, v16, v15
	s_waitcnt lgkmcnt(0)
	v_add_f32_e32 v16, v17, v39
	ds_bpermute_b32 v17, v33, v15
	ds_bpermute_b32 v39, v33, v16
	s_waitcnt lgkmcnt(1)
	v_add_f32_e32 v15, v15, v17
	s_waitcnt lgkmcnt(0)
	v_add_f32_e32 v17, v16, v39
	;; [unrolled: 6-line block ×3, first 2 shown]
	s_or_b32 exec_lo, exec_lo, s24
	s_and_saveexec_b32 s24, s4
	s_cbranch_execnz .LBB136_18
	s_branch .LBB136_19
.LBB136_45:                             ;   in Loop: Header=BB136_9 Depth=1
	ds_read_b64 v[18:19], v35
	s_or_b32 exec_lo, exec_lo, s24
	s_and_saveexec_b32 s24, s4
	s_cbranch_execz .LBB136_23
.LBB136_46:                             ;   in Loop: Header=BB136_9 Depth=1
	s_waitcnt lgkmcnt(0)
	ds_bpermute_b32 v15, v32, v18
	ds_bpermute_b32 v39, v32, v19
	s_waitcnt lgkmcnt(1)
	v_add_f32_e32 v15, v18, v15
	s_waitcnt lgkmcnt(0)
	v_add_f32_e32 v18, v19, v39
	ds_bpermute_b32 v19, v33, v15
	ds_bpermute_b32 v39, v33, v18
	s_waitcnt lgkmcnt(1)
	v_add_f32_e32 v15, v15, v19
	s_waitcnt lgkmcnt(0)
	v_add_f32_e32 v19, v18, v39
	ds_bpermute_b32 v18, v34, v15
	ds_bpermute_b32 v39, v34, v19
	s_waitcnt lgkmcnt(1)
	v_add_f32_e32 v18, v15, v18
	s_waitcnt lgkmcnt(0)
	v_add_f32_e32 v19, v19, v39
	s_or_b32 exec_lo, exec_lo, s24
	s_and_saveexec_b32 s24, s4
	s_cbranch_execnz .LBB136_24
	s_branch .LBB136_25
.LBB136_47:                             ;   in Loop: Header=BB136_9 Depth=1
	ds_read_b64 v[20:21], v35
	s_or_b32 exec_lo, exec_lo, s24
	s_and_saveexec_b32 s24, s4
	s_cbranch_execz .LBB136_29
.LBB136_48:                             ;   in Loop: Header=BB136_9 Depth=1
	s_waitcnt lgkmcnt(0)
	ds_bpermute_b32 v15, v32, v20
	ds_bpermute_b32 v39, v32, v21
	s_waitcnt lgkmcnt(1)
	v_add_f32_e32 v15, v20, v15
	s_waitcnt lgkmcnt(0)
	v_add_f32_e32 v20, v21, v39
	ds_bpermute_b32 v21, v33, v15
	ds_bpermute_b32 v39, v33, v20
	s_waitcnt lgkmcnt(1)
	v_add_f32_e32 v15, v15, v21
	s_waitcnt lgkmcnt(0)
	v_add_f32_e32 v21, v20, v39
	;; [unrolled: 6-line block ×3, first 2 shown]
	s_or_b32 exec_lo, exec_lo, s24
	s_and_saveexec_b32 s24, s4
	s_cbranch_execnz .LBB136_30
	s_branch .LBB136_31
.LBB136_49:                             ;   in Loop: Header=BB136_9 Depth=1
	ds_read_b64 v[22:23], v35
	s_or_b32 exec_lo, exec_lo, s24
	s_and_saveexec_b32 s24, s4
	s_cbranch_execz .LBB136_35
.LBB136_50:                             ;   in Loop: Header=BB136_9 Depth=1
	s_waitcnt lgkmcnt(0)
	ds_bpermute_b32 v15, v32, v22
	ds_bpermute_b32 v39, v32, v23
	s_waitcnt lgkmcnt(1)
	v_add_f32_e32 v15, v22, v15
	s_waitcnt lgkmcnt(0)
	v_add_f32_e32 v22, v23, v39
	ds_bpermute_b32 v23, v33, v15
	ds_bpermute_b32 v39, v33, v22
	s_waitcnt lgkmcnt(1)
	v_add_f32_e32 v15, v15, v23
	s_waitcnt lgkmcnt(0)
	v_add_f32_e32 v23, v22, v39
	;; [unrolled: 6-line block ×3, first 2 shown]
	s_or_b32 exec_lo, exec_lo, s24
	s_and_saveexec_b32 s27, s10
	s_cbranch_execz .LBB136_8
.LBB136_51:                             ;   in Loop: Header=BB136_9 Depth=1
	v_mul_f32_e32 v15, s21, v17
	v_mul_f32_e32 v40, s20, v17
	s_mul_i32 s24, s39, s18
	v_mul_f32_e32 v17, s21, v21
	s_add_i32 s24, s24, s6
	v_fma_f32 v39, v16, s20, -v15
	s_lshl_b64 s[28:29], s[24:25], 3
	v_fmac_f32_e32 v40, s21, v16
	s_add_u32 s28, s40, s28
	s_addc_u32 s29, s11, s29
	s_add_i32 s24, s24, s18
	v_mul_f32_e32 v15, s21, v19
	global_store_dwordx2 v14, v[39:40], s[28:29]
	v_mul_f32_e32 v16, s20, v19
	s_lshl_b64 s[28:29], s[24:25], 3
	v_mul_f32_e32 v19, s20, v21
	s_add_u32 s28, s40, s28
	s_addc_u32 s29, s11, s29
	s_add_i32 s24, s24, s18
	v_fma_f32 v15, v18, s20, -v15
	v_fmac_f32_e32 v16, s21, v18
	v_fma_f32 v18, v20, s20, -v17
	s_waitcnt lgkmcnt(0)
	v_mul_f32_e32 v17, s21, v23
	s_lshl_b64 s[30:31], s[24:25], 3
	v_mul_f32_e32 v21, s20, v23
	s_add_u32 s30, s40, s30
	s_addc_u32 s31, s11, s31
	s_add_i32 s24, s24, s18
	v_fmac_f32_e32 v19, s21, v20
	v_fma_f32 v20, v22, s20, -v17
	v_fmac_f32_e32 v21, s21, v22
	s_lshl_b64 s[34:35], s[24:25], 3
	global_store_dwordx2 v14, v[15:16], s[28:29]
	s_add_u32 s28, s40, s34
	s_addc_u32 s29, s11, s35
	global_store_dwordx2 v14, v[18:19], s[30:31]
	global_store_dwordx2 v14, v[20:21], s[28:29]
	s_branch .LBB136_8
.LBB136_52:                             ;   in Loop: Header=BB136_9 Depth=1
	v_mov_b32_e32 v17, 0
	v_mov_b32_e32 v39, 0
	;; [unrolled: 1-line block ×8, first 2 shown]
.LBB136_53:                             ;   in Loop: Header=BB136_9 Depth=1
	s_or_b32 exec_lo, exec_lo, s47
	s_or_b32 exec_lo, exec_lo, s24
	s_and_saveexec_b32 s24, s4
	s_cbranch_execnz .LBB136_12
	s_branch .LBB136_13
.LBB136_54:
	s_mov_b32 s39, 0
.LBB136_55:
	s_cmp_ge_i32 s39, s17
	s_cbranch_scc1 .LBB136_77
; %bb.56:
	v_cmp_gt_u32_e64 s5, 24, v27
	s_cmp_gt_i32 s38, 0
	s_mov_b32 s7, 0
	s_cselect_b32 s26, -1, 0
	s_lshl_b64 s[24:25], s[6:7], 3
	v_cndmask_b32_e64 v2, 0, 8, s5
	v_cmp_gt_u32_e64 s5, 28, v27
	v_cmp_ge_i32_e64 s10, s16, v30
	s_add_u32 s7, s40, s24
	v_cmp_ge_i32_e32 vcc_lo, s16, v29
	v_add_lshl_u32 v16, v2, v27, 2
	v_cndmask_b32_e64 v5, 0, 4, s5
	v_cmp_gt_u32_e64 s5, 30, v27
	v_ashrrev_i32_e32 v2, 31, v1
	s_addc_u32 s16, s11, s25
	s_and_b32 s24, s26, s10
	v_add_lshl_u32 v17, v5, v27, 2
	v_cndmask_b32_e64 v6, 0, 2, s5
	v_cmp_ne_u32_e64 s5, 31, v27
	v_add_nc_u32_e32 v5, s19, v1
	v_lshlrev_b64 v[9:10], 3, v[1:2]
	v_cmp_gt_u32_e64 s4, 32, v0
	v_add_lshl_u32 v18, v6, v27, 2
	v_add_co_ci_u32_e64 v7, null, 0, v27, s5
	v_ashrrev_i32_e32 v6, 31, v5
	v_cmp_gt_u32_e64 s8, 8, v0
	v_cmp_eq_u32_e64 s9, 0, v0
	v_lshlrev_b32_e32 v19, 2, v7
	v_add_nc_u32_e32 v7, s19, v5
	v_lshlrev_b64 v[11:12], 3, v[5:6]
	v_add_co_u32 v5, s6, s33, v9
	v_add_co_ci_u32_e64 v6, null, s36, v10, s6
	v_ashrrev_i32_e32 v8, 31, v7
	v_add_nc_u32_e32 v21, s19, v7
	v_lshlrev_b32_e32 v14, 3, v26
	v_lshl_or_b32 v15, v27, 2, 64
	v_cmp_eq_u32_e64 s5, 0, v26
	v_lshlrev_b64 v[9:10], 3, v[7:8]
	v_add_co_u32 v7, s6, s33, v11
	s_waitcnt lgkmcnt(0)
	v_ashrrev_i32_e32 v22, 31, v21
	v_add_co_ci_u32_e64 v8, null, s36, v12, s6
	v_add_co_u32 v9, s6, s33, v9
	v_add_co_ci_u32_e64 v10, null, s36, v10, s6
	s_add_u32 s6, s22, s14
	v_lshlrev_b64 v[11:12], 3, v[21:22]
	s_addc_u32 s10, s23, s15
	s_add_u32 s6, s12, s6
	s_addc_u32 s10, s13, s10
	v_add_co_u32 v0, s6, s6, v3
	v_add_co_ci_u32_e64 v4, null, s10, v4, s6
	v_add_co_u32 v2, s6, s33, v11
	v_add_co_ci_u32_e64 v3, null, s36, v12, s6
	v_add_co_u32 v0, s6, v0, 4
	v_and_b32_e32 v20, 56, v28
	v_add_co_ci_u32_e64 v4, null, 0, v4, s6
	v_mov_b32_e32 v11, 0
	s_mul_i32 s10, s39, s37
	s_branch .LBB136_58
.LBB136_57:                             ;   in Loop: Header=BB136_58 Depth=1
	s_or_b32 exec_lo, exec_lo, s6
	s_add_i32 s39, s39, 1
	s_add_i32 s10, s10, s37
	s_cmp_lt_i32 s39, s17
	s_cbranch_scc0 .LBB136_77
.LBB136_58:                             ; =>This Loop Header: Depth=1
                                        ;     Child Loop BB136_70 Depth 2
                                        ;     Child Loop BB136_72 Depth 2
                                        ; implicit-def: $vgpr21
                                        ; implicit-def: $vgpr22
	s_and_saveexec_b32 s6, vcc_lo
	s_xor_b32 s11, exec_lo, s6
	s_cbranch_execnz .LBB136_67
; %bb.59:                               ;   in Loop: Header=BB136_58 Depth=1
	s_andn2_saveexec_b32 s12, s11
	s_cbranch_execnz .LBB136_68
.LBB136_60:                             ;   in Loop: Header=BB136_58 Depth=1
	s_or_b32 exec_lo, exec_lo, s12
	s_and_saveexec_b32 s6, s4
	s_cbranch_execz .LBB136_62
.LBB136_61:                             ;   in Loop: Header=BB136_58 Depth=1
	s_waitcnt lgkmcnt(0)
	v_mov_b32_e32 v12, v11
	ds_write_b64 v14, v[11:12]
.LBB136_62:                             ;   in Loop: Header=BB136_58 Depth=1
	s_or_b32 exec_lo, exec_lo, s6
	s_waitcnt lgkmcnt(0)
	ds_bpermute_b32 v12, v15, v21
	ds_bpermute_b32 v13, v15, v22
	s_waitcnt lgkmcnt(0)
	s_waitcnt_vscnt null, 0x0
	s_barrier
	buffer_gl0_inv
	v_add_f32_e32 v12, v21, v12
	v_add_f32_e32 v13, v22, v13
	ds_bpermute_b32 v21, v16, v12
	ds_bpermute_b32 v22, v16, v13
	s_waitcnt lgkmcnt(1)
	v_add_f32_e32 v12, v12, v21
	s_waitcnt lgkmcnt(0)
	v_add_f32_e32 v13, v13, v22
	ds_bpermute_b32 v21, v17, v12
	ds_bpermute_b32 v22, v17, v13
	s_waitcnt lgkmcnt(1)
	v_add_f32_e32 v12, v12, v21
	s_waitcnt lgkmcnt(0)
	;; [unrolled: 6-line block ×3, first 2 shown]
	v_add_f32_e32 v13, v13, v22
	ds_bpermute_b32 v21, v19, v12
	ds_bpermute_b32 v22, v19, v13
	s_and_saveexec_b32 s6, s5
	s_cbranch_execz .LBB136_64
; %bb.63:                               ;   in Loop: Header=BB136_58 Depth=1
	s_waitcnt lgkmcnt(0)
	v_add_f32_e32 v13, v13, v22
	v_add_f32_e32 v12, v12, v21
	ds_write_b64 v20, v[12:13]
.LBB136_64:                             ;   in Loop: Header=BB136_58 Depth=1
	s_or_b32 exec_lo, exec_lo, s6
	v_mov_b32_e32 v13, 0
	v_mov_b32_e32 v12, 0
	s_waitcnt lgkmcnt(0)
	s_barrier
	buffer_gl0_inv
	s_and_saveexec_b32 s6, s8
	s_cbranch_execnz .LBB136_74
; %bb.65:                               ;   in Loop: Header=BB136_58 Depth=1
	s_or_b32 exec_lo, exec_lo, s6
	s_and_saveexec_b32 s6, s4
	s_cbranch_execnz .LBB136_75
.LBB136_66:                             ;   in Loop: Header=BB136_58 Depth=1
	s_or_b32 exec_lo, exec_lo, s6
	s_and_saveexec_b32 s6, s9
	s_cbranch_execz .LBB136_57
	s_branch .LBB136_76
.LBB136_67:                             ;   in Loop: Header=BB136_58 Depth=1
	s_mul_i32 s12, s39, s37
	s_ashr_i32 s13, s12, 31
	s_lshl_b64 s[12:13], s[12:13], 3
	s_waitcnt lgkmcnt(0)
	v_add_co_u32 v12, s6, v24, s12
	v_add_co_ci_u32_e64 v13, null, s13, v25, s6
	global_load_dwordx4 v[26:29], v[12:13], off
	s_clause 0x1
	global_load_dwordx2 v[21:22], v[5:6], off
	global_load_dwordx2 v[34:35], v[7:8], off
	global_load_dwordx4 v[30:33], v[12:13], off offset:16
	s_clause 0x1
	global_load_dwordx2 v[12:13], v[9:10], off
	global_load_dwordx2 v[36:37], v[2:3], off
	s_waitcnt vmcnt(4)
	v_mul_f32_e32 v23, v27, v22
	v_mul_f32_e32 v27, v27, v21
	s_waitcnt vmcnt(3)
	v_mul_f32_e32 v38, v29, v35
	v_mul_f32_e32 v29, v29, v34
	s_waitcnt vmcnt(1)
	v_mul_f32_e32 v39, v31, v13
	v_fmac_f32_e32 v23, v26, v21
	v_fma_f32 v26, v26, v22, -v27
	v_mul_f32_e32 v31, v31, v12
	v_fmac_f32_e32 v38, v28, v34
	v_fma_f32 v28, v28, v35, -v29
	v_add_f32_e32 v23, 0, v23
	v_add_f32_e32 v26, 0, v26
	s_waitcnt vmcnt(0)
	v_mul_f32_e32 v27, v33, v37
	v_mul_f32_e32 v29, v33, v36
	v_fmac_f32_e32 v39, v30, v12
	v_fma_f32 v30, v30, v13, -v31
	v_add_f32_e32 v23, v23, v38
	v_add_f32_e32 v26, v26, v28
	buffer_store_dword v22, off, s[0:3], 0 offset:4
	v_fmac_f32_e32 v27, v32, v36
	v_fma_f32 v22, v32, v37, -v29
	v_add_f32_e32 v23, v23, v39
	v_add_f32_e32 v26, v26, v30
	buffer_store_dword v21, off, s[0:3], 0
	buffer_store_dword v35, off, s[0:3], 0 offset:12
	buffer_store_dword v34, off, s[0:3], 0 offset:8
	;; [unrolled: 1-line block ×6, first 2 shown]
	v_add_f32_e32 v21, v23, v27
	v_add_f32_e32 v22, v26, v22
	s_andn2_saveexec_b32 s12, s11
	s_cbranch_execz .LBB136_60
.LBB136_68:                             ;   in Loop: Header=BB136_58 Depth=1
	v_mov_b32_e32 v21, 0
	v_mov_b32_e32 v22, 0
	s_and_saveexec_b32 s13, s24
	s_cbranch_execz .LBB136_73
; %bb.69:                               ;   in Loop: Header=BB136_58 Depth=1
	s_waitcnt lgkmcnt(0)
	v_mov_b32_e32 v12, v1
	s_mov_b32 s11, 0
	s_mov_b32 s14, s38
	.p2align	6
.LBB136_70:                             ;   Parent Loop BB136_58 Depth=1
                                        ; =>  This Inner Loop Header: Depth=2
	v_ashrrev_i32_e32 v13, 31, v12
	s_add_i32 s14, s14, -1
	v_lshlrev_b64 v[21:22], 3, v[12:13]
	v_mov_b32_e32 v13, s11
	v_add_nc_u32_e32 v12, s19, v12
	s_add_i32 s11, s11, 8
	s_cmp_eq_u32 s14, 0
	v_add_co_u32 v21, s6, s33, v21
	v_add_co_ci_u32_e64 v22, null, s36, v22, s6
	global_load_dwordx2 v[21:22], v[21:22], off
	s_waitcnt vmcnt(0)
	buffer_store_dword v22, v13, s[0:3], 0 offen offset:4
	buffer_store_dword v21, v13, s[0:3], 0 offen
	s_cbranch_scc0 .LBB136_70
; %bb.71:                               ;   in Loop: Header=BB136_58 Depth=1
	s_ashr_i32 s11, s10, 31
	v_mov_b32_e32 v21, 0
	s_lshl_b64 s[14:15], s[10:11], 3
	v_mov_b32_e32 v22, 0
	v_add_co_u32 v12, s6, v0, s14
	v_add_co_ci_u32_e64 v13, null, s15, v4, s6
	s_mov_b32 s11, 0
	s_mov_b32 s14, s38
	.p2align	6
.LBB136_72:                             ;   Parent Loop BB136_58 Depth=1
                                        ; =>  This Inner Loop Header: Depth=2
	v_mov_b32_e32 v23, s11
	global_load_dwordx2 v[26:27], v[12:13], off offset:-4
	v_add_co_u32 v12, s6, v12, 8
	v_add_co_ci_u32_e64 v13, null, 0, v13, s6
	s_clause 0x1
	buffer_load_dword v28, v23, s[0:3], 0 offen offset:4
	buffer_load_dword v23, v23, s[0:3], 0 offen
	s_add_i32 s14, s14, -1
	s_add_i32 s11, s11, 8
	s_cmp_lg_u32 s14, 0
	s_waitcnt vmcnt(1)
	v_mul_f32_e32 v29, v27, v28
	s_waitcnt vmcnt(0)
	v_mul_f32_e32 v27, v27, v23
	v_fmac_f32_e32 v29, v26, v23
	v_fma_f32 v23, v26, v28, -v27
	v_add_f32_e32 v21, v21, v29
	v_add_f32_e32 v22, v22, v23
	s_cbranch_scc1 .LBB136_72
.LBB136_73:                             ;   in Loop: Header=BB136_58 Depth=1
	s_or_b32 exec_lo, exec_lo, s13
	s_or_b32 exec_lo, exec_lo, s12
	s_and_saveexec_b32 s6, s4
	s_cbranch_execnz .LBB136_61
	s_branch .LBB136_62
.LBB136_74:                             ;   in Loop: Header=BB136_58 Depth=1
	ds_read_b64 v[12:13], v14
	s_or_b32 exec_lo, exec_lo, s6
	s_and_saveexec_b32 s6, s4
	s_cbranch_execz .LBB136_66
.LBB136_75:                             ;   in Loop: Header=BB136_58 Depth=1
	s_waitcnt lgkmcnt(0)
	ds_bpermute_b32 v21, v17, v12
	ds_bpermute_b32 v22, v17, v13
	s_waitcnt lgkmcnt(1)
	v_add_f32_e32 v12, v12, v21
	s_waitcnt lgkmcnt(0)
	v_add_f32_e32 v13, v13, v22
	ds_bpermute_b32 v21, v18, v12
	ds_bpermute_b32 v22, v18, v13
	s_waitcnt lgkmcnt(1)
	v_add_f32_e32 v12, v12, v21
	s_waitcnt lgkmcnt(0)
	v_add_f32_e32 v13, v13, v22
	;; [unrolled: 6-line block ×3, first 2 shown]
	s_or_b32 exec_lo, exec_lo, s6
	s_and_saveexec_b32 s6, s9
	s_cbranch_execz .LBB136_57
.LBB136_76:                             ;   in Loop: Header=BB136_58 Depth=1
	s_waitcnt lgkmcnt(0)
	v_mul_f32_e32 v21, s21, v13
	v_mul_f32_e32 v22, s20, v13
	s_mul_hi_u32 s13, s39, s18
	s_mul_i32 s12, s39, s18
	s_lshl_b64 s[12:13], s[12:13], 3
	v_fma_f32 v21, v12, s20, -v21
	v_fmac_f32_e32 v22, s21, v12
	s_add_u32 s12, s7, s12
	s_addc_u32 s13, s16, s13
	global_store_dwordx2 v11, v[21:22], s[12:13]
	s_branch .LBB136_57
.LBB136_77:
	s_endpgm
	.section	.rodata,"a",@progbits
	.p2align	6, 0x0
	.amdhsa_kernel _ZL23rocblas_gemvt_sn_kernelILb1ELi256ELi4Ei19rocblas_complex_numIfEPKS1_S1_EviiT4_lPKT3_lilS7_lilPT5_i
		.amdhsa_group_segment_fixed_size 256
		.amdhsa_private_segment_fixed_size 48
		.amdhsa_kernarg_size 360
		.amdhsa_user_sgpr_count 6
		.amdhsa_user_sgpr_private_segment_buffer 1
		.amdhsa_user_sgpr_dispatch_ptr 0
		.amdhsa_user_sgpr_queue_ptr 0
		.amdhsa_user_sgpr_kernarg_segment_ptr 1
		.amdhsa_user_sgpr_dispatch_id 0
		.amdhsa_user_sgpr_flat_scratch_init 0
		.amdhsa_user_sgpr_private_segment_size 0
		.amdhsa_wavefront_size32 1
		.amdhsa_uses_dynamic_stack 0
		.amdhsa_system_sgpr_private_segment_wavefront_offset 1
		.amdhsa_system_sgpr_workgroup_id_x 1
		.amdhsa_system_sgpr_workgroup_id_y 0
		.amdhsa_system_sgpr_workgroup_id_z 1
		.amdhsa_system_sgpr_workgroup_info 0
		.amdhsa_system_vgpr_workitem_id 0
		.amdhsa_next_free_vgpr 82
		.amdhsa_next_free_sgpr 56
		.amdhsa_reserve_vcc 1
		.amdhsa_reserve_flat_scratch 0
		.amdhsa_float_round_mode_32 0
		.amdhsa_float_round_mode_16_64 0
		.amdhsa_float_denorm_mode_32 3
		.amdhsa_float_denorm_mode_16_64 3
		.amdhsa_dx10_clamp 1
		.amdhsa_ieee_mode 1
		.amdhsa_fp16_overflow 0
		.amdhsa_workgroup_processor_mode 1
		.amdhsa_memory_ordered 1
		.amdhsa_forward_progress 1
		.amdhsa_shared_vgpr_count 0
		.amdhsa_exception_fp_ieee_invalid_op 0
		.amdhsa_exception_fp_denorm_src 0
		.amdhsa_exception_fp_ieee_div_zero 0
		.amdhsa_exception_fp_ieee_overflow 0
		.amdhsa_exception_fp_ieee_underflow 0
		.amdhsa_exception_fp_ieee_inexact 0
		.amdhsa_exception_int_div_zero 0
	.end_amdhsa_kernel
	.section	.text._ZL23rocblas_gemvt_sn_kernelILb1ELi256ELi4Ei19rocblas_complex_numIfEPKS1_S1_EviiT4_lPKT3_lilS7_lilPT5_i,"axG",@progbits,_ZL23rocblas_gemvt_sn_kernelILb1ELi256ELi4Ei19rocblas_complex_numIfEPKS1_S1_EviiT4_lPKT3_lilS7_lilPT5_i,comdat
.Lfunc_end136:
	.size	_ZL23rocblas_gemvt_sn_kernelILb1ELi256ELi4Ei19rocblas_complex_numIfEPKS1_S1_EviiT4_lPKT3_lilS7_lilPT5_i, .Lfunc_end136-_ZL23rocblas_gemvt_sn_kernelILb1ELi256ELi4Ei19rocblas_complex_numIfEPKS1_S1_EviiT4_lPKT3_lilS7_lilPT5_i
                                        ; -- End function
	.set _ZL23rocblas_gemvt_sn_kernelILb1ELi256ELi4Ei19rocblas_complex_numIfEPKS1_S1_EviiT4_lPKT3_lilS7_lilPT5_i.num_vgpr, 82
	.set _ZL23rocblas_gemvt_sn_kernelILb1ELi256ELi4Ei19rocblas_complex_numIfEPKS1_S1_EviiT4_lPKT3_lilS7_lilPT5_i.num_agpr, 0
	.set _ZL23rocblas_gemvt_sn_kernelILb1ELi256ELi4Ei19rocblas_complex_numIfEPKS1_S1_EviiT4_lPKT3_lilS7_lilPT5_i.numbered_sgpr, 56
	.set _ZL23rocblas_gemvt_sn_kernelILb1ELi256ELi4Ei19rocblas_complex_numIfEPKS1_S1_EviiT4_lPKT3_lilS7_lilPT5_i.num_named_barrier, 0
	.set _ZL23rocblas_gemvt_sn_kernelILb1ELi256ELi4Ei19rocblas_complex_numIfEPKS1_S1_EviiT4_lPKT3_lilS7_lilPT5_i.private_seg_size, 48
	.set _ZL23rocblas_gemvt_sn_kernelILb1ELi256ELi4Ei19rocblas_complex_numIfEPKS1_S1_EviiT4_lPKT3_lilS7_lilPT5_i.uses_vcc, 1
	.set _ZL23rocblas_gemvt_sn_kernelILb1ELi256ELi4Ei19rocblas_complex_numIfEPKS1_S1_EviiT4_lPKT3_lilS7_lilPT5_i.uses_flat_scratch, 0
	.set _ZL23rocblas_gemvt_sn_kernelILb1ELi256ELi4Ei19rocblas_complex_numIfEPKS1_S1_EviiT4_lPKT3_lilS7_lilPT5_i.has_dyn_sized_stack, 0
	.set _ZL23rocblas_gemvt_sn_kernelILb1ELi256ELi4Ei19rocblas_complex_numIfEPKS1_S1_EviiT4_lPKT3_lilS7_lilPT5_i.has_recursion, 0
	.set _ZL23rocblas_gemvt_sn_kernelILb1ELi256ELi4Ei19rocblas_complex_numIfEPKS1_S1_EviiT4_lPKT3_lilS7_lilPT5_i.has_indirect_call, 0
	.section	.AMDGPU.csdata,"",@progbits
; Kernel info:
; codeLenInByte = 5624
; TotalNumSgprs: 58
; NumVgprs: 82
; ScratchSize: 48
; MemoryBound: 0
; FloatMode: 240
; IeeeMode: 1
; LDSByteSize: 256 bytes/workgroup (compile time only)
; SGPRBlocks: 0
; VGPRBlocks: 10
; NumSGPRsForWavesPerEU: 58
; NumVGPRsForWavesPerEU: 82
; Occupancy: 10
; WaveLimiterHint : 1
; COMPUTE_PGM_RSRC2:SCRATCH_EN: 1
; COMPUTE_PGM_RSRC2:USER_SGPR: 6
; COMPUTE_PGM_RSRC2:TRAP_HANDLER: 0
; COMPUTE_PGM_RSRC2:TGID_X_EN: 1
; COMPUTE_PGM_RSRC2:TGID_Y_EN: 0
; COMPUTE_PGM_RSRC2:TGID_Z_EN: 1
; COMPUTE_PGM_RSRC2:TIDIG_COMP_CNT: 0
	.section	.text._ZL23rocblas_gemvt_sn_kernelILb1ELi256ELi4El19rocblas_complex_numIfEPKS1_S1_EviiT4_lPKT3_lilS7_lilPT5_i,"axG",@progbits,_ZL23rocblas_gemvt_sn_kernelILb1ELi256ELi4El19rocblas_complex_numIfEPKS1_S1_EviiT4_lPKT3_lilS7_lilPT5_i,comdat
	.globl	_ZL23rocblas_gemvt_sn_kernelILb1ELi256ELi4El19rocblas_complex_numIfEPKS1_S1_EviiT4_lPKT3_lilS7_lilPT5_i ; -- Begin function _ZL23rocblas_gemvt_sn_kernelILb1ELi256ELi4El19rocblas_complex_numIfEPKS1_S1_EviiT4_lPKT3_lilS7_lilPT5_i
	.p2align	8
	.type	_ZL23rocblas_gemvt_sn_kernelILb1ELi256ELi4El19rocblas_complex_numIfEPKS1_S1_EviiT4_lPKT3_lilS7_lilPT5_i,@function
_ZL23rocblas_gemvt_sn_kernelILb1ELi256ELi4El19rocblas_complex_numIfEPKS1_S1_EviiT4_lPKT3_lilS7_lilPT5_i: ; @_ZL23rocblas_gemvt_sn_kernelILb1ELi256ELi4El19rocblas_complex_numIfEPKS1_S1_EviiT4_lPKT3_lilS7_lilPT5_i
; %bb.0:
	s_add_u32 s0, s0, s8
	s_clause 0x1
	s_load_dwordx8 s[8:15], s[4:5], 0x8
	s_load_dwordx2 s[20:21], s[4:5], 0x0
	s_addc_u32 s1, s1, 0
	s_load_dword s22, s[4:5], 0x68
	s_mov_b32 s23, 0
	v_cmp_eq_u32_e32 vcc_lo, 0, v0
	s_waitcnt lgkmcnt(0)
	s_mul_i32 s11, s11, s7
	s_mul_hi_u32 s16, s10, s7
	s_mul_i32 s10, s10, s7
	s_add_i32 s11, s16, s11
	s_mul_hi_u32 s16, s21, s7
	s_lshl_b64 s[10:11], s[10:11], 3
	s_mul_i32 s18, s21, s7
	s_add_u32 s8, s8, s10
	s_addc_u32 s9, s9, s11
	s_load_dwordx2 s[24:25], s[8:9], 0x0
	s_load_dwordx4 s[8:11], s[4:5], 0x50
	s_ashr_i32 s38, s21, 31
	s_mul_i32 s36, s18, s22
	s_mul_i32 s17, s38, s7
	s_add_i32 s16, s16, s17
	s_mul_hi_u32 s17, s18, s22
	s_mul_i32 s16, s16, s22
	s_add_i32 s37, s17, s16
	s_mov_b32 s16, -1
	s_waitcnt lgkmcnt(0)
	s_or_b32 s19, s24, s25
	s_bitset0_b32 s19, 31
	s_cmp_lg_u32 s19, 0
	s_cbranch_scc1 .LBB137_5
; %bb.1:
	s_cmp_gt_i32 s21, 0
	s_cselect_b32 s16, -1, 0
	s_and_b32 s16, vcc_lo, s16
	s_and_saveexec_b32 s26, s16
	s_cbranch_execz .LBB137_4
; %bb.2:
	s_mov_b32 s16, s7
	s_mov_b32 s7, 0
	v_mov_b32_e32 v1, 0
	s_lshl_b64 s[18:19], s[36:37], 3
	s_lshl_b64 s[28:29], s[6:7], 3
	s_mov_b32 s7, s16
	s_add_u32 s16, s18, s28
	s_addc_u32 s17, s19, s29
	s_add_u32 s16, s10, s16
	v_mov_b32_e32 v2, v1
	s_addc_u32 s17, s11, s17
	s_add_u32 s16, s16, 4
	s_addc_u32 s17, s17, 0
	s_lshl_b64 s[18:19], s[22:23], 3
	s_mov_b32 s23, s21
.LBB137_3:                              ; =>This Inner Loop Header: Depth=1
	s_add_i32 s23, s23, -1
	global_store_dwordx2 v1, v[1:2], s[16:17] offset:-4
	s_add_u32 s16, s16, s18
	s_addc_u32 s17, s17, s19
	s_cmp_eq_u32 s23, 0
	s_cbranch_scc0 .LBB137_3
.LBB137_4:
	s_or_b32 exec_lo, exec_lo, s26
	s_mov_b32 s16, 0
.LBB137_5:
	s_andn2_b32 vcc_lo, exec_lo, s16
	s_cbranch_vccnz .LBB137_77
; %bb.6:
	s_clause 0x3
	s_load_dword s26, s[4:5], 0x28
	s_load_dword s28, s[4:5], 0x48
	s_load_dwordx4 s[16:19], s[4:5], 0x30
	s_load_dwordx2 s[4:5], s[4:5], 0x40
	s_mul_i32 s9, s9, s7
	s_mul_hi_u32 s23, s8, s7
	s_mul_i32 s8, s8, s7
	s_add_i32 s9, s23, s9
	v_and_b32_e32 v28, 31, v0
	s_lshl_b64 s[30:31], s[8:9], 3
	v_mbcnt_lo_u32_b32 v33, -1, 0
	v_lshrrev_b32_e32 v31, 2, v0
	s_waitcnt lgkmcnt(0)
	s_ashr_i32 s27, s26, 31
	s_ashr_i32 s29, s28, 31
	s_add_u32 s8, s18, s30
	s_mul_i32 s9, s17, s7
	s_addc_u32 s17, s19, s31
	s_lshl_b64 s[34:35], s[4:5], 3
	s_mul_hi_u32 s23, s16, s7
	s_add_u32 s33, s8, s34
	s_addc_u32 s42, s17, s35
	s_lshl_b64 s[4:5], s[36:37], 3
	s_mul_i32 s8, s16, s7
	s_add_u32 s43, s10, s4
	s_addc_u32 s44, s11, s5
	s_add_i32 s9, s23, s9
	v_cmp_gt_u32_e64 s4, 32, v0
	s_lshl_b64 s[16:17], s[8:9], 3
	v_cmp_gt_u32_e64 s5, 8, v0
	s_add_u32 s7, s12, s16
	s_addc_u32 s8, s13, s17
	s_lshl_b64 s[14:15], s[14:15], 3
	s_add_u32 s7, s7, s14
	s_addc_u32 s8, s8, s15
	s_lshl_b32 s9, s6, 10
	s_ashr_i32 s10, s20, 31
	v_lshl_or_b32 v5, v0, 2, s9
	s_lshr_b32 s9, s38, 30
	s_lshr_b32 s10, s10, 30
	s_add_i32 s9, s21, s9
	s_add_i32 s10, s20, s10
	v_ashrrev_i32_e32 v6, 31, v5
	s_and_b32 s45, s9, -4
	s_and_b32 s9, s10, -4
	v_add_nc_u32_e32 v34, 4, v5
	s_sub_i32 s23, s20, s9
	v_lshlrev_b64 v[3:4], 3, v[5:6]
	v_or_b32_e32 v32, 1, v5
	v_or_b32_e32 v30, 2, v5
	v_add_nc_u32_e32 v35, s23, v5
	v_or_b32_e32 v29, 3, v5
	s_cmp_lt_i32 s45, 1
	v_add_co_u32 v1, vcc_lo, s7, v3
	v_add_co_ci_u32_e64 v2, null, s8, v4, vcc_lo
	s_cbranch_scc1 .LBB137_54
; %bb.7:
	v_cmp_gt_u32_e32 vcc_lo, 24, v33
	v_mad_i64_i32 v[10:11], null, s28, v30, 0
	v_mad_i64_i32 v[12:13], null, s28, v29, 0
	v_cndmask_b32_e64 v6, 0, 8, vcc_lo
	v_cmp_gt_u32_e32 vcc_lo, 28, v33
	s_cmp_gt_i32 s23, 0
	s_mov_b32 s7, 0
	v_lshlrev_b64 v[10:11], 3, v[10:11]
	v_add_lshl_u32 v37, v6, v33, 2
	v_cndmask_b32_e64 v7, 0, 4, vcc_lo
	v_cmp_gt_u32_e32 vcc_lo, 30, v33
	s_cselect_b32 s46, -1, 0
	s_lshl_b64 s[36:37], s[6:7], 3
	v_lshlrev_b64 v[12:13], 3, v[12:13]
	v_add_lshl_u32 v38, v7, v33, 2
	v_cndmask_b32_e64 v8, 0, 2, vcc_lo
	v_cmp_ne_u32_e32 vcc_lo, 31, v33
	v_mad_i64_i32 v[6:7], null, s28, v5, 0
	s_add_u32 s47, s43, s36
	v_add_lshl_u32 v39, v8, v33, 2
	v_add_co_ci_u32_e64 v9, null, 0, v33, vcc_lo
	s_addc_u32 s48, s44, s37
	s_add_u32 s36, s18, s34
	v_lshlrev_b64 v[14:15], 3, v[6:7]
	v_lshlrev_b32_e32 v40, 2, v9
	v_mad_i64_i32 v[8:9], null, s28, v32, 0
	s_addc_u32 s37, s19, s35
	s_add_u32 s36, s36, s30
	v_add_co_u32 v6, vcc_lo, s33, v14
	v_add_co_ci_u32_e64 v7, null, s42, v15, vcc_lo
	v_lshlrev_b64 v[8:9], 3, v[8:9]
	s_addc_u32 s37, s37, s31
	v_mov_b32_e32 v19, v2
	v_cmp_ge_i32_e64 s8, s20, v34
	v_cmp_ge_i32_e64 s9, s20, v35
	v_lshl_or_b32 v36, v33, 2, 64
	v_add_co_u32 v8, vcc_lo, s33, v8
	v_add_co_ci_u32_e64 v9, null, s42, v9, vcc_lo
	v_add_co_u32 v10, vcc_lo, s33, v10
	v_add_co_ci_u32_e64 v11, null, s42, v11, vcc_lo
	v_add_co_u32 v12, vcc_lo, s33, v12
	v_add_co_ci_u32_e64 v13, null, s42, v13, vcc_lo
	v_add_co_u32 v14, vcc_lo, s36, v14
	v_cmp_eq_u32_e64 s10, 0, v28
	v_lshlrev_b32_e32 v41, 3, v28
	v_and_b32_e32 v42, 56, v31
	v_cmp_eq_u32_e64 s11, 0, v0
	v_add_co_ci_u32_e64 v15, null, s37, v15, vcc_lo
	v_mov_b32_e32 v16, 0
	v_mov_b32_e32 v18, v1
	s_lshl_b64 s[36:37], s[28:29], 3
	s_lshl_b64 s[38:39], s[26:27], 5
	;; [unrolled: 1-line block ×3, first 2 shown]
	s_branch .LBB137_9
.LBB137_8:                              ;   in Loop: Header=BB137_9 Depth=1
	s_or_b32 exec_lo, exec_lo, s49
	v_add_co_u32 v18, vcc_lo, v18, s38
	v_add_co_ci_u32_e64 v19, null, s39, v19, vcc_lo
	s_add_i32 s7, s7, 4
	s_cmp_ge_i32 s7, s45
	s_cbranch_scc1 .LBB137_55
.LBB137_9:                              ; =>This Loop Header: Depth=1
                                        ;     Child Loop BB137_40 Depth 2
                                        ;     Child Loop BB137_42 Depth 2
                                        ; implicit-def: $vgpr43
                                        ; implicit-def: $vgpr44
                                        ; implicit-def: $vgpr22
                                        ; implicit-def: $vgpr23
                                        ; implicit-def: $vgpr24
                                        ; implicit-def: $vgpr25
                                        ; implicit-def: $vgpr27
                                        ; implicit-def: $vgpr26
	s_and_saveexec_b32 s49, s8
	s_xor_b32 s49, exec_lo, s49
	s_cbranch_execnz .LBB137_36
; %bb.10:                               ;   in Loop: Header=BB137_9 Depth=1
	s_andn2_saveexec_b32 s49, s49
	s_cbranch_execnz .LBB137_37
.LBB137_11:                             ;   in Loop: Header=BB137_9 Depth=1
	s_or_b32 exec_lo, exec_lo, s49
	s_and_saveexec_b32 s49, s4
.LBB137_12:                             ;   in Loop: Header=BB137_9 Depth=1
	v_mov_b32_e32 v17, v16
	ds_write_b64 v41, v[16:17]
.LBB137_13:                             ;   in Loop: Header=BB137_9 Depth=1
	s_or_b32 exec_lo, exec_lo, s49
	ds_bpermute_b32 v17, v36, v43
	ds_bpermute_b32 v20, v36, v44
	s_waitcnt lgkmcnt(0)
	s_waitcnt_vscnt null, 0x0
	s_barrier
	buffer_gl0_inv
	v_add_f32_e32 v17, v43, v17
	v_add_f32_e32 v20, v44, v20
	ds_bpermute_b32 v21, v37, v17
	ds_bpermute_b32 v43, v37, v20
	s_waitcnt lgkmcnt(1)
	v_add_f32_e32 v17, v17, v21
	s_waitcnt lgkmcnt(0)
	v_add_f32_e32 v20, v20, v43
	ds_bpermute_b32 v21, v38, v17
	ds_bpermute_b32 v43, v38, v20
	s_waitcnt lgkmcnt(1)
	v_add_f32_e32 v17, v17, v21
	s_waitcnt lgkmcnt(0)
	;; [unrolled: 6-line block ×3, first 2 shown]
	v_add_f32_e32 v20, v20, v43
	ds_bpermute_b32 v21, v40, v17
	ds_bpermute_b32 v43, v40, v20
	s_and_saveexec_b32 s49, s10
	s_cbranch_execz .LBB137_15
; %bb.14:                               ;   in Loop: Header=BB137_9 Depth=1
	s_waitcnt lgkmcnt(0)
	v_add_f32_e32 v44, v20, v43
	v_add_f32_e32 v43, v17, v21
	ds_write_b64 v42, v[43:44]
.LBB137_15:                             ;   in Loop: Header=BB137_9 Depth=1
	s_or_b32 exec_lo, exec_lo, s49
	s_waitcnt lgkmcnt(1)
	v_mov_b32_e32 v21, 0
	v_mov_b32_e32 v20, 0
	s_waitcnt lgkmcnt(0)
	s_barrier
	buffer_gl0_inv
	s_and_saveexec_b32 s49, s5
	s_cbranch_execnz .LBB137_43
; %bb.16:                               ;   in Loop: Header=BB137_9 Depth=1
	s_or_b32 exec_lo, exec_lo, s49
	s_and_saveexec_b32 s49, s4
	s_cbranch_execnz .LBB137_44
.LBB137_17:                             ;   in Loop: Header=BB137_9 Depth=1
	s_or_b32 exec_lo, exec_lo, s49
	s_and_saveexec_b32 s49, s4
.LBB137_18:                             ;   in Loop: Header=BB137_9 Depth=1
	v_mov_b32_e32 v17, v16
	ds_write_b64 v41, v[16:17]
.LBB137_19:                             ;   in Loop: Header=BB137_9 Depth=1
	s_or_b32 exec_lo, exec_lo, s49
	ds_bpermute_b32 v17, v36, v22
	ds_bpermute_b32 v43, v36, v23
	s_waitcnt lgkmcnt(0)
	s_barrier
	buffer_gl0_inv
	v_add_f32_e32 v17, v22, v17
	v_add_f32_e32 v22, v23, v43
	ds_bpermute_b32 v23, v37, v17
	ds_bpermute_b32 v43, v37, v22
	s_waitcnt lgkmcnt(1)
	v_add_f32_e32 v17, v17, v23
	s_waitcnt lgkmcnt(0)
	v_add_f32_e32 v22, v22, v43
	ds_bpermute_b32 v23, v38, v17
	ds_bpermute_b32 v43, v38, v22
	s_waitcnt lgkmcnt(1)
	v_add_f32_e32 v17, v17, v23
	s_waitcnt lgkmcnt(0)
	;; [unrolled: 6-line block ×3, first 2 shown]
	v_add_f32_e32 v22, v22, v43
	ds_bpermute_b32 v23, v40, v17
	ds_bpermute_b32 v43, v40, v22
	s_and_saveexec_b32 s49, s10
	s_cbranch_execz .LBB137_21
; %bb.20:                               ;   in Loop: Header=BB137_9 Depth=1
	s_waitcnt lgkmcnt(0)
	v_add_f32_e32 v44, v22, v43
	v_add_f32_e32 v43, v17, v23
	ds_write_b64 v42, v[43:44]
.LBB137_21:                             ;   in Loop: Header=BB137_9 Depth=1
	s_or_b32 exec_lo, exec_lo, s49
	s_waitcnt lgkmcnt(1)
	v_mov_b32_e32 v23, 0
	v_mov_b32_e32 v22, 0
	s_waitcnt lgkmcnt(0)
	s_barrier
	buffer_gl0_inv
	s_and_saveexec_b32 s49, s5
	s_cbranch_execnz .LBB137_45
; %bb.22:                               ;   in Loop: Header=BB137_9 Depth=1
	s_or_b32 exec_lo, exec_lo, s49
	s_and_saveexec_b32 s49, s4
	s_cbranch_execnz .LBB137_46
.LBB137_23:                             ;   in Loop: Header=BB137_9 Depth=1
	s_or_b32 exec_lo, exec_lo, s49
	s_and_saveexec_b32 s49, s4
.LBB137_24:                             ;   in Loop: Header=BB137_9 Depth=1
	v_mov_b32_e32 v17, v16
	ds_write_b64 v41, v[16:17]
.LBB137_25:                             ;   in Loop: Header=BB137_9 Depth=1
	s_or_b32 exec_lo, exec_lo, s49
	ds_bpermute_b32 v17, v36, v24
	ds_bpermute_b32 v43, v36, v25
	s_waitcnt lgkmcnt(0)
	s_barrier
	buffer_gl0_inv
	v_add_f32_e32 v17, v24, v17
	v_add_f32_e32 v24, v25, v43
	ds_bpermute_b32 v25, v37, v17
	ds_bpermute_b32 v43, v37, v24
	s_waitcnt lgkmcnt(1)
	v_add_f32_e32 v17, v17, v25
	s_waitcnt lgkmcnt(0)
	v_add_f32_e32 v24, v24, v43
	ds_bpermute_b32 v25, v38, v17
	ds_bpermute_b32 v43, v38, v24
	s_waitcnt lgkmcnt(1)
	v_add_f32_e32 v17, v17, v25
	s_waitcnt lgkmcnt(0)
	;; [unrolled: 6-line block ×3, first 2 shown]
	v_add_f32_e32 v24, v24, v43
	ds_bpermute_b32 v25, v40, v17
	ds_bpermute_b32 v43, v40, v24
	s_and_saveexec_b32 s49, s10
	s_cbranch_execz .LBB137_27
; %bb.26:                               ;   in Loop: Header=BB137_9 Depth=1
	s_waitcnt lgkmcnt(0)
	v_add_f32_e32 v44, v24, v43
	v_add_f32_e32 v43, v17, v25
	ds_write_b64 v42, v[43:44]
.LBB137_27:                             ;   in Loop: Header=BB137_9 Depth=1
	s_or_b32 exec_lo, exec_lo, s49
	s_waitcnt lgkmcnt(1)
	v_mov_b32_e32 v25, 0
	v_mov_b32_e32 v24, 0
	s_waitcnt lgkmcnt(0)
	s_barrier
	buffer_gl0_inv
	s_and_saveexec_b32 s49, s5
	s_cbranch_execnz .LBB137_47
; %bb.28:                               ;   in Loop: Header=BB137_9 Depth=1
	s_or_b32 exec_lo, exec_lo, s49
	s_and_saveexec_b32 s49, s4
	s_cbranch_execnz .LBB137_48
.LBB137_29:                             ;   in Loop: Header=BB137_9 Depth=1
	s_or_b32 exec_lo, exec_lo, s49
	s_and_saveexec_b32 s49, s4
.LBB137_30:                             ;   in Loop: Header=BB137_9 Depth=1
	v_mov_b32_e32 v17, v16
	ds_write_b64 v41, v[16:17]
.LBB137_31:                             ;   in Loop: Header=BB137_9 Depth=1
	s_or_b32 exec_lo, exec_lo, s49
	ds_bpermute_b32 v17, v36, v27
	ds_bpermute_b32 v43, v36, v26
	s_waitcnt lgkmcnt(0)
	s_barrier
	buffer_gl0_inv
	v_add_f32_e32 v17, v27, v17
	v_add_f32_e32 v26, v26, v43
	ds_bpermute_b32 v27, v37, v17
	ds_bpermute_b32 v43, v37, v26
	s_waitcnt lgkmcnt(1)
	v_add_f32_e32 v17, v17, v27
	s_waitcnt lgkmcnt(0)
	v_add_f32_e32 v26, v26, v43
	ds_bpermute_b32 v27, v38, v17
	ds_bpermute_b32 v43, v38, v26
	s_waitcnt lgkmcnt(1)
	v_add_f32_e32 v17, v17, v27
	s_waitcnt lgkmcnt(0)
	;; [unrolled: 6-line block ×3, first 2 shown]
	v_add_f32_e32 v26, v26, v43
	ds_bpermute_b32 v27, v40, v17
	ds_bpermute_b32 v43, v40, v26
	s_and_saveexec_b32 s49, s10
	s_cbranch_execz .LBB137_33
; %bb.32:                               ;   in Loop: Header=BB137_9 Depth=1
	s_waitcnt lgkmcnt(0)
	v_add_f32_e32 v44, v26, v43
	v_add_f32_e32 v43, v17, v27
	ds_write_b64 v42, v[43:44]
.LBB137_33:                             ;   in Loop: Header=BB137_9 Depth=1
	s_or_b32 exec_lo, exec_lo, s49
	s_waitcnt lgkmcnt(1)
	v_mov_b32_e32 v27, 0
	v_mov_b32_e32 v26, 0
	s_waitcnt lgkmcnt(0)
	s_barrier
	buffer_gl0_inv
	s_and_saveexec_b32 s49, s5
	s_cbranch_execnz .LBB137_49
; %bb.34:                               ;   in Loop: Header=BB137_9 Depth=1
	s_or_b32 exec_lo, exec_lo, s49
	s_and_saveexec_b32 s49, s4
	s_cbranch_execnz .LBB137_50
.LBB137_35:                             ;   in Loop: Header=BB137_9 Depth=1
	s_or_b32 exec_lo, exec_lo, s49
	s_and_saveexec_b32 s49, s11
	s_cbranch_execz .LBB137_8
	s_branch .LBB137_51
.LBB137_36:                             ;   in Loop: Header=BB137_9 Depth=1
	s_mul_i32 s50, s7, s27
	s_mul_hi_u32 s51, s7, s26
	s_or_b32 s52, s7, 1
	s_add_i32 s51, s51, s50
	s_mul_i32 s50, s7, s26
	s_mul_i32 s53, s52, s27
	s_mul_hi_u32 s54, s52, s26
	s_lshl_b64 s[50:51], s[50:51], 3
	s_add_i32 s53, s54, s53
	s_mul_i32 s52, s52, s26
	v_add_co_u32 v24, vcc_lo, v1, s50
	v_add_co_ci_u32_e64 v25, null, s51, v2, vcc_lo
	s_lshl_b64 s[50:51], s[52:53], 3
	s_or_b32 s52, s7, 2
	v_add_co_u32 v55, vcc_lo, v1, s50
	v_add_co_ci_u32_e64 v56, null, s51, v2, vcc_lo
	s_mul_i32 s50, s52, s27
	s_mul_hi_u32 s51, s52, s26
	s_clause 0x3
	global_load_dwordx2 v[67:68], v[6:7], off
	global_load_dwordx2 v[69:70], v[8:9], off
	;; [unrolled: 1-line block ×4, first 2 shown]
	s_add_i32 s51, s51, s50
	s_mul_i32 s50, s52, s26
	s_or_b32 s52, s7, 3
	s_lshl_b64 s[50:51], s[50:51], 3
	s_mul_i32 s53, s52, s27
	s_mul_hi_u32 s54, s52, s26
	s_mul_i32 s52, s52, s26
	s_add_i32 s53, s54, s53
	v_add_co_u32 v59, vcc_lo, v1, s50
	v_add_co_ci_u32_e64 v60, null, s51, v2, vcc_lo
	s_lshl_b64 s[50:51], s[52:53], 3
	global_load_dwordx4 v[20:23], v[24:25], off offset:16
	s_waitcnt lgkmcnt(0)
	global_load_dwordx4 v[24:27], v[24:25], off
	v_add_co_u32 v63, vcc_lo, v1, s50
	v_add_co_ci_u32_e64 v64, null, s51, v2, vcc_lo
	s_clause 0x5
	global_load_dwordx4 v[43:46], v[55:56], off
	global_load_dwordx4 v[47:50], v[59:60], off
	;; [unrolled: 1-line block ×3, first 2 shown]
	global_load_dwordx4 v[55:58], v[55:56], off offset:16
	global_load_dwordx4 v[59:62], v[59:60], off offset:16
	;; [unrolled: 1-line block ×3, first 2 shown]
	s_waitcnt vmcnt(11)
	buffer_store_dword v68, off, s[0:3], 0 offset:4
	buffer_store_dword v67, off, s[0:3], 0
	s_waitcnt vmcnt(10)
	buffer_store_dword v70, off, s[0:3], 0 offset:12
	buffer_store_dword v69, off, s[0:3], 0 offset:8
	s_waitcnt vmcnt(9)
	buffer_store_dword v72, off, s[0:3], 0 offset:20
	buffer_store_dword v71, off, s[0:3], 0 offset:16
	;; [unrolled: 3-line block ×3, first 2 shown]
	s_waitcnt vmcnt(7)
	v_mul_f32_e32 v76, v72, v21
	s_waitcnt vmcnt(6)
	v_mul_f32_e32 v17, v25, v68
	v_mul_f32_e32 v25, v25, v67
	;; [unrolled: 1-line block ×5, first 2 shown]
	s_waitcnt vmcnt(5)
	v_mul_f32_e32 v78, v44, v68
	v_mul_f32_e32 v44, v44, v67
	s_waitcnt vmcnt(4)
	v_mul_f32_e32 v79, v48, v68
	v_mul_f32_e32 v80, v46, v70
	v_mul_f32_e32 v46, v46, v69
	v_mul_f32_e32 v48, v48, v67
	s_waitcnt vmcnt(3)
	v_mul_f32_e32 v81, v52, v68
	v_mul_f32_e32 v52, v52, v67
	;; [unrolled: 1-line block ×8, first 2 shown]
	v_fmac_f32_e32 v17, v24, v67
	v_fma_f32 v24, v24, v68, -v25
	v_fmac_f32_e32 v76, v71, v20
	v_fma_f32 v20, v72, v20, -v21
	;; [unrolled: 2-line block ×3, first 2 shown]
	s_waitcnt vmcnt(0)
	v_mul_f32_e32 v22, v73, v66
	v_fmac_f32_e32 v78, v43, v67
	v_fma_f32 v23, v43, v68, -v44
	v_fma_f32 v43, v45, v70, -v46
	v_fmac_f32_e32 v79, v47, v67
	v_fma_f32 v44, v47, v68, -v48
	v_fmac_f32_e32 v81, v51, v67
	v_fma_f32 v46, v51, v68, -v52
	v_mul_f32_e32 v84, v72, v56
	v_mul_f32_e32 v56, v71, v56
	;; [unrolled: 1-line block ×6, first 2 shown]
	v_fmac_f32_e32 v75, v26, v69
	v_fma_f32 v25, v26, v70, -v27
	v_fmac_f32_e32 v80, v45, v69
	v_fmac_f32_e32 v82, v49, v69
	v_fma_f32 v45, v49, v70, -v50
	v_fmac_f32_e32 v83, v53, v69
	v_fma_f32 v47, v53, v70, -v54
	v_fma_f32 v52, v74, v65, -v22
	v_add_f32_e32 v17, 0, v17
	v_add_f32_e32 v22, 0, v24
	v_add_f32_e32 v24, 0, v78
	v_add_f32_e32 v23, 0, v23
	v_add_f32_e32 v53, 0, v79
	v_add_f32_e32 v44, 0, v44
	v_add_f32_e32 v54, 0, v81
	v_add_f32_e32 v46, 0, v46
	v_mul_f32_e32 v26, v74, v58
	v_mul_f32_e32 v27, v73, v58
	;; [unrolled: 1-line block ×5, first 2 shown]
	v_fmac_f32_e32 v84, v71, v55
	v_fma_f32 v48, v72, v55, -v56
	v_fmac_f32_e32 v85, v71, v59
	v_fma_f32 v49, v72, v59, -v60
	;; [unrolled: 2-line block ×3, first 2 shown]
	v_add_f32_e32 v17, v17, v75
	v_add_f32_e32 v22, v22, v25
	;; [unrolled: 1-line block ×8, first 2 shown]
	v_fmac_f32_e32 v26, v73, v57
	v_fma_f32 v27, v74, v57, -v27
	v_fmac_f32_e32 v58, v73, v61
	v_fma_f32 v51, v74, v61, -v62
	v_fmac_f32_e32 v87, v73, v65
	v_add_f32_e32 v17, v17, v76
	v_add_f32_e32 v20, v22, v20
	;; [unrolled: 1-line block ×16, first 2 shown]
	s_andn2_saveexec_b32 s49, s49
	s_cbranch_execz .LBB137_11
.LBB137_37:                             ;   in Loop: Header=BB137_9 Depth=1
	v_mov_b32_e32 v43, 0
	v_mov_b32_e32 v44, 0
	;; [unrolled: 1-line block ×6, first 2 shown]
	s_waitcnt lgkmcnt(0)
	v_mov_b32_e32 v27, 0
	v_mov_b32_e32 v26, 0
	s_and_saveexec_b32 s50, s9
	s_cbranch_execz .LBB137_53
; %bb.38:                               ;   in Loop: Header=BB137_9 Depth=1
	s_andn2_b32 vcc_lo, exec_lo, s46
	s_cbranch_vccnz .LBB137_52
; %bb.39:                               ;   in Loop: Header=BB137_9 Depth=1
	v_mov_b32_e32 v21, v15
	v_mov_b32_e32 v20, v14
	s_mov_b32 s51, 0
	s_mov_b32 s52, s23
.LBB137_40:                             ;   Parent Loop BB137_9 Depth=1
                                        ; =>  This Inner Loop Header: Depth=2
	global_load_dwordx2 v[22:23], v[20:21], off
	v_add_co_u32 v20, vcc_lo, v20, s36
	v_mov_b32_e32 v17, s51
	v_add_co_ci_u32_e64 v21, null, s37, v21, vcc_lo
	s_add_i32 s52, s52, -1
	s_add_i32 s51, s51, 8
	s_cmp_eq_u32 s52, 0
	s_waitcnt vmcnt(0)
	buffer_store_dword v23, v17, s[0:3], 0 offen offset:4
	buffer_store_dword v22, v17, s[0:3], 0 offen
	s_cbranch_scc0 .LBB137_40
; %bb.41:                               ;   in Loop: Header=BB137_9 Depth=1
	v_mov_b32_e32 v21, v19
	v_mov_b32_e32 v26, 0
	;; [unrolled: 1-line block ×10, first 2 shown]
	s_mov_b32 s51, 0
	s_mov_b32 s52, s23
.LBB137_42:                             ;   Parent Loop BB137_9 Depth=1
                                        ; =>  This Inner Loop Header: Depth=2
	v_add_co_u32 v45, vcc_lo, v20, s40
	v_mov_b32_e32 v17, s51
	v_add_co_ci_u32_e64 v46, null, s41, v21, vcc_lo
	global_load_dwordx2 v[47:48], v[20:21], off
	s_clause 0x1
	buffer_load_dword v53, v17, s[0:3], 0 offen
	buffer_load_dword v17, v17, s[0:3], 0 offen offset:4
	global_load_dwordx2 v[49:50], v[45:46], off
	v_add_co_u32 v45, vcc_lo, v45, s40
	v_add_co_ci_u32_e64 v46, null, s41, v46, vcc_lo
	s_add_i32 s52, s52, -1
	v_add_co_u32 v51, vcc_lo, v45, s40
	v_add_co_ci_u32_e64 v52, null, s41, v46, vcc_lo
	s_clause 0x1
	global_load_dwordx2 v[45:46], v[45:46], off
	global_load_dwordx2 v[51:52], v[51:52], off
	v_add_co_u32 v20, vcc_lo, v20, 8
	v_add_co_ci_u32_e64 v21, null, 0, v21, vcc_lo
	s_add_i32 s51, s51, 8
	s_cmp_lg_u32 s52, 0
	s_waitcnt vmcnt(3)
	v_mul_f32_e32 v54, v17, v48
	v_mul_f32_e32 v48, v53, v48
	s_waitcnt vmcnt(2)
	v_mul_f32_e32 v55, v17, v50
	v_mul_f32_e32 v50, v53, v50
	v_fmac_f32_e32 v54, v53, v47
	v_fma_f32 v47, v17, v47, -v48
	v_fmac_f32_e32 v55, v53, v49
	v_fma_f32 v48, v17, v49, -v50
	v_add_f32_e32 v43, v43, v54
	v_add_f32_e32 v44, v44, v47
	s_waitcnt vmcnt(1)
	v_mul_f32_e32 v49, v17, v46
	v_mul_f32_e32 v46, v53, v46
	s_waitcnt vmcnt(0)
	v_mul_f32_e32 v47, v17, v52
	v_mul_f32_e32 v50, v53, v52
	v_add_f32_e32 v22, v22, v55
	v_fmac_f32_e32 v49, v53, v45
	v_fma_f32 v45, v17, v45, -v46
	v_fmac_f32_e32 v47, v53, v51
	v_fma_f32 v17, v17, v51, -v50
	v_add_f32_e32 v23, v23, v48
	v_add_f32_e32 v24, v24, v49
	v_add_f32_e32 v25, v25, v45
	v_add_f32_e32 v27, v27, v47
	v_add_f32_e32 v26, v26, v17
	s_cbranch_scc1 .LBB137_42
	s_branch .LBB137_53
.LBB137_43:                             ;   in Loop: Header=BB137_9 Depth=1
	ds_read_b64 v[20:21], v41
	s_or_b32 exec_lo, exec_lo, s49
	s_and_saveexec_b32 s49, s4
	s_cbranch_execz .LBB137_17
.LBB137_44:                             ;   in Loop: Header=BB137_9 Depth=1
	s_waitcnt lgkmcnt(0)
	ds_bpermute_b32 v17, v38, v20
	ds_bpermute_b32 v43, v38, v21
	s_waitcnt lgkmcnt(1)
	v_add_f32_e32 v17, v20, v17
	s_waitcnt lgkmcnt(0)
	v_add_f32_e32 v20, v21, v43
	ds_bpermute_b32 v21, v39, v17
	ds_bpermute_b32 v43, v39, v20
	s_waitcnt lgkmcnt(1)
	v_add_f32_e32 v17, v17, v21
	s_waitcnt lgkmcnt(0)
	v_add_f32_e32 v21, v20, v43
	;; [unrolled: 6-line block ×3, first 2 shown]
	s_or_b32 exec_lo, exec_lo, s49
	s_and_saveexec_b32 s49, s4
	s_cbranch_execnz .LBB137_18
	s_branch .LBB137_19
.LBB137_45:                             ;   in Loop: Header=BB137_9 Depth=1
	ds_read_b64 v[22:23], v41
	s_or_b32 exec_lo, exec_lo, s49
	s_and_saveexec_b32 s49, s4
	s_cbranch_execz .LBB137_23
.LBB137_46:                             ;   in Loop: Header=BB137_9 Depth=1
	s_waitcnt lgkmcnt(0)
	ds_bpermute_b32 v17, v38, v22
	ds_bpermute_b32 v43, v38, v23
	s_waitcnt lgkmcnt(1)
	v_add_f32_e32 v17, v22, v17
	s_waitcnt lgkmcnt(0)
	v_add_f32_e32 v22, v23, v43
	ds_bpermute_b32 v23, v39, v17
	ds_bpermute_b32 v43, v39, v22
	s_waitcnt lgkmcnt(1)
	v_add_f32_e32 v17, v17, v23
	s_waitcnt lgkmcnt(0)
	v_add_f32_e32 v23, v22, v43
	;; [unrolled: 6-line block ×3, first 2 shown]
	s_or_b32 exec_lo, exec_lo, s49
	s_and_saveexec_b32 s49, s4
	s_cbranch_execnz .LBB137_24
	s_branch .LBB137_25
.LBB137_47:                             ;   in Loop: Header=BB137_9 Depth=1
	ds_read_b64 v[24:25], v41
	s_or_b32 exec_lo, exec_lo, s49
	s_and_saveexec_b32 s49, s4
	s_cbranch_execz .LBB137_29
.LBB137_48:                             ;   in Loop: Header=BB137_9 Depth=1
	s_waitcnt lgkmcnt(0)
	ds_bpermute_b32 v17, v38, v24
	ds_bpermute_b32 v43, v38, v25
	s_waitcnt lgkmcnt(1)
	v_add_f32_e32 v17, v24, v17
	s_waitcnt lgkmcnt(0)
	v_add_f32_e32 v24, v25, v43
	ds_bpermute_b32 v25, v39, v17
	ds_bpermute_b32 v43, v39, v24
	s_waitcnt lgkmcnt(1)
	v_add_f32_e32 v17, v17, v25
	s_waitcnt lgkmcnt(0)
	v_add_f32_e32 v25, v24, v43
	;; [unrolled: 6-line block ×3, first 2 shown]
	s_or_b32 exec_lo, exec_lo, s49
	s_and_saveexec_b32 s49, s4
	s_cbranch_execnz .LBB137_30
	s_branch .LBB137_31
.LBB137_49:                             ;   in Loop: Header=BB137_9 Depth=1
	ds_read_b64 v[26:27], v41
	s_or_b32 exec_lo, exec_lo, s49
	s_and_saveexec_b32 s49, s4
	s_cbranch_execz .LBB137_35
.LBB137_50:                             ;   in Loop: Header=BB137_9 Depth=1
	s_waitcnt lgkmcnt(0)
	ds_bpermute_b32 v17, v38, v26
	ds_bpermute_b32 v43, v38, v27
	s_waitcnt lgkmcnt(1)
	v_add_f32_e32 v17, v26, v17
	s_waitcnt lgkmcnt(0)
	v_add_f32_e32 v26, v27, v43
	ds_bpermute_b32 v27, v39, v17
	ds_bpermute_b32 v43, v39, v26
	s_waitcnt lgkmcnt(1)
	v_add_f32_e32 v17, v17, v27
	s_waitcnt lgkmcnt(0)
	v_add_f32_e32 v27, v26, v43
	;; [unrolled: 6-line block ×3, first 2 shown]
	s_or_b32 exec_lo, exec_lo, s49
	s_and_saveexec_b32 s49, s11
	s_cbranch_execz .LBB137_8
.LBB137_51:                             ;   in Loop: Header=BB137_9 Depth=1
	v_mul_f32_e32 v17, s25, v21
	v_mul_f32_e32 v44, s24, v21
	s_mul_hi_u32 s51, s7, s22
	s_mul_i32 s50, s7, s22
	v_mul_f32_e32 v21, s24, v23
	s_lshl_b64 s[50:51], s[50:51], 3
	v_fma_f32 v43, v20, s24, -v17
	v_fmac_f32_e32 v44, s25, v20
	s_add_u32 s50, s47, s50
	s_addc_u32 s51, s48, s51
	v_mul_f32_e32 v17, s25, v23
	v_mul_f32_e32 v23, s24, v25
	global_store_dwordx2 v16, v[43:44], s[50:51]
	s_or_b32 s50, s7, 1
	v_fmac_f32_e32 v21, s25, v22
	s_mul_hi_u32 s51, s50, s22
	s_mul_i32 s50, s50, s22
	v_fma_f32 v20, v22, s24, -v17
	s_lshl_b64 s[50:51], s[50:51], 3
	v_mul_f32_e32 v17, s25, v25
	s_add_u32 s50, s47, s50
	s_addc_u32 s51, s48, s51
	s_or_b32 s52, s7, 2
	s_waitcnt lgkmcnt(0)
	v_mul_f32_e32 v25, s24, v27
	s_mul_hi_u32 s53, s52, s22
	s_mul_i32 s52, s52, s22
	v_fma_f32 v22, v24, s24, -v17
	s_lshl_b64 s[52:53], s[52:53], 3
	v_mul_f32_e32 v17, s25, v27
	s_add_u32 s52, s47, s52
	s_addc_u32 s53, s48, s53
	s_or_b32 s54, s7, 3
	v_fmac_f32_e32 v23, s25, v24
	s_mul_hi_u32 s55, s54, s22
	s_mul_i32 s54, s54, s22
	v_fma_f32 v24, v26, s24, -v17
	v_fmac_f32_e32 v25, s25, v26
	s_lshl_b64 s[54:55], s[54:55], 3
	global_store_dwordx2 v16, v[20:21], s[50:51]
	s_add_u32 s50, s47, s54
	s_addc_u32 s51, s48, s55
	global_store_dwordx2 v16, v[22:23], s[52:53]
	global_store_dwordx2 v16, v[24:25], s[50:51]
	s_branch .LBB137_8
.LBB137_52:                             ;   in Loop: Header=BB137_9 Depth=1
	v_mov_b32_e32 v43, 0
	v_mov_b32_e32 v44, 0
	;; [unrolled: 1-line block ×8, first 2 shown]
.LBB137_53:                             ;   in Loop: Header=BB137_9 Depth=1
	s_or_b32 exec_lo, exec_lo, s50
	s_or_b32 exec_lo, exec_lo, s49
	s_and_saveexec_b32 s49, s4
	s_cbranch_execnz .LBB137_12
	s_branch .LBB137_13
.LBB137_54:
	s_mov_b32 s7, 0
.LBB137_55:
	s_cmp_ge_i32 s7, s21
	s_cbranch_scc1 .LBB137_77
; %bb.56:
	v_cmp_gt_u32_e64 s5, 24, v33
	s_cmp_gt_i32 s23, 0
	s_mov_b32 s11, 0
	s_mov_b32 s10, s6
	v_mad_i64_i32 v[11:12], null, s28, v29, 0
	v_cndmask_b32_e64 v6, 0, 8, s5
	v_cmp_gt_u32_e64 s5, 28, v33
	s_cselect_b32 s37, -1, 0
	s_lshl_b64 s[10:11], s[10:11], 3
	v_cmp_ge_i32_e64 s9, s20, v35
	v_add_lshl_u32 v20, v6, v33, 2
	v_cndmask_b32_e64 v7, 0, 4, s5
	v_cmp_gt_u32_e64 s5, 30, v33
	v_mad_i64_i32 v[5:6], null, s28, v5, 0
	v_cmp_ge_i32_e32 vcc_lo, s20, v34
	v_add_lshl_u32 v21, v7, v33, 2
	v_cndmask_b32_e64 v8, 0, 2, s5
	v_cmp_ne_u32_e64 s5, 31, v33
	s_add_u32 s20, s43, s10
	s_addc_u32 s36, s44, s11
	v_lshlrev_b64 v[13:14], 3, v[5:6]
	v_add_lshl_u32 v22, v8, v33, 2
	v_add_co_ci_u32_e64 v9, null, 0, v33, s5
	v_mad_i64_i32 v[7:8], null, s28, v32, 0
	v_add_co_u32 v5, s10, s33, v13
	v_lshlrev_b32_e32 v23, 2, v9
	v_mad_i64_i32 v[9:10], null, s28, v30, 0
	v_add_co_ci_u32_e64 v6, null, s42, v14, s10
	v_lshlrev_b64 v[7:8], 3, v[7:8]
	s_and_b32 s37, s37, s9
	v_lshlrev_b64 v[11:12], 3, v[11:12]
	s_add_u32 s9, s18, s34
	v_lshlrev_b64 v[9:10], 3, v[9:10]
	s_mul_hi_u32 s11, s26, s7
	v_add_co_u32 v7, s10, s33, v7
	v_add_co_ci_u32_e64 v8, null, s42, v8, s10
	v_add_co_u32 v9, s10, s33, v9
	v_add_co_ci_u32_e64 v10, null, s42, v10, s10
	s_addc_u32 s10, s19, s35
	s_add_u32 s30, s9, s30
	s_mul_i32 s9, s27, s7
	s_addc_u32 s31, s10, s31
	s_add_i32 s11, s11, s9
	s_mul_i32 s10, s26, s7
	v_add_co_u32 v11, s9, s33, v11
	s_lshl_b64 s[18:19], s[10:11], 3
	s_lshl_b64 s[10:11], s[28:29], 3
	v_add_co_ci_u32_e64 v12, null, s42, v12, s9
	s_add_u32 s9, s16, s18
	s_addc_u32 s16, s17, s19
	s_add_u32 s9, s9, s14
	s_addc_u32 s14, s16, s15
	s_add_u32 s9, s12, s9
	v_cmp_gt_u32_e64 s4, 32, v0
	v_cmp_gt_u32_e64 s8, 8, v0
	v_cmp_eq_u32_e64 s6, 0, v0
	s_addc_u32 s12, s13, s14
	v_add_co_u32 v0, s9, s9, v3
	v_add_co_ci_u32_e64 v15, null, s12, v4, s9
	v_add_co_u32 v3, s9, s30, v13
	v_add_co_ci_u32_e64 v4, null, s31, v14, s9
	v_add_co_u32 v13, s9, v0, 4
	v_lshlrev_b32_e32 v18, 3, v28
	v_lshl_or_b32 v19, v33, 2, 64
	v_cmp_eq_u32_e64 s5, 0, v28
	v_and_b32_e32 v24, 56, v31
	v_add_co_ci_u32_e64 v14, null, 0, v15, s9
	v_mov_b32_e32 v15, 0
	s_lshl_b64 s[12:13], s[26:27], 3
	s_branch .LBB137_58
.LBB137_57:                             ;   in Loop: Header=BB137_58 Depth=1
	s_or_b32 exec_lo, exec_lo, s9
	v_add_co_u32 v13, s9, v13, s12
	v_add_co_ci_u32_e64 v14, null, s13, v14, s9
	s_add_i32 s7, s7, 1
	s_cmp_lt_i32 s7, s21
	s_cbranch_scc0 .LBB137_77
.LBB137_58:                             ; =>This Loop Header: Depth=1
                                        ;     Child Loop BB137_70 Depth 2
                                        ;     Child Loop BB137_72 Depth 2
                                        ; implicit-def: $vgpr0
                                        ; implicit-def: $vgpr25
	s_and_saveexec_b32 s9, vcc_lo
	s_xor_b32 s14, exec_lo, s9
	s_cbranch_execnz .LBB137_67
; %bb.59:                               ;   in Loop: Header=BB137_58 Depth=1
	s_andn2_saveexec_b32 s14, s14
	s_cbranch_execnz .LBB137_68
.LBB137_60:                             ;   in Loop: Header=BB137_58 Depth=1
	s_or_b32 exec_lo, exec_lo, s14
	s_and_saveexec_b32 s9, s4
	s_cbranch_execz .LBB137_62
.LBB137_61:                             ;   in Loop: Header=BB137_58 Depth=1
	s_waitcnt lgkmcnt(0)
	v_mov_b32_e32 v16, v15
	ds_write_b64 v18, v[15:16]
.LBB137_62:                             ;   in Loop: Header=BB137_58 Depth=1
	s_or_b32 exec_lo, exec_lo, s9
	s_waitcnt lgkmcnt(0)
	ds_bpermute_b32 v16, v19, v0
	ds_bpermute_b32 v17, v19, v25
	s_waitcnt lgkmcnt(0)
	s_waitcnt_vscnt null, 0x0
	s_barrier
	buffer_gl0_inv
	v_add_f32_e32 v0, v0, v16
	v_add_f32_e32 v16, v25, v17
	ds_bpermute_b32 v17, v20, v0
	ds_bpermute_b32 v25, v20, v16
	s_waitcnt lgkmcnt(1)
	v_add_f32_e32 v0, v0, v17
	s_waitcnt lgkmcnt(0)
	v_add_f32_e32 v16, v16, v25
	ds_bpermute_b32 v17, v21, v0
	ds_bpermute_b32 v25, v21, v16
	s_waitcnt lgkmcnt(1)
	v_add_f32_e32 v0, v0, v17
	s_waitcnt lgkmcnt(0)
	;; [unrolled: 6-line block ×3, first 2 shown]
	v_add_f32_e32 v16, v16, v25
	ds_bpermute_b32 v17, v23, v0
	ds_bpermute_b32 v25, v23, v16
	s_and_saveexec_b32 s9, s5
	s_cbranch_execz .LBB137_64
; %bb.63:                               ;   in Loop: Header=BB137_58 Depth=1
	s_waitcnt lgkmcnt(0)
	v_add_f32_e32 v26, v16, v25
	v_add_f32_e32 v25, v0, v17
	ds_write_b64 v24, v[25:26]
.LBB137_64:                             ;   in Loop: Header=BB137_58 Depth=1
	s_or_b32 exec_lo, exec_lo, s9
	s_waitcnt lgkmcnt(1)
	v_mov_b32_e32 v17, 0
	v_mov_b32_e32 v16, 0
	s_waitcnt lgkmcnt(0)
	s_barrier
	buffer_gl0_inv
	s_and_saveexec_b32 s9, s8
	s_cbranch_execnz .LBB137_74
; %bb.65:                               ;   in Loop: Header=BB137_58 Depth=1
	s_or_b32 exec_lo, exec_lo, s9
	s_and_saveexec_b32 s9, s4
	s_cbranch_execnz .LBB137_75
.LBB137_66:                             ;   in Loop: Header=BB137_58 Depth=1
	s_or_b32 exec_lo, exec_lo, s9
	s_and_saveexec_b32 s9, s6
	s_cbranch_execz .LBB137_57
	s_branch .LBB137_76
.LBB137_67:                             ;   in Loop: Header=BB137_58 Depth=1
	s_mul_i32 s9, s7, s27
	s_mul_hi_u32 s15, s7, s26
	s_mul_i32 s16, s7, s26
	s_add_i32 s17, s15, s9
	s_lshl_b64 s[16:17], s[16:17], 3
	s_waitcnt lgkmcnt(0)
	v_add_co_u32 v16, s9, v1, s16
	v_add_co_ci_u32_e64 v17, null, s17, v2, s9
	s_waitcnt lgkmcnt(0)
	global_load_dwordx4 v[25:28], v[16:17], off
	s_clause 0x1
	global_load_dwordx2 v[33:34], v[5:6], off
	global_load_dwordx2 v[35:36], v[7:8], off
	global_load_dwordx4 v[29:32], v[16:17], off offset:16
	s_clause 0x1
	global_load_dwordx2 v[16:17], v[9:10], off
	global_load_dwordx2 v[37:38], v[11:12], off
	s_waitcnt vmcnt(4)
	v_mul_f32_e32 v0, v26, v34
	v_mul_f32_e32 v26, v26, v33
	s_waitcnt vmcnt(3)
	v_mul_f32_e32 v39, v28, v36
	v_mul_f32_e32 v28, v28, v35
	s_waitcnt vmcnt(1)
	v_mul_f32_e32 v40, v30, v17
	v_fmac_f32_e32 v0, v25, v33
	v_fma_f32 v25, v25, v34, -v26
	v_mul_f32_e32 v30, v30, v16
	v_fmac_f32_e32 v39, v27, v35
	v_fma_f32 v27, v27, v36, -v28
	v_add_f32_e32 v0, 0, v0
	v_add_f32_e32 v25, 0, v25
	s_waitcnt vmcnt(0)
	v_mul_f32_e32 v26, v32, v38
	v_mul_f32_e32 v28, v32, v37
	v_fmac_f32_e32 v40, v29, v16
	v_fma_f32 v29, v29, v17, -v30
	v_add_f32_e32 v0, v0, v39
	v_add_f32_e32 v25, v25, v27
	v_fmac_f32_e32 v26, v31, v37
	v_fma_f32 v27, v31, v38, -v28
	buffer_store_dword v34, off, s[0:3], 0 offset:4
	v_add_f32_e32 v0, v0, v40
	v_add_f32_e32 v25, v25, v29
	buffer_store_dword v33, off, s[0:3], 0
	buffer_store_dword v36, off, s[0:3], 0 offset:12
	buffer_store_dword v35, off, s[0:3], 0 offset:8
	;; [unrolled: 1-line block ×6, first 2 shown]
	v_add_f32_e32 v0, v0, v26
	v_add_f32_e32 v25, v25, v27
	s_andn2_saveexec_b32 s14, s14
	s_cbranch_execz .LBB137_60
.LBB137_68:                             ;   in Loop: Header=BB137_58 Depth=1
	v_mov_b32_e32 v0, 0
	v_mov_b32_e32 v25, 0
	s_and_saveexec_b32 s15, s37
	s_cbranch_execz .LBB137_73
; %bb.69:                               ;   in Loop: Header=BB137_58 Depth=1
	s_waitcnt lgkmcnt(0)
	v_mov_b32_e32 v17, v4
	v_mov_b32_e32 v16, v3
	s_mov_b32 s16, 0
	s_mov_b32 s17, s23
.LBB137_70:                             ;   Parent Loop BB137_58 Depth=1
                                        ; =>  This Inner Loop Header: Depth=2
	s_waitcnt lgkmcnt(0)
	global_load_dwordx2 v[25:26], v[16:17], off
	v_add_co_u32 v16, s9, v16, s10
	v_mov_b32_e32 v0, s16
	v_add_co_ci_u32_e64 v17, null, s11, v17, s9
	s_add_i32 s17, s17, -1
	s_add_i32 s16, s16, 8
	s_cmp_eq_u32 s17, 0
	s_waitcnt vmcnt(0)
	buffer_store_dword v26, v0, s[0:3], 0 offen offset:4
	buffer_store_dword v25, v0, s[0:3], 0 offen
	s_cbranch_scc0 .LBB137_70
; %bb.71:                               ;   in Loop: Header=BB137_58 Depth=1
	v_mov_b32_e32 v17, v14
	v_mov_b32_e32 v0, 0
	;; [unrolled: 1-line block ×4, first 2 shown]
	s_mov_b32 s16, 0
	s_mov_b32 s17, s23
	.p2align	6
.LBB137_72:                             ;   Parent Loop BB137_58 Depth=1
                                        ; =>  This Inner Loop Header: Depth=2
	v_mov_b32_e32 v28, s16
	global_load_dwordx2 v[26:27], v[16:17], off offset:-4
	v_add_co_u32 v16, s9, v16, 8
	v_add_co_ci_u32_e64 v17, null, 0, v17, s9
	s_clause 0x1
	buffer_load_dword v29, v28, s[0:3], 0 offen offset:4
	buffer_load_dword v28, v28, s[0:3], 0 offen
	s_add_i32 s17, s17, -1
	s_add_i32 s16, s16, 8
	s_cmp_lg_u32 s17, 0
	s_waitcnt vmcnt(1)
	v_mul_f32_e32 v30, v27, v29
	s_waitcnt vmcnt(0)
	v_mul_f32_e32 v27, v27, v28
	v_fmac_f32_e32 v30, v26, v28
	v_fma_f32 v26, v26, v29, -v27
	v_add_f32_e32 v0, v0, v30
	v_add_f32_e32 v25, v25, v26
	s_cbranch_scc1 .LBB137_72
.LBB137_73:                             ;   in Loop: Header=BB137_58 Depth=1
	s_or_b32 exec_lo, exec_lo, s15
	s_or_b32 exec_lo, exec_lo, s14
	s_and_saveexec_b32 s9, s4
	s_cbranch_execnz .LBB137_61
	s_branch .LBB137_62
.LBB137_74:                             ;   in Loop: Header=BB137_58 Depth=1
	ds_read_b64 v[16:17], v18
	s_or_b32 exec_lo, exec_lo, s9
	s_and_saveexec_b32 s9, s4
	s_cbranch_execz .LBB137_66
.LBB137_75:                             ;   in Loop: Header=BB137_58 Depth=1
	s_waitcnt lgkmcnt(0)
	ds_bpermute_b32 v0, v21, v16
	ds_bpermute_b32 v25, v21, v17
	s_waitcnt lgkmcnt(1)
	v_add_f32_e32 v0, v16, v0
	s_waitcnt lgkmcnt(0)
	v_add_f32_e32 v16, v17, v25
	ds_bpermute_b32 v17, v22, v0
	ds_bpermute_b32 v25, v22, v16
	s_waitcnt lgkmcnt(1)
	v_add_f32_e32 v0, v0, v17
	s_waitcnt lgkmcnt(0)
	v_add_f32_e32 v17, v16, v25
	ds_bpermute_b32 v16, v23, v0
	ds_bpermute_b32 v25, v23, v17
	s_waitcnt lgkmcnt(1)
	v_add_f32_e32 v16, v0, v16
	s_waitcnt lgkmcnt(0)
	v_add_f32_e32 v17, v17, v25
	s_or_b32 exec_lo, exec_lo, s9
	s_and_saveexec_b32 s9, s6
	s_cbranch_execz .LBB137_57
.LBB137_76:                             ;   in Loop: Header=BB137_58 Depth=1
	s_waitcnt lgkmcnt(0)
	v_mul_f32_e32 v0, s25, v17
	v_mul_f32_e32 v26, s24, v17
	s_mul_hi_u32 s15, s7, s22
	s_mul_i32 s14, s7, s22
	s_lshl_b64 s[14:15], s[14:15], 3
	v_fma_f32 v25, v16, s24, -v0
	v_fmac_f32_e32 v26, s25, v16
	s_add_u32 s14, s20, s14
	s_addc_u32 s15, s36, s15
	global_store_dwordx2 v15, v[25:26], s[14:15]
	s_branch .LBB137_57
.LBB137_77:
	s_endpgm
	.section	.rodata,"a",@progbits
	.p2align	6, 0x0
	.amdhsa_kernel _ZL23rocblas_gemvt_sn_kernelILb1ELi256ELi4El19rocblas_complex_numIfEPKS1_S1_EviiT4_lPKT3_lilS7_lilPT5_i
		.amdhsa_group_segment_fixed_size 256
		.amdhsa_private_segment_fixed_size 48
		.amdhsa_kernarg_size 360
		.amdhsa_user_sgpr_count 6
		.amdhsa_user_sgpr_private_segment_buffer 1
		.amdhsa_user_sgpr_dispatch_ptr 0
		.amdhsa_user_sgpr_queue_ptr 0
		.amdhsa_user_sgpr_kernarg_segment_ptr 1
		.amdhsa_user_sgpr_dispatch_id 0
		.amdhsa_user_sgpr_flat_scratch_init 0
		.amdhsa_user_sgpr_private_segment_size 0
		.amdhsa_wavefront_size32 1
		.amdhsa_uses_dynamic_stack 0
		.amdhsa_system_sgpr_private_segment_wavefront_offset 1
		.amdhsa_system_sgpr_workgroup_id_x 1
		.amdhsa_system_sgpr_workgroup_id_y 0
		.amdhsa_system_sgpr_workgroup_id_z 1
		.amdhsa_system_sgpr_workgroup_info 0
		.amdhsa_system_vgpr_workitem_id 0
		.amdhsa_next_free_vgpr 88
		.amdhsa_next_free_sgpr 56
		.amdhsa_reserve_vcc 1
		.amdhsa_reserve_flat_scratch 0
		.amdhsa_float_round_mode_32 0
		.amdhsa_float_round_mode_16_64 0
		.amdhsa_float_denorm_mode_32 3
		.amdhsa_float_denorm_mode_16_64 3
		.amdhsa_dx10_clamp 1
		.amdhsa_ieee_mode 1
		.amdhsa_fp16_overflow 0
		.amdhsa_workgroup_processor_mode 1
		.amdhsa_memory_ordered 1
		.amdhsa_forward_progress 1
		.amdhsa_shared_vgpr_count 0
		.amdhsa_exception_fp_ieee_invalid_op 0
		.amdhsa_exception_fp_denorm_src 0
		.amdhsa_exception_fp_ieee_div_zero 0
		.amdhsa_exception_fp_ieee_overflow 0
		.amdhsa_exception_fp_ieee_underflow 0
		.amdhsa_exception_fp_ieee_inexact 0
		.amdhsa_exception_int_div_zero 0
	.end_amdhsa_kernel
	.section	.text._ZL23rocblas_gemvt_sn_kernelILb1ELi256ELi4El19rocblas_complex_numIfEPKS1_S1_EviiT4_lPKT3_lilS7_lilPT5_i,"axG",@progbits,_ZL23rocblas_gemvt_sn_kernelILb1ELi256ELi4El19rocblas_complex_numIfEPKS1_S1_EviiT4_lPKT3_lilS7_lilPT5_i,comdat
.Lfunc_end137:
	.size	_ZL23rocblas_gemvt_sn_kernelILb1ELi256ELi4El19rocblas_complex_numIfEPKS1_S1_EviiT4_lPKT3_lilS7_lilPT5_i, .Lfunc_end137-_ZL23rocblas_gemvt_sn_kernelILb1ELi256ELi4El19rocblas_complex_numIfEPKS1_S1_EviiT4_lPKT3_lilS7_lilPT5_i
                                        ; -- End function
	.set _ZL23rocblas_gemvt_sn_kernelILb1ELi256ELi4El19rocblas_complex_numIfEPKS1_S1_EviiT4_lPKT3_lilS7_lilPT5_i.num_vgpr, 88
	.set _ZL23rocblas_gemvt_sn_kernelILb1ELi256ELi4El19rocblas_complex_numIfEPKS1_S1_EviiT4_lPKT3_lilS7_lilPT5_i.num_agpr, 0
	.set _ZL23rocblas_gemvt_sn_kernelILb1ELi256ELi4El19rocblas_complex_numIfEPKS1_S1_EviiT4_lPKT3_lilS7_lilPT5_i.numbered_sgpr, 56
	.set _ZL23rocblas_gemvt_sn_kernelILb1ELi256ELi4El19rocblas_complex_numIfEPKS1_S1_EviiT4_lPKT3_lilS7_lilPT5_i.num_named_barrier, 0
	.set _ZL23rocblas_gemvt_sn_kernelILb1ELi256ELi4El19rocblas_complex_numIfEPKS1_S1_EviiT4_lPKT3_lilS7_lilPT5_i.private_seg_size, 48
	.set _ZL23rocblas_gemvt_sn_kernelILb1ELi256ELi4El19rocblas_complex_numIfEPKS1_S1_EviiT4_lPKT3_lilS7_lilPT5_i.uses_vcc, 1
	.set _ZL23rocblas_gemvt_sn_kernelILb1ELi256ELi4El19rocblas_complex_numIfEPKS1_S1_EviiT4_lPKT3_lilS7_lilPT5_i.uses_flat_scratch, 0
	.set _ZL23rocblas_gemvt_sn_kernelILb1ELi256ELi4El19rocblas_complex_numIfEPKS1_S1_EviiT4_lPKT3_lilS7_lilPT5_i.has_dyn_sized_stack, 0
	.set _ZL23rocblas_gemvt_sn_kernelILb1ELi256ELi4El19rocblas_complex_numIfEPKS1_S1_EviiT4_lPKT3_lilS7_lilPT5_i.has_recursion, 0
	.set _ZL23rocblas_gemvt_sn_kernelILb1ELi256ELi4El19rocblas_complex_numIfEPKS1_S1_EviiT4_lPKT3_lilS7_lilPT5_i.has_indirect_call, 0
	.section	.AMDGPU.csdata,"",@progbits
; Kernel info:
; codeLenInByte = 5624
; TotalNumSgprs: 58
; NumVgprs: 88
; ScratchSize: 48
; MemoryBound: 0
; FloatMode: 240
; IeeeMode: 1
; LDSByteSize: 256 bytes/workgroup (compile time only)
; SGPRBlocks: 0
; VGPRBlocks: 10
; NumSGPRsForWavesPerEU: 58
; NumVGPRsForWavesPerEU: 88
; Occupancy: 10
; WaveLimiterHint : 1
; COMPUTE_PGM_RSRC2:SCRATCH_EN: 1
; COMPUTE_PGM_RSRC2:USER_SGPR: 6
; COMPUTE_PGM_RSRC2:TRAP_HANDLER: 0
; COMPUTE_PGM_RSRC2:TGID_X_EN: 1
; COMPUTE_PGM_RSRC2:TGID_Y_EN: 0
; COMPUTE_PGM_RSRC2:TGID_Z_EN: 1
; COMPUTE_PGM_RSRC2:TIDIG_COMP_CNT: 0
	.section	.text._ZL23rocblas_gemvt_sn_kernelILb1ELi256ELi4Ei19rocblas_complex_numIfES1_S1_EviiT4_lPKT3_lilS5_lilPT5_i,"axG",@progbits,_ZL23rocblas_gemvt_sn_kernelILb1ELi256ELi4Ei19rocblas_complex_numIfES1_S1_EviiT4_lPKT3_lilS5_lilPT5_i,comdat
	.globl	_ZL23rocblas_gemvt_sn_kernelILb1ELi256ELi4Ei19rocblas_complex_numIfES1_S1_EviiT4_lPKT3_lilS5_lilPT5_i ; -- Begin function _ZL23rocblas_gemvt_sn_kernelILb1ELi256ELi4Ei19rocblas_complex_numIfES1_S1_EviiT4_lPKT3_lilS5_lilPT5_i
	.p2align	8
	.type	_ZL23rocblas_gemvt_sn_kernelILb1ELi256ELi4Ei19rocblas_complex_numIfES1_S1_EviiT4_lPKT3_lilS5_lilPT5_i,@function
_ZL23rocblas_gemvt_sn_kernelILb1ELi256ELi4Ei19rocblas_complex_numIfES1_S1_EviiT4_lPKT3_lilS5_lilPT5_i: ; @_ZL23rocblas_gemvt_sn_kernelILb1ELi256ELi4Ei19rocblas_complex_numIfES1_S1_EviiT4_lPKT3_lilS5_lilPT5_i
; %bb.0:
	s_add_u32 s0, s0, s8
	s_clause 0x2
	s_load_dwordx4 s[12:15], s[4:5], 0x0
	s_load_dword s20, s[4:5], 0x68
	s_load_dwordx4 s[8:11], s[4:5], 0x50
	s_addc_u32 s1, s1, 0
	s_mov_b32 s21, 0
	v_cmp_eq_u32_e32 vcc_lo, 0, v0
	s_waitcnt lgkmcnt(0)
	s_ashr_i32 s24, s13, 31
	s_mul_hi_u32 s16, s13, s7
	s_mul_i32 s18, s24, s7
	s_mul_i32 s17, s13, s7
	s_add_i32 s16, s16, s18
	s_or_b32 s19, s14, s15
	s_mul_hi_u32 s18, s17, s20
	s_mul_i32 s16, s16, s20
	s_bitset0_b32 s19, 31
	s_add_i32 s23, s18, s16
	s_mul_i32 s22, s17, s20
	s_cmp_lg_u32 s19, 0
	s_mov_b32 s16, -1
	s_cbranch_scc1 .LBB138_5
; %bb.1:
	s_cmp_gt_i32 s13, 0
	s_cselect_b32 s16, -1, 0
	s_and_b32 s16, vcc_lo, s16
	s_and_saveexec_b32 s25, s16
	s_cbranch_execz .LBB138_4
; %bb.2:
	s_mov_b32 s16, s7
	s_mov_b32 s7, 0
	v_mov_b32_e32 v1, 0
	s_lshl_b64 s[18:19], s[22:23], 3
	s_lshl_b64 s[26:27], s[6:7], 3
	s_mov_b32 s7, s16
	s_add_u32 s16, s18, s26
	s_addc_u32 s17, s19, s27
	s_add_u32 s16, s10, s16
	v_mov_b32_e32 v2, v1
	s_addc_u32 s17, s11, s17
	s_add_u32 s16, s16, 4
	s_addc_u32 s17, s17, 0
	s_lshl_b64 s[18:19], s[20:21], 3
	s_mov_b32 s21, s13
.LBB138_3:                              ; =>This Inner Loop Header: Depth=1
	s_add_i32 s21, s21, -1
	global_store_dwordx2 v1, v[1:2], s[16:17] offset:-4
	s_add_u32 s16, s16, s18
	s_addc_u32 s17, s17, s19
	s_cmp_eq_u32 s21, 0
	s_cbranch_scc0 .LBB138_3
.LBB138_4:
	s_or_b32 exec_lo, exec_lo, s25
	s_mov_b32 s16, 0
.LBB138_5:
	s_andn2_b32 vcc_lo, exec_lo, s16
	s_cbranch_vccnz .LBB138_77
; %bb.6:
	s_clause 0x2
	s_load_dwordx4 s[28:31], s[4:5], 0x30
	s_load_dwordx2 s[26:27], s[4:5], 0x40
	s_load_dwordx4 s[16:19], s[4:5], 0x18
	s_mul_i32 s9, s9, s7
	s_mul_hi_u32 s21, s8, s7
	s_mul_i32 s8, s8, s7
	s_add_i32 s9, s21, s9
	s_clause 0x1
	s_load_dword s21, s[4:5], 0x28
	s_load_dword s37, s[4:5], 0x48
	s_lshl_b64 s[8:9], s[8:9], 3
	v_and_b32_e32 v26, 31, v0
	v_cmp_gt_u32_e64 s4, 32, v0
	v_mbcnt_lo_u32_b32 v27, -1, 0
	v_lshrrev_b32_e32 v28, 2, v0
	s_waitcnt lgkmcnt(0)
	s_add_u32 s25, s30, s8
	s_addc_u32 s30, s31, s9
	s_lshl_b64 s[8:9], s[26:27], 3
	s_mul_i32 s29, s29, s7
	s_add_u32 s33, s25, s8
	s_addc_u32 s36, s30, s9
	s_lshl_b64 s[8:9], s[22:23], 3
	s_mul_hi_u32 s26, s28, s7
	s_add_u32 s40, s10, s8
	s_mul_i32 s22, s28, s7
	s_addc_u32 s11, s11, s9
	s_add_i32 s23, s26, s29
	s_lshl_b64 s[22:23], s[22:23], 3
	s_add_u32 s5, s16, s22
	s_addc_u32 s7, s17, s23
	s_lshl_b64 s[18:19], s[18:19], 3
	s_add_u32 s8, s5, s18
	s_addc_u32 s7, s7, s19
	s_lshl_b32 s5, s6, 10
	s_ashr_i32 s9, s12, 31
	v_lshl_or_b32 v2, v0, 2, s5
	s_lshr_b32 s9, s9, 30
	s_lshr_b32 s10, s24, 30
	s_add_i32 s9, s12, s9
	s_add_i32 s10, s13, s10
	v_ashrrev_i32_e32 v3, 31, v2
	s_and_b32 s9, s9, -4
	v_mul_lo_u32 v1, s37, v2
	s_sub_i32 s38, s12, s9
	v_cmp_gt_u32_e64 s5, 8, v0
	v_lshlrev_b64 v[3:4], 3, v[2:3]
	v_add_nc_u32_e32 v29, 4, v2
	v_add_nc_u32_e32 v30, s38, v2
	s_and_b32 s41, s10, -4
	s_cmp_lt_i32 s41, 1
	v_add_co_u32 v24, vcc_lo, s8, v3
	v_add_co_ci_u32_e64 v25, null, s7, v4, vcc_lo
	s_cbranch_scc1 .LBB138_54
; %bb.7:
	v_cmp_gt_u32_e32 vcc_lo, 24, v27
	v_mul_lo_u32 v5, s37, v2
	s_cmp_gt_i32 s38, 0
	v_cmp_ge_i32_e64 s7, s12, v29
	s_cselect_b32 s42, -1, 0
	v_cndmask_b32_e64 v6, 0, 8, vcc_lo
	v_cmp_gt_u32_e32 vcc_lo, 28, v27
	s_lshl_b32 s43, s21, 2
	s_lshl_b32 s44, s21, 1
	s_add_u32 s24, s22, s18
	v_add_lshl_u32 v2, v6, v27, 2
	v_cndmask_b32_e64 v7, 0, 4, vcc_lo
	v_cmp_gt_u32_e32 vcc_lo, 30, v27
	v_ashrrev_i32_e32 v6, 31, v5
	s_addc_u32 s26, s23, s19
	s_add_u32 s24, s16, s24
	v_add_lshl_u32 v32, v7, v27, 2
	v_cndmask_b32_e64 v8, 0, 2, vcc_lo
	v_cmp_ne_u32_e32 vcc_lo, 31, v27
	v_add_nc_u32_e32 v7, s37, v5
	v_lshlrev_b64 v[11:12], 3, v[5:6]
	s_addc_u32 s26, s17, s26
	v_add_lshl_u32 v33, v8, v27, 2
	v_add_co_ci_u32_e64 v9, null, 0, v27, vcc_lo
	v_ashrrev_i32_e32 v8, 31, v7
	v_add_co_u32 v6, vcc_lo, s33, v11
	v_lshlrev_b32_e32 v34, 2, v9
	v_add_nc_u32_e32 v9, s37, v7
	v_lshlrev_b64 v[13:14], 3, v[7:8]
	v_add_co_ci_u32_e64 v7, null, s36, v12, vcc_lo
	v_cmp_ge_i32_e64 s8, s12, v30
	v_add_nc_u32_e32 v15, s37, v9
	v_ashrrev_i32_e32 v10, 31, v9
	v_add_co_u32 v8, vcc_lo, s33, v13
	v_lshl_or_b32 v31, v27, 2, 64
	v_ashrrev_i32_e32 v16, 31, v15
	v_lshlrev_b64 v[10:11], 3, v[9:10]
	v_add_co_ci_u32_e64 v9, null, s36, v14, vcc_lo
	v_cmp_eq_u32_e64 s9, 0, v26
	v_lshlrev_b64 v[12:13], 3, v[15:16]
	v_lshlrev_b32_e32 v35, 3, v26
	v_add_co_u32 v10, vcc_lo, s33, v10
	v_add_co_ci_u32_e64 v11, null, s36, v11, vcc_lo
	v_add_co_u32 v12, vcc_lo, s33, v12
	v_add_co_ci_u32_e64 v13, null, s36, v13, vcc_lo
	;; [unrolled: 2-line block ×3, first 2 shown]
	v_and_b32_e32 v36, 56, v28
	v_add_co_u32 v37, vcc_lo, v14, 4
	v_cmp_eq_u32_e64 s10, 0, v0
	v_add_co_ci_u32_e64 v38, null, 0, v15, vcc_lo
	v_mov_b32_e32 v14, 0
	s_mov_b32 s25, 0
	s_mul_i32 s45, s21, 3
	s_mov_b32 s26, s25
	s_mov_b32 s46, s21
	;; [unrolled: 1-line block ×3, first 2 shown]
	s_branch .LBB138_9
.LBB138_8:                              ;   in Loop: Header=BB138_9 Depth=1
	s_or_b32 exec_lo, exec_lo, s27
	s_add_i32 s39, s39, 4
	s_add_i32 s46, s46, s43
	;; [unrolled: 1-line block ×5, first 2 shown]
	s_cmp_ge_i32 s39, s41
	s_cbranch_scc1 .LBB138_55
.LBB138_9:                              ; =>This Loop Header: Depth=1
                                        ;     Child Loop BB138_40 Depth 2
                                        ;     Child Loop BB138_42 Depth 2
                                        ; implicit-def: $vgpr17
                                        ; implicit-def: $vgpr39
                                        ; implicit-def: $vgpr18
                                        ; implicit-def: $vgpr19
                                        ; implicit-def: $vgpr20
                                        ; implicit-def: $vgpr21
                                        ; implicit-def: $vgpr23
                                        ; implicit-def: $vgpr22
	s_and_saveexec_b32 s24, s7
	s_xor_b32 s24, exec_lo, s24
	s_cbranch_execnz .LBB138_36
; %bb.10:                               ;   in Loop: Header=BB138_9 Depth=1
	s_andn2_saveexec_b32 s24, s24
	s_cbranch_execnz .LBB138_37
.LBB138_11:                             ;   in Loop: Header=BB138_9 Depth=1
	s_or_b32 exec_lo, exec_lo, s24
	s_and_saveexec_b32 s24, s4
.LBB138_12:                             ;   in Loop: Header=BB138_9 Depth=1
	v_mov_b32_e32 v15, v14
	ds_write_b64 v35, v[14:15]
.LBB138_13:                             ;   in Loop: Header=BB138_9 Depth=1
	s_or_b32 exec_lo, exec_lo, s24
	ds_bpermute_b32 v15, v31, v17
	ds_bpermute_b32 v16, v31, v39
	s_waitcnt lgkmcnt(0)
	s_waitcnt_vscnt null, 0x0
	s_barrier
	buffer_gl0_inv
	v_add_f32_e32 v15, v17, v15
	v_add_f32_e32 v16, v39, v16
	ds_bpermute_b32 v17, v2, v15
	ds_bpermute_b32 v39, v2, v16
	s_waitcnt lgkmcnt(1)
	v_add_f32_e32 v15, v15, v17
	s_waitcnt lgkmcnt(0)
	v_add_f32_e32 v16, v16, v39
	ds_bpermute_b32 v17, v32, v15
	ds_bpermute_b32 v39, v32, v16
	s_waitcnt lgkmcnt(1)
	v_add_f32_e32 v15, v15, v17
	s_waitcnt lgkmcnt(0)
	;; [unrolled: 6-line block ×3, first 2 shown]
	v_add_f32_e32 v16, v16, v39
	ds_bpermute_b32 v17, v34, v15
	ds_bpermute_b32 v39, v34, v16
	s_and_saveexec_b32 s24, s9
	s_cbranch_execz .LBB138_15
; %bb.14:                               ;   in Loop: Header=BB138_9 Depth=1
	s_waitcnt lgkmcnt(0)
	v_add_f32_e32 v16, v16, v39
	v_add_f32_e32 v15, v15, v17
	ds_write_b64 v36, v[15:16]
.LBB138_15:                             ;   in Loop: Header=BB138_9 Depth=1
	s_or_b32 exec_lo, exec_lo, s24
	s_waitcnt lgkmcnt(1)
	v_mov_b32_e32 v17, 0
	v_mov_b32_e32 v16, 0
	s_waitcnt lgkmcnt(0)
	s_barrier
	buffer_gl0_inv
	s_and_saveexec_b32 s24, s5
	s_cbranch_execnz .LBB138_43
; %bb.16:                               ;   in Loop: Header=BB138_9 Depth=1
	s_or_b32 exec_lo, exec_lo, s24
	s_and_saveexec_b32 s24, s4
	s_cbranch_execnz .LBB138_44
.LBB138_17:                             ;   in Loop: Header=BB138_9 Depth=1
	s_or_b32 exec_lo, exec_lo, s24
	s_and_saveexec_b32 s24, s4
.LBB138_18:                             ;   in Loop: Header=BB138_9 Depth=1
	v_mov_b32_e32 v15, v14
	ds_write_b64 v35, v[14:15]
.LBB138_19:                             ;   in Loop: Header=BB138_9 Depth=1
	s_or_b32 exec_lo, exec_lo, s24
	ds_bpermute_b32 v15, v31, v18
	ds_bpermute_b32 v39, v31, v19
	s_waitcnt lgkmcnt(0)
	s_barrier
	buffer_gl0_inv
	v_add_f32_e32 v15, v18, v15
	v_add_f32_e32 v18, v19, v39
	ds_bpermute_b32 v19, v2, v15
	ds_bpermute_b32 v39, v2, v18
	s_waitcnt lgkmcnt(1)
	v_add_f32_e32 v15, v15, v19
	s_waitcnt lgkmcnt(0)
	v_add_f32_e32 v18, v18, v39
	ds_bpermute_b32 v19, v32, v15
	ds_bpermute_b32 v39, v32, v18
	s_waitcnt lgkmcnt(1)
	v_add_f32_e32 v15, v15, v19
	s_waitcnt lgkmcnt(0)
	;; [unrolled: 6-line block ×3, first 2 shown]
	v_add_f32_e32 v18, v18, v39
	ds_bpermute_b32 v19, v34, v15
	ds_bpermute_b32 v39, v34, v18
	s_and_saveexec_b32 s24, s9
	s_cbranch_execz .LBB138_21
; %bb.20:                               ;   in Loop: Header=BB138_9 Depth=1
	s_waitcnt lgkmcnt(0)
	v_add_f32_e32 v40, v18, v39
	v_add_f32_e32 v39, v15, v19
	ds_write_b64 v36, v[39:40]
.LBB138_21:                             ;   in Loop: Header=BB138_9 Depth=1
	s_or_b32 exec_lo, exec_lo, s24
	s_waitcnt lgkmcnt(1)
	v_mov_b32_e32 v19, 0
	v_mov_b32_e32 v18, 0
	s_waitcnt lgkmcnt(0)
	s_barrier
	buffer_gl0_inv
	s_and_saveexec_b32 s24, s5
	s_cbranch_execnz .LBB138_45
; %bb.22:                               ;   in Loop: Header=BB138_9 Depth=1
	s_or_b32 exec_lo, exec_lo, s24
	s_and_saveexec_b32 s24, s4
	s_cbranch_execnz .LBB138_46
.LBB138_23:                             ;   in Loop: Header=BB138_9 Depth=1
	s_or_b32 exec_lo, exec_lo, s24
	s_and_saveexec_b32 s24, s4
.LBB138_24:                             ;   in Loop: Header=BB138_9 Depth=1
	v_mov_b32_e32 v15, v14
	ds_write_b64 v35, v[14:15]
.LBB138_25:                             ;   in Loop: Header=BB138_9 Depth=1
	s_or_b32 exec_lo, exec_lo, s24
	ds_bpermute_b32 v15, v31, v20
	ds_bpermute_b32 v39, v31, v21
	s_waitcnt lgkmcnt(0)
	s_barrier
	buffer_gl0_inv
	v_add_f32_e32 v15, v20, v15
	v_add_f32_e32 v20, v21, v39
	ds_bpermute_b32 v21, v2, v15
	ds_bpermute_b32 v39, v2, v20
	s_waitcnt lgkmcnt(1)
	v_add_f32_e32 v15, v15, v21
	s_waitcnt lgkmcnt(0)
	v_add_f32_e32 v20, v20, v39
	ds_bpermute_b32 v21, v32, v15
	ds_bpermute_b32 v39, v32, v20
	s_waitcnt lgkmcnt(1)
	v_add_f32_e32 v15, v15, v21
	s_waitcnt lgkmcnt(0)
	;; [unrolled: 6-line block ×3, first 2 shown]
	v_add_f32_e32 v20, v20, v39
	ds_bpermute_b32 v21, v34, v15
	ds_bpermute_b32 v39, v34, v20
	s_and_saveexec_b32 s24, s9
	s_cbranch_execz .LBB138_27
; %bb.26:                               ;   in Loop: Header=BB138_9 Depth=1
	s_waitcnt lgkmcnt(0)
	v_add_f32_e32 v40, v20, v39
	v_add_f32_e32 v39, v15, v21
	ds_write_b64 v36, v[39:40]
.LBB138_27:                             ;   in Loop: Header=BB138_9 Depth=1
	s_or_b32 exec_lo, exec_lo, s24
	s_waitcnt lgkmcnt(1)
	v_mov_b32_e32 v21, 0
	v_mov_b32_e32 v20, 0
	s_waitcnt lgkmcnt(0)
	s_barrier
	buffer_gl0_inv
	s_and_saveexec_b32 s24, s5
	s_cbranch_execnz .LBB138_47
; %bb.28:                               ;   in Loop: Header=BB138_9 Depth=1
	s_or_b32 exec_lo, exec_lo, s24
	s_and_saveexec_b32 s24, s4
	s_cbranch_execnz .LBB138_48
.LBB138_29:                             ;   in Loop: Header=BB138_9 Depth=1
	s_or_b32 exec_lo, exec_lo, s24
	s_and_saveexec_b32 s24, s4
.LBB138_30:                             ;   in Loop: Header=BB138_9 Depth=1
	v_mov_b32_e32 v15, v14
	ds_write_b64 v35, v[14:15]
.LBB138_31:                             ;   in Loop: Header=BB138_9 Depth=1
	s_or_b32 exec_lo, exec_lo, s24
	ds_bpermute_b32 v15, v31, v23
	ds_bpermute_b32 v39, v31, v22
	s_waitcnt lgkmcnt(0)
	s_barrier
	buffer_gl0_inv
	v_add_f32_e32 v15, v23, v15
	v_add_f32_e32 v22, v22, v39
	ds_bpermute_b32 v23, v2, v15
	ds_bpermute_b32 v39, v2, v22
	s_waitcnt lgkmcnt(1)
	v_add_f32_e32 v15, v15, v23
	s_waitcnt lgkmcnt(0)
	v_add_f32_e32 v22, v22, v39
	ds_bpermute_b32 v23, v32, v15
	ds_bpermute_b32 v39, v32, v22
	s_waitcnt lgkmcnt(1)
	v_add_f32_e32 v15, v15, v23
	s_waitcnt lgkmcnt(0)
	;; [unrolled: 6-line block ×3, first 2 shown]
	v_add_f32_e32 v22, v22, v39
	ds_bpermute_b32 v23, v34, v15
	ds_bpermute_b32 v39, v34, v22
	s_and_saveexec_b32 s24, s9
	s_cbranch_execz .LBB138_33
; %bb.32:                               ;   in Loop: Header=BB138_9 Depth=1
	s_waitcnt lgkmcnt(0)
	v_add_f32_e32 v40, v22, v39
	v_add_f32_e32 v39, v15, v23
	ds_write_b64 v36, v[39:40]
.LBB138_33:                             ;   in Loop: Header=BB138_9 Depth=1
	s_or_b32 exec_lo, exec_lo, s24
	s_waitcnt lgkmcnt(1)
	v_mov_b32_e32 v23, 0
	v_mov_b32_e32 v22, 0
	s_waitcnt lgkmcnt(0)
	s_barrier
	buffer_gl0_inv
	s_and_saveexec_b32 s24, s5
	s_cbranch_execnz .LBB138_49
; %bb.34:                               ;   in Loop: Header=BB138_9 Depth=1
	s_or_b32 exec_lo, exec_lo, s24
	s_and_saveexec_b32 s24, s4
	s_cbranch_execnz .LBB138_50
.LBB138_35:                             ;   in Loop: Header=BB138_9 Depth=1
	s_or_b32 exec_lo, exec_lo, s24
	s_and_saveexec_b32 s27, s10
	s_cbranch_execz .LBB138_8
	s_branch .LBB138_51
.LBB138_36:                             ;   in Loop: Header=BB138_9 Depth=1
	s_mul_i32 s28, s39, s21
	s_clause 0x1
	global_load_dwordx2 v[63:64], v[6:7], off
	global_load_dwordx2 v[65:66], v[8:9], off
	s_ashr_i32 s29, s28, 31
	s_lshl_b64 s[30:31], s[28:29], 3
	s_add_i32 s28, s28, s21
	v_add_co_u32 v19, vcc_lo, v24, s30
	s_ashr_i32 s29, s28, 31
	v_add_co_ci_u32_e64 v20, null, s31, v25, vcc_lo
	s_lshl_b64 s[30:31], s[28:29], 3
	s_add_i32 s28, s28, s21
	v_add_co_u32 v43, vcc_lo, v24, s30
	s_ashr_i32 s29, s28, 31
	v_add_co_ci_u32_e64 v44, null, s31, v25, vcc_lo
	;; [unrolled: 5-line block ×3, first 2 shown]
	s_lshl_b64 s[28:29], s[28:29], 3
	global_load_dwordx4 v[15:18], v[19:20], off offset:16
	s_waitcnt lgkmcnt(0)
	global_load_dwordx4 v[19:22], v[19:20], off
	v_add_co_u32 v59, vcc_lo, v24, s28
	s_clause 0x1
	global_load_dwordx2 v[67:68], v[10:11], off
	global_load_dwordx2 v[69:70], v[12:13], off
	v_add_co_ci_u32_e64 v60, null, s29, v25, vcc_lo
	s_clause 0x5
	global_load_dwordx4 v[39:42], v[43:44], off
	global_load_dwordx4 v[43:46], v[43:44], off offset:16
	global_load_dwordx4 v[47:50], v[51:52], off
	global_load_dwordx4 v[51:54], v[51:52], off offset:16
	;; [unrolled: 2-line block ×3, first 2 shown]
	s_waitcnt vmcnt(11)
	buffer_store_dword v64, off, s[0:3], 0 offset:4
	buffer_store_dword v63, off, s[0:3], 0
	s_waitcnt vmcnt(10)
	buffer_store_dword v66, off, s[0:3], 0 offset:12
	buffer_store_dword v65, off, s[0:3], 0 offset:8
	s_waitcnt vmcnt(7)
	buffer_store_dword v68, off, s[0:3], 0 offset:20
	buffer_store_dword v67, off, s[0:3], 0 offset:16
	;; [unrolled: 3-line block ×3, first 2 shown]
	v_mul_f32_e32 v23, v20, v64
	v_mul_f32_e32 v20, v20, v63
	;; [unrolled: 1-line block ×8, first 2 shown]
	s_waitcnt vmcnt(5)
	v_mul_f32_e32 v74, v40, v64
	v_mul_f32_e32 v40, v40, v63
	;; [unrolled: 1-line block ×4, first 2 shown]
	s_waitcnt vmcnt(4)
	v_mul_f32_e32 v76, v68, v44
	v_mul_f32_e32 v44, v67, v44
	s_waitcnt vmcnt(3)
	v_mul_f32_e32 v78, v48, v64
	v_mul_f32_e32 v48, v48, v63
	v_fmac_f32_e32 v23, v19, v63
	v_fma_f32 v19, v19, v64, -v20
	v_fmac_f32_e32 v72, v67, v15
	v_fma_f32 v15, v68, v15, -v16
	;; [unrolled: 2-line block ×3, first 2 shown]
	s_waitcnt vmcnt(1)
	v_mul_f32_e32 v17, v56, v64
	v_mul_f32_e32 v18, v56, v63
	v_mul_f32_e32 v79, v50, v66
	v_mul_f32_e32 v50, v50, v65
	v_fmac_f32_e32 v71, v21, v65
	v_fma_f32 v20, v21, v66, -v22
	v_mul_f32_e32 v21, v58, v66
	v_mul_f32_e32 v22, v58, v65
	v_fmac_f32_e32 v74, v39, v63
	v_fma_f32 v39, v39, v64, -v40
	v_fmac_f32_e32 v75, v41, v65
	v_fma_f32 v40, v41, v66, -v42
	v_fmac_f32_e32 v76, v67, v43
	v_fma_f32 v41, v68, v43, -v44
	v_fmac_f32_e32 v78, v47, v63
	v_fma_f32 v43, v47, v64, -v48
	v_add_f32_e32 v19, 0, v19
	v_fmac_f32_e32 v17, v55, v63
	v_fma_f32 v18, v55, v64, -v18
	v_mul_f32_e32 v77, v70, v46
	v_mul_f32_e32 v46, v69, v46
	v_mul_f32_e32 v80, v68, v52
	v_mul_f32_e32 v52, v67, v52
	s_waitcnt vmcnt(0)
	v_mul_f32_e32 v56, v68, v60
	v_mul_f32_e32 v58, v67, v60
	v_fmac_f32_e32 v79, v49, v65
	v_fma_f32 v44, v49, v66, -v50
	v_add_f32_e32 v23, 0, v23
	v_fmac_f32_e32 v21, v57, v65
	v_fma_f32 v22, v57, v66, -v22
	v_add_f32_e32 v49, 0, v74
	v_add_f32_e32 v39, 0, v39
	;; [unrolled: 1-line block ×7, first 2 shown]
	v_mul_f32_e32 v81, v70, v54
	v_mul_f32_e32 v54, v69, v54
	v_mul_f32_e32 v60, v70, v62
	v_mul_f32_e32 v62, v69, v62
	v_fmac_f32_e32 v77, v69, v45
	v_fma_f32 v42, v70, v45, -v46
	v_fmac_f32_e32 v80, v67, v51
	v_fma_f32 v45, v68, v51, -v52
	;; [unrolled: 2-line block ×3, first 2 shown]
	v_add_f32_e32 v23, v23, v71
	v_add_f32_e32 v20, v49, v75
	;; [unrolled: 1-line block ×8, first 2 shown]
	v_fmac_f32_e32 v81, v69, v53
	v_fma_f32 v46, v70, v53, -v54
	v_fmac_f32_e32 v60, v69, v61
	v_fma_f32 v48, v70, v61, -v62
	v_add_f32_e32 v23, v23, v72
	v_add_f32_e32 v20, v20, v76
	;; [unrolled: 1-line block ×15, first 2 shown]
	s_andn2_saveexec_b32 s24, s24
	s_cbranch_execz .LBB138_11
.LBB138_37:                             ;   in Loop: Header=BB138_9 Depth=1
	v_mov_b32_e32 v17, 0
	v_mov_b32_e32 v39, 0
	;; [unrolled: 1-line block ×6, first 2 shown]
	s_waitcnt lgkmcnt(0)
	v_mov_b32_e32 v23, 0
	v_mov_b32_e32 v22, 0
	s_and_saveexec_b32 s47, s8
	s_cbranch_execz .LBB138_53
; %bb.38:                               ;   in Loop: Header=BB138_9 Depth=1
	s_andn2_b32 vcc_lo, exec_lo, s42
	s_cbranch_vccnz .LBB138_52
; %bb.39:                               ;   in Loop: Header=BB138_9 Depth=1
	v_mov_b32_e32 v15, v5
	s_mov_b32 s27, 0
	s_mov_b32 s28, s38
	.p2align	6
.LBB138_40:                             ;   Parent Loop BB138_9 Depth=1
                                        ; =>  This Inner Loop Header: Depth=2
	v_ashrrev_i32_e32 v16, 31, v15
	v_mov_b32_e32 v18, s27
	s_add_i32 s28, s28, -1
	s_add_i32 s27, s27, 8
	s_cmp_eq_u32 s28, 0
	v_lshlrev_b64 v[16:17], 3, v[15:16]
	v_add_nc_u32_e32 v15, s37, v15
	v_add_co_u32 v16, vcc_lo, s33, v16
	v_add_co_ci_u32_e64 v17, null, s36, v17, vcc_lo
	global_load_dwordx2 v[16:17], v[16:17], off
	s_waitcnt vmcnt(0)
	buffer_store_dword v17, v18, s[0:3], 0 offen offset:4
	buffer_store_dword v16, v18, s[0:3], 0 offen
	s_cbranch_scc0 .LBB138_40
; %bb.41:                               ;   in Loop: Header=BB138_9 Depth=1
	s_ashr_i32 s27, s26, 31
	v_mov_b32_e32 v22, 0
	s_lshl_b64 s[28:29], s[26:27], 3
	v_mov_b32_e32 v23, 0
	v_add_co_u32 v15, vcc_lo, v37, s28
	v_add_co_ci_u32_e64 v16, null, s29, v38, vcc_lo
	v_mov_b32_e32 v21, 0
	v_mov_b32_e32 v20, 0
	;; [unrolled: 1-line block ×6, first 2 shown]
	s_mov_b32 s27, 0
	s_mov_b32 s28, s45
	;; [unrolled: 1-line block ×5, first 2 shown]
.LBB138_42:                             ;   Parent Loop BB138_9 Depth=1
                                        ; =>  This Inner Loop Header: Depth=2
	s_ashr_i32 s35, s34, 31
	s_ashr_i32 s31, s30, 31
	s_lshl_b64 s[50:51], s[34:35], 3
	s_ashr_i32 s29, s28, 31
	s_lshl_b64 s[52:53], s[30:31], 3
	v_add_co_u32 v42, vcc_lo, v24, s50
	s_lshl_b64 s[54:55], s[28:29], 3
	v_add_co_ci_u32_e64 v43, null, s51, v25, vcc_lo
	v_add_co_u32 v44, vcc_lo, v24, s52
	v_mov_b32_e32 v48, s27
	v_add_co_ci_u32_e64 v45, null, s53, v25, vcc_lo
	v_add_co_u32 v46, vcc_lo, v24, s54
	v_add_co_ci_u32_e64 v47, null, s55, v25, vcc_lo
	global_load_dwordx2 v[40:41], v[15:16], off offset:-4
	s_clause 0x1
	buffer_load_dword v49, v48, s[0:3], 0 offen offset:4
	buffer_load_dword v48, v48, s[0:3], 0 offen
	s_clause 0x2
	global_load_dwordx2 v[42:43], v[42:43], off
	global_load_dwordx2 v[44:45], v[44:45], off
	;; [unrolled: 1-line block ×3, first 2 shown]
	v_add_co_u32 v15, vcc_lo, v15, 8
	v_add_co_ci_u32_e64 v16, null, 0, v16, vcc_lo
	s_add_i32 s48, s48, -1
	s_add_i32 s27, s27, 8
	s_add_i32 s34, s34, 1
	;; [unrolled: 1-line block ×4, first 2 shown]
	s_cmp_lg_u32 s48, 0
	s_waitcnt vmcnt(4)
	v_mul_f32_e32 v50, v49, v41
	s_waitcnt vmcnt(3)
	v_mul_f32_e32 v41, v48, v41
	;; [unrolled: 2-line block ×3, first 2 shown]
	v_mul_f32_e32 v43, v48, v43
	s_waitcnt vmcnt(1)
	v_mul_f32_e32 v52, v49, v45
	v_mul_f32_e32 v45, v48, v45
	s_waitcnt vmcnt(0)
	v_mul_f32_e32 v53, v49, v47
	v_mul_f32_e32 v47, v48, v47
	v_fmac_f32_e32 v50, v48, v40
	v_fma_f32 v40, v49, v40, -v41
	v_fmac_f32_e32 v51, v48, v42
	v_fma_f32 v41, v49, v42, -v43
	;; [unrolled: 2-line block ×4, first 2 shown]
	v_add_f32_e32 v17, v17, v50
	v_add_f32_e32 v39, v39, v40
	;; [unrolled: 1-line block ×8, first 2 shown]
	s_cbranch_scc1 .LBB138_42
	s_branch .LBB138_53
.LBB138_43:                             ;   in Loop: Header=BB138_9 Depth=1
	ds_read_b64 v[16:17], v35
	s_or_b32 exec_lo, exec_lo, s24
	s_and_saveexec_b32 s24, s4
	s_cbranch_execz .LBB138_17
.LBB138_44:                             ;   in Loop: Header=BB138_9 Depth=1
	s_waitcnt lgkmcnt(0)
	ds_bpermute_b32 v15, v32, v16
	ds_bpermute_b32 v39, v32, v17
	s_waitcnt lgkmcnt(1)
	v_add_f32_e32 v15, v16, v15
	s_waitcnt lgkmcnt(0)
	v_add_f32_e32 v16, v17, v39
	ds_bpermute_b32 v17, v33, v15
	ds_bpermute_b32 v39, v33, v16
	s_waitcnt lgkmcnt(1)
	v_add_f32_e32 v15, v15, v17
	s_waitcnt lgkmcnt(0)
	v_add_f32_e32 v17, v16, v39
	;; [unrolled: 6-line block ×3, first 2 shown]
	s_or_b32 exec_lo, exec_lo, s24
	s_and_saveexec_b32 s24, s4
	s_cbranch_execnz .LBB138_18
	s_branch .LBB138_19
.LBB138_45:                             ;   in Loop: Header=BB138_9 Depth=1
	ds_read_b64 v[18:19], v35
	s_or_b32 exec_lo, exec_lo, s24
	s_and_saveexec_b32 s24, s4
	s_cbranch_execz .LBB138_23
.LBB138_46:                             ;   in Loop: Header=BB138_9 Depth=1
	s_waitcnt lgkmcnt(0)
	ds_bpermute_b32 v15, v32, v18
	ds_bpermute_b32 v39, v32, v19
	s_waitcnt lgkmcnt(1)
	v_add_f32_e32 v15, v18, v15
	s_waitcnt lgkmcnt(0)
	v_add_f32_e32 v18, v19, v39
	ds_bpermute_b32 v19, v33, v15
	ds_bpermute_b32 v39, v33, v18
	s_waitcnt lgkmcnt(1)
	v_add_f32_e32 v15, v15, v19
	s_waitcnt lgkmcnt(0)
	v_add_f32_e32 v19, v18, v39
	;; [unrolled: 6-line block ×3, first 2 shown]
	s_or_b32 exec_lo, exec_lo, s24
	s_and_saveexec_b32 s24, s4
	s_cbranch_execnz .LBB138_24
	s_branch .LBB138_25
.LBB138_47:                             ;   in Loop: Header=BB138_9 Depth=1
	ds_read_b64 v[20:21], v35
	s_or_b32 exec_lo, exec_lo, s24
	s_and_saveexec_b32 s24, s4
	s_cbranch_execz .LBB138_29
.LBB138_48:                             ;   in Loop: Header=BB138_9 Depth=1
	s_waitcnt lgkmcnt(0)
	ds_bpermute_b32 v15, v32, v20
	ds_bpermute_b32 v39, v32, v21
	s_waitcnt lgkmcnt(1)
	v_add_f32_e32 v15, v20, v15
	s_waitcnt lgkmcnt(0)
	v_add_f32_e32 v20, v21, v39
	ds_bpermute_b32 v21, v33, v15
	ds_bpermute_b32 v39, v33, v20
	s_waitcnt lgkmcnt(1)
	v_add_f32_e32 v15, v15, v21
	s_waitcnt lgkmcnt(0)
	v_add_f32_e32 v21, v20, v39
	;; [unrolled: 6-line block ×3, first 2 shown]
	s_or_b32 exec_lo, exec_lo, s24
	s_and_saveexec_b32 s24, s4
	s_cbranch_execnz .LBB138_30
	s_branch .LBB138_31
.LBB138_49:                             ;   in Loop: Header=BB138_9 Depth=1
	ds_read_b64 v[22:23], v35
	s_or_b32 exec_lo, exec_lo, s24
	s_and_saveexec_b32 s24, s4
	s_cbranch_execz .LBB138_35
.LBB138_50:                             ;   in Loop: Header=BB138_9 Depth=1
	s_waitcnt lgkmcnt(0)
	ds_bpermute_b32 v15, v32, v22
	ds_bpermute_b32 v39, v32, v23
	s_waitcnt lgkmcnt(1)
	v_add_f32_e32 v15, v22, v15
	s_waitcnt lgkmcnt(0)
	v_add_f32_e32 v22, v23, v39
	ds_bpermute_b32 v23, v33, v15
	ds_bpermute_b32 v39, v33, v22
	s_waitcnt lgkmcnt(1)
	v_add_f32_e32 v15, v15, v23
	s_waitcnt lgkmcnt(0)
	v_add_f32_e32 v23, v22, v39
	;; [unrolled: 6-line block ×3, first 2 shown]
	s_or_b32 exec_lo, exec_lo, s24
	s_and_saveexec_b32 s27, s10
	s_cbranch_execz .LBB138_8
.LBB138_51:                             ;   in Loop: Header=BB138_9 Depth=1
	v_mul_f32_e32 v15, s15, v17
	v_mul_f32_e32 v40, s14, v17
	s_mul_i32 s24, s39, s20
	v_mul_f32_e32 v17, s15, v21
	s_add_i32 s24, s24, s6
	v_fma_f32 v39, v16, s14, -v15
	s_lshl_b64 s[28:29], s[24:25], 3
	v_fmac_f32_e32 v40, s15, v16
	s_add_u32 s28, s40, s28
	s_addc_u32 s29, s11, s29
	s_add_i32 s24, s24, s20
	v_mul_f32_e32 v15, s15, v19
	global_store_dwordx2 v14, v[39:40], s[28:29]
	v_mul_f32_e32 v16, s14, v19
	s_lshl_b64 s[28:29], s[24:25], 3
	v_mul_f32_e32 v19, s14, v21
	s_add_u32 s28, s40, s28
	s_addc_u32 s29, s11, s29
	s_add_i32 s24, s24, s20
	v_fma_f32 v15, v18, s14, -v15
	v_fmac_f32_e32 v16, s15, v18
	v_fma_f32 v18, v20, s14, -v17
	s_waitcnt lgkmcnt(0)
	v_mul_f32_e32 v17, s15, v23
	s_lshl_b64 s[30:31], s[24:25], 3
	v_mul_f32_e32 v21, s14, v23
	s_add_u32 s30, s40, s30
	s_addc_u32 s31, s11, s31
	s_add_i32 s24, s24, s20
	v_fmac_f32_e32 v19, s15, v20
	v_fma_f32 v20, v22, s14, -v17
	v_fmac_f32_e32 v21, s15, v22
	s_lshl_b64 s[34:35], s[24:25], 3
	global_store_dwordx2 v14, v[15:16], s[28:29]
	s_add_u32 s28, s40, s34
	s_addc_u32 s29, s11, s35
	global_store_dwordx2 v14, v[18:19], s[30:31]
	global_store_dwordx2 v14, v[20:21], s[28:29]
	s_branch .LBB138_8
.LBB138_52:                             ;   in Loop: Header=BB138_9 Depth=1
	v_mov_b32_e32 v17, 0
	v_mov_b32_e32 v39, 0
	;; [unrolled: 1-line block ×8, first 2 shown]
.LBB138_53:                             ;   in Loop: Header=BB138_9 Depth=1
	s_or_b32 exec_lo, exec_lo, s47
	s_or_b32 exec_lo, exec_lo, s24
	s_and_saveexec_b32 s24, s4
	s_cbranch_execnz .LBB138_12
	s_branch .LBB138_13
.LBB138_54:
	s_mov_b32 s39, 0
.LBB138_55:
	s_cmp_ge_i32 s39, s13
	s_cbranch_scc1 .LBB138_77
; %bb.56:
	v_cmp_gt_u32_e64 s5, 24, v27
	s_cmp_gt_i32 s38, 0
	s_mov_b32 s7, 0
	s_cselect_b32 s26, -1, 0
	s_lshl_b64 s[24:25], s[6:7], 3
	v_cndmask_b32_e64 v2, 0, 8, s5
	v_cmp_gt_u32_e64 s5, 28, v27
	v_cmp_ge_i32_e64 s10, s12, v30
	s_add_u32 s7, s40, s24
	v_cmp_ge_i32_e32 vcc_lo, s12, v29
	v_add_lshl_u32 v16, v2, v27, 2
	v_cndmask_b32_e64 v5, 0, 4, s5
	v_cmp_gt_u32_e64 s5, 30, v27
	v_ashrrev_i32_e32 v2, 31, v1
	s_addc_u32 s12, s11, s25
	s_and_b32 s24, s26, s10
	v_add_lshl_u32 v17, v5, v27, 2
	v_cndmask_b32_e64 v6, 0, 2, s5
	v_cmp_ne_u32_e64 s5, 31, v27
	v_add_nc_u32_e32 v5, s37, v1
	v_lshlrev_b64 v[9:10], 3, v[1:2]
	v_cmp_gt_u32_e64 s4, 32, v0
	v_add_lshl_u32 v18, v6, v27, 2
	v_add_co_ci_u32_e64 v7, null, 0, v27, s5
	v_ashrrev_i32_e32 v6, 31, v5
	v_cmp_gt_u32_e64 s8, 8, v0
	v_cmp_eq_u32_e64 s9, 0, v0
	v_lshlrev_b32_e32 v19, 2, v7
	v_add_nc_u32_e32 v7, s37, v5
	v_lshlrev_b64 v[11:12], 3, v[5:6]
	v_add_co_u32 v5, s6, s33, v9
	v_add_co_ci_u32_e64 v6, null, s36, v10, s6
	v_ashrrev_i32_e32 v8, 31, v7
	v_add_nc_u32_e32 v21, s37, v7
	v_lshlrev_b32_e32 v14, 3, v26
	v_lshl_or_b32 v15, v27, 2, 64
	v_cmp_eq_u32_e64 s5, 0, v26
	v_lshlrev_b64 v[9:10], 3, v[7:8]
	v_add_co_u32 v7, s6, s33, v11
	s_waitcnt lgkmcnt(0)
	v_ashrrev_i32_e32 v22, 31, v21
	v_add_co_ci_u32_e64 v8, null, s36, v12, s6
	v_add_co_u32 v9, s6, s33, v9
	v_add_co_ci_u32_e64 v10, null, s36, v10, s6
	s_add_u32 s6, s22, s18
	v_lshlrev_b64 v[11:12], 3, v[21:22]
	s_addc_u32 s10, s23, s19
	s_add_u32 s6, s16, s6
	s_addc_u32 s10, s17, s10
	v_add_co_u32 v0, s6, s6, v3
	v_add_co_ci_u32_e64 v4, null, s10, v4, s6
	v_add_co_u32 v2, s6, s33, v11
	v_add_co_ci_u32_e64 v3, null, s36, v12, s6
	v_add_co_u32 v0, s6, v0, 4
	v_and_b32_e32 v20, 56, v28
	v_add_co_ci_u32_e64 v4, null, 0, v4, s6
	v_mov_b32_e32 v11, 0
	s_mul_i32 s10, s39, s21
	s_branch .LBB138_58
.LBB138_57:                             ;   in Loop: Header=BB138_58 Depth=1
	s_or_b32 exec_lo, exec_lo, s6
	s_add_i32 s39, s39, 1
	s_add_i32 s10, s10, s21
	s_cmp_lt_i32 s39, s13
	s_cbranch_scc0 .LBB138_77
.LBB138_58:                             ; =>This Loop Header: Depth=1
                                        ;     Child Loop BB138_70 Depth 2
                                        ;     Child Loop BB138_72 Depth 2
                                        ; implicit-def: $vgpr21
                                        ; implicit-def: $vgpr22
	s_and_saveexec_b32 s6, vcc_lo
	s_xor_b32 s11, exec_lo, s6
	s_cbranch_execnz .LBB138_67
; %bb.59:                               ;   in Loop: Header=BB138_58 Depth=1
	s_andn2_saveexec_b32 s16, s11
	s_cbranch_execnz .LBB138_68
.LBB138_60:                             ;   in Loop: Header=BB138_58 Depth=1
	s_or_b32 exec_lo, exec_lo, s16
	s_and_saveexec_b32 s6, s4
	s_cbranch_execz .LBB138_62
.LBB138_61:                             ;   in Loop: Header=BB138_58 Depth=1
	s_waitcnt lgkmcnt(0)
	v_mov_b32_e32 v12, v11
	ds_write_b64 v14, v[11:12]
.LBB138_62:                             ;   in Loop: Header=BB138_58 Depth=1
	s_or_b32 exec_lo, exec_lo, s6
	s_waitcnt lgkmcnt(0)
	ds_bpermute_b32 v12, v15, v21
	ds_bpermute_b32 v13, v15, v22
	s_waitcnt lgkmcnt(0)
	s_waitcnt_vscnt null, 0x0
	s_barrier
	buffer_gl0_inv
	v_add_f32_e32 v12, v21, v12
	v_add_f32_e32 v13, v22, v13
	ds_bpermute_b32 v21, v16, v12
	ds_bpermute_b32 v22, v16, v13
	s_waitcnt lgkmcnt(1)
	v_add_f32_e32 v12, v12, v21
	s_waitcnt lgkmcnt(0)
	v_add_f32_e32 v13, v13, v22
	ds_bpermute_b32 v21, v17, v12
	ds_bpermute_b32 v22, v17, v13
	s_waitcnt lgkmcnt(1)
	v_add_f32_e32 v12, v12, v21
	s_waitcnt lgkmcnt(0)
	;; [unrolled: 6-line block ×3, first 2 shown]
	v_add_f32_e32 v13, v13, v22
	ds_bpermute_b32 v21, v19, v12
	ds_bpermute_b32 v22, v19, v13
	s_and_saveexec_b32 s6, s5
	s_cbranch_execz .LBB138_64
; %bb.63:                               ;   in Loop: Header=BB138_58 Depth=1
	s_waitcnt lgkmcnt(0)
	v_add_f32_e32 v13, v13, v22
	v_add_f32_e32 v12, v12, v21
	ds_write_b64 v20, v[12:13]
.LBB138_64:                             ;   in Loop: Header=BB138_58 Depth=1
	s_or_b32 exec_lo, exec_lo, s6
	v_mov_b32_e32 v13, 0
	v_mov_b32_e32 v12, 0
	s_waitcnt lgkmcnt(0)
	s_barrier
	buffer_gl0_inv
	s_and_saveexec_b32 s6, s8
	s_cbranch_execnz .LBB138_74
; %bb.65:                               ;   in Loop: Header=BB138_58 Depth=1
	s_or_b32 exec_lo, exec_lo, s6
	s_and_saveexec_b32 s6, s4
	s_cbranch_execnz .LBB138_75
.LBB138_66:                             ;   in Loop: Header=BB138_58 Depth=1
	s_or_b32 exec_lo, exec_lo, s6
	s_and_saveexec_b32 s6, s9
	s_cbranch_execz .LBB138_57
	s_branch .LBB138_76
.LBB138_67:                             ;   in Loop: Header=BB138_58 Depth=1
	s_mul_i32 s16, s39, s21
	s_ashr_i32 s17, s16, 31
	s_lshl_b64 s[16:17], s[16:17], 3
	s_waitcnt lgkmcnt(0)
	v_add_co_u32 v12, s6, v24, s16
	v_add_co_ci_u32_e64 v13, null, s17, v25, s6
	global_load_dwordx4 v[26:29], v[12:13], off
	s_clause 0x1
	global_load_dwordx2 v[21:22], v[5:6], off
	global_load_dwordx2 v[34:35], v[7:8], off
	global_load_dwordx4 v[30:33], v[12:13], off offset:16
	s_clause 0x1
	global_load_dwordx2 v[12:13], v[9:10], off
	global_load_dwordx2 v[36:37], v[2:3], off
	s_waitcnt vmcnt(4)
	v_mul_f32_e32 v23, v27, v22
	v_mul_f32_e32 v27, v27, v21
	s_waitcnt vmcnt(3)
	v_mul_f32_e32 v38, v29, v35
	v_mul_f32_e32 v29, v29, v34
	s_waitcnt vmcnt(1)
	v_mul_f32_e32 v39, v31, v13
	v_fmac_f32_e32 v23, v26, v21
	v_fma_f32 v26, v26, v22, -v27
	v_mul_f32_e32 v31, v31, v12
	v_fmac_f32_e32 v38, v28, v34
	v_fma_f32 v28, v28, v35, -v29
	v_add_f32_e32 v23, 0, v23
	v_add_f32_e32 v26, 0, v26
	s_waitcnt vmcnt(0)
	v_mul_f32_e32 v27, v33, v37
	v_mul_f32_e32 v29, v33, v36
	v_fmac_f32_e32 v39, v30, v12
	v_fma_f32 v30, v30, v13, -v31
	v_add_f32_e32 v23, v23, v38
	v_add_f32_e32 v26, v26, v28
	buffer_store_dword v22, off, s[0:3], 0 offset:4
	v_fmac_f32_e32 v27, v32, v36
	v_fma_f32 v22, v32, v37, -v29
	v_add_f32_e32 v23, v23, v39
	v_add_f32_e32 v26, v26, v30
	buffer_store_dword v21, off, s[0:3], 0
	buffer_store_dword v35, off, s[0:3], 0 offset:12
	buffer_store_dword v34, off, s[0:3], 0 offset:8
	;; [unrolled: 1-line block ×6, first 2 shown]
	v_add_f32_e32 v21, v23, v27
	v_add_f32_e32 v22, v26, v22
	s_andn2_saveexec_b32 s16, s11
	s_cbranch_execz .LBB138_60
.LBB138_68:                             ;   in Loop: Header=BB138_58 Depth=1
	v_mov_b32_e32 v21, 0
	v_mov_b32_e32 v22, 0
	s_and_saveexec_b32 s17, s24
	s_cbranch_execz .LBB138_73
; %bb.69:                               ;   in Loop: Header=BB138_58 Depth=1
	s_waitcnt lgkmcnt(0)
	v_mov_b32_e32 v12, v1
	s_mov_b32 s11, 0
	s_mov_b32 s18, s38
	.p2align	6
.LBB138_70:                             ;   Parent Loop BB138_58 Depth=1
                                        ; =>  This Inner Loop Header: Depth=2
	v_ashrrev_i32_e32 v13, 31, v12
	s_add_i32 s18, s18, -1
	v_lshlrev_b64 v[21:22], 3, v[12:13]
	v_mov_b32_e32 v13, s11
	v_add_nc_u32_e32 v12, s37, v12
	s_add_i32 s11, s11, 8
	s_cmp_eq_u32 s18, 0
	v_add_co_u32 v21, s6, s33, v21
	v_add_co_ci_u32_e64 v22, null, s36, v22, s6
	global_load_dwordx2 v[21:22], v[21:22], off
	s_waitcnt vmcnt(0)
	buffer_store_dword v22, v13, s[0:3], 0 offen offset:4
	buffer_store_dword v21, v13, s[0:3], 0 offen
	s_cbranch_scc0 .LBB138_70
; %bb.71:                               ;   in Loop: Header=BB138_58 Depth=1
	s_ashr_i32 s11, s10, 31
	v_mov_b32_e32 v21, 0
	s_lshl_b64 s[18:19], s[10:11], 3
	v_mov_b32_e32 v22, 0
	v_add_co_u32 v12, s6, v0, s18
	v_add_co_ci_u32_e64 v13, null, s19, v4, s6
	s_mov_b32 s11, 0
	s_mov_b32 s18, s38
	.p2align	6
.LBB138_72:                             ;   Parent Loop BB138_58 Depth=1
                                        ; =>  This Inner Loop Header: Depth=2
	v_mov_b32_e32 v23, s11
	global_load_dwordx2 v[26:27], v[12:13], off offset:-4
	v_add_co_u32 v12, s6, v12, 8
	v_add_co_ci_u32_e64 v13, null, 0, v13, s6
	s_clause 0x1
	buffer_load_dword v28, v23, s[0:3], 0 offen offset:4
	buffer_load_dword v23, v23, s[0:3], 0 offen
	s_add_i32 s18, s18, -1
	s_add_i32 s11, s11, 8
	s_cmp_lg_u32 s18, 0
	s_waitcnt vmcnt(1)
	v_mul_f32_e32 v29, v27, v28
	s_waitcnt vmcnt(0)
	v_mul_f32_e32 v27, v27, v23
	v_fmac_f32_e32 v29, v26, v23
	v_fma_f32 v23, v26, v28, -v27
	v_add_f32_e32 v21, v21, v29
	v_add_f32_e32 v22, v22, v23
	s_cbranch_scc1 .LBB138_72
.LBB138_73:                             ;   in Loop: Header=BB138_58 Depth=1
	s_or_b32 exec_lo, exec_lo, s17
	s_or_b32 exec_lo, exec_lo, s16
	s_and_saveexec_b32 s6, s4
	s_cbranch_execnz .LBB138_61
	s_branch .LBB138_62
.LBB138_74:                             ;   in Loop: Header=BB138_58 Depth=1
	ds_read_b64 v[12:13], v14
	s_or_b32 exec_lo, exec_lo, s6
	s_and_saveexec_b32 s6, s4
	s_cbranch_execz .LBB138_66
.LBB138_75:                             ;   in Loop: Header=BB138_58 Depth=1
	s_waitcnt lgkmcnt(0)
	ds_bpermute_b32 v21, v17, v12
	ds_bpermute_b32 v22, v17, v13
	s_waitcnt lgkmcnt(1)
	v_add_f32_e32 v12, v12, v21
	s_waitcnt lgkmcnt(0)
	v_add_f32_e32 v13, v13, v22
	ds_bpermute_b32 v21, v18, v12
	ds_bpermute_b32 v22, v18, v13
	s_waitcnt lgkmcnt(1)
	v_add_f32_e32 v12, v12, v21
	s_waitcnt lgkmcnt(0)
	v_add_f32_e32 v13, v13, v22
	;; [unrolled: 6-line block ×3, first 2 shown]
	s_or_b32 exec_lo, exec_lo, s6
	s_and_saveexec_b32 s6, s9
	s_cbranch_execz .LBB138_57
.LBB138_76:                             ;   in Loop: Header=BB138_58 Depth=1
	s_waitcnt lgkmcnt(0)
	v_mul_f32_e32 v21, s15, v13
	v_mul_f32_e32 v22, s14, v13
	s_mul_hi_u32 s17, s39, s20
	s_mul_i32 s16, s39, s20
	s_lshl_b64 s[16:17], s[16:17], 3
	v_fma_f32 v21, v12, s14, -v21
	v_fmac_f32_e32 v22, s15, v12
	s_add_u32 s16, s7, s16
	s_addc_u32 s17, s12, s17
	global_store_dwordx2 v11, v[21:22], s[16:17]
	s_branch .LBB138_57
.LBB138_77:
	s_endpgm
	.section	.rodata,"a",@progbits
	.p2align	6, 0x0
	.amdhsa_kernel _ZL23rocblas_gemvt_sn_kernelILb1ELi256ELi4Ei19rocblas_complex_numIfES1_S1_EviiT4_lPKT3_lilS5_lilPT5_i
		.amdhsa_group_segment_fixed_size 256
		.amdhsa_private_segment_fixed_size 48
		.amdhsa_kernarg_size 360
		.amdhsa_user_sgpr_count 6
		.amdhsa_user_sgpr_private_segment_buffer 1
		.amdhsa_user_sgpr_dispatch_ptr 0
		.amdhsa_user_sgpr_queue_ptr 0
		.amdhsa_user_sgpr_kernarg_segment_ptr 1
		.amdhsa_user_sgpr_dispatch_id 0
		.amdhsa_user_sgpr_flat_scratch_init 0
		.amdhsa_user_sgpr_private_segment_size 0
		.amdhsa_wavefront_size32 1
		.amdhsa_uses_dynamic_stack 0
		.amdhsa_system_sgpr_private_segment_wavefront_offset 1
		.amdhsa_system_sgpr_workgroup_id_x 1
		.amdhsa_system_sgpr_workgroup_id_y 0
		.amdhsa_system_sgpr_workgroup_id_z 1
		.amdhsa_system_sgpr_workgroup_info 0
		.amdhsa_system_vgpr_workitem_id 0
		.amdhsa_next_free_vgpr 82
		.amdhsa_next_free_sgpr 56
		.amdhsa_reserve_vcc 1
		.amdhsa_reserve_flat_scratch 0
		.amdhsa_float_round_mode_32 0
		.amdhsa_float_round_mode_16_64 0
		.amdhsa_float_denorm_mode_32 3
		.amdhsa_float_denorm_mode_16_64 3
		.amdhsa_dx10_clamp 1
		.amdhsa_ieee_mode 1
		.amdhsa_fp16_overflow 0
		.amdhsa_workgroup_processor_mode 1
		.amdhsa_memory_ordered 1
		.amdhsa_forward_progress 1
		.amdhsa_shared_vgpr_count 0
		.amdhsa_exception_fp_ieee_invalid_op 0
		.amdhsa_exception_fp_denorm_src 0
		.amdhsa_exception_fp_ieee_div_zero 0
		.amdhsa_exception_fp_ieee_overflow 0
		.amdhsa_exception_fp_ieee_underflow 0
		.amdhsa_exception_fp_ieee_inexact 0
		.amdhsa_exception_int_div_zero 0
	.end_amdhsa_kernel
	.section	.text._ZL23rocblas_gemvt_sn_kernelILb1ELi256ELi4Ei19rocblas_complex_numIfES1_S1_EviiT4_lPKT3_lilS5_lilPT5_i,"axG",@progbits,_ZL23rocblas_gemvt_sn_kernelILb1ELi256ELi4Ei19rocblas_complex_numIfES1_S1_EviiT4_lPKT3_lilS5_lilPT5_i,comdat
.Lfunc_end138:
	.size	_ZL23rocblas_gemvt_sn_kernelILb1ELi256ELi4Ei19rocblas_complex_numIfES1_S1_EviiT4_lPKT3_lilS5_lilPT5_i, .Lfunc_end138-_ZL23rocblas_gemvt_sn_kernelILb1ELi256ELi4Ei19rocblas_complex_numIfES1_S1_EviiT4_lPKT3_lilS5_lilPT5_i
                                        ; -- End function
	.set _ZL23rocblas_gemvt_sn_kernelILb1ELi256ELi4Ei19rocblas_complex_numIfES1_S1_EviiT4_lPKT3_lilS5_lilPT5_i.num_vgpr, 82
	.set _ZL23rocblas_gemvt_sn_kernelILb1ELi256ELi4Ei19rocblas_complex_numIfES1_S1_EviiT4_lPKT3_lilS5_lilPT5_i.num_agpr, 0
	.set _ZL23rocblas_gemvt_sn_kernelILb1ELi256ELi4Ei19rocblas_complex_numIfES1_S1_EviiT4_lPKT3_lilS5_lilPT5_i.numbered_sgpr, 56
	.set _ZL23rocblas_gemvt_sn_kernelILb1ELi256ELi4Ei19rocblas_complex_numIfES1_S1_EviiT4_lPKT3_lilS5_lilPT5_i.num_named_barrier, 0
	.set _ZL23rocblas_gemvt_sn_kernelILb1ELi256ELi4Ei19rocblas_complex_numIfES1_S1_EviiT4_lPKT3_lilS5_lilPT5_i.private_seg_size, 48
	.set _ZL23rocblas_gemvt_sn_kernelILb1ELi256ELi4Ei19rocblas_complex_numIfES1_S1_EviiT4_lPKT3_lilS5_lilPT5_i.uses_vcc, 1
	.set _ZL23rocblas_gemvt_sn_kernelILb1ELi256ELi4Ei19rocblas_complex_numIfES1_S1_EviiT4_lPKT3_lilS5_lilPT5_i.uses_flat_scratch, 0
	.set _ZL23rocblas_gemvt_sn_kernelILb1ELi256ELi4Ei19rocblas_complex_numIfES1_S1_EviiT4_lPKT3_lilS5_lilPT5_i.has_dyn_sized_stack, 0
	.set _ZL23rocblas_gemvt_sn_kernelILb1ELi256ELi4Ei19rocblas_complex_numIfES1_S1_EviiT4_lPKT3_lilS5_lilPT5_i.has_recursion, 0
	.set _ZL23rocblas_gemvt_sn_kernelILb1ELi256ELi4Ei19rocblas_complex_numIfES1_S1_EviiT4_lPKT3_lilS5_lilPT5_i.has_indirect_call, 0
	.section	.AMDGPU.csdata,"",@progbits
; Kernel info:
; codeLenInByte = 5560
; TotalNumSgprs: 58
; NumVgprs: 82
; ScratchSize: 48
; MemoryBound: 0
; FloatMode: 240
; IeeeMode: 1
; LDSByteSize: 256 bytes/workgroup (compile time only)
; SGPRBlocks: 0
; VGPRBlocks: 10
; NumSGPRsForWavesPerEU: 58
; NumVGPRsForWavesPerEU: 82
; Occupancy: 10
; WaveLimiterHint : 1
; COMPUTE_PGM_RSRC2:SCRATCH_EN: 1
; COMPUTE_PGM_RSRC2:USER_SGPR: 6
; COMPUTE_PGM_RSRC2:TRAP_HANDLER: 0
; COMPUTE_PGM_RSRC2:TGID_X_EN: 1
; COMPUTE_PGM_RSRC2:TGID_Y_EN: 0
; COMPUTE_PGM_RSRC2:TGID_Z_EN: 1
; COMPUTE_PGM_RSRC2:TIDIG_COMP_CNT: 0
	.section	.text._ZL23rocblas_gemvt_sn_kernelILb1ELi256ELi4El19rocblas_complex_numIfES1_S1_EviiT4_lPKT3_lilS5_lilPT5_i,"axG",@progbits,_ZL23rocblas_gemvt_sn_kernelILb1ELi256ELi4El19rocblas_complex_numIfES1_S1_EviiT4_lPKT3_lilS5_lilPT5_i,comdat
	.globl	_ZL23rocblas_gemvt_sn_kernelILb1ELi256ELi4El19rocblas_complex_numIfES1_S1_EviiT4_lPKT3_lilS5_lilPT5_i ; -- Begin function _ZL23rocblas_gemvt_sn_kernelILb1ELi256ELi4El19rocblas_complex_numIfES1_S1_EviiT4_lPKT3_lilS5_lilPT5_i
	.p2align	8
	.type	_ZL23rocblas_gemvt_sn_kernelILb1ELi256ELi4El19rocblas_complex_numIfES1_S1_EviiT4_lPKT3_lilS5_lilPT5_i,@function
_ZL23rocblas_gemvt_sn_kernelILb1ELi256ELi4El19rocblas_complex_numIfES1_S1_EviiT4_lPKT3_lilS5_lilPT5_i: ; @_ZL23rocblas_gemvt_sn_kernelILb1ELi256ELi4El19rocblas_complex_numIfES1_S1_EviiT4_lPKT3_lilS5_lilPT5_i
; %bb.0:
	s_add_u32 s0, s0, s8
	s_clause 0x2
	s_load_dwordx4 s[12:15], s[4:5], 0x0
	s_load_dword s24, s[4:5], 0x68
	s_load_dwordx4 s[8:11], s[4:5], 0x50
	s_addc_u32 s1, s1, 0
	s_mov_b32 s25, 0
	v_cmp_eq_u32_e32 vcc_lo, 0, v0
	s_waitcnt lgkmcnt(0)
	s_ashr_i32 s38, s13, 31
	s_mul_hi_u32 s16, s13, s7
	s_mul_i32 s18, s38, s7
	s_mul_i32 s17, s13, s7
	s_add_i32 s16, s16, s18
	s_or_b32 s19, s14, s15
	s_mul_hi_u32 s18, s17, s24
	s_mul_i32 s16, s16, s24
	s_bitset0_b32 s19, 31
	s_add_i32 s37, s18, s16
	s_mul_i32 s36, s17, s24
	s_cmp_lg_u32 s19, 0
	s_mov_b32 s16, -1
	s_cbranch_scc1 .LBB139_5
; %bb.1:
	s_cmp_gt_i32 s13, 0
	s_cselect_b32 s16, -1, 0
	s_and_b32 s16, vcc_lo, s16
	s_and_saveexec_b32 s20, s16
	s_cbranch_execz .LBB139_4
; %bb.2:
	s_mov_b32 s16, s7
	s_mov_b32 s7, 0
	v_mov_b32_e32 v1, 0
	s_lshl_b64 s[18:19], s[36:37], 3
	s_lshl_b64 s[22:23], s[6:7], 3
	s_mov_b32 s7, s16
	s_add_u32 s16, s18, s22
	s_addc_u32 s17, s19, s23
	s_add_u32 s16, s10, s16
	v_mov_b32_e32 v2, v1
	s_addc_u32 s17, s11, s17
	s_add_u32 s16, s16, 4
	s_addc_u32 s17, s17, 0
	s_lshl_b64 s[18:19], s[24:25], 3
	s_mov_b32 s21, s13
.LBB139_3:                              ; =>This Inner Loop Header: Depth=1
	s_add_i32 s21, s21, -1
	global_store_dwordx2 v1, v[1:2], s[16:17] offset:-4
	s_add_u32 s16, s16, s18
	s_addc_u32 s17, s17, s19
	s_cmp_eq_u32 s21, 0
	s_cbranch_scc0 .LBB139_3
.LBB139_4:
	s_or_b32 exec_lo, exec_lo, s20
	s_mov_b32 s16, 0
.LBB139_5:
	s_andn2_b32 vcc_lo, exec_lo, s16
	s_cbranch_vccnz .LBB139_77
; %bb.6:
	s_clause 0x4
	s_load_dword s26, s[4:5], 0x28
	s_load_dword s28, s[4:5], 0x48
	s_load_dwordx4 s[20:23], s[4:5], 0x30
	s_load_dwordx2 s[34:35], s[4:5], 0x40
	s_load_dwordx4 s[16:19], s[4:5], 0x18
	s_mul_i32 s5, s9, s7
	s_mul_hi_u32 s9, s8, s7
	s_mul_i32 s4, s8, s7
	s_add_i32 s5, s9, s5
	v_and_b32_e32 v28, 31, v0
	s_lshl_b64 s[30:31], s[4:5], 3
	v_mbcnt_lo_u32_b32 v33, -1, 0
	v_lshrrev_b32_e32 v31, 2, v0
	s_waitcnt lgkmcnt(0)
	s_ashr_i32 s27, s26, 31
	s_ashr_i32 s29, s28, 31
	s_add_u32 s4, s22, s30
	s_addc_u32 s5, s23, s31
	s_lshl_b64 s[34:35], s[34:35], 3
	s_mul_i32 s9, s21, s7
	s_add_u32 s33, s4, s34
	s_addc_u32 s42, s5, s35
	s_lshl_b64 s[4:5], s[36:37], 3
	s_mul_hi_u32 s21, s20, s7
	s_add_u32 s43, s10, s4
	s_mul_i32 s8, s20, s7
	s_addc_u32 s44, s11, s5
	s_add_i32 s9, s21, s9
	v_cmp_gt_u32_e64 s4, 32, v0
	s_lshl_b64 s[20:21], s[8:9], 3
	v_cmp_gt_u32_e64 s5, 8, v0
	s_add_u32 s7, s16, s20
	s_addc_u32 s8, s17, s21
	s_lshl_b64 s[18:19], s[18:19], 3
	s_add_u32 s7, s7, s18
	s_addc_u32 s8, s8, s19
	s_lshl_b32 s9, s6, 10
	s_ashr_i32 s10, s12, 31
	v_lshl_or_b32 v5, v0, 2, s9
	s_lshr_b32 s9, s38, 30
	s_lshr_b32 s10, s10, 30
	s_add_i32 s9, s13, s9
	s_add_i32 s10, s12, s10
	v_ashrrev_i32_e32 v6, 31, v5
	s_and_b32 s45, s9, -4
	s_and_b32 s9, s10, -4
	v_add_nc_u32_e32 v34, 4, v5
	s_sub_i32 s25, s12, s9
	v_lshlrev_b64 v[3:4], 3, v[5:6]
	v_or_b32_e32 v32, 1, v5
	v_or_b32_e32 v30, 2, v5
	v_add_nc_u32_e32 v35, s25, v5
	v_or_b32_e32 v29, 3, v5
	s_cmp_lt_i32 s45, 1
	v_add_co_u32 v1, vcc_lo, s7, v3
	v_add_co_ci_u32_e64 v2, null, s8, v4, vcc_lo
	s_cbranch_scc1 .LBB139_54
; %bb.7:
	v_cmp_gt_u32_e32 vcc_lo, 24, v33
	v_mad_i64_i32 v[10:11], null, s28, v30, 0
	v_mad_i64_i32 v[12:13], null, s28, v29, 0
	v_cndmask_b32_e64 v6, 0, 8, vcc_lo
	v_cmp_gt_u32_e32 vcc_lo, 28, v33
	s_cmp_gt_i32 s25, 0
	s_mov_b32 s7, 0
	v_lshlrev_b64 v[10:11], 3, v[10:11]
	v_add_lshl_u32 v37, v6, v33, 2
	v_cndmask_b32_e64 v7, 0, 4, vcc_lo
	v_cmp_gt_u32_e32 vcc_lo, 30, v33
	s_cselect_b32 s46, -1, 0
	s_lshl_b64 s[36:37], s[6:7], 3
	v_lshlrev_b64 v[12:13], 3, v[12:13]
	v_add_lshl_u32 v38, v7, v33, 2
	v_cndmask_b32_e64 v8, 0, 2, vcc_lo
	v_cmp_ne_u32_e32 vcc_lo, 31, v33
	v_mad_i64_i32 v[6:7], null, s28, v5, 0
	s_add_u32 s47, s43, s36
	v_add_lshl_u32 v39, v8, v33, 2
	v_add_co_ci_u32_e64 v9, null, 0, v33, vcc_lo
	s_addc_u32 s48, s44, s37
	s_add_u32 s36, s22, s34
	v_lshlrev_b64 v[14:15], 3, v[6:7]
	v_lshlrev_b32_e32 v40, 2, v9
	v_mad_i64_i32 v[8:9], null, s28, v32, 0
	s_addc_u32 s37, s23, s35
	s_add_u32 s36, s36, s30
	v_add_co_u32 v6, vcc_lo, s33, v14
	v_add_co_ci_u32_e64 v7, null, s42, v15, vcc_lo
	v_lshlrev_b64 v[8:9], 3, v[8:9]
	s_addc_u32 s37, s37, s31
	v_mov_b32_e32 v19, v2
	v_cmp_ge_i32_e64 s8, s12, v34
	v_cmp_ge_i32_e64 s9, s12, v35
	v_lshl_or_b32 v36, v33, 2, 64
	v_add_co_u32 v8, vcc_lo, s33, v8
	v_add_co_ci_u32_e64 v9, null, s42, v9, vcc_lo
	v_add_co_u32 v10, vcc_lo, s33, v10
	v_add_co_ci_u32_e64 v11, null, s42, v11, vcc_lo
	;; [unrolled: 2-line block ×3, first 2 shown]
	v_add_co_u32 v14, vcc_lo, s36, v14
	v_cmp_eq_u32_e64 s10, 0, v28
	v_lshlrev_b32_e32 v41, 3, v28
	v_and_b32_e32 v42, 56, v31
	v_cmp_eq_u32_e64 s11, 0, v0
	v_add_co_ci_u32_e64 v15, null, s37, v15, vcc_lo
	v_mov_b32_e32 v16, 0
	v_mov_b32_e32 v18, v1
	s_lshl_b64 s[36:37], s[28:29], 3
	s_lshl_b64 s[38:39], s[26:27], 5
	;; [unrolled: 1-line block ×3, first 2 shown]
	s_branch .LBB139_9
.LBB139_8:                              ;   in Loop: Header=BB139_9 Depth=1
	s_or_b32 exec_lo, exec_lo, s49
	v_add_co_u32 v18, vcc_lo, v18, s38
	v_add_co_ci_u32_e64 v19, null, s39, v19, vcc_lo
	s_add_i32 s7, s7, 4
	s_cmp_ge_i32 s7, s45
	s_cbranch_scc1 .LBB139_55
.LBB139_9:                              ; =>This Loop Header: Depth=1
                                        ;     Child Loop BB139_40 Depth 2
                                        ;     Child Loop BB139_42 Depth 2
                                        ; implicit-def: $vgpr43
                                        ; implicit-def: $vgpr44
                                        ; implicit-def: $vgpr22
                                        ; implicit-def: $vgpr23
                                        ; implicit-def: $vgpr24
                                        ; implicit-def: $vgpr25
                                        ; implicit-def: $vgpr27
                                        ; implicit-def: $vgpr26
	s_and_saveexec_b32 s49, s8
	s_xor_b32 s49, exec_lo, s49
	s_cbranch_execnz .LBB139_36
; %bb.10:                               ;   in Loop: Header=BB139_9 Depth=1
	s_andn2_saveexec_b32 s49, s49
	s_cbranch_execnz .LBB139_37
.LBB139_11:                             ;   in Loop: Header=BB139_9 Depth=1
	s_or_b32 exec_lo, exec_lo, s49
	s_and_saveexec_b32 s49, s4
.LBB139_12:                             ;   in Loop: Header=BB139_9 Depth=1
	v_mov_b32_e32 v17, v16
	ds_write_b64 v41, v[16:17]
.LBB139_13:                             ;   in Loop: Header=BB139_9 Depth=1
	s_or_b32 exec_lo, exec_lo, s49
	ds_bpermute_b32 v17, v36, v43
	ds_bpermute_b32 v20, v36, v44
	s_waitcnt lgkmcnt(0)
	s_waitcnt_vscnt null, 0x0
	s_barrier
	buffer_gl0_inv
	v_add_f32_e32 v17, v43, v17
	v_add_f32_e32 v20, v44, v20
	ds_bpermute_b32 v21, v37, v17
	ds_bpermute_b32 v43, v37, v20
	s_waitcnt lgkmcnt(1)
	v_add_f32_e32 v17, v17, v21
	s_waitcnt lgkmcnt(0)
	v_add_f32_e32 v20, v20, v43
	ds_bpermute_b32 v21, v38, v17
	ds_bpermute_b32 v43, v38, v20
	s_waitcnt lgkmcnt(1)
	v_add_f32_e32 v17, v17, v21
	s_waitcnt lgkmcnt(0)
	;; [unrolled: 6-line block ×3, first 2 shown]
	v_add_f32_e32 v20, v20, v43
	ds_bpermute_b32 v21, v40, v17
	ds_bpermute_b32 v43, v40, v20
	s_and_saveexec_b32 s49, s10
	s_cbranch_execz .LBB139_15
; %bb.14:                               ;   in Loop: Header=BB139_9 Depth=1
	s_waitcnt lgkmcnt(0)
	v_add_f32_e32 v44, v20, v43
	v_add_f32_e32 v43, v17, v21
	ds_write_b64 v42, v[43:44]
.LBB139_15:                             ;   in Loop: Header=BB139_9 Depth=1
	s_or_b32 exec_lo, exec_lo, s49
	s_waitcnt lgkmcnt(1)
	v_mov_b32_e32 v21, 0
	v_mov_b32_e32 v20, 0
	s_waitcnt lgkmcnt(0)
	s_barrier
	buffer_gl0_inv
	s_and_saveexec_b32 s49, s5
	s_cbranch_execnz .LBB139_43
; %bb.16:                               ;   in Loop: Header=BB139_9 Depth=1
	s_or_b32 exec_lo, exec_lo, s49
	s_and_saveexec_b32 s49, s4
	s_cbranch_execnz .LBB139_44
.LBB139_17:                             ;   in Loop: Header=BB139_9 Depth=1
	s_or_b32 exec_lo, exec_lo, s49
	s_and_saveexec_b32 s49, s4
.LBB139_18:                             ;   in Loop: Header=BB139_9 Depth=1
	v_mov_b32_e32 v17, v16
	ds_write_b64 v41, v[16:17]
.LBB139_19:                             ;   in Loop: Header=BB139_9 Depth=1
	s_or_b32 exec_lo, exec_lo, s49
	ds_bpermute_b32 v17, v36, v22
	ds_bpermute_b32 v43, v36, v23
	s_waitcnt lgkmcnt(0)
	s_barrier
	buffer_gl0_inv
	v_add_f32_e32 v17, v22, v17
	v_add_f32_e32 v22, v23, v43
	ds_bpermute_b32 v23, v37, v17
	ds_bpermute_b32 v43, v37, v22
	s_waitcnt lgkmcnt(1)
	v_add_f32_e32 v17, v17, v23
	s_waitcnt lgkmcnt(0)
	v_add_f32_e32 v22, v22, v43
	ds_bpermute_b32 v23, v38, v17
	ds_bpermute_b32 v43, v38, v22
	s_waitcnt lgkmcnt(1)
	v_add_f32_e32 v17, v17, v23
	s_waitcnt lgkmcnt(0)
	;; [unrolled: 6-line block ×3, first 2 shown]
	v_add_f32_e32 v22, v22, v43
	ds_bpermute_b32 v23, v40, v17
	ds_bpermute_b32 v43, v40, v22
	s_and_saveexec_b32 s49, s10
	s_cbranch_execz .LBB139_21
; %bb.20:                               ;   in Loop: Header=BB139_9 Depth=1
	s_waitcnt lgkmcnt(0)
	v_add_f32_e32 v44, v22, v43
	v_add_f32_e32 v43, v17, v23
	ds_write_b64 v42, v[43:44]
.LBB139_21:                             ;   in Loop: Header=BB139_9 Depth=1
	s_or_b32 exec_lo, exec_lo, s49
	s_waitcnt lgkmcnt(1)
	v_mov_b32_e32 v23, 0
	v_mov_b32_e32 v22, 0
	s_waitcnt lgkmcnt(0)
	s_barrier
	buffer_gl0_inv
	s_and_saveexec_b32 s49, s5
	s_cbranch_execnz .LBB139_45
; %bb.22:                               ;   in Loop: Header=BB139_9 Depth=1
	s_or_b32 exec_lo, exec_lo, s49
	s_and_saveexec_b32 s49, s4
	s_cbranch_execnz .LBB139_46
.LBB139_23:                             ;   in Loop: Header=BB139_9 Depth=1
	s_or_b32 exec_lo, exec_lo, s49
	s_and_saveexec_b32 s49, s4
.LBB139_24:                             ;   in Loop: Header=BB139_9 Depth=1
	v_mov_b32_e32 v17, v16
	ds_write_b64 v41, v[16:17]
.LBB139_25:                             ;   in Loop: Header=BB139_9 Depth=1
	s_or_b32 exec_lo, exec_lo, s49
	ds_bpermute_b32 v17, v36, v24
	ds_bpermute_b32 v43, v36, v25
	s_waitcnt lgkmcnt(0)
	s_barrier
	buffer_gl0_inv
	v_add_f32_e32 v17, v24, v17
	v_add_f32_e32 v24, v25, v43
	ds_bpermute_b32 v25, v37, v17
	ds_bpermute_b32 v43, v37, v24
	s_waitcnt lgkmcnt(1)
	v_add_f32_e32 v17, v17, v25
	s_waitcnt lgkmcnt(0)
	v_add_f32_e32 v24, v24, v43
	ds_bpermute_b32 v25, v38, v17
	ds_bpermute_b32 v43, v38, v24
	s_waitcnt lgkmcnt(1)
	v_add_f32_e32 v17, v17, v25
	s_waitcnt lgkmcnt(0)
	;; [unrolled: 6-line block ×3, first 2 shown]
	v_add_f32_e32 v24, v24, v43
	ds_bpermute_b32 v25, v40, v17
	ds_bpermute_b32 v43, v40, v24
	s_and_saveexec_b32 s49, s10
	s_cbranch_execz .LBB139_27
; %bb.26:                               ;   in Loop: Header=BB139_9 Depth=1
	s_waitcnt lgkmcnt(0)
	v_add_f32_e32 v44, v24, v43
	v_add_f32_e32 v43, v17, v25
	ds_write_b64 v42, v[43:44]
.LBB139_27:                             ;   in Loop: Header=BB139_9 Depth=1
	s_or_b32 exec_lo, exec_lo, s49
	s_waitcnt lgkmcnt(1)
	v_mov_b32_e32 v25, 0
	v_mov_b32_e32 v24, 0
	s_waitcnt lgkmcnt(0)
	s_barrier
	buffer_gl0_inv
	s_and_saveexec_b32 s49, s5
	s_cbranch_execnz .LBB139_47
; %bb.28:                               ;   in Loop: Header=BB139_9 Depth=1
	s_or_b32 exec_lo, exec_lo, s49
	s_and_saveexec_b32 s49, s4
	s_cbranch_execnz .LBB139_48
.LBB139_29:                             ;   in Loop: Header=BB139_9 Depth=1
	s_or_b32 exec_lo, exec_lo, s49
	s_and_saveexec_b32 s49, s4
.LBB139_30:                             ;   in Loop: Header=BB139_9 Depth=1
	v_mov_b32_e32 v17, v16
	ds_write_b64 v41, v[16:17]
.LBB139_31:                             ;   in Loop: Header=BB139_9 Depth=1
	s_or_b32 exec_lo, exec_lo, s49
	ds_bpermute_b32 v17, v36, v27
	ds_bpermute_b32 v43, v36, v26
	s_waitcnt lgkmcnt(0)
	s_barrier
	buffer_gl0_inv
	v_add_f32_e32 v17, v27, v17
	v_add_f32_e32 v26, v26, v43
	ds_bpermute_b32 v27, v37, v17
	ds_bpermute_b32 v43, v37, v26
	s_waitcnt lgkmcnt(1)
	v_add_f32_e32 v17, v17, v27
	s_waitcnt lgkmcnt(0)
	v_add_f32_e32 v26, v26, v43
	ds_bpermute_b32 v27, v38, v17
	ds_bpermute_b32 v43, v38, v26
	s_waitcnt lgkmcnt(1)
	v_add_f32_e32 v17, v17, v27
	s_waitcnt lgkmcnt(0)
	;; [unrolled: 6-line block ×3, first 2 shown]
	v_add_f32_e32 v26, v26, v43
	ds_bpermute_b32 v27, v40, v17
	ds_bpermute_b32 v43, v40, v26
	s_and_saveexec_b32 s49, s10
	s_cbranch_execz .LBB139_33
; %bb.32:                               ;   in Loop: Header=BB139_9 Depth=1
	s_waitcnt lgkmcnt(0)
	v_add_f32_e32 v44, v26, v43
	v_add_f32_e32 v43, v17, v27
	ds_write_b64 v42, v[43:44]
.LBB139_33:                             ;   in Loop: Header=BB139_9 Depth=1
	s_or_b32 exec_lo, exec_lo, s49
	s_waitcnt lgkmcnt(1)
	v_mov_b32_e32 v27, 0
	v_mov_b32_e32 v26, 0
	s_waitcnt lgkmcnt(0)
	s_barrier
	buffer_gl0_inv
	s_and_saveexec_b32 s49, s5
	s_cbranch_execnz .LBB139_49
; %bb.34:                               ;   in Loop: Header=BB139_9 Depth=1
	s_or_b32 exec_lo, exec_lo, s49
	s_and_saveexec_b32 s49, s4
	s_cbranch_execnz .LBB139_50
.LBB139_35:                             ;   in Loop: Header=BB139_9 Depth=1
	s_or_b32 exec_lo, exec_lo, s49
	s_and_saveexec_b32 s49, s11
	s_cbranch_execz .LBB139_8
	s_branch .LBB139_51
.LBB139_36:                             ;   in Loop: Header=BB139_9 Depth=1
	s_mul_i32 s50, s7, s27
	s_mul_hi_u32 s51, s7, s26
	s_or_b32 s52, s7, 1
	s_add_i32 s51, s51, s50
	s_mul_i32 s50, s7, s26
	s_mul_i32 s53, s52, s27
	s_mul_hi_u32 s54, s52, s26
	s_lshl_b64 s[50:51], s[50:51], 3
	s_add_i32 s53, s54, s53
	s_mul_i32 s52, s52, s26
	v_add_co_u32 v24, vcc_lo, v1, s50
	v_add_co_ci_u32_e64 v25, null, s51, v2, vcc_lo
	s_lshl_b64 s[50:51], s[52:53], 3
	s_or_b32 s52, s7, 2
	v_add_co_u32 v55, vcc_lo, v1, s50
	v_add_co_ci_u32_e64 v56, null, s51, v2, vcc_lo
	s_mul_i32 s50, s52, s27
	s_mul_hi_u32 s51, s52, s26
	s_clause 0x3
	global_load_dwordx2 v[67:68], v[6:7], off
	global_load_dwordx2 v[69:70], v[8:9], off
	;; [unrolled: 1-line block ×4, first 2 shown]
	s_add_i32 s51, s51, s50
	s_mul_i32 s50, s52, s26
	s_or_b32 s52, s7, 3
	s_lshl_b64 s[50:51], s[50:51], 3
	s_mul_i32 s53, s52, s27
	s_mul_hi_u32 s54, s52, s26
	s_mul_i32 s52, s52, s26
	s_add_i32 s53, s54, s53
	v_add_co_u32 v59, vcc_lo, v1, s50
	v_add_co_ci_u32_e64 v60, null, s51, v2, vcc_lo
	s_lshl_b64 s[50:51], s[52:53], 3
	global_load_dwordx4 v[20:23], v[24:25], off offset:16
	s_waitcnt lgkmcnt(0)
	global_load_dwordx4 v[24:27], v[24:25], off
	v_add_co_u32 v63, vcc_lo, v1, s50
	v_add_co_ci_u32_e64 v64, null, s51, v2, vcc_lo
	s_clause 0x5
	global_load_dwordx4 v[43:46], v[55:56], off
	global_load_dwordx4 v[47:50], v[59:60], off
	;; [unrolled: 1-line block ×3, first 2 shown]
	global_load_dwordx4 v[55:58], v[55:56], off offset:16
	global_load_dwordx4 v[59:62], v[59:60], off offset:16
	;; [unrolled: 1-line block ×3, first 2 shown]
	s_waitcnt vmcnt(11)
	buffer_store_dword v68, off, s[0:3], 0 offset:4
	buffer_store_dword v67, off, s[0:3], 0
	s_waitcnt vmcnt(10)
	buffer_store_dword v70, off, s[0:3], 0 offset:12
	buffer_store_dword v69, off, s[0:3], 0 offset:8
	s_waitcnt vmcnt(9)
	buffer_store_dword v72, off, s[0:3], 0 offset:20
	buffer_store_dword v71, off, s[0:3], 0 offset:16
	;; [unrolled: 3-line block ×3, first 2 shown]
	s_waitcnt vmcnt(7)
	v_mul_f32_e32 v76, v72, v21
	s_waitcnt vmcnt(6)
	v_mul_f32_e32 v17, v25, v68
	v_mul_f32_e32 v25, v25, v67
	;; [unrolled: 1-line block ×5, first 2 shown]
	s_waitcnt vmcnt(5)
	v_mul_f32_e32 v78, v44, v68
	v_mul_f32_e32 v44, v44, v67
	s_waitcnt vmcnt(4)
	v_mul_f32_e32 v79, v48, v68
	v_mul_f32_e32 v80, v46, v70
	;; [unrolled: 1-line block ×4, first 2 shown]
	s_waitcnt vmcnt(3)
	v_mul_f32_e32 v81, v52, v68
	v_mul_f32_e32 v52, v52, v67
	;; [unrolled: 1-line block ×8, first 2 shown]
	v_fmac_f32_e32 v17, v24, v67
	v_fma_f32 v24, v24, v68, -v25
	v_fmac_f32_e32 v76, v71, v20
	v_fma_f32 v20, v72, v20, -v21
	;; [unrolled: 2-line block ×3, first 2 shown]
	s_waitcnt vmcnt(0)
	v_mul_f32_e32 v22, v73, v66
	v_fmac_f32_e32 v78, v43, v67
	v_fma_f32 v23, v43, v68, -v44
	v_fma_f32 v43, v45, v70, -v46
	v_fmac_f32_e32 v79, v47, v67
	v_fma_f32 v44, v47, v68, -v48
	v_fmac_f32_e32 v81, v51, v67
	v_fma_f32 v46, v51, v68, -v52
	v_mul_f32_e32 v84, v72, v56
	v_mul_f32_e32 v56, v71, v56
	;; [unrolled: 1-line block ×6, first 2 shown]
	v_fmac_f32_e32 v75, v26, v69
	v_fma_f32 v25, v26, v70, -v27
	v_fmac_f32_e32 v80, v45, v69
	v_fmac_f32_e32 v82, v49, v69
	v_fma_f32 v45, v49, v70, -v50
	v_fmac_f32_e32 v83, v53, v69
	v_fma_f32 v47, v53, v70, -v54
	v_fma_f32 v52, v74, v65, -v22
	v_add_f32_e32 v17, 0, v17
	v_add_f32_e32 v22, 0, v24
	;; [unrolled: 1-line block ×8, first 2 shown]
	v_mul_f32_e32 v26, v74, v58
	v_mul_f32_e32 v27, v73, v58
	v_mul_f32_e32 v58, v74, v62
	v_mul_f32_e32 v62, v73, v62
	v_mul_f32_e32 v87, v74, v66
	v_fmac_f32_e32 v84, v71, v55
	v_fma_f32 v48, v72, v55, -v56
	v_fmac_f32_e32 v85, v71, v59
	v_fma_f32 v49, v72, v59, -v60
	;; [unrolled: 2-line block ×3, first 2 shown]
	v_add_f32_e32 v17, v17, v75
	v_add_f32_e32 v22, v22, v25
	;; [unrolled: 1-line block ×8, first 2 shown]
	v_fmac_f32_e32 v26, v73, v57
	v_fma_f32 v27, v74, v57, -v27
	v_fmac_f32_e32 v58, v73, v61
	v_fma_f32 v51, v74, v61, -v62
	v_fmac_f32_e32 v87, v73, v65
	v_add_f32_e32 v17, v17, v76
	v_add_f32_e32 v20, v22, v20
	;; [unrolled: 1-line block ×16, first 2 shown]
	s_andn2_saveexec_b32 s49, s49
	s_cbranch_execz .LBB139_11
.LBB139_37:                             ;   in Loop: Header=BB139_9 Depth=1
	v_mov_b32_e32 v43, 0
	v_mov_b32_e32 v44, 0
	;; [unrolled: 1-line block ×6, first 2 shown]
	s_waitcnt lgkmcnt(0)
	v_mov_b32_e32 v27, 0
	v_mov_b32_e32 v26, 0
	s_and_saveexec_b32 s50, s9
	s_cbranch_execz .LBB139_53
; %bb.38:                               ;   in Loop: Header=BB139_9 Depth=1
	s_andn2_b32 vcc_lo, exec_lo, s46
	s_cbranch_vccnz .LBB139_52
; %bb.39:                               ;   in Loop: Header=BB139_9 Depth=1
	v_mov_b32_e32 v21, v15
	v_mov_b32_e32 v20, v14
	s_mov_b32 s51, 0
	s_mov_b32 s52, s25
.LBB139_40:                             ;   Parent Loop BB139_9 Depth=1
                                        ; =>  This Inner Loop Header: Depth=2
	global_load_dwordx2 v[22:23], v[20:21], off
	v_add_co_u32 v20, vcc_lo, v20, s36
	v_mov_b32_e32 v17, s51
	v_add_co_ci_u32_e64 v21, null, s37, v21, vcc_lo
	s_add_i32 s52, s52, -1
	s_add_i32 s51, s51, 8
	s_cmp_eq_u32 s52, 0
	s_waitcnt vmcnt(0)
	buffer_store_dword v23, v17, s[0:3], 0 offen offset:4
	buffer_store_dword v22, v17, s[0:3], 0 offen
	s_cbranch_scc0 .LBB139_40
; %bb.41:                               ;   in Loop: Header=BB139_9 Depth=1
	v_mov_b32_e32 v21, v19
	v_mov_b32_e32 v26, 0
	;; [unrolled: 1-line block ×10, first 2 shown]
	s_mov_b32 s51, 0
	s_mov_b32 s52, s25
.LBB139_42:                             ;   Parent Loop BB139_9 Depth=1
                                        ; =>  This Inner Loop Header: Depth=2
	v_add_co_u32 v45, vcc_lo, v20, s40
	v_mov_b32_e32 v17, s51
	v_add_co_ci_u32_e64 v46, null, s41, v21, vcc_lo
	global_load_dwordx2 v[47:48], v[20:21], off
	s_clause 0x1
	buffer_load_dword v53, v17, s[0:3], 0 offen
	buffer_load_dword v17, v17, s[0:3], 0 offen offset:4
	global_load_dwordx2 v[49:50], v[45:46], off
	v_add_co_u32 v45, vcc_lo, v45, s40
	v_add_co_ci_u32_e64 v46, null, s41, v46, vcc_lo
	s_add_i32 s52, s52, -1
	v_add_co_u32 v51, vcc_lo, v45, s40
	v_add_co_ci_u32_e64 v52, null, s41, v46, vcc_lo
	s_clause 0x1
	global_load_dwordx2 v[45:46], v[45:46], off
	global_load_dwordx2 v[51:52], v[51:52], off
	v_add_co_u32 v20, vcc_lo, v20, 8
	v_add_co_ci_u32_e64 v21, null, 0, v21, vcc_lo
	s_add_i32 s51, s51, 8
	s_cmp_lg_u32 s52, 0
	s_waitcnt vmcnt(3)
	v_mul_f32_e32 v54, v17, v48
	v_mul_f32_e32 v48, v53, v48
	s_waitcnt vmcnt(2)
	v_mul_f32_e32 v55, v17, v50
	v_mul_f32_e32 v50, v53, v50
	v_fmac_f32_e32 v54, v53, v47
	v_fma_f32 v47, v17, v47, -v48
	v_fmac_f32_e32 v55, v53, v49
	v_fma_f32 v48, v17, v49, -v50
	v_add_f32_e32 v43, v43, v54
	v_add_f32_e32 v44, v44, v47
	s_waitcnt vmcnt(1)
	v_mul_f32_e32 v49, v17, v46
	v_mul_f32_e32 v46, v53, v46
	s_waitcnt vmcnt(0)
	v_mul_f32_e32 v47, v17, v52
	v_mul_f32_e32 v50, v53, v52
	v_add_f32_e32 v22, v22, v55
	v_fmac_f32_e32 v49, v53, v45
	v_fma_f32 v45, v17, v45, -v46
	v_fmac_f32_e32 v47, v53, v51
	v_fma_f32 v17, v17, v51, -v50
	v_add_f32_e32 v23, v23, v48
	v_add_f32_e32 v24, v24, v49
	;; [unrolled: 1-line block ×5, first 2 shown]
	s_cbranch_scc1 .LBB139_42
	s_branch .LBB139_53
.LBB139_43:                             ;   in Loop: Header=BB139_9 Depth=1
	ds_read_b64 v[20:21], v41
	s_or_b32 exec_lo, exec_lo, s49
	s_and_saveexec_b32 s49, s4
	s_cbranch_execz .LBB139_17
.LBB139_44:                             ;   in Loop: Header=BB139_9 Depth=1
	s_waitcnt lgkmcnt(0)
	ds_bpermute_b32 v17, v38, v20
	ds_bpermute_b32 v43, v38, v21
	s_waitcnt lgkmcnt(1)
	v_add_f32_e32 v17, v20, v17
	s_waitcnt lgkmcnt(0)
	v_add_f32_e32 v20, v21, v43
	ds_bpermute_b32 v21, v39, v17
	ds_bpermute_b32 v43, v39, v20
	s_waitcnt lgkmcnt(1)
	v_add_f32_e32 v17, v17, v21
	s_waitcnt lgkmcnt(0)
	v_add_f32_e32 v21, v20, v43
	;; [unrolled: 6-line block ×3, first 2 shown]
	s_or_b32 exec_lo, exec_lo, s49
	s_and_saveexec_b32 s49, s4
	s_cbranch_execnz .LBB139_18
	s_branch .LBB139_19
.LBB139_45:                             ;   in Loop: Header=BB139_9 Depth=1
	ds_read_b64 v[22:23], v41
	s_or_b32 exec_lo, exec_lo, s49
	s_and_saveexec_b32 s49, s4
	s_cbranch_execz .LBB139_23
.LBB139_46:                             ;   in Loop: Header=BB139_9 Depth=1
	s_waitcnt lgkmcnt(0)
	ds_bpermute_b32 v17, v38, v22
	ds_bpermute_b32 v43, v38, v23
	s_waitcnt lgkmcnt(1)
	v_add_f32_e32 v17, v22, v17
	s_waitcnt lgkmcnt(0)
	v_add_f32_e32 v22, v23, v43
	ds_bpermute_b32 v23, v39, v17
	ds_bpermute_b32 v43, v39, v22
	s_waitcnt lgkmcnt(1)
	v_add_f32_e32 v17, v17, v23
	s_waitcnt lgkmcnt(0)
	v_add_f32_e32 v23, v22, v43
	;; [unrolled: 6-line block ×3, first 2 shown]
	s_or_b32 exec_lo, exec_lo, s49
	s_and_saveexec_b32 s49, s4
	s_cbranch_execnz .LBB139_24
	s_branch .LBB139_25
.LBB139_47:                             ;   in Loop: Header=BB139_9 Depth=1
	ds_read_b64 v[24:25], v41
	s_or_b32 exec_lo, exec_lo, s49
	s_and_saveexec_b32 s49, s4
	s_cbranch_execz .LBB139_29
.LBB139_48:                             ;   in Loop: Header=BB139_9 Depth=1
	s_waitcnt lgkmcnt(0)
	ds_bpermute_b32 v17, v38, v24
	ds_bpermute_b32 v43, v38, v25
	s_waitcnt lgkmcnt(1)
	v_add_f32_e32 v17, v24, v17
	s_waitcnt lgkmcnt(0)
	v_add_f32_e32 v24, v25, v43
	ds_bpermute_b32 v25, v39, v17
	ds_bpermute_b32 v43, v39, v24
	s_waitcnt lgkmcnt(1)
	v_add_f32_e32 v17, v17, v25
	s_waitcnt lgkmcnt(0)
	v_add_f32_e32 v25, v24, v43
	;; [unrolled: 6-line block ×3, first 2 shown]
	s_or_b32 exec_lo, exec_lo, s49
	s_and_saveexec_b32 s49, s4
	s_cbranch_execnz .LBB139_30
	s_branch .LBB139_31
.LBB139_49:                             ;   in Loop: Header=BB139_9 Depth=1
	ds_read_b64 v[26:27], v41
	s_or_b32 exec_lo, exec_lo, s49
	s_and_saveexec_b32 s49, s4
	s_cbranch_execz .LBB139_35
.LBB139_50:                             ;   in Loop: Header=BB139_9 Depth=1
	s_waitcnt lgkmcnt(0)
	ds_bpermute_b32 v17, v38, v26
	ds_bpermute_b32 v43, v38, v27
	s_waitcnt lgkmcnt(1)
	v_add_f32_e32 v17, v26, v17
	s_waitcnt lgkmcnt(0)
	v_add_f32_e32 v26, v27, v43
	ds_bpermute_b32 v27, v39, v17
	ds_bpermute_b32 v43, v39, v26
	s_waitcnt lgkmcnt(1)
	v_add_f32_e32 v17, v17, v27
	s_waitcnt lgkmcnt(0)
	v_add_f32_e32 v27, v26, v43
	;; [unrolled: 6-line block ×3, first 2 shown]
	s_or_b32 exec_lo, exec_lo, s49
	s_and_saveexec_b32 s49, s11
	s_cbranch_execz .LBB139_8
.LBB139_51:                             ;   in Loop: Header=BB139_9 Depth=1
	v_mul_f32_e32 v17, s15, v21
	v_mul_f32_e32 v44, s14, v21
	s_mul_hi_u32 s51, s7, s24
	s_mul_i32 s50, s7, s24
	v_mul_f32_e32 v21, s14, v23
	s_lshl_b64 s[50:51], s[50:51], 3
	v_fma_f32 v43, v20, s14, -v17
	v_fmac_f32_e32 v44, s15, v20
	s_add_u32 s50, s47, s50
	s_addc_u32 s51, s48, s51
	v_mul_f32_e32 v17, s15, v23
	v_mul_f32_e32 v23, s14, v25
	global_store_dwordx2 v16, v[43:44], s[50:51]
	s_or_b32 s50, s7, 1
	v_fmac_f32_e32 v21, s15, v22
	s_mul_hi_u32 s51, s50, s24
	s_mul_i32 s50, s50, s24
	v_fma_f32 v20, v22, s14, -v17
	s_lshl_b64 s[50:51], s[50:51], 3
	v_mul_f32_e32 v17, s15, v25
	s_add_u32 s50, s47, s50
	s_addc_u32 s51, s48, s51
	s_or_b32 s52, s7, 2
	s_waitcnt lgkmcnt(0)
	v_mul_f32_e32 v25, s14, v27
	s_mul_hi_u32 s53, s52, s24
	s_mul_i32 s52, s52, s24
	v_fma_f32 v22, v24, s14, -v17
	s_lshl_b64 s[52:53], s[52:53], 3
	v_mul_f32_e32 v17, s15, v27
	s_add_u32 s52, s47, s52
	s_addc_u32 s53, s48, s53
	s_or_b32 s54, s7, 3
	v_fmac_f32_e32 v23, s15, v24
	s_mul_hi_u32 s55, s54, s24
	s_mul_i32 s54, s54, s24
	v_fma_f32 v24, v26, s14, -v17
	v_fmac_f32_e32 v25, s15, v26
	s_lshl_b64 s[54:55], s[54:55], 3
	global_store_dwordx2 v16, v[20:21], s[50:51]
	s_add_u32 s50, s47, s54
	s_addc_u32 s51, s48, s55
	global_store_dwordx2 v16, v[22:23], s[52:53]
	global_store_dwordx2 v16, v[24:25], s[50:51]
	s_branch .LBB139_8
.LBB139_52:                             ;   in Loop: Header=BB139_9 Depth=1
	v_mov_b32_e32 v43, 0
	v_mov_b32_e32 v44, 0
	;; [unrolled: 1-line block ×8, first 2 shown]
.LBB139_53:                             ;   in Loop: Header=BB139_9 Depth=1
	s_or_b32 exec_lo, exec_lo, s50
	s_or_b32 exec_lo, exec_lo, s49
	s_and_saveexec_b32 s49, s4
	s_cbranch_execnz .LBB139_12
	s_branch .LBB139_13
.LBB139_54:
	s_mov_b32 s7, 0
.LBB139_55:
	s_cmp_ge_i32 s7, s13
	s_cbranch_scc1 .LBB139_77
; %bb.56:
	v_cmp_gt_u32_e64 s5, 24, v33
	s_cmp_gt_i32 s25, 0
	s_mov_b32 s11, 0
	s_mov_b32 s10, s6
	v_mad_i64_i32 v[11:12], null, s28, v29, 0
	v_cndmask_b32_e64 v6, 0, 8, s5
	v_cmp_gt_u32_e64 s5, 28, v33
	s_cselect_b32 s37, -1, 0
	s_lshl_b64 s[10:11], s[10:11], 3
	v_cmp_ge_i32_e64 s9, s12, v35
	v_add_lshl_u32 v20, v6, v33, 2
	v_cndmask_b32_e64 v7, 0, 4, s5
	v_cmp_gt_u32_e64 s5, 30, v33
	v_mad_i64_i32 v[5:6], null, s28, v5, 0
	v_cmp_ge_i32_e32 vcc_lo, s12, v34
	v_add_lshl_u32 v21, v7, v33, 2
	v_cndmask_b32_e64 v8, 0, 2, s5
	v_cmp_ne_u32_e64 s5, 31, v33
	s_add_u32 s12, s43, s10
	s_addc_u32 s36, s44, s11
	v_lshlrev_b64 v[13:14], 3, v[5:6]
	v_add_lshl_u32 v22, v8, v33, 2
	v_add_co_ci_u32_e64 v9, null, 0, v33, s5
	v_mad_i64_i32 v[7:8], null, s28, v32, 0
	v_add_co_u32 v5, s10, s33, v13
	v_lshlrev_b32_e32 v23, 2, v9
	v_mad_i64_i32 v[9:10], null, s28, v30, 0
	v_add_co_ci_u32_e64 v6, null, s42, v14, s10
	v_lshlrev_b64 v[7:8], 3, v[7:8]
	s_and_b32 s37, s37, s9
	v_lshlrev_b64 v[11:12], 3, v[11:12]
	s_add_u32 s9, s22, s34
	v_lshlrev_b64 v[9:10], 3, v[9:10]
	s_mul_hi_u32 s11, s26, s7
	v_add_co_u32 v7, s10, s33, v7
	v_add_co_ci_u32_e64 v8, null, s42, v8, s10
	v_add_co_u32 v9, s10, s33, v9
	v_add_co_ci_u32_e64 v10, null, s42, v10, s10
	s_addc_u32 s10, s23, s35
	s_add_u32 s30, s9, s30
	s_mul_i32 s9, s27, s7
	s_addc_u32 s31, s10, s31
	s_add_i32 s11, s11, s9
	s_mul_i32 s10, s26, s7
	v_add_co_u32 v11, s9, s33, v11
	s_lshl_b64 s[22:23], s[10:11], 3
	s_lshl_b64 s[10:11], s[28:29], 3
	v_add_co_ci_u32_e64 v12, null, s42, v12, s9
	s_add_u32 s9, s20, s22
	s_addc_u32 s20, s21, s23
	s_add_u32 s9, s9, s18
	s_addc_u32 s18, s20, s19
	s_add_u32 s9, s16, s9
	v_cmp_gt_u32_e64 s4, 32, v0
	v_cmp_gt_u32_e64 s8, 8, v0
	v_cmp_eq_u32_e64 s6, 0, v0
	s_addc_u32 s16, s17, s18
	v_add_co_u32 v0, s9, s9, v3
	v_add_co_ci_u32_e64 v15, null, s16, v4, s9
	v_add_co_u32 v3, s9, s30, v13
	v_add_co_ci_u32_e64 v4, null, s31, v14, s9
	v_add_co_u32 v13, s9, v0, 4
	v_lshlrev_b32_e32 v18, 3, v28
	v_lshl_or_b32 v19, v33, 2, 64
	v_cmp_eq_u32_e64 s5, 0, v28
	v_and_b32_e32 v24, 56, v31
	v_add_co_ci_u32_e64 v14, null, 0, v15, s9
	v_mov_b32_e32 v15, 0
	s_lshl_b64 s[16:17], s[26:27], 3
	s_branch .LBB139_58
.LBB139_57:                             ;   in Loop: Header=BB139_58 Depth=1
	s_or_b32 exec_lo, exec_lo, s9
	v_add_co_u32 v13, s9, v13, s16
	v_add_co_ci_u32_e64 v14, null, s17, v14, s9
	s_add_i32 s7, s7, 1
	s_cmp_lt_i32 s7, s13
	s_cbranch_scc0 .LBB139_77
.LBB139_58:                             ; =>This Loop Header: Depth=1
                                        ;     Child Loop BB139_70 Depth 2
                                        ;     Child Loop BB139_72 Depth 2
                                        ; implicit-def: $vgpr0
                                        ; implicit-def: $vgpr25
	s_and_saveexec_b32 s9, vcc_lo
	s_xor_b32 s18, exec_lo, s9
	s_cbranch_execnz .LBB139_67
; %bb.59:                               ;   in Loop: Header=BB139_58 Depth=1
	s_andn2_saveexec_b32 s18, s18
	s_cbranch_execnz .LBB139_68
.LBB139_60:                             ;   in Loop: Header=BB139_58 Depth=1
	s_or_b32 exec_lo, exec_lo, s18
	s_and_saveexec_b32 s9, s4
	s_cbranch_execz .LBB139_62
.LBB139_61:                             ;   in Loop: Header=BB139_58 Depth=1
	s_waitcnt lgkmcnt(0)
	v_mov_b32_e32 v16, v15
	ds_write_b64 v18, v[15:16]
.LBB139_62:                             ;   in Loop: Header=BB139_58 Depth=1
	s_or_b32 exec_lo, exec_lo, s9
	s_waitcnt lgkmcnt(0)
	ds_bpermute_b32 v16, v19, v0
	ds_bpermute_b32 v17, v19, v25
	s_waitcnt lgkmcnt(0)
	s_waitcnt_vscnt null, 0x0
	s_barrier
	buffer_gl0_inv
	v_add_f32_e32 v0, v0, v16
	v_add_f32_e32 v16, v25, v17
	ds_bpermute_b32 v17, v20, v0
	ds_bpermute_b32 v25, v20, v16
	s_waitcnt lgkmcnt(1)
	v_add_f32_e32 v0, v0, v17
	s_waitcnt lgkmcnt(0)
	v_add_f32_e32 v16, v16, v25
	ds_bpermute_b32 v17, v21, v0
	ds_bpermute_b32 v25, v21, v16
	s_waitcnt lgkmcnt(1)
	v_add_f32_e32 v0, v0, v17
	s_waitcnt lgkmcnt(0)
	;; [unrolled: 6-line block ×3, first 2 shown]
	v_add_f32_e32 v16, v16, v25
	ds_bpermute_b32 v17, v23, v0
	ds_bpermute_b32 v25, v23, v16
	s_and_saveexec_b32 s9, s5
	s_cbranch_execz .LBB139_64
; %bb.63:                               ;   in Loop: Header=BB139_58 Depth=1
	s_waitcnt lgkmcnt(0)
	v_add_f32_e32 v26, v16, v25
	v_add_f32_e32 v25, v0, v17
	ds_write_b64 v24, v[25:26]
.LBB139_64:                             ;   in Loop: Header=BB139_58 Depth=1
	s_or_b32 exec_lo, exec_lo, s9
	s_waitcnt lgkmcnt(1)
	v_mov_b32_e32 v17, 0
	v_mov_b32_e32 v16, 0
	s_waitcnt lgkmcnt(0)
	s_barrier
	buffer_gl0_inv
	s_and_saveexec_b32 s9, s8
	s_cbranch_execnz .LBB139_74
; %bb.65:                               ;   in Loop: Header=BB139_58 Depth=1
	s_or_b32 exec_lo, exec_lo, s9
	s_and_saveexec_b32 s9, s4
	s_cbranch_execnz .LBB139_75
.LBB139_66:                             ;   in Loop: Header=BB139_58 Depth=1
	s_or_b32 exec_lo, exec_lo, s9
	s_and_saveexec_b32 s9, s6
	s_cbranch_execz .LBB139_57
	s_branch .LBB139_76
.LBB139_67:                             ;   in Loop: Header=BB139_58 Depth=1
	s_mul_i32 s9, s7, s27
	s_mul_hi_u32 s19, s7, s26
	s_mul_i32 s20, s7, s26
	s_add_i32 s21, s19, s9
	s_lshl_b64 s[20:21], s[20:21], 3
	s_waitcnt lgkmcnt(0)
	v_add_co_u32 v16, s9, v1, s20
	v_add_co_ci_u32_e64 v17, null, s21, v2, s9
	s_waitcnt lgkmcnt(0)
	global_load_dwordx4 v[25:28], v[16:17], off
	s_clause 0x1
	global_load_dwordx2 v[33:34], v[5:6], off
	global_load_dwordx2 v[35:36], v[7:8], off
	global_load_dwordx4 v[29:32], v[16:17], off offset:16
	s_clause 0x1
	global_load_dwordx2 v[16:17], v[9:10], off
	global_load_dwordx2 v[37:38], v[11:12], off
	s_waitcnt vmcnt(4)
	v_mul_f32_e32 v0, v26, v34
	v_mul_f32_e32 v26, v26, v33
	s_waitcnt vmcnt(3)
	v_mul_f32_e32 v39, v28, v36
	v_mul_f32_e32 v28, v28, v35
	s_waitcnt vmcnt(1)
	v_mul_f32_e32 v40, v30, v17
	v_fmac_f32_e32 v0, v25, v33
	v_fma_f32 v25, v25, v34, -v26
	v_mul_f32_e32 v30, v30, v16
	v_fmac_f32_e32 v39, v27, v35
	v_fma_f32 v27, v27, v36, -v28
	v_add_f32_e32 v0, 0, v0
	v_add_f32_e32 v25, 0, v25
	s_waitcnt vmcnt(0)
	v_mul_f32_e32 v26, v32, v38
	v_mul_f32_e32 v28, v32, v37
	v_fmac_f32_e32 v40, v29, v16
	v_fma_f32 v29, v29, v17, -v30
	v_add_f32_e32 v0, v0, v39
	v_add_f32_e32 v25, v25, v27
	v_fmac_f32_e32 v26, v31, v37
	v_fma_f32 v27, v31, v38, -v28
	buffer_store_dword v34, off, s[0:3], 0 offset:4
	v_add_f32_e32 v0, v0, v40
	v_add_f32_e32 v25, v25, v29
	buffer_store_dword v33, off, s[0:3], 0
	buffer_store_dword v36, off, s[0:3], 0 offset:12
	buffer_store_dword v35, off, s[0:3], 0 offset:8
	;; [unrolled: 1-line block ×6, first 2 shown]
	v_add_f32_e32 v0, v0, v26
	v_add_f32_e32 v25, v25, v27
	s_andn2_saveexec_b32 s18, s18
	s_cbranch_execz .LBB139_60
.LBB139_68:                             ;   in Loop: Header=BB139_58 Depth=1
	v_mov_b32_e32 v0, 0
	v_mov_b32_e32 v25, 0
	s_and_saveexec_b32 s19, s37
	s_cbranch_execz .LBB139_73
; %bb.69:                               ;   in Loop: Header=BB139_58 Depth=1
	s_waitcnt lgkmcnt(0)
	v_mov_b32_e32 v17, v4
	v_mov_b32_e32 v16, v3
	s_mov_b32 s20, 0
	s_mov_b32 s21, s25
.LBB139_70:                             ;   Parent Loop BB139_58 Depth=1
                                        ; =>  This Inner Loop Header: Depth=2
	s_waitcnt lgkmcnt(0)
	global_load_dwordx2 v[25:26], v[16:17], off
	v_add_co_u32 v16, s9, v16, s10
	v_mov_b32_e32 v0, s20
	v_add_co_ci_u32_e64 v17, null, s11, v17, s9
	s_add_i32 s21, s21, -1
	s_add_i32 s20, s20, 8
	s_cmp_eq_u32 s21, 0
	s_waitcnt vmcnt(0)
	buffer_store_dword v26, v0, s[0:3], 0 offen offset:4
	buffer_store_dword v25, v0, s[0:3], 0 offen
	s_cbranch_scc0 .LBB139_70
; %bb.71:                               ;   in Loop: Header=BB139_58 Depth=1
	v_mov_b32_e32 v17, v14
	v_mov_b32_e32 v0, 0
	;; [unrolled: 1-line block ×4, first 2 shown]
	s_mov_b32 s20, 0
	s_mov_b32 s21, s25
	.p2align	6
.LBB139_72:                             ;   Parent Loop BB139_58 Depth=1
                                        ; =>  This Inner Loop Header: Depth=2
	v_mov_b32_e32 v28, s20
	global_load_dwordx2 v[26:27], v[16:17], off offset:-4
	v_add_co_u32 v16, s9, v16, 8
	v_add_co_ci_u32_e64 v17, null, 0, v17, s9
	s_clause 0x1
	buffer_load_dword v29, v28, s[0:3], 0 offen offset:4
	buffer_load_dword v28, v28, s[0:3], 0 offen
	s_add_i32 s21, s21, -1
	s_add_i32 s20, s20, 8
	s_cmp_lg_u32 s21, 0
	s_waitcnt vmcnt(1)
	v_mul_f32_e32 v30, v27, v29
	s_waitcnt vmcnt(0)
	v_mul_f32_e32 v27, v27, v28
	v_fmac_f32_e32 v30, v26, v28
	v_fma_f32 v26, v26, v29, -v27
	v_add_f32_e32 v0, v0, v30
	v_add_f32_e32 v25, v25, v26
	s_cbranch_scc1 .LBB139_72
.LBB139_73:                             ;   in Loop: Header=BB139_58 Depth=1
	s_or_b32 exec_lo, exec_lo, s19
	s_or_b32 exec_lo, exec_lo, s18
	s_and_saveexec_b32 s9, s4
	s_cbranch_execnz .LBB139_61
	s_branch .LBB139_62
.LBB139_74:                             ;   in Loop: Header=BB139_58 Depth=1
	ds_read_b64 v[16:17], v18
	s_or_b32 exec_lo, exec_lo, s9
	s_and_saveexec_b32 s9, s4
	s_cbranch_execz .LBB139_66
.LBB139_75:                             ;   in Loop: Header=BB139_58 Depth=1
	s_waitcnt lgkmcnt(0)
	ds_bpermute_b32 v0, v21, v16
	ds_bpermute_b32 v25, v21, v17
	s_waitcnt lgkmcnt(1)
	v_add_f32_e32 v0, v16, v0
	s_waitcnt lgkmcnt(0)
	v_add_f32_e32 v16, v17, v25
	ds_bpermute_b32 v17, v22, v0
	ds_bpermute_b32 v25, v22, v16
	s_waitcnt lgkmcnt(1)
	v_add_f32_e32 v0, v0, v17
	s_waitcnt lgkmcnt(0)
	v_add_f32_e32 v17, v16, v25
	;; [unrolled: 6-line block ×3, first 2 shown]
	s_or_b32 exec_lo, exec_lo, s9
	s_and_saveexec_b32 s9, s6
	s_cbranch_execz .LBB139_57
.LBB139_76:                             ;   in Loop: Header=BB139_58 Depth=1
	s_waitcnt lgkmcnt(0)
	v_mul_f32_e32 v0, s15, v17
	v_mul_f32_e32 v26, s14, v17
	s_mul_hi_u32 s19, s7, s24
	s_mul_i32 s18, s7, s24
	s_lshl_b64 s[18:19], s[18:19], 3
	v_fma_f32 v25, v16, s14, -v0
	v_fmac_f32_e32 v26, s15, v16
	s_add_u32 s18, s12, s18
	s_addc_u32 s19, s36, s19
	global_store_dwordx2 v15, v[25:26], s[18:19]
	s_branch .LBB139_57
.LBB139_77:
	s_endpgm
	.section	.rodata,"a",@progbits
	.p2align	6, 0x0
	.amdhsa_kernel _ZL23rocblas_gemvt_sn_kernelILb1ELi256ELi4El19rocblas_complex_numIfES1_S1_EviiT4_lPKT3_lilS5_lilPT5_i
		.amdhsa_group_segment_fixed_size 256
		.amdhsa_private_segment_fixed_size 48
		.amdhsa_kernarg_size 360
		.amdhsa_user_sgpr_count 6
		.amdhsa_user_sgpr_private_segment_buffer 1
		.amdhsa_user_sgpr_dispatch_ptr 0
		.amdhsa_user_sgpr_queue_ptr 0
		.amdhsa_user_sgpr_kernarg_segment_ptr 1
		.amdhsa_user_sgpr_dispatch_id 0
		.amdhsa_user_sgpr_flat_scratch_init 0
		.amdhsa_user_sgpr_private_segment_size 0
		.amdhsa_wavefront_size32 1
		.amdhsa_uses_dynamic_stack 0
		.amdhsa_system_sgpr_private_segment_wavefront_offset 1
		.amdhsa_system_sgpr_workgroup_id_x 1
		.amdhsa_system_sgpr_workgroup_id_y 0
		.amdhsa_system_sgpr_workgroup_id_z 1
		.amdhsa_system_sgpr_workgroup_info 0
		.amdhsa_system_vgpr_workitem_id 0
		.amdhsa_next_free_vgpr 88
		.amdhsa_next_free_sgpr 56
		.amdhsa_reserve_vcc 1
		.amdhsa_reserve_flat_scratch 0
		.amdhsa_float_round_mode_32 0
		.amdhsa_float_round_mode_16_64 0
		.amdhsa_float_denorm_mode_32 3
		.amdhsa_float_denorm_mode_16_64 3
		.amdhsa_dx10_clamp 1
		.amdhsa_ieee_mode 1
		.amdhsa_fp16_overflow 0
		.amdhsa_workgroup_processor_mode 1
		.amdhsa_memory_ordered 1
		.amdhsa_forward_progress 1
		.amdhsa_shared_vgpr_count 0
		.amdhsa_exception_fp_ieee_invalid_op 0
		.amdhsa_exception_fp_denorm_src 0
		.amdhsa_exception_fp_ieee_div_zero 0
		.amdhsa_exception_fp_ieee_overflow 0
		.amdhsa_exception_fp_ieee_underflow 0
		.amdhsa_exception_fp_ieee_inexact 0
		.amdhsa_exception_int_div_zero 0
	.end_amdhsa_kernel
	.section	.text._ZL23rocblas_gemvt_sn_kernelILb1ELi256ELi4El19rocblas_complex_numIfES1_S1_EviiT4_lPKT3_lilS5_lilPT5_i,"axG",@progbits,_ZL23rocblas_gemvt_sn_kernelILb1ELi256ELi4El19rocblas_complex_numIfES1_S1_EviiT4_lPKT3_lilS5_lilPT5_i,comdat
.Lfunc_end139:
	.size	_ZL23rocblas_gemvt_sn_kernelILb1ELi256ELi4El19rocblas_complex_numIfES1_S1_EviiT4_lPKT3_lilS5_lilPT5_i, .Lfunc_end139-_ZL23rocblas_gemvt_sn_kernelILb1ELi256ELi4El19rocblas_complex_numIfES1_S1_EviiT4_lPKT3_lilS5_lilPT5_i
                                        ; -- End function
	.set _ZL23rocblas_gemvt_sn_kernelILb1ELi256ELi4El19rocblas_complex_numIfES1_S1_EviiT4_lPKT3_lilS5_lilPT5_i.num_vgpr, 88
	.set _ZL23rocblas_gemvt_sn_kernelILb1ELi256ELi4El19rocblas_complex_numIfES1_S1_EviiT4_lPKT3_lilS5_lilPT5_i.num_agpr, 0
	.set _ZL23rocblas_gemvt_sn_kernelILb1ELi256ELi4El19rocblas_complex_numIfES1_S1_EviiT4_lPKT3_lilS5_lilPT5_i.numbered_sgpr, 56
	.set _ZL23rocblas_gemvt_sn_kernelILb1ELi256ELi4El19rocblas_complex_numIfES1_S1_EviiT4_lPKT3_lilS5_lilPT5_i.num_named_barrier, 0
	.set _ZL23rocblas_gemvt_sn_kernelILb1ELi256ELi4El19rocblas_complex_numIfES1_S1_EviiT4_lPKT3_lilS5_lilPT5_i.private_seg_size, 48
	.set _ZL23rocblas_gemvt_sn_kernelILb1ELi256ELi4El19rocblas_complex_numIfES1_S1_EviiT4_lPKT3_lilS5_lilPT5_i.uses_vcc, 1
	.set _ZL23rocblas_gemvt_sn_kernelILb1ELi256ELi4El19rocblas_complex_numIfES1_S1_EviiT4_lPKT3_lilS5_lilPT5_i.uses_flat_scratch, 0
	.set _ZL23rocblas_gemvt_sn_kernelILb1ELi256ELi4El19rocblas_complex_numIfES1_S1_EviiT4_lPKT3_lilS5_lilPT5_i.has_dyn_sized_stack, 0
	.set _ZL23rocblas_gemvt_sn_kernelILb1ELi256ELi4El19rocblas_complex_numIfES1_S1_EviiT4_lPKT3_lilS5_lilPT5_i.has_recursion, 0
	.set _ZL23rocblas_gemvt_sn_kernelILb1ELi256ELi4El19rocblas_complex_numIfES1_S1_EviiT4_lPKT3_lilS5_lilPT5_i.has_indirect_call, 0
	.section	.AMDGPU.csdata,"",@progbits
; Kernel info:
; codeLenInByte = 5560
; TotalNumSgprs: 58
; NumVgprs: 88
; ScratchSize: 48
; MemoryBound: 0
; FloatMode: 240
; IeeeMode: 1
; LDSByteSize: 256 bytes/workgroup (compile time only)
; SGPRBlocks: 0
; VGPRBlocks: 10
; NumSGPRsForWavesPerEU: 58
; NumVGPRsForWavesPerEU: 88
; Occupancy: 10
; WaveLimiterHint : 1
; COMPUTE_PGM_RSRC2:SCRATCH_EN: 1
; COMPUTE_PGM_RSRC2:USER_SGPR: 6
; COMPUTE_PGM_RSRC2:TRAP_HANDLER: 0
; COMPUTE_PGM_RSRC2:TGID_X_EN: 1
; COMPUTE_PGM_RSRC2:TGID_Y_EN: 0
; COMPUTE_PGM_RSRC2:TGID_Z_EN: 1
; COMPUTE_PGM_RSRC2:TIDIG_COMP_CNT: 0
	.section	.text._ZL20rocblas_gemvt_kernelILb1ELi256E19rocblas_complex_numIfEPKS1_S1_EviiT2_lPKT1_lilS7_lilS4_lPT3_lili,"axG",@progbits,_ZL20rocblas_gemvt_kernelILb1ELi256E19rocblas_complex_numIfEPKS1_S1_EviiT2_lPKT1_lilS7_lilS4_lPT3_lili,comdat
	.globl	_ZL20rocblas_gemvt_kernelILb1ELi256E19rocblas_complex_numIfEPKS1_S1_EviiT2_lPKT1_lilS7_lilS4_lPT3_lili ; -- Begin function _ZL20rocblas_gemvt_kernelILb1ELi256E19rocblas_complex_numIfEPKS1_S1_EviiT2_lPKT1_lilS7_lilS4_lPT3_lili
	.p2align	8
	.type	_ZL20rocblas_gemvt_kernelILb1ELi256E19rocblas_complex_numIfEPKS1_S1_EviiT2_lPKT1_lilS7_lilS4_lPT3_lili,@function
_ZL20rocblas_gemvt_kernelILb1ELi256E19rocblas_complex_numIfEPKS1_S1_EviiT2_lPKT1_lilS7_lilS4_lPT3_lili: ; @_ZL20rocblas_gemvt_kernelILb1ELi256E19rocblas_complex_numIfEPKS1_S1_EviiT2_lPKT1_lilS7_lilS4_lPT3_lili
; %bb.0:
	s_clause 0x1
	s_load_dwordx8 s[8:15], s[4:5], 0x8
	s_load_dwordx8 s[16:23], s[4:5], 0x50
	s_waitcnt lgkmcnt(0)
	s_mul_i32 s1, s11, s7
	s_mul_hi_u32 s2, s10, s7
	s_mul_i32 s0, s10, s7
	s_add_i32 s1, s2, s1
	s_mul_hi_u32 s2, s20, s7
	s_lshl_b64 s[0:1], s[0:1], 3
	s_add_u32 s0, s8, s0
	s_addc_u32 s1, s9, s1
	s_load_dwordx2 s[10:11], s[0:1], 0x0
	s_mul_i32 s1, s21, s7
	s_mul_i32 s0, s20, s7
	s_add_i32 s1, s2, s1
	s_lshl_b64 s[0:1], s[0:1], 3
	s_add_u32 s0, s18, s0
	s_addc_u32 s1, s19, s1
	s_load_dwordx2 s[8:9], s[0:1], 0x0
	s_waitcnt lgkmcnt(0)
	v_cmp_neq_f32_e64 s0, s10, 0
	v_cmp_neq_f32_e64 s1, s11, 0
	s_or_b32 s0, s0, s1
	s_and_b32 vcc_lo, exec_lo, s0
	s_mov_b32 s0, -1
	s_cbranch_vccnz .LBB140_2
; %bb.1:
	v_cmp_neq_f32_e64 s0, s8, 1.0
	v_cmp_neq_f32_e64 s1, s9, 0
	s_or_b32 s0, s0, s1
.LBB140_2:
	s_andn2_b32 vcc_lo, exec_lo, s0
	s_cbranch_vccnz .LBB140_35
; %bb.3:
	s_clause 0x2
	s_load_dwordx2 s[0:1], s[4:5], 0x80
	s_load_dwordx2 s[2:3], s[4:5], 0x70
	s_load_dword s28, s[4:5], 0x78
	v_cmp_eq_u32_e32 vcc_lo, 0, v0
	s_waitcnt lgkmcnt(0)
	s_mul_i32 s1, s1, s7
	s_mul_hi_u32 s18, s0, s7
	s_mul_i32 s0, s0, s7
	s_add_i32 s1, s18, s1
	s_lshl_b64 s[0:1], s[0:1], 3
	s_add_u32 s18, s22, s0
	s_addc_u32 s19, s23, s1
	s_lshl_b64 s[0:1], s[2:3], 3
	s_add_u32 s26, s18, s0
	s_addc_u32 s27, s19, s1
	s_or_b32 s0, s10, s11
	s_bitset0_b32 s0, 31
	s_cmp_lg_u32 s0, 0
	s_mov_b32 s0, -1
	s_cbranch_scc1 .LBB140_9
; %bb.4:
	s_and_saveexec_b32 s2, vcc_lo
	s_cbranch_execz .LBB140_8
; %bb.5:
	v_cmp_neq_f32_e64 s0, s8, 0
	v_cmp_neq_f32_e64 s1, s9, 0
	v_mov_b32_e32 v2, 0
	v_mov_b32_e32 v3, 0
	v_mov_b32_e32 v1, 0
	s_or_b32 s0, s0, s1
	s_mul_hi_i32 s1, s28, s6
	s_andn2_b32 vcc_lo, exec_lo, s0
	s_mul_i32 s0, s28, s6
	s_cbranch_vccnz .LBB140_7
; %bb.6:
	s_lshl_b64 s[18:19], s[0:1], 3
	s_add_u32 s18, s26, s18
	s_addc_u32 s19, s27, s19
	s_load_dwordx2 s[18:19], s[18:19], 0x0
	s_waitcnt lgkmcnt(0)
	v_mul_f32_e64 v1, s9, s19
	v_mul_f32_e64 v2, s8, s19
	v_fma_f32 v1, s8, s18, -v1
	v_fmac_f32_e64 v2, s9, s18
.LBB140_7:
	s_lshl_b64 s[0:1], s[0:1], 3
	s_add_u32 s0, s26, s0
	s_addc_u32 s1, s27, s1
	global_store_dwordx2 v3, v[1:2], s[0:1]
.LBB140_8:
	s_or_b32 exec_lo, exec_lo, s2
	s_mov_b32 s0, 0
.LBB140_9:
	s_andn2_b32 vcc_lo, exec_lo, s0
	s_cbranch_vccnz .LBB140_35
; %bb.10:
	s_clause 0x4
	s_load_dwordx4 s[0:3], s[4:5], 0x30
	s_load_dword s29, s[4:5], 0x0
	s_load_dword s20, s[4:5], 0x28
	s_load_dwordx2 s[18:19], s[4:5], 0x40
	s_load_dword s4, s[4:5], 0x48
	v_mov_b32_e32 v2, 0
	s_mul_i32 s17, s17, s7
	s_mul_hi_u32 s21, s16, s7
	s_mul_i32 s16, s16, s7
	s_add_i32 s17, s21, s17
	s_mov_b32 s30, 0
	s_waitcnt lgkmcnt(0)
	s_mul_hi_u32 s5, s0, s7
	v_cmp_gt_i32_e32 vcc_lo, s29, v0
	s_mul_i32 s22, s0, s7
	s_ashr_i32 s0, s29, 31
	s_mul_i32 s1, s1, s7
	s_lshr_b32 s0, s0, 24
	v_cndmask_b32_e32 v1, 0, v0, vcc_lo
	s_add_i32 s0, s29, s0
	s_add_i32 s23, s5, s1
	s_and_b32 s0, s0, 0xffffff00
	s_mul_hi_i32 s21, s20, s6
	v_lshlrev_b32_e32 v7, 3, v1
	v_mov_b32_e32 v1, v2
	s_cmpk_lt_i32 s29, 0x100
	s_mul_i32 s20, s20, s6
	s_cbranch_scc1 .LBB140_13
; %bb.11:
	s_lshl_b64 s[24:25], s[20:21], 3
	s_lshl_b64 s[34:35], s[22:23], 3
	s_ashr_i32 s5, s4, 31
	v_mad_i64_i32 v[3:4], null, s4, v0, 0
	s_add_u32 s1, s24, s34
	s_addc_u32 s7, s25, s35
	s_lshl_b64 s[24:25], s[14:15], 3
	v_mov_b32_e32 v2, 0
	s_add_u32 s1, s1, s24
	s_addc_u32 s7, s7, s25
	s_add_u32 s1, s12, s1
	s_addc_u32 s7, s13, s7
	v_add_co_u32 v1, s1, s1, v7
	s_lshl_b64 s[34:35], s[18:19], 3
	v_lshlrev_b64 v[3:4], 3, v[3:4]
	s_lshl_b64 s[24:25], s[16:17], 3
	v_add_co_ci_u32_e64 v5, null, s7, 0, s1
	s_add_u32 s1, s2, s34
	s_addc_u32 s7, s3, s35
	s_add_u32 s1, s1, s24
	s_addc_u32 s7, s7, s25
	v_add_co_u32 v6, vcc_lo, s1, v3
	v_add_co_ci_u32_e64 v8, null, s7, v4, vcc_lo
	v_add_co_u32 v3, vcc_lo, v1, 4
	v_add_co_ci_u32_e64 v4, null, 0, v5, vcc_lo
	;; [unrolled: 2-line block ×3, first 2 shown]
	v_mov_b32_e32 v1, v2
	s_lshl_b64 s[24:25], s[4:5], 11
	.p2align	6
.LBB140_12:                             ; =>This Inner Loop Header: Depth=1
	global_load_dwordx2 v[8:9], v[3:4], off offset:-4
	global_load_dwordx2 v[10:11], v[5:6], off offset:-4
	v_add_co_u32 v3, vcc_lo, 0x800, v3
	v_add_co_ci_u32_e64 v4, null, 0, v4, vcc_lo
	v_add_co_u32 v5, vcc_lo, v5, s24
	v_add_co_ci_u32_e64 v6, null, s25, v6, vcc_lo
	s_addk_i32 s30, 0x100
	s_cmp_ge_i32 s30, s0
	s_waitcnt vmcnt(0)
	v_mul_f32_e32 v12, v9, v11
	v_mul_f32_e32 v9, v9, v10
	v_fmac_f32_e32 v12, v8, v10
	v_fma_f32 v8, v8, v11, -v9
	v_add_f32_e32 v1, v1, v12
	v_add_f32_e32 v2, v2, v8
	s_cbranch_scc0 .LBB140_12
.LBB140_13:
	v_add_nc_u32_e32 v3, s0, v0
	s_mov_b32 s5, exec_lo
	v_cmpx_gt_i32_e64 s29, v3
	s_cbranch_execz .LBB140_15
; %bb.14:
	s_lshl_b64 s[22:23], s[22:23], 3
	v_mad_i64_i32 v[3:4], null, s4, v3, 0
	s_add_u32 s1, s12, s22
	s_addc_u32 s7, s13, s23
	s_lshl_b64 s[12:13], s[14:15], 3
	s_add_u32 s1, s1, s12
	s_addc_u32 s7, s7, s13
	s_lshl_b64 s[12:13], s[16:17], 3
	v_add_co_u32 v5, s1, s1, v7
	s_lshl_b64 s[14:15], s[20:21], 3
	s_add_u32 s12, s2, s12
	v_add_co_ci_u32_e64 v6, null, s7, 0, s1
	v_lshlrev_b64 v[3:4], 3, v[3:4]
	s_addc_u32 s13, s3, s13
	s_lshl_b64 s[2:3], s[18:19], 3
	v_add_co_u32 v5, vcc_lo, v5, s14
	s_add_u32 s2, s12, s2
	s_addc_u32 s3, s13, s3
	s_ashr_i32 s1, s0, 31
	v_add_co_ci_u32_e64 v6, null, s15, v6, vcc_lo
	s_lshl_b64 s[0:1], s[0:1], 3
	v_add_co_u32 v3, vcc_lo, s2, v3
	v_add_co_ci_u32_e64 v4, null, s3, v4, vcc_lo
	v_add_co_u32 v5, vcc_lo, v5, s0
	v_add_co_ci_u32_e64 v6, null, s1, v6, vcc_lo
	global_load_dwordx2 v[3:4], v[3:4], off
	global_load_dwordx2 v[5:6], v[5:6], off
	s_waitcnt vmcnt(0)
	v_mul_f32_e32 v7, v6, v4
	v_mul_f32_e32 v6, v6, v3
	v_fmac_f32_e32 v7, v5, v3
	v_fma_f32 v3, v5, v4, -v6
	v_add_f32_e32 v1, v1, v7
	v_add_f32_e32 v2, v2, v3
.LBB140_15:
	s_or_b32 exec_lo, exec_lo, s5
	v_lshlrev_b32_e32 v3, 3, v0
	s_mov_b32 s0, exec_lo
	ds_write_b64 v3, v[1:2]
	s_waitcnt lgkmcnt(0)
	s_waitcnt_vscnt null, 0x0
	s_barrier
	buffer_gl0_inv
	v_cmpx_gt_u32_e32 0x80, v0
	s_cbranch_execz .LBB140_17
; %bb.16:
	ds_read2st64_b64 v[4:7], v3 offset1:2
	s_waitcnt lgkmcnt(0)
	v_add_f32_e32 v1, v6, v4
	v_add_f32_e32 v2, v7, v5
	ds_write_b64 v3, v[1:2]
.LBB140_17:
	s_or_b32 exec_lo, exec_lo, s0
	s_mov_b32 s0, exec_lo
	s_waitcnt lgkmcnt(0)
	s_barrier
	buffer_gl0_inv
	v_cmpx_gt_u32_e32 64, v0
	s_cbranch_execz .LBB140_19
; %bb.18:
	ds_read2st64_b64 v[4:7], v3 offset1:1
	s_waitcnt lgkmcnt(0)
	v_add_f32_e32 v1, v6, v4
	v_add_f32_e32 v2, v7, v5
	ds_write_b64 v3, v[1:2]
.LBB140_19:
	s_or_b32 exec_lo, exec_lo, s0
	s_mov_b32 s0, exec_lo
	s_waitcnt lgkmcnt(0)
	s_barrier
	buffer_gl0_inv
	v_cmpx_gt_u32_e32 32, v0
	s_cbranch_execz .LBB140_21
; %bb.20:
	ds_read2_b64 v[4:7], v3 offset1:32
	s_waitcnt lgkmcnt(0)
	v_add_f32_e32 v1, v6, v4
	v_add_f32_e32 v2, v7, v5
	ds_write_b64 v3, v[1:2]
.LBB140_21:
	s_or_b32 exec_lo, exec_lo, s0
	s_mov_b32 s0, exec_lo
	s_waitcnt lgkmcnt(0)
	s_barrier
	buffer_gl0_inv
	v_cmpx_gt_u32_e32 16, v0
	s_cbranch_execz .LBB140_23
; %bb.22:
	ds_read2_b64 v[4:7], v3 offset1:16
	s_waitcnt lgkmcnt(0)
	v_add_f32_e32 v1, v6, v4
	v_add_f32_e32 v2, v7, v5
	ds_write_b64 v3, v[1:2]
.LBB140_23:
	s_or_b32 exec_lo, exec_lo, s0
	s_mov_b32 s0, exec_lo
	s_waitcnt lgkmcnt(0)
	s_barrier
	buffer_gl0_inv
	v_cmpx_gt_u32_e32 8, v0
	s_cbranch_execz .LBB140_25
; %bb.24:
	ds_read2_b64 v[4:7], v3 offset1:8
	s_waitcnt lgkmcnt(0)
	v_add_f32_e32 v1, v6, v4
	v_add_f32_e32 v2, v7, v5
	ds_write_b64 v3, v[1:2]
.LBB140_25:
	s_or_b32 exec_lo, exec_lo, s0
	s_mov_b32 s0, exec_lo
	s_waitcnt lgkmcnt(0)
	s_barrier
	buffer_gl0_inv
	v_cmpx_gt_u32_e32 4, v0
	s_cbranch_execz .LBB140_27
; %bb.26:
	ds_read2_b64 v[4:7], v3 offset1:4
	s_waitcnt lgkmcnt(0)
	v_add_f32_e32 v1, v6, v4
	v_add_f32_e32 v2, v7, v5
	ds_write_b64 v3, v[1:2]
.LBB140_27:
	s_or_b32 exec_lo, exec_lo, s0
	s_mov_b32 s0, exec_lo
	s_waitcnt lgkmcnt(0)
	s_barrier
	buffer_gl0_inv
	v_cmpx_gt_u32_e32 2, v0
	s_cbranch_execz .LBB140_29
; %bb.28:
	ds_read2_b64 v[4:7], v3 offset1:2
	s_waitcnt lgkmcnt(0)
	v_add_f32_e32 v1, v6, v4
	v_add_f32_e32 v2, v7, v5
	ds_write_b64 v3, v[1:2]
.LBB140_29:
	s_or_b32 exec_lo, exec_lo, s0
	v_cmp_eq_u32_e32 vcc_lo, 0, v0
	s_waitcnt lgkmcnt(0)
	s_barrier
	buffer_gl0_inv
	s_and_saveexec_b32 s0, vcc_lo
	s_cbranch_execz .LBB140_31
; %bb.30:
	v_mov_b32_e32 v4, 0
	ds_read_b128 v[0:3], v4
	s_waitcnt lgkmcnt(0)
	v_add_f32_e32 v0, v2, v0
	v_add_f32_e32 v1, v3, v1
	ds_write_b64 v4, v[0:1]
.LBB140_31:
	s_or_b32 exec_lo, exec_lo, s0
	s_waitcnt lgkmcnt(0)
	s_barrier
	buffer_gl0_inv
	s_and_saveexec_b32 s0, vcc_lo
	s_cbranch_execz .LBB140_35
; %bb.32:
	v_mov_b32_e32 v2, 0
	v_cmp_neq_f32_e64 s0, s8, 0
	v_cmp_neq_f32_e64 s1, s9, 0
	ds_read_b64 v[3:4], v2
	s_or_b32 s0, s0, s1
	s_mul_hi_i32 s1, s28, s6
	s_andn2_b32 vcc_lo, exec_lo, s0
	s_mul_i32 s0, s28, s6
	s_waitcnt lgkmcnt(0)
	v_mul_f32_e32 v0, s11, v4
	v_mul_f32_e32 v1, s10, v4
	v_fma_f32 v0, v3, s10, -v0
	v_fmac_f32_e32 v1, s11, v3
	s_cbranch_vccnz .LBB140_34
; %bb.33:
	s_lshl_b64 s[2:3], s[0:1], 3
	s_add_u32 s2, s26, s2
	s_addc_u32 s3, s27, s3
	global_load_dwordx2 v[3:4], v2, s[2:3]
	s_waitcnt vmcnt(0)
	v_mul_f32_e32 v5, s9, v4
	v_mul_f32_e32 v4, s8, v4
	v_fma_f32 v5, s8, v3, -v5
	v_fmac_f32_e32 v4, s9, v3
	v_add_f32_e32 v0, v0, v5
	v_add_f32_e32 v1, v1, v4
.LBB140_34:
	s_lshl_b64 s[0:1], s[0:1], 3
	s_add_u32 s0, s26, s0
	s_addc_u32 s1, s27, s1
	global_store_dwordx2 v2, v[0:1], s[0:1]
.LBB140_35:
	s_endpgm
	.section	.rodata,"a",@progbits
	.p2align	6, 0x0
	.amdhsa_kernel _ZL20rocblas_gemvt_kernelILb1ELi256E19rocblas_complex_numIfEPKS1_S1_EviiT2_lPKT1_lilS7_lilS4_lPT3_lili
		.amdhsa_group_segment_fixed_size 2048
		.amdhsa_private_segment_fixed_size 0
		.amdhsa_kernarg_size 140
		.amdhsa_user_sgpr_count 6
		.amdhsa_user_sgpr_private_segment_buffer 1
		.amdhsa_user_sgpr_dispatch_ptr 0
		.amdhsa_user_sgpr_queue_ptr 0
		.amdhsa_user_sgpr_kernarg_segment_ptr 1
		.amdhsa_user_sgpr_dispatch_id 0
		.amdhsa_user_sgpr_flat_scratch_init 0
		.amdhsa_user_sgpr_private_segment_size 0
		.amdhsa_wavefront_size32 1
		.amdhsa_uses_dynamic_stack 0
		.amdhsa_system_sgpr_private_segment_wavefront_offset 0
		.amdhsa_system_sgpr_workgroup_id_x 1
		.amdhsa_system_sgpr_workgroup_id_y 0
		.amdhsa_system_sgpr_workgroup_id_z 1
		.amdhsa_system_sgpr_workgroup_info 0
		.amdhsa_system_vgpr_workitem_id 0
		.amdhsa_next_free_vgpr 13
		.amdhsa_next_free_sgpr 36
		.amdhsa_reserve_vcc 1
		.amdhsa_reserve_flat_scratch 0
		.amdhsa_float_round_mode_32 0
		.amdhsa_float_round_mode_16_64 0
		.amdhsa_float_denorm_mode_32 3
		.amdhsa_float_denorm_mode_16_64 3
		.amdhsa_dx10_clamp 1
		.amdhsa_ieee_mode 1
		.amdhsa_fp16_overflow 0
		.amdhsa_workgroup_processor_mode 1
		.amdhsa_memory_ordered 1
		.amdhsa_forward_progress 1
		.amdhsa_shared_vgpr_count 0
		.amdhsa_exception_fp_ieee_invalid_op 0
		.amdhsa_exception_fp_denorm_src 0
		.amdhsa_exception_fp_ieee_div_zero 0
		.amdhsa_exception_fp_ieee_overflow 0
		.amdhsa_exception_fp_ieee_underflow 0
		.amdhsa_exception_fp_ieee_inexact 0
		.amdhsa_exception_int_div_zero 0
	.end_amdhsa_kernel
	.section	.text._ZL20rocblas_gemvt_kernelILb1ELi256E19rocblas_complex_numIfEPKS1_S1_EviiT2_lPKT1_lilS7_lilS4_lPT3_lili,"axG",@progbits,_ZL20rocblas_gemvt_kernelILb1ELi256E19rocblas_complex_numIfEPKS1_S1_EviiT2_lPKT1_lilS7_lilS4_lPT3_lili,comdat
.Lfunc_end140:
	.size	_ZL20rocblas_gemvt_kernelILb1ELi256E19rocblas_complex_numIfEPKS1_S1_EviiT2_lPKT1_lilS7_lilS4_lPT3_lili, .Lfunc_end140-_ZL20rocblas_gemvt_kernelILb1ELi256E19rocblas_complex_numIfEPKS1_S1_EviiT2_lPKT1_lilS7_lilS4_lPT3_lili
                                        ; -- End function
	.set _ZL20rocblas_gemvt_kernelILb1ELi256E19rocblas_complex_numIfEPKS1_S1_EviiT2_lPKT1_lilS7_lilS4_lPT3_lili.num_vgpr, 13
	.set _ZL20rocblas_gemvt_kernelILb1ELi256E19rocblas_complex_numIfEPKS1_S1_EviiT2_lPKT1_lilS7_lilS4_lPT3_lili.num_agpr, 0
	.set _ZL20rocblas_gemvt_kernelILb1ELi256E19rocblas_complex_numIfEPKS1_S1_EviiT2_lPKT1_lilS7_lilS4_lPT3_lili.numbered_sgpr, 36
	.set _ZL20rocblas_gemvt_kernelILb1ELi256E19rocblas_complex_numIfEPKS1_S1_EviiT2_lPKT1_lilS7_lilS4_lPT3_lili.num_named_barrier, 0
	.set _ZL20rocblas_gemvt_kernelILb1ELi256E19rocblas_complex_numIfEPKS1_S1_EviiT2_lPKT1_lilS7_lilS4_lPT3_lili.private_seg_size, 0
	.set _ZL20rocblas_gemvt_kernelILb1ELi256E19rocblas_complex_numIfEPKS1_S1_EviiT2_lPKT1_lilS7_lilS4_lPT3_lili.uses_vcc, 1
	.set _ZL20rocblas_gemvt_kernelILb1ELi256E19rocblas_complex_numIfEPKS1_S1_EviiT2_lPKT1_lilS7_lilS4_lPT3_lili.uses_flat_scratch, 0
	.set _ZL20rocblas_gemvt_kernelILb1ELi256E19rocblas_complex_numIfEPKS1_S1_EviiT2_lPKT1_lilS7_lilS4_lPT3_lili.has_dyn_sized_stack, 0
	.set _ZL20rocblas_gemvt_kernelILb1ELi256E19rocblas_complex_numIfEPKS1_S1_EviiT2_lPKT1_lilS7_lilS4_lPT3_lili.has_recursion, 0
	.set _ZL20rocblas_gemvt_kernelILb1ELi256E19rocblas_complex_numIfEPKS1_S1_EviiT2_lPKT1_lilS7_lilS4_lPT3_lili.has_indirect_call, 0
	.section	.AMDGPU.csdata,"",@progbits
; Kernel info:
; codeLenInByte = 1688
; TotalNumSgprs: 38
; NumVgprs: 13
; ScratchSize: 0
; MemoryBound: 0
; FloatMode: 240
; IeeeMode: 1
; LDSByteSize: 2048 bytes/workgroup (compile time only)
; SGPRBlocks: 0
; VGPRBlocks: 1
; NumSGPRsForWavesPerEU: 38
; NumVGPRsForWavesPerEU: 13
; Occupancy: 16
; WaveLimiterHint : 1
; COMPUTE_PGM_RSRC2:SCRATCH_EN: 0
; COMPUTE_PGM_RSRC2:USER_SGPR: 6
; COMPUTE_PGM_RSRC2:TRAP_HANDLER: 0
; COMPUTE_PGM_RSRC2:TGID_X_EN: 1
; COMPUTE_PGM_RSRC2:TGID_Y_EN: 0
; COMPUTE_PGM_RSRC2:TGID_Z_EN: 1
; COMPUTE_PGM_RSRC2:TIDIG_COMP_CNT: 0
	.section	.text._ZL20rocblas_gemvt_kernelILb1ELi256E19rocblas_complex_numIfES1_S1_EviiT2_lPKT1_lilS5_lilS2_lPT3_lili,"axG",@progbits,_ZL20rocblas_gemvt_kernelILb1ELi256E19rocblas_complex_numIfES1_S1_EviiT2_lPKT1_lilS5_lilS2_lPT3_lili,comdat
	.globl	_ZL20rocblas_gemvt_kernelILb1ELi256E19rocblas_complex_numIfES1_S1_EviiT2_lPKT1_lilS5_lilS2_lPT3_lili ; -- Begin function _ZL20rocblas_gemvt_kernelILb1ELi256E19rocblas_complex_numIfES1_S1_EviiT2_lPKT1_lilS5_lilS2_lPT3_lili
	.p2align	8
	.type	_ZL20rocblas_gemvt_kernelILb1ELi256E19rocblas_complex_numIfES1_S1_EviiT2_lPKT1_lilS5_lilS2_lPT3_lili,@function
_ZL20rocblas_gemvt_kernelILb1ELi256E19rocblas_complex_numIfES1_S1_EviiT2_lPKT1_lilS5_lilS2_lPT3_lili: ; @_ZL20rocblas_gemvt_kernelILb1ELi256E19rocblas_complex_numIfES1_S1_EviiT2_lPKT1_lilS5_lilS2_lPT3_lili
; %bb.0:
	s_clause 0x1
	s_load_dwordx2 s[14:15], s[4:5], 0x8
	s_load_dwordx2 s[12:13], s[4:5], 0x58
	s_waitcnt lgkmcnt(0)
	v_cmp_neq_f32_e64 s0, s14, 0
	v_cmp_neq_f32_e64 s1, s15, 0
	s_or_b32 s0, s0, s1
	s_and_b32 vcc_lo, exec_lo, s0
	s_mov_b32 s0, -1
	s_cbranch_vccnz .LBB141_2
; %bb.1:
	v_cmp_neq_f32_e64 s0, s12, 1.0
	v_cmp_neq_f32_e64 s1, s13, 0
	s_or_b32 s0, s0, s1
.LBB141_2:
	s_andn2_b32 vcc_lo, exec_lo, s0
	s_cbranch_vccnz .LBB141_35
; %bb.3:
	s_clause 0x2
	s_load_dwordx2 s[8:9], s[4:5], 0x80
	s_load_dwordx4 s[0:3], s[4:5], 0x68
	s_load_dword s28, s[4:5], 0x78
	v_cmp_eq_u32_e32 vcc_lo, 0, v0
	s_waitcnt lgkmcnt(0)
	s_mul_i32 s9, s9, s7
	s_mul_hi_u32 s10, s8, s7
	s_mul_i32 s8, s8, s7
	s_add_i32 s9, s10, s9
	s_lshl_b64 s[8:9], s[8:9], 3
	s_add_u32 s8, s0, s8
	s_addc_u32 s9, s1, s9
	s_lshl_b64 s[0:1], s[2:3], 3
	s_add_u32 s26, s8, s0
	s_addc_u32 s27, s9, s1
	s_or_b32 s0, s14, s15
	s_bitset0_b32 s0, 31
	s_cmp_lg_u32 s0, 0
	s_mov_b32 s0, -1
	s_cbranch_scc1 .LBB141_9
; %bb.4:
	s_and_saveexec_b32 s2, vcc_lo
	s_cbranch_execz .LBB141_8
; %bb.5:
	v_cmp_neq_f32_e64 s0, s12, 0
	v_cmp_neq_f32_e64 s1, s13, 0
	v_mov_b32_e32 v2, 0
	v_mov_b32_e32 v3, 0
	;; [unrolled: 1-line block ×3, first 2 shown]
	s_or_b32 s0, s0, s1
	s_mul_hi_i32 s1, s28, s6
	s_andn2_b32 vcc_lo, exec_lo, s0
	s_mul_i32 s0, s28, s6
	s_cbranch_vccnz .LBB141_7
; %bb.6:
	s_lshl_b64 s[8:9], s[0:1], 3
	s_add_u32 s8, s26, s8
	s_addc_u32 s9, s27, s9
	s_load_dwordx2 s[8:9], s[8:9], 0x0
	s_waitcnt lgkmcnt(0)
	v_mul_f32_e64 v1, s13, s9
	v_mul_f32_e64 v2, s12, s9
	v_fma_f32 v1, s12, s8, -v1
	v_fmac_f32_e64 v2, s13, s8
.LBB141_7:
	s_lshl_b64 s[0:1], s[0:1], 3
	s_add_u32 s0, s26, s0
	s_addc_u32 s1, s27, s1
	global_store_dwordx2 v3, v[1:2], s[0:1]
.LBB141_8:
	s_or_b32 exec_lo, exec_lo, s2
	s_mov_b32 s0, 0
.LBB141_9:
	s_andn2_b32 vcc_lo, exec_lo, s0
	s_cbranch_vccnz .LBB141_35
; %bb.10:
	s_clause 0x6
	s_load_dwordx2 s[18:19], s[4:5], 0x50
	s_load_dwordx4 s[0:3], s[4:5], 0x30
	s_load_dword s29, s[4:5], 0x0
	s_load_dword s20, s[4:5], 0x28
	s_load_dwordx4 s[8:11], s[4:5], 0x18
	s_load_dwordx2 s[16:17], s[4:5], 0x40
	s_load_dword s4, s[4:5], 0x48
	v_mov_b32_e32 v2, 0
	s_mov_b32 s30, 0
	s_waitcnt lgkmcnt(0)
	s_mul_i32 s5, s19, s7
	s_mul_hi_u32 s23, s0, s7
	v_cmp_gt_i32_e32 vcc_lo, s29, v0
	s_mul_i32 s22, s0, s7
	s_ashr_i32 s0, s29, 31
	s_mul_hi_u32 s19, s18, s7
	s_lshr_b32 s0, s0, 24
	v_cndmask_b32_e32 v1, 0, v0, vcc_lo
	s_mul_i32 s1, s1, s7
	s_add_i32 s0, s29, s0
	s_add_i32 s19, s19, s5
	;; [unrolled: 1-line block ×3, first 2 shown]
	v_lshlrev_b32_e32 v7, 3, v1
	v_mov_b32_e32 v1, v2
	s_and_b32 s0, s0, 0xffffff00
	s_mul_i32 s18, s18, s7
	s_mul_hi_i32 s21, s20, s6
	s_cmpk_lt_i32 s29, 0x100
	s_mul_i32 s20, s20, s6
	s_cbranch_scc1 .LBB141_13
; %bb.11:
	s_lshl_b64 s[24:25], s[20:21], 3
	s_lshl_b64 s[34:35], s[22:23], 3
	s_ashr_i32 s5, s4, 31
	v_mad_i64_i32 v[3:4], null, s4, v0, 0
	s_add_u32 s1, s24, s34
	s_addc_u32 s7, s25, s35
	s_lshl_b64 s[24:25], s[10:11], 3
	v_mov_b32_e32 v2, 0
	s_add_u32 s1, s1, s24
	s_addc_u32 s7, s7, s25
	s_add_u32 s1, s8, s1
	s_addc_u32 s7, s9, s7
	v_add_co_u32 v1, s1, s1, v7
	s_lshl_b64 s[34:35], s[16:17], 3
	v_lshlrev_b64 v[3:4], 3, v[3:4]
	s_lshl_b64 s[24:25], s[18:19], 3
	v_add_co_ci_u32_e64 v5, null, s7, 0, s1
	s_add_u32 s1, s2, s34
	s_addc_u32 s7, s3, s35
	s_add_u32 s1, s1, s24
	s_addc_u32 s7, s7, s25
	v_add_co_u32 v6, vcc_lo, s1, v3
	v_add_co_ci_u32_e64 v8, null, s7, v4, vcc_lo
	v_add_co_u32 v3, vcc_lo, v1, 4
	v_add_co_ci_u32_e64 v4, null, 0, v5, vcc_lo
	;; [unrolled: 2-line block ×3, first 2 shown]
	v_mov_b32_e32 v1, v2
	s_lshl_b64 s[24:25], s[4:5], 11
	.p2align	6
.LBB141_12:                             ; =>This Inner Loop Header: Depth=1
	global_load_dwordx2 v[8:9], v[3:4], off offset:-4
	global_load_dwordx2 v[10:11], v[5:6], off offset:-4
	v_add_co_u32 v3, vcc_lo, 0x800, v3
	v_add_co_ci_u32_e64 v4, null, 0, v4, vcc_lo
	v_add_co_u32 v5, vcc_lo, v5, s24
	v_add_co_ci_u32_e64 v6, null, s25, v6, vcc_lo
	s_addk_i32 s30, 0x100
	s_cmp_ge_i32 s30, s0
	s_waitcnt vmcnt(0)
	v_mul_f32_e32 v12, v9, v11
	v_mul_f32_e32 v9, v9, v10
	v_fmac_f32_e32 v12, v8, v10
	v_fma_f32 v8, v8, v11, -v9
	v_add_f32_e32 v1, v1, v12
	v_add_f32_e32 v2, v2, v8
	s_cbranch_scc0 .LBB141_12
.LBB141_13:
	v_add_nc_u32_e32 v3, s0, v0
	s_mov_b32 s5, exec_lo
	v_cmpx_gt_i32_e64 s29, v3
	s_cbranch_execz .LBB141_15
; %bb.14:
	s_lshl_b64 s[22:23], s[22:23], 3
	v_mad_i64_i32 v[3:4], null, s4, v3, 0
	s_add_u32 s1, s8, s22
	s_addc_u32 s7, s9, s23
	s_lshl_b64 s[8:9], s[10:11], 3
	s_add_u32 s1, s1, s8
	s_addc_u32 s7, s7, s9
	s_lshl_b64 s[8:9], s[18:19], 3
	v_add_co_u32 v5, s1, s1, v7
	s_lshl_b64 s[10:11], s[20:21], 3
	s_add_u32 s8, s2, s8
	v_add_co_ci_u32_e64 v6, null, s7, 0, s1
	v_lshlrev_b64 v[3:4], 3, v[3:4]
	s_addc_u32 s9, s3, s9
	s_lshl_b64 s[2:3], s[16:17], 3
	v_add_co_u32 v5, vcc_lo, v5, s10
	s_add_u32 s2, s8, s2
	s_addc_u32 s3, s9, s3
	s_ashr_i32 s1, s0, 31
	v_add_co_ci_u32_e64 v6, null, s11, v6, vcc_lo
	s_lshl_b64 s[0:1], s[0:1], 3
	v_add_co_u32 v3, vcc_lo, s2, v3
	v_add_co_ci_u32_e64 v4, null, s3, v4, vcc_lo
	v_add_co_u32 v5, vcc_lo, v5, s0
	v_add_co_ci_u32_e64 v6, null, s1, v6, vcc_lo
	global_load_dwordx2 v[3:4], v[3:4], off
	global_load_dwordx2 v[5:6], v[5:6], off
	s_waitcnt vmcnt(0)
	v_mul_f32_e32 v7, v6, v4
	v_mul_f32_e32 v6, v6, v3
	v_fmac_f32_e32 v7, v5, v3
	v_fma_f32 v3, v5, v4, -v6
	v_add_f32_e32 v1, v1, v7
	v_add_f32_e32 v2, v2, v3
.LBB141_15:
	s_or_b32 exec_lo, exec_lo, s5
	v_lshlrev_b32_e32 v3, 3, v0
	s_mov_b32 s0, exec_lo
	ds_write_b64 v3, v[1:2]
	s_waitcnt lgkmcnt(0)
	s_waitcnt_vscnt null, 0x0
	s_barrier
	buffer_gl0_inv
	v_cmpx_gt_u32_e32 0x80, v0
	s_cbranch_execz .LBB141_17
; %bb.16:
	ds_read2st64_b64 v[4:7], v3 offset1:2
	s_waitcnt lgkmcnt(0)
	v_add_f32_e32 v1, v6, v4
	v_add_f32_e32 v2, v7, v5
	ds_write_b64 v3, v[1:2]
.LBB141_17:
	s_or_b32 exec_lo, exec_lo, s0
	s_mov_b32 s0, exec_lo
	s_waitcnt lgkmcnt(0)
	s_barrier
	buffer_gl0_inv
	v_cmpx_gt_u32_e32 64, v0
	s_cbranch_execz .LBB141_19
; %bb.18:
	ds_read2st64_b64 v[4:7], v3 offset1:1
	s_waitcnt lgkmcnt(0)
	v_add_f32_e32 v1, v6, v4
	v_add_f32_e32 v2, v7, v5
	ds_write_b64 v3, v[1:2]
.LBB141_19:
	s_or_b32 exec_lo, exec_lo, s0
	s_mov_b32 s0, exec_lo
	s_waitcnt lgkmcnt(0)
	s_barrier
	buffer_gl0_inv
	v_cmpx_gt_u32_e32 32, v0
	s_cbranch_execz .LBB141_21
; %bb.20:
	ds_read2_b64 v[4:7], v3 offset1:32
	s_waitcnt lgkmcnt(0)
	v_add_f32_e32 v1, v6, v4
	v_add_f32_e32 v2, v7, v5
	ds_write_b64 v3, v[1:2]
.LBB141_21:
	s_or_b32 exec_lo, exec_lo, s0
	s_mov_b32 s0, exec_lo
	s_waitcnt lgkmcnt(0)
	s_barrier
	buffer_gl0_inv
	v_cmpx_gt_u32_e32 16, v0
	s_cbranch_execz .LBB141_23
; %bb.22:
	ds_read2_b64 v[4:7], v3 offset1:16
	s_waitcnt lgkmcnt(0)
	v_add_f32_e32 v1, v6, v4
	v_add_f32_e32 v2, v7, v5
	ds_write_b64 v3, v[1:2]
.LBB141_23:
	;; [unrolled: 14-line block ×5, first 2 shown]
	s_or_b32 exec_lo, exec_lo, s0
	v_cmp_eq_u32_e32 vcc_lo, 0, v0
	s_waitcnt lgkmcnt(0)
	s_barrier
	buffer_gl0_inv
	s_and_saveexec_b32 s0, vcc_lo
	s_cbranch_execz .LBB141_31
; %bb.30:
	v_mov_b32_e32 v4, 0
	ds_read_b128 v[0:3], v4
	s_waitcnt lgkmcnt(0)
	v_add_f32_e32 v0, v2, v0
	v_add_f32_e32 v1, v3, v1
	ds_write_b64 v4, v[0:1]
.LBB141_31:
	s_or_b32 exec_lo, exec_lo, s0
	s_waitcnt lgkmcnt(0)
	s_barrier
	buffer_gl0_inv
	s_and_saveexec_b32 s0, vcc_lo
	s_cbranch_execz .LBB141_35
; %bb.32:
	v_mov_b32_e32 v2, 0
	v_cmp_neq_f32_e64 s0, s12, 0
	v_cmp_neq_f32_e64 s1, s13, 0
	ds_read_b64 v[3:4], v2
	s_or_b32 s0, s0, s1
	s_mul_hi_i32 s1, s28, s6
	s_andn2_b32 vcc_lo, exec_lo, s0
	s_mul_i32 s0, s28, s6
	s_waitcnt lgkmcnt(0)
	v_mul_f32_e32 v0, s15, v4
	v_mul_f32_e32 v1, s14, v4
	v_fma_f32 v0, v3, s14, -v0
	v_fmac_f32_e32 v1, s15, v3
	s_cbranch_vccnz .LBB141_34
; %bb.33:
	s_lshl_b64 s[2:3], s[0:1], 3
	s_add_u32 s2, s26, s2
	s_addc_u32 s3, s27, s3
	global_load_dwordx2 v[3:4], v2, s[2:3]
	s_waitcnt vmcnt(0)
	v_mul_f32_e32 v5, s13, v4
	v_mul_f32_e32 v4, s12, v4
	v_fma_f32 v5, s12, v3, -v5
	v_fmac_f32_e32 v4, s13, v3
	v_add_f32_e32 v0, v0, v5
	v_add_f32_e32 v1, v1, v4
.LBB141_34:
	s_lshl_b64 s[0:1], s[0:1], 3
	s_add_u32 s0, s26, s0
	s_addc_u32 s1, s27, s1
	global_store_dwordx2 v2, v[0:1], s[0:1]
.LBB141_35:
	s_endpgm
	.section	.rodata,"a",@progbits
	.p2align	6, 0x0
	.amdhsa_kernel _ZL20rocblas_gemvt_kernelILb1ELi256E19rocblas_complex_numIfES1_S1_EviiT2_lPKT1_lilS5_lilS2_lPT3_lili
		.amdhsa_group_segment_fixed_size 2048
		.amdhsa_private_segment_fixed_size 0
		.amdhsa_kernarg_size 140
		.amdhsa_user_sgpr_count 6
		.amdhsa_user_sgpr_private_segment_buffer 1
		.amdhsa_user_sgpr_dispatch_ptr 0
		.amdhsa_user_sgpr_queue_ptr 0
		.amdhsa_user_sgpr_kernarg_segment_ptr 1
		.amdhsa_user_sgpr_dispatch_id 0
		.amdhsa_user_sgpr_flat_scratch_init 0
		.amdhsa_user_sgpr_private_segment_size 0
		.amdhsa_wavefront_size32 1
		.amdhsa_uses_dynamic_stack 0
		.amdhsa_system_sgpr_private_segment_wavefront_offset 0
		.amdhsa_system_sgpr_workgroup_id_x 1
		.amdhsa_system_sgpr_workgroup_id_y 0
		.amdhsa_system_sgpr_workgroup_id_z 1
		.amdhsa_system_sgpr_workgroup_info 0
		.amdhsa_system_vgpr_workitem_id 0
		.amdhsa_next_free_vgpr 13
		.amdhsa_next_free_sgpr 36
		.amdhsa_reserve_vcc 1
		.amdhsa_reserve_flat_scratch 0
		.amdhsa_float_round_mode_32 0
		.amdhsa_float_round_mode_16_64 0
		.amdhsa_float_denorm_mode_32 3
		.amdhsa_float_denorm_mode_16_64 3
		.amdhsa_dx10_clamp 1
		.amdhsa_ieee_mode 1
		.amdhsa_fp16_overflow 0
		.amdhsa_workgroup_processor_mode 1
		.amdhsa_memory_ordered 1
		.amdhsa_forward_progress 1
		.amdhsa_shared_vgpr_count 0
		.amdhsa_exception_fp_ieee_invalid_op 0
		.amdhsa_exception_fp_denorm_src 0
		.amdhsa_exception_fp_ieee_div_zero 0
		.amdhsa_exception_fp_ieee_overflow 0
		.amdhsa_exception_fp_ieee_underflow 0
		.amdhsa_exception_fp_ieee_inexact 0
		.amdhsa_exception_int_div_zero 0
	.end_amdhsa_kernel
	.section	.text._ZL20rocblas_gemvt_kernelILb1ELi256E19rocblas_complex_numIfES1_S1_EviiT2_lPKT1_lilS5_lilS2_lPT3_lili,"axG",@progbits,_ZL20rocblas_gemvt_kernelILb1ELi256E19rocblas_complex_numIfES1_S1_EviiT2_lPKT1_lilS5_lilS2_lPT3_lili,comdat
.Lfunc_end141:
	.size	_ZL20rocblas_gemvt_kernelILb1ELi256E19rocblas_complex_numIfES1_S1_EviiT2_lPKT1_lilS5_lilS2_lPT3_lili, .Lfunc_end141-_ZL20rocblas_gemvt_kernelILb1ELi256E19rocblas_complex_numIfES1_S1_EviiT2_lPKT1_lilS5_lilS2_lPT3_lili
                                        ; -- End function
	.set _ZL20rocblas_gemvt_kernelILb1ELi256E19rocblas_complex_numIfES1_S1_EviiT2_lPKT1_lilS5_lilS2_lPT3_lili.num_vgpr, 13
	.set _ZL20rocblas_gemvt_kernelILb1ELi256E19rocblas_complex_numIfES1_S1_EviiT2_lPKT1_lilS5_lilS2_lPT3_lili.num_agpr, 0
	.set _ZL20rocblas_gemvt_kernelILb1ELi256E19rocblas_complex_numIfES1_S1_EviiT2_lPKT1_lilS5_lilS2_lPT3_lili.numbered_sgpr, 36
	.set _ZL20rocblas_gemvt_kernelILb1ELi256E19rocblas_complex_numIfES1_S1_EviiT2_lPKT1_lilS5_lilS2_lPT3_lili.num_named_barrier, 0
	.set _ZL20rocblas_gemvt_kernelILb1ELi256E19rocblas_complex_numIfES1_S1_EviiT2_lPKT1_lilS5_lilS2_lPT3_lili.private_seg_size, 0
	.set _ZL20rocblas_gemvt_kernelILb1ELi256E19rocblas_complex_numIfES1_S1_EviiT2_lPKT1_lilS5_lilS2_lPT3_lili.uses_vcc, 1
	.set _ZL20rocblas_gemvt_kernelILb1ELi256E19rocblas_complex_numIfES1_S1_EviiT2_lPKT1_lilS5_lilS2_lPT3_lili.uses_flat_scratch, 0
	.set _ZL20rocblas_gemvt_kernelILb1ELi256E19rocblas_complex_numIfES1_S1_EviiT2_lPKT1_lilS5_lilS2_lPT3_lili.has_dyn_sized_stack, 0
	.set _ZL20rocblas_gemvt_kernelILb1ELi256E19rocblas_complex_numIfES1_S1_EviiT2_lPKT1_lilS5_lilS2_lPT3_lili.has_recursion, 0
	.set _ZL20rocblas_gemvt_kernelILb1ELi256E19rocblas_complex_numIfES1_S1_EviiT2_lPKT1_lilS5_lilS2_lPT3_lili.has_indirect_call, 0
	.section	.AMDGPU.csdata,"",@progbits
; Kernel info:
; codeLenInByte = 1624
; TotalNumSgprs: 38
; NumVgprs: 13
; ScratchSize: 0
; MemoryBound: 0
; FloatMode: 240
; IeeeMode: 1
; LDSByteSize: 2048 bytes/workgroup (compile time only)
; SGPRBlocks: 0
; VGPRBlocks: 1
; NumSGPRsForWavesPerEU: 38
; NumVGPRsForWavesPerEU: 13
; Occupancy: 16
; WaveLimiterHint : 1
; COMPUTE_PGM_RSRC2:SCRATCH_EN: 0
; COMPUTE_PGM_RSRC2:USER_SGPR: 6
; COMPUTE_PGM_RSRC2:TRAP_HANDLER: 0
; COMPUTE_PGM_RSRC2:TGID_X_EN: 1
; COMPUTE_PGM_RSRC2:TGID_Y_EN: 0
; COMPUTE_PGM_RSRC2:TGID_Z_EN: 1
; COMPUTE_PGM_RSRC2:TIDIG_COMP_CNT: 0
	.section	.text._ZL32rocblas_gemvt_warp_reduce_kernelILb1ELi1024Ei19rocblas_complex_numIfEPKS1_S1_EviiT3_lPKT2_lT1_lS7_lS8_lS4_lPT4_lS8_li,"axG",@progbits,_ZL32rocblas_gemvt_warp_reduce_kernelILb1ELi1024Ei19rocblas_complex_numIfEPKS1_S1_EviiT3_lPKT2_lT1_lS7_lS8_lS4_lPT4_lS8_li,comdat
	.globl	_ZL32rocblas_gemvt_warp_reduce_kernelILb1ELi1024Ei19rocblas_complex_numIfEPKS1_S1_EviiT3_lPKT2_lT1_lS7_lS8_lS4_lPT4_lS8_li ; -- Begin function _ZL32rocblas_gemvt_warp_reduce_kernelILb1ELi1024Ei19rocblas_complex_numIfEPKS1_S1_EviiT3_lPKT2_lT1_lS7_lS8_lS4_lPT4_lS8_li
	.p2align	8
	.type	_ZL32rocblas_gemvt_warp_reduce_kernelILb1ELi1024Ei19rocblas_complex_numIfEPKS1_S1_EviiT3_lPKT2_lT1_lS7_lS8_lS4_lPT4_lS8_li,@function
_ZL32rocblas_gemvt_warp_reduce_kernelILb1ELi1024Ei19rocblas_complex_numIfEPKS1_S1_EviiT3_lPKT2_lT1_lS7_lS8_lS4_lPT4_lS8_li: ; @_ZL32rocblas_gemvt_warp_reduce_kernelILb1ELi1024Ei19rocblas_complex_numIfEPKS1_S1_EviiT3_lPKT2_lT1_lS7_lS8_lS4_lPT4_lS8_li
; %bb.0:
	s_clause 0x1
	s_load_dwordx8 s[8:15], s[4:5], 0x8
	s_load_dwordx8 s[16:23], s[4:5], 0x50
	s_waitcnt lgkmcnt(0)
	s_mul_i32 s1, s11, s7
	s_mul_hi_u32 s2, s10, s7
	s_mul_i32 s0, s10, s7
	s_add_i32 s1, s2, s1
	s_mul_hi_u32 s2, s20, s7
	s_lshl_b64 s[0:1], s[0:1], 3
	s_add_u32 s0, s8, s0
	s_addc_u32 s1, s9, s1
	s_load_dwordx2 s[8:9], s[0:1], 0x0
	s_mul_i32 s1, s21, s7
	s_mul_i32 s0, s20, s7
	s_add_i32 s1, s2, s1
	s_lshl_b64 s[0:1], s[0:1], 3
	s_add_u32 s0, s18, s0
	s_addc_u32 s1, s19, s1
	s_load_dwordx2 s[2:3], s[0:1], 0x0
	s_waitcnt lgkmcnt(0)
	v_cmp_neq_f32_e64 s0, s8, 0
	v_cmp_neq_f32_e64 s1, s9, 0
	s_or_b32 s0, s0, s1
	s_and_b32 vcc_lo, exec_lo, s0
	s_mov_b32 s0, -1
	s_cbranch_vccnz .LBB142_2
; %bb.1:
	v_cmp_neq_f32_e64 s0, s2, 1.0
	v_cmp_neq_f32_e64 s1, s3, 0
	s_or_b32 s0, s0, s1
.LBB142_2:
	s_andn2_b32 vcc_lo, exec_lo, s0
	s_cbranch_vccnz .LBB142_28
; %bb.3:
	s_clause 0x2
	s_load_dwordx2 s[0:1], s[4:5], 0x80
	s_load_dwordx2 s[10:11], s[4:5], 0x70
	s_load_dword s20, s[4:5], 0x78
	v_cmp_eq_u32_e32 vcc_lo, 0, v0
	s_waitcnt lgkmcnt(0)
	s_mul_i32 s1, s1, s7
	s_mul_hi_u32 s18, s0, s7
	s_mul_i32 s0, s0, s7
	s_add_i32 s1, s18, s1
	s_lshl_b64 s[0:1], s[0:1], 3
	s_add_u32 s18, s22, s0
	s_addc_u32 s19, s23, s1
	s_lshl_b64 s[0:1], s[10:11], 3
	s_add_u32 s18, s18, s0
	s_addc_u32 s19, s19, s1
	s_or_b32 s0, s8, s9
	s_bitset0_b32 s0, 31
	s_cmp_lg_u32 s0, 0
	s_mov_b32 s0, -1
	s_cbranch_scc1 .LBB142_9
; %bb.4:
	s_and_saveexec_b32 s10, vcc_lo
	s_cbranch_execz .LBB142_8
; %bb.5:
	v_cmp_neq_f32_e64 s0, s2, 0
	v_cmp_neq_f32_e64 s1, s3, 0
	v_mov_b32_e32 v2, 0
	v_mov_b32_e32 v3, 0
	;; [unrolled: 1-line block ×3, first 2 shown]
	s_or_b32 s1, s0, s1
	s_mul_i32 s0, s20, s6
	s_andn2_b32 vcc_lo, exec_lo, s1
	s_ashr_i32 s1, s0, 31
	s_cbranch_vccnz .LBB142_7
; %bb.6:
	s_lshl_b64 s[22:23], s[0:1], 3
	s_add_u32 s22, s18, s22
	s_addc_u32 s23, s19, s23
	s_load_dwordx2 s[22:23], s[22:23], 0x0
	s_waitcnt lgkmcnt(0)
	v_mul_f32_e64 v1, s3, s23
	v_mul_f32_e64 v2, s2, s23
	v_fma_f32 v1, s2, s22, -v1
	v_fmac_f32_e64 v2, s3, s22
.LBB142_7:
	s_lshl_b64 s[0:1], s[0:1], 3
	s_add_u32 s0, s18, s0
	s_addc_u32 s1, s19, s1
	global_store_dwordx2 v3, v[1:2], s[0:1]
.LBB142_8:
	s_or_b32 exec_lo, exec_lo, s10
	s_mov_b32 s0, 0
.LBB142_9:
	s_andn2_b32 vcc_lo, exec_lo, s0
	s_cbranch_vccnz .LBB142_28
; %bb.10:
	s_clause 0x3
	s_load_dwordx4 s[24:27], s[4:5], 0x30
	s_load_dwordx2 s[10:11], s[4:5], 0x40
	s_load_dword s21, s[4:5], 0x0
	s_load_dword s22, s[4:5], 0x28
	s_mul_i32 s0, s17, s7
	s_mul_hi_u32 s1, s16, s7
	s_mul_i32 s16, s16, s7
	s_add_i32 s17, s1, s0
	s_load_dword s1, s[4:5], 0x48
	s_lshl_b64 s[4:5], s[16:17], 3
	v_mov_b32_e32 v5, 0
	v_mov_b32_e32 v6, 0
	s_waitcnt lgkmcnt(0)
	s_add_u32 s0, s26, s4
	s_addc_u32 s17, s27, s5
	v_cmp_gt_i32_e32 vcc_lo, s21, v0
	s_lshl_b64 s[4:5], s[10:11], 3
	s_mul_i32 s23, s25, s7
	s_add_u32 s16, s0, s4
	s_addc_u32 s17, s17, s5
	v_cndmask_b32_e32 v1, 0, v0, vcc_lo
	s_ashr_i32 s0, s21, 31
	s_mul_hi_u32 s11, s24, s7
	s_lshr_b32 s0, s0, 22
	s_mul_i32 s4, s22, s6
	v_lshlrev_b32_e32 v7, 3, v1
	s_add_i32 s0, s21, s0
	s_mul_i32 s10, s24, s7
	s_add_i32 s11, s11, s23
	s_and_b32 s0, s0, 0xfffffc00
	s_mov_b32 s22, 0
	s_ashr_i32 s5, s4, 31
	s_mov_b32 s7, exec_lo
	v_cmpx_gt_i32_e64 s0, v0
	s_cbranch_execz .LBB142_14
; %bb.11:
	s_lshl_b64 s[24:25], s[10:11], 3
	s_lshl_b64 s[26:27], s[14:15], 3
	s_lshl_b32 s23, s1, 10
	s_add_u32 s26, s24, s26
	s_addc_u32 s27, s25, s27
	s_lshl_b64 s[24:25], s[4:5], 3
	v_mul_lo_u32 v1, v0, s1
	s_add_u32 s24, s26, s24
	s_addc_u32 s25, s27, s25
	s_add_u32 s24, s12, s24
	s_addc_u32 s25, s13, s25
	v_add_co_u32 v2, s24, s24, v7
	v_add_co_ci_u32_e64 v4, null, s25, 0, s24
	v_mov_b32_e32 v5, 0
	v_add_co_u32 v3, vcc_lo, v2, 4
	v_add_co_ci_u32_e64 v4, null, 0, v4, vcc_lo
	v_mov_b32_e32 v8, v0
	v_mov_b32_e32 v6, 0
	.p2align	6
.LBB142_12:                             ; =>This Inner Loop Header: Depth=1
	v_ashrrev_i32_e32 v2, 31, v1
	v_add_nc_u32_e32 v8, 0x400, v8
	v_lshlrev_b64 v[9:10], 3, v[1:2]
	v_add_nc_u32_e32 v1, s23, v1
	v_add_co_u32 v9, vcc_lo, s16, v9
	v_add_co_ci_u32_e64 v10, null, s17, v10, vcc_lo
	global_load_dwordx2 v[11:12], v[3:4], off offset:-4
	global_load_dwordx2 v[9:10], v[9:10], off
	v_add_co_u32 v3, vcc_lo, 0x2000, v3
	v_add_co_ci_u32_e64 v4, null, 0, v4, vcc_lo
	v_cmp_le_i32_e32 vcc_lo, s0, v8
	s_or_b32 s22, vcc_lo, s22
	s_waitcnt vmcnt(0)
	v_mul_f32_e32 v2, v12, v10
	v_mul_f32_e32 v12, v12, v9
	v_fmac_f32_e32 v2, v11, v9
	v_fma_f32 v9, v11, v10, -v12
	v_add_f32_e32 v6, v6, v2
	v_add_f32_e32 v5, v5, v9
	s_andn2_b32 exec_lo, exec_lo, s22
	s_cbranch_execnz .LBB142_12
; %bb.13:
	s_or_b32 exec_lo, exec_lo, s22
.LBB142_14:
	s_or_b32 exec_lo, exec_lo, s7
	v_or_b32_e32 v1, s0, v0
	s_mov_b32 s7, exec_lo
	v_cmpx_gt_i32_e64 s21, v1
	s_cbranch_execz .LBB142_16
; %bb.15:
	s_lshl_b64 s[10:11], s[10:11], 3
	v_mul_lo_u32 v1, s1, v1
	s_add_u32 s12, s12, s10
	s_addc_u32 s13, s13, s11
	s_lshl_b64 s[10:11], s[14:15], 3
	s_add_u32 s1, s12, s10
	s_addc_u32 s10, s13, s11
	v_add_co_u32 v3, s1, s1, v7
	v_ashrrev_i32_e32 v2, 31, v1
	v_add_co_ci_u32_e64 v4, null, s10, 0, s1
	s_lshl_b64 s[4:5], s[4:5], 3
	s_ashr_i32 s1, s0, 31
	v_add_co_u32 v3, vcc_lo, v3, s4
	v_lshlrev_b64 v[1:2], 3, v[1:2]
	v_add_co_ci_u32_e64 v4, null, s5, v4, vcc_lo
	s_lshl_b64 s[0:1], s[0:1], 3
	v_add_co_u32 v3, vcc_lo, v3, s0
	v_add_co_ci_u32_e64 v4, null, s1, v4, vcc_lo
	v_add_co_u32 v1, vcc_lo, s16, v1
	v_add_co_ci_u32_e64 v2, null, s17, v2, vcc_lo
	global_load_dwordx2 v[3:4], v[3:4], off
	global_load_dwordx2 v[1:2], v[1:2], off
	s_waitcnt vmcnt(0)
	v_mul_f32_e32 v7, v4, v2
	v_mul_f32_e32 v4, v4, v1
	v_fmac_f32_e32 v7, v3, v1
	v_fma_f32 v1, v3, v2, -v4
	v_add_f32_e32 v6, v6, v7
	v_add_f32_e32 v5, v5, v1
.LBB142_16:
	s_or_b32 exec_lo, exec_lo, s7
	v_and_b32_e32 v1, 31, v0
	v_cmp_gt_u32_e32 vcc_lo, 32, v0
	v_lshlrev_b32_e32 v7, 3, v1
	s_and_saveexec_b32 s0, vcc_lo
; %bb.17:
	v_mov_b32_e32 v2, 0
	v_mov_b32_e32 v3, v2
	ds_write_b64 v7, v[2:3]
; %bb.18:
	s_or_b32 exec_lo, exec_lo, s0
	v_mbcnt_lo_u32_b32 v2, -1, 0
	s_mov_b32 s1, exec_lo
	s_waitcnt lgkmcnt(0)
	s_waitcnt_vscnt null, 0x0
	s_barrier
	buffer_gl0_inv
	v_lshl_or_b32 v3, v2, 2, 64
	v_cmp_gt_u32_e64 s0, 24, v2
	ds_bpermute_b32 v8, v3, v6
	ds_bpermute_b32 v9, v3, v5
	v_cndmask_b32_e64 v4, 0, 8, s0
	v_cmp_gt_u32_e64 s0, 28, v2
	v_add_lshl_u32 v4, v4, v2, 2
	s_waitcnt lgkmcnt(1)
	v_add_f32_e32 v6, v6, v8
	s_waitcnt lgkmcnt(0)
	v_add_f32_e32 v8, v5, v9
	v_cndmask_b32_e64 v5, 0, 4, s0
	v_cmp_gt_u32_e64 s0, 30, v2
	ds_bpermute_b32 v9, v4, v6
	ds_bpermute_b32 v10, v4, v8
	v_add_lshl_u32 v5, v5, v2, 2
	s_waitcnt lgkmcnt(1)
	v_add_f32_e32 v9, v6, v9
	s_waitcnt lgkmcnt(0)
	v_add_f32_e32 v8, v8, v10
	v_cndmask_b32_e64 v6, 0, 2, s0
	v_cmp_ne_u32_e64 s0, 31, v2
	ds_bpermute_b32 v10, v5, v9
	ds_bpermute_b32 v11, v5, v8
	v_add_lshl_u32 v6, v6, v2, 2
	v_add_co_ci_u32_e64 v2, null, 0, v2, s0
	s_waitcnt lgkmcnt(1)
	v_add_f32_e32 v9, v9, v10
	s_waitcnt lgkmcnt(0)
	v_add_f32_e32 v10, v8, v11
	v_lshlrev_b32_e32 v8, 2, v2
	ds_bpermute_b32 v11, v6, v9
	ds_bpermute_b32 v12, v6, v10
	s_waitcnt lgkmcnt(1)
	v_add_f32_e32 v2, v9, v11
	s_waitcnt lgkmcnt(0)
	v_add_f32_e32 v10, v10, v12
	ds_bpermute_b32 v9, v8, v2
	ds_bpermute_b32 v11, v8, v10
	v_cmpx_eq_u32_e32 0, v1
	s_cbranch_execz .LBB142_20
; %bb.19:
	v_lshrrev_b32_e32 v1, 2, v0
	s_waitcnt lgkmcnt(0)
	v_add_f32_e32 v10, v10, v11
	v_add_f32_e32 v9, v2, v9
	v_and_b32_e32 v1, 0xf8, v1
	ds_write_b64 v1, v[9:10]
.LBB142_20:
	s_or_b32 exec_lo, exec_lo, s1
	v_mov_b32_e32 v2, 0
	v_mov_b32_e32 v1, 0
	s_waitcnt lgkmcnt(0)
	s_barrier
	buffer_gl0_inv
	s_and_saveexec_b32 s0, vcc_lo
; %bb.21:
	ds_read_b64 v[1:2], v7
; %bb.22:
	s_or_b32 exec_lo, exec_lo, s0
	s_and_saveexec_b32 s0, vcc_lo
	s_cbranch_execz .LBB142_24
; %bb.23:
	s_waitcnt lgkmcnt(0)
	ds_bpermute_b32 v7, v3, v1
	ds_bpermute_b32 v3, v3, v2
	s_waitcnt lgkmcnt(1)
	v_add_f32_e32 v1, v1, v7
	s_waitcnt lgkmcnt(0)
	v_add_f32_e32 v2, v2, v3
	ds_bpermute_b32 v3, v4, v1
	ds_bpermute_b32 v4, v4, v2
	s_waitcnt lgkmcnt(1)
	v_add_f32_e32 v1, v1, v3
	s_waitcnt lgkmcnt(0)
	v_add_f32_e32 v2, v2, v4
	;; [unrolled: 6-line block ×5, first 2 shown]
.LBB142_24:
	s_or_b32 exec_lo, exec_lo, s0
	s_mov_b32 s0, exec_lo
	v_cmpx_eq_u32_e32 0, v0
	s_cbranch_execz .LBB142_28
; %bb.25:
	s_waitcnt lgkmcnt(0)
	v_mul_f32_e32 v0, s9, v2
	v_mul_f32_e32 v3, s8, v2
	v_cmp_neq_f32_e64 s0, s2, 0
	v_cmp_neq_f32_e64 s1, s3, 0
	v_fma_f32 v2, v1, s8, -v0
	v_fmac_f32_e32 v3, s9, v1
	s_or_b32 s1, s0, s1
	s_mul_i32 s0, s20, s6
	s_andn2_b32 vcc_lo, exec_lo, s1
	s_ashr_i32 s1, s0, 31
	s_cbranch_vccnz .LBB142_27
; %bb.26:
	s_lshl_b64 s[4:5], s[0:1], 3
	v_mov_b32_e32 v0, 0
	s_add_u32 s4, s18, s4
	s_addc_u32 s5, s19, s5
	global_load_dwordx2 v[0:1], v0, s[4:5]
	s_waitcnt vmcnt(0)
	v_mul_f32_e32 v4, s3, v1
	v_mul_f32_e32 v1, s2, v1
	v_fma_f32 v4, s2, v0, -v4
	v_fmac_f32_e32 v1, s3, v0
	v_add_f32_e32 v2, v2, v4
	v_add_f32_e32 v3, v3, v1
.LBB142_27:
	s_lshl_b64 s[0:1], s[0:1], 3
	v_mov_b32_e32 v0, 0
	s_add_u32 s0, s18, s0
	s_addc_u32 s1, s19, s1
	global_store_dwordx2 v0, v[2:3], s[0:1]
.LBB142_28:
	s_endpgm
	.section	.rodata,"a",@progbits
	.p2align	6, 0x0
	.amdhsa_kernel _ZL32rocblas_gemvt_warp_reduce_kernelILb1ELi1024Ei19rocblas_complex_numIfEPKS1_S1_EviiT3_lPKT2_lT1_lS7_lS8_lS4_lPT4_lS8_li
		.amdhsa_group_segment_fixed_size 256
		.amdhsa_private_segment_fixed_size 0
		.amdhsa_kernarg_size 140
		.amdhsa_user_sgpr_count 6
		.amdhsa_user_sgpr_private_segment_buffer 1
		.amdhsa_user_sgpr_dispatch_ptr 0
		.amdhsa_user_sgpr_queue_ptr 0
		.amdhsa_user_sgpr_kernarg_segment_ptr 1
		.amdhsa_user_sgpr_dispatch_id 0
		.amdhsa_user_sgpr_flat_scratch_init 0
		.amdhsa_user_sgpr_private_segment_size 0
		.amdhsa_wavefront_size32 1
		.amdhsa_uses_dynamic_stack 0
		.amdhsa_system_sgpr_private_segment_wavefront_offset 0
		.amdhsa_system_sgpr_workgroup_id_x 1
		.amdhsa_system_sgpr_workgroup_id_y 0
		.amdhsa_system_sgpr_workgroup_id_z 1
		.amdhsa_system_sgpr_workgroup_info 0
		.amdhsa_system_vgpr_workitem_id 0
		.amdhsa_next_free_vgpr 13
		.amdhsa_next_free_sgpr 28
		.amdhsa_reserve_vcc 1
		.amdhsa_reserve_flat_scratch 0
		.amdhsa_float_round_mode_32 0
		.amdhsa_float_round_mode_16_64 0
		.amdhsa_float_denorm_mode_32 3
		.amdhsa_float_denorm_mode_16_64 3
		.amdhsa_dx10_clamp 1
		.amdhsa_ieee_mode 1
		.amdhsa_fp16_overflow 0
		.amdhsa_workgroup_processor_mode 1
		.amdhsa_memory_ordered 1
		.amdhsa_forward_progress 1
		.amdhsa_shared_vgpr_count 0
		.amdhsa_exception_fp_ieee_invalid_op 0
		.amdhsa_exception_fp_denorm_src 0
		.amdhsa_exception_fp_ieee_div_zero 0
		.amdhsa_exception_fp_ieee_overflow 0
		.amdhsa_exception_fp_ieee_underflow 0
		.amdhsa_exception_fp_ieee_inexact 0
		.amdhsa_exception_int_div_zero 0
	.end_amdhsa_kernel
	.section	.text._ZL32rocblas_gemvt_warp_reduce_kernelILb1ELi1024Ei19rocblas_complex_numIfEPKS1_S1_EviiT3_lPKT2_lT1_lS7_lS8_lS4_lPT4_lS8_li,"axG",@progbits,_ZL32rocblas_gemvt_warp_reduce_kernelILb1ELi1024Ei19rocblas_complex_numIfEPKS1_S1_EviiT3_lPKT2_lT1_lS7_lS8_lS4_lPT4_lS8_li,comdat
.Lfunc_end142:
	.size	_ZL32rocblas_gemvt_warp_reduce_kernelILb1ELi1024Ei19rocblas_complex_numIfEPKS1_S1_EviiT3_lPKT2_lT1_lS7_lS8_lS4_lPT4_lS8_li, .Lfunc_end142-_ZL32rocblas_gemvt_warp_reduce_kernelILb1ELi1024Ei19rocblas_complex_numIfEPKS1_S1_EviiT3_lPKT2_lT1_lS7_lS8_lS4_lPT4_lS8_li
                                        ; -- End function
	.set _ZL32rocblas_gemvt_warp_reduce_kernelILb1ELi1024Ei19rocblas_complex_numIfEPKS1_S1_EviiT3_lPKT2_lT1_lS7_lS8_lS4_lPT4_lS8_li.num_vgpr, 13
	.set _ZL32rocblas_gemvt_warp_reduce_kernelILb1ELi1024Ei19rocblas_complex_numIfEPKS1_S1_EviiT3_lPKT2_lT1_lS7_lS8_lS4_lPT4_lS8_li.num_agpr, 0
	.set _ZL32rocblas_gemvt_warp_reduce_kernelILb1ELi1024Ei19rocblas_complex_numIfEPKS1_S1_EviiT3_lPKT2_lT1_lS7_lS8_lS4_lPT4_lS8_li.numbered_sgpr, 28
	.set _ZL32rocblas_gemvt_warp_reduce_kernelILb1ELi1024Ei19rocblas_complex_numIfEPKS1_S1_EviiT3_lPKT2_lT1_lS7_lS8_lS4_lPT4_lS8_li.num_named_barrier, 0
	.set _ZL32rocblas_gemvt_warp_reduce_kernelILb1ELi1024Ei19rocblas_complex_numIfEPKS1_S1_EviiT3_lPKT2_lT1_lS7_lS8_lS4_lPT4_lS8_li.private_seg_size, 0
	.set _ZL32rocblas_gemvt_warp_reduce_kernelILb1ELi1024Ei19rocblas_complex_numIfEPKS1_S1_EviiT3_lPKT2_lT1_lS7_lS8_lS4_lPT4_lS8_li.uses_vcc, 1
	.set _ZL32rocblas_gemvt_warp_reduce_kernelILb1ELi1024Ei19rocblas_complex_numIfEPKS1_S1_EviiT3_lPKT2_lT1_lS7_lS8_lS4_lPT4_lS8_li.uses_flat_scratch, 0
	.set _ZL32rocblas_gemvt_warp_reduce_kernelILb1ELi1024Ei19rocblas_complex_numIfEPKS1_S1_EviiT3_lPKT2_lT1_lS7_lS8_lS4_lPT4_lS8_li.has_dyn_sized_stack, 0
	.set _ZL32rocblas_gemvt_warp_reduce_kernelILb1ELi1024Ei19rocblas_complex_numIfEPKS1_S1_EviiT3_lPKT2_lT1_lS7_lS8_lS4_lPT4_lS8_li.has_recursion, 0
	.set _ZL32rocblas_gemvt_warp_reduce_kernelILb1ELi1024Ei19rocblas_complex_numIfEPKS1_S1_EviiT3_lPKT2_lT1_lS7_lS8_lS4_lPT4_lS8_li.has_indirect_call, 0
	.section	.AMDGPU.csdata,"",@progbits
; Kernel info:
; codeLenInByte = 1756
; TotalNumSgprs: 30
; NumVgprs: 13
; ScratchSize: 0
; MemoryBound: 0
; FloatMode: 240
; IeeeMode: 1
; LDSByteSize: 256 bytes/workgroup (compile time only)
; SGPRBlocks: 0
; VGPRBlocks: 1
; NumSGPRsForWavesPerEU: 30
; NumVGPRsForWavesPerEU: 13
; Occupancy: 16
; WaveLimiterHint : 1
; COMPUTE_PGM_RSRC2:SCRATCH_EN: 0
; COMPUTE_PGM_RSRC2:USER_SGPR: 6
; COMPUTE_PGM_RSRC2:TRAP_HANDLER: 0
; COMPUTE_PGM_RSRC2:TGID_X_EN: 1
; COMPUTE_PGM_RSRC2:TGID_Y_EN: 0
; COMPUTE_PGM_RSRC2:TGID_Z_EN: 1
; COMPUTE_PGM_RSRC2:TIDIG_COMP_CNT: 0
	.section	.text._ZL32rocblas_gemvt_warp_reduce_kernelILb1ELi1024El19rocblas_complex_numIfEPKS1_S1_EviiT3_lPKT2_lT1_lS7_lS8_lS4_lPT4_lS8_li,"axG",@progbits,_ZL32rocblas_gemvt_warp_reduce_kernelILb1ELi1024El19rocblas_complex_numIfEPKS1_S1_EviiT3_lPKT2_lT1_lS7_lS8_lS4_lPT4_lS8_li,comdat
	.globl	_ZL32rocblas_gemvt_warp_reduce_kernelILb1ELi1024El19rocblas_complex_numIfEPKS1_S1_EviiT3_lPKT2_lT1_lS7_lS8_lS4_lPT4_lS8_li ; -- Begin function _ZL32rocblas_gemvt_warp_reduce_kernelILb1ELi1024El19rocblas_complex_numIfEPKS1_S1_EviiT3_lPKT2_lT1_lS7_lS8_lS4_lPT4_lS8_li
	.p2align	8
	.type	_ZL32rocblas_gemvt_warp_reduce_kernelILb1ELi1024El19rocblas_complex_numIfEPKS1_S1_EviiT3_lPKT2_lT1_lS7_lS8_lS4_lPT4_lS8_li,@function
_ZL32rocblas_gemvt_warp_reduce_kernelILb1ELi1024El19rocblas_complex_numIfEPKS1_S1_EviiT3_lPKT2_lT1_lS7_lS8_lS4_lPT4_lS8_li: ; @_ZL32rocblas_gemvt_warp_reduce_kernelILb1ELi1024El19rocblas_complex_numIfEPKS1_S1_EviiT3_lPKT2_lT1_lS7_lS8_lS4_lPT4_lS8_li
; %bb.0:
	s_clause 0x1
	s_load_dwordx16 s[36:51], s[4:5], 0x8
	s_load_dwordx16 s[8:23], s[4:5], 0x48
	s_waitcnt lgkmcnt(0)
	s_mul_i32 s1, s39, s7
	s_mul_hi_u32 s2, s38, s7
	s_mul_i32 s0, s38, s7
	s_add_i32 s1, s2, s1
	s_mul_hi_u32 s2, s14, s7
	s_lshl_b64 s[0:1], s[0:1], 3
	s_add_u32 s0, s36, s0
	s_addc_u32 s1, s37, s1
	s_load_dwordx2 s[24:25], s[0:1], 0x0
	s_mul_i32 s1, s15, s7
	s_mul_i32 s0, s14, s7
	s_add_i32 s1, s2, s1
	s_lshl_b64 s[0:1], s[0:1], 3
	s_add_u32 s0, s12, s0
	s_addc_u32 s1, s13, s1
	s_load_dwordx2 s[2:3], s[0:1], 0x0
	s_waitcnt lgkmcnt(0)
	v_cmp_neq_f32_e64 s0, s24, 0
	v_cmp_neq_f32_e64 s1, s25, 0
	s_or_b32 s0, s0, s1
	s_and_b32 vcc_lo, exec_lo, s0
	s_mov_b32 s0, -1
	s_cbranch_vccnz .LBB143_2
; %bb.1:
	v_cmp_neq_f32_e64 s0, s2, 1.0
	v_cmp_neq_f32_e64 s1, s3, 0
	s_or_b32 s0, s0, s1
.LBB143_2:
	s_andn2_b32 vcc_lo, exec_lo, s0
	s_cbranch_vccnz .LBB143_28
; %bb.3:
	s_mul_i32 s1, s23, s7
	s_mul_hi_u32 s12, s22, s7
	s_mul_i32 s0, s22, s7
	s_add_i32 s1, s12, s1
	v_cmp_eq_u32_e32 vcc_lo, 0, v0
	s_lshl_b64 s[0:1], s[0:1], 3
	s_add_u32 s12, s16, s0
	s_addc_u32 s13, s17, s1
	s_lshl_b64 s[0:1], s[18:19], 3
	s_add_u32 s18, s12, s0
	s_addc_u32 s19, s13, s1
	s_or_b32 s0, s24, s25
	s_bitset0_b32 s0, 31
	s_cmp_lg_u32 s0, 0
	s_mov_b32 s0, -1
	s_cbranch_scc1 .LBB143_9
; %bb.4:
	s_and_saveexec_b32 s12, vcc_lo
	s_cbranch_execz .LBB143_8
; %bb.5:
	v_cmp_neq_f32_e64 s0, s2, 0
	v_cmp_neq_f32_e64 s1, s3, 0
	s_ashr_i32 s13, s6, 31
	s_mul_hi_u32 s14, s20, s6
	v_mov_b32_e32 v2, 0
	v_mov_b32_e32 v3, 0
	s_or_b32 s0, s0, s1
	s_mul_i32 s1, s20, s13
	v_mov_b32_e32 v1, 0
	s_add_i32 s1, s14, s1
	s_mul_i32 s13, s21, s6
	s_andn2_b32 vcc_lo, exec_lo, s0
	s_add_i32 s1, s1, s13
	s_mul_i32 s0, s20, s6
	s_cbranch_vccnz .LBB143_7
; %bb.6:
	s_lshl_b64 s[14:15], s[0:1], 3
	s_add_u32 s14, s18, s14
	s_addc_u32 s15, s19, s15
	s_load_dwordx2 s[14:15], s[14:15], 0x0
	s_waitcnt lgkmcnt(0)
	v_mul_f32_e64 v1, s3, s15
	v_mul_f32_e64 v2, s2, s15
	v_fma_f32 v1, s2, s14, -v1
	v_fmac_f32_e64 v2, s3, s14
.LBB143_7:
	s_lshl_b64 s[0:1], s[0:1], 3
	s_add_u32 s0, s18, s0
	s_addc_u32 s1, s19, s1
	global_store_dwordx2 v3, v[1:2], s[0:1]
.LBB143_8:
	s_or_b32 exec_lo, exec_lo, s12
	s_mov_b32 s0, 0
.LBB143_9:
	s_andn2_b32 vcc_lo, exec_lo, s0
	s_cbranch_vccnz .LBB143_28
; %bb.10:
	s_load_dword s22, s[4:5], 0x0
	s_mul_i32 s0, s11, s7
	s_mul_hi_u32 s5, s10, s7
	s_mul_i32 s4, s10, s7
	s_mul_i32 s10, s47, s7
	s_mul_hi_u32 s11, s46, s7
	s_ashr_i32 s1, s6, 31
	s_add_i32 s5, s5, s0
	s_mul_i32 s12, s46, s7
	s_mul_hi_u32 s7, s44, s6
	s_add_i32 s13, s11, s10
	s_mul_i32 s10, s44, s1
	v_mov_b32_e32 v5, 0
	v_mov_b32_e32 v7, 0
	s_mul_i32 s14, s45, s6
	s_add_i32 s7, s7, s10
	s_mov_b32 s11, 0
	s_add_i32 s15, s7, s14
	s_mul_i32 s14, s44, s6
	s_mov_b32 s7, exec_lo
	s_waitcnt lgkmcnt(0)
	v_cmp_gt_i32_e32 vcc_lo, s22, v0
	s_ashr_i32 s0, s22, 31
	s_lshr_b32 s0, s0, 22
	s_add_i32 s0, s22, s0
	v_cndmask_b32_e32 v1, 0, v0, vcc_lo
	s_and_b32 s10, s0, 0xfffffc00
	v_lshlrev_b32_e32 v6, 3, v1
	v_cmpx_gt_i32_e64 s10, v0
	s_cbranch_execz .LBB143_14
; %bb.11:
	v_mad_u64_u32 v[1:2], null, s8, v0, 0
	s_lshl_b64 s[26:27], s[50:51], 3
	s_lshl_b64 s[16:17], s[4:5], 3
	s_add_u32 s0, s48, s26
	s_addc_u32 s23, s49, s27
	s_add_u32 s0, s0, s16
	s_addc_u32 s23, s23, s17
	v_mad_u64_u32 v[2:3], null, s9, v0, v[2:3]
	s_lshl_b64 s[26:27], s[14:15], 3
	s_lshl_b64 s[28:29], s[12:13], 3
	;; [unrolled: 1-line block ×3, first 2 shown]
	s_add_u32 s28, s26, s28
	s_addc_u32 s29, s27, s29
	s_lshl_b64 s[26:27], s[42:43], 3
	v_lshlrev_b64 v[1:2], 3, v[1:2]
	s_add_u32 s26, s28, s26
	s_addc_u32 s27, s29, s27
	s_add_u32 s26, s40, s26
	s_addc_u32 s27, s41, s27
	v_mov_b32_e32 v5, 0
	v_add_co_u32 v1, vcc_lo, s0, v1
	v_add_co_ci_u32_e64 v2, null, s23, v2, vcc_lo
	v_add_co_u32 v3, s0, s26, v6
	v_add_co_ci_u32_e64 v4, null, s27, 0, s0
	v_add_co_u32 v1, vcc_lo, v1, 4
	v_add_co_ci_u32_e64 v2, null, 0, v2, vcc_lo
	v_add_co_u32 v3, vcc_lo, v3, 4
	v_add_co_ci_u32_e64 v4, null, 0, v4, vcc_lo
	v_mov_b32_e32 v8, v0
	v_mov_b32_e32 v7, 0
	.p2align	6
.LBB143_12:                             ; =>This Inner Loop Header: Depth=1
	global_load_dwordx2 v[9:10], v[3:4], off offset:-4
	global_load_dwordx2 v[11:12], v[1:2], off offset:-4
	v_add_nc_u32_e32 v8, 0x400, v8
	v_add_co_u32 v1, vcc_lo, v1, s16
	v_add_co_ci_u32_e64 v2, null, s17, v2, vcc_lo
	v_add_co_u32 v3, vcc_lo, 0x2000, v3
	v_cmp_le_i32_e64 s0, s10, v8
	v_add_co_ci_u32_e64 v4, null, 0, v4, vcc_lo
	s_or_b32 s11, s0, s11
	s_waitcnt vmcnt(0)
	v_mul_f32_e32 v13, v10, v12
	v_mul_f32_e32 v10, v10, v11
	v_fmac_f32_e32 v13, v9, v11
	v_fma_f32 v9, v9, v12, -v10
	v_add_f32_e32 v7, v7, v13
	v_add_f32_e32 v5, v5, v9
	s_andn2_b32 exec_lo, exec_lo, s11
	s_cbranch_execnz .LBB143_12
; %bb.13:
	s_or_b32 exec_lo, exec_lo, s11
.LBB143_14:
	s_or_b32 exec_lo, exec_lo, s7
	v_or_b32_e32 v1, s10, v0
	s_mov_b32 s0, exec_lo
	v_cmpx_gt_i32_e64 s22, v1
	s_cbranch_execz .LBB143_16
; %bb.15:
	v_ashrrev_i32_e32 v2, 31, v1
	s_lshl_b64 s[12:13], s[12:13], 3
	v_mul_lo_u32 v3, s9, v1
	s_add_u32 s7, s40, s12
	s_addc_u32 s11, s41, s13
	v_mul_lo_u32 v4, s8, v2
	v_mad_u64_u32 v[1:2], null, s8, v1, 0
	s_lshl_b64 s[12:13], s[42:43], 3
	s_add_u32 s7, s7, s12
	s_addc_u32 s11, s11, s13
	s_lshl_b64 s[4:5], s[4:5], 3
	v_add_co_u32 v6, s7, s7, v6
	s_lshl_b64 s[12:13], s[14:15], 3
	v_add3_u32 v2, v2, v4, v3
	s_add_u32 s14, s48, s4
	v_add_co_ci_u32_e64 v8, null, s11, 0, s7
	s_addc_u32 s15, s49, s5
	s_lshl_b64 s[4:5], s[50:51], 3
	v_add_co_u32 v3, vcc_lo, v6, s12
	s_add_u32 s7, s14, s4
	s_addc_u32 s8, s15, s5
	s_ashr_i32 s11, s10, 31
	v_lshlrev_b64 v[1:2], 3, v[1:2]
	v_add_co_ci_u32_e64 v4, null, s13, v8, vcc_lo
	s_lshl_b64 s[4:5], s[10:11], 3
	v_add_co_u32 v3, vcc_lo, v3, s4
	v_add_co_ci_u32_e64 v4, null, s5, v4, vcc_lo
	v_add_co_u32 v1, vcc_lo, s7, v1
	v_add_co_ci_u32_e64 v2, null, s8, v2, vcc_lo
	global_load_dwordx2 v[3:4], v[3:4], off
	global_load_dwordx2 v[1:2], v[1:2], off
	s_waitcnt vmcnt(0)
	v_mul_f32_e32 v6, v4, v2
	v_mul_f32_e32 v4, v4, v1
	v_fmac_f32_e32 v6, v3, v1
	v_fma_f32 v1, v3, v2, -v4
	v_add_f32_e32 v7, v7, v6
	v_add_f32_e32 v5, v5, v1
.LBB143_16:
	s_or_b32 exec_lo, exec_lo, s0
	v_and_b32_e32 v1, 31, v0
	v_cmp_gt_u32_e32 vcc_lo, 32, v0
	v_lshlrev_b32_e32 v6, 3, v1
	s_and_saveexec_b32 s0, vcc_lo
; %bb.17:
	v_mov_b32_e32 v2, 0
	v_mov_b32_e32 v3, v2
	ds_write_b64 v6, v[2:3]
; %bb.18:
	s_or_b32 exec_lo, exec_lo, s0
	v_mbcnt_lo_u32_b32 v2, -1, 0
	s_mov_b32 s4, exec_lo
	s_waitcnt lgkmcnt(0)
	s_waitcnt_vscnt null, 0x0
	s_barrier
	buffer_gl0_inv
	v_lshl_or_b32 v3, v2, 2, 64
	v_cmp_gt_u32_e64 s0, 24, v2
	ds_bpermute_b32 v8, v3, v7
	ds_bpermute_b32 v9, v3, v5
	v_cndmask_b32_e64 v4, 0, 8, s0
	v_cmp_gt_u32_e64 s0, 28, v2
	v_add_lshl_u32 v4, v4, v2, 2
	s_waitcnt lgkmcnt(1)
	v_add_f32_e32 v7, v7, v8
	s_waitcnt lgkmcnt(0)
	v_add_f32_e32 v8, v5, v9
	v_cndmask_b32_e64 v5, 0, 4, s0
	v_cmp_gt_u32_e64 s0, 30, v2
	ds_bpermute_b32 v9, v4, v7
	ds_bpermute_b32 v10, v4, v8
	v_add_lshl_u32 v5, v5, v2, 2
	s_waitcnt lgkmcnt(1)
	v_add_f32_e32 v9, v7, v9
	s_waitcnt lgkmcnt(0)
	v_add_f32_e32 v8, v8, v10
	v_cndmask_b32_e64 v7, 0, 2, s0
	v_cmp_ne_u32_e64 s0, 31, v2
	ds_bpermute_b32 v10, v5, v9
	ds_bpermute_b32 v11, v5, v8
	v_add_lshl_u32 v7, v7, v2, 2
	v_add_co_ci_u32_e64 v2, null, 0, v2, s0
	s_waitcnt lgkmcnt(1)
	v_add_f32_e32 v9, v9, v10
	s_waitcnt lgkmcnt(0)
	v_add_f32_e32 v10, v8, v11
	v_lshlrev_b32_e32 v8, 2, v2
	ds_bpermute_b32 v11, v7, v9
	ds_bpermute_b32 v12, v7, v10
	s_waitcnt lgkmcnt(1)
	v_add_f32_e32 v2, v9, v11
	s_waitcnt lgkmcnt(0)
	v_add_f32_e32 v10, v10, v12
	ds_bpermute_b32 v9, v8, v2
	ds_bpermute_b32 v11, v8, v10
	v_cmpx_eq_u32_e32 0, v1
	s_cbranch_execz .LBB143_20
; %bb.19:
	v_lshrrev_b32_e32 v1, 2, v0
	s_waitcnt lgkmcnt(0)
	v_add_f32_e32 v10, v10, v11
	v_add_f32_e32 v9, v2, v9
	v_and_b32_e32 v1, 0xf8, v1
	ds_write_b64 v1, v[9:10]
.LBB143_20:
	s_or_b32 exec_lo, exec_lo, s4
	v_mov_b32_e32 v2, 0
	v_mov_b32_e32 v1, 0
	s_waitcnt lgkmcnt(0)
	s_barrier
	buffer_gl0_inv
	s_and_saveexec_b32 s0, vcc_lo
; %bb.21:
	ds_read_b64 v[1:2], v6
; %bb.22:
	s_or_b32 exec_lo, exec_lo, s0
	s_and_saveexec_b32 s0, vcc_lo
	s_cbranch_execz .LBB143_24
; %bb.23:
	s_waitcnt lgkmcnt(0)
	ds_bpermute_b32 v6, v3, v1
	ds_bpermute_b32 v3, v3, v2
	s_waitcnt lgkmcnt(1)
	v_add_f32_e32 v1, v1, v6
	s_waitcnt lgkmcnt(0)
	v_add_f32_e32 v2, v2, v3
	ds_bpermute_b32 v3, v4, v1
	ds_bpermute_b32 v4, v4, v2
	s_waitcnt lgkmcnt(1)
	v_add_f32_e32 v1, v1, v3
	s_waitcnt lgkmcnt(0)
	v_add_f32_e32 v2, v2, v4
	;; [unrolled: 6-line block ×5, first 2 shown]
.LBB143_24:
	s_or_b32 exec_lo, exec_lo, s0
	s_mov_b32 s0, exec_lo
	v_cmpx_eq_u32_e32 0, v0
	s_cbranch_execz .LBB143_28
; %bb.25:
	v_cmp_neq_f32_e64 s0, s2, 0
	v_cmp_neq_f32_e64 s4, s3, 0
	s_waitcnt lgkmcnt(0)
	v_mul_f32_e32 v0, s25, v2
	v_mul_f32_e32 v4, s24, v2
	s_mul_i32 s1, s20, s1
	s_or_b32 s0, s0, s4
	s_mul_hi_u32 s4, s20, s6
	v_fma_f32 v3, v1, s24, -v0
	v_fmac_f32_e32 v4, s25, v1
	s_add_i32 s1, s4, s1
	s_mul_i32 s4, s21, s6
	s_andn2_b32 vcc_lo, exec_lo, s0
	s_add_i32 s1, s1, s4
	s_mul_i32 s0, s20, s6
	s_cbranch_vccnz .LBB143_27
; %bb.26:
	s_lshl_b64 s[4:5], s[0:1], 3
	v_mov_b32_e32 v0, 0
	s_add_u32 s4, s18, s4
	s_addc_u32 s5, s19, s5
	global_load_dwordx2 v[0:1], v0, s[4:5]
	s_waitcnt vmcnt(0)
	v_mul_f32_e32 v2, s3, v1
	v_mul_f32_e32 v1, s2, v1
	v_fma_f32 v2, s2, v0, -v2
	v_fmac_f32_e32 v1, s3, v0
	v_add_f32_e32 v3, v3, v2
	v_add_f32_e32 v4, v4, v1
.LBB143_27:
	s_lshl_b64 s[0:1], s[0:1], 3
	v_mov_b32_e32 v0, 0
	s_add_u32 s0, s18, s0
	s_addc_u32 s1, s19, s1
	global_store_dwordx2 v0, v[3:4], s[0:1]
.LBB143_28:
	s_endpgm
	.section	.rodata,"a",@progbits
	.p2align	6, 0x0
	.amdhsa_kernel _ZL32rocblas_gemvt_warp_reduce_kernelILb1ELi1024El19rocblas_complex_numIfEPKS1_S1_EviiT3_lPKT2_lT1_lS7_lS8_lS4_lPT4_lS8_li
		.amdhsa_group_segment_fixed_size 256
		.amdhsa_private_segment_fixed_size 0
		.amdhsa_kernarg_size 140
		.amdhsa_user_sgpr_count 6
		.amdhsa_user_sgpr_private_segment_buffer 1
		.amdhsa_user_sgpr_dispatch_ptr 0
		.amdhsa_user_sgpr_queue_ptr 0
		.amdhsa_user_sgpr_kernarg_segment_ptr 1
		.amdhsa_user_sgpr_dispatch_id 0
		.amdhsa_user_sgpr_flat_scratch_init 0
		.amdhsa_user_sgpr_private_segment_size 0
		.amdhsa_wavefront_size32 1
		.amdhsa_uses_dynamic_stack 0
		.amdhsa_system_sgpr_private_segment_wavefront_offset 0
		.amdhsa_system_sgpr_workgroup_id_x 1
		.amdhsa_system_sgpr_workgroup_id_y 0
		.amdhsa_system_sgpr_workgroup_id_z 1
		.amdhsa_system_sgpr_workgroup_info 0
		.amdhsa_system_vgpr_workitem_id 0
		.amdhsa_next_free_vgpr 14
		.amdhsa_next_free_sgpr 52
		.amdhsa_reserve_vcc 1
		.amdhsa_reserve_flat_scratch 0
		.amdhsa_float_round_mode_32 0
		.amdhsa_float_round_mode_16_64 0
		.amdhsa_float_denorm_mode_32 3
		.amdhsa_float_denorm_mode_16_64 3
		.amdhsa_dx10_clamp 1
		.amdhsa_ieee_mode 1
		.amdhsa_fp16_overflow 0
		.amdhsa_workgroup_processor_mode 1
		.amdhsa_memory_ordered 1
		.amdhsa_forward_progress 1
		.amdhsa_shared_vgpr_count 0
		.amdhsa_exception_fp_ieee_invalid_op 0
		.amdhsa_exception_fp_denorm_src 0
		.amdhsa_exception_fp_ieee_div_zero 0
		.amdhsa_exception_fp_ieee_overflow 0
		.amdhsa_exception_fp_ieee_underflow 0
		.amdhsa_exception_fp_ieee_inexact 0
		.amdhsa_exception_int_div_zero 0
	.end_amdhsa_kernel
	.section	.text._ZL32rocblas_gemvt_warp_reduce_kernelILb1ELi1024El19rocblas_complex_numIfEPKS1_S1_EviiT3_lPKT2_lT1_lS7_lS8_lS4_lPT4_lS8_li,"axG",@progbits,_ZL32rocblas_gemvt_warp_reduce_kernelILb1ELi1024El19rocblas_complex_numIfEPKS1_S1_EviiT3_lPKT2_lT1_lS7_lS8_lS4_lPT4_lS8_li,comdat
.Lfunc_end143:
	.size	_ZL32rocblas_gemvt_warp_reduce_kernelILb1ELi1024El19rocblas_complex_numIfEPKS1_S1_EviiT3_lPKT2_lT1_lS7_lS8_lS4_lPT4_lS8_li, .Lfunc_end143-_ZL32rocblas_gemvt_warp_reduce_kernelILb1ELi1024El19rocblas_complex_numIfEPKS1_S1_EviiT3_lPKT2_lT1_lS7_lS8_lS4_lPT4_lS8_li
                                        ; -- End function
	.set _ZL32rocblas_gemvt_warp_reduce_kernelILb1ELi1024El19rocblas_complex_numIfEPKS1_S1_EviiT3_lPKT2_lT1_lS7_lS8_lS4_lPT4_lS8_li.num_vgpr, 14
	.set _ZL32rocblas_gemvt_warp_reduce_kernelILb1ELi1024El19rocblas_complex_numIfEPKS1_S1_EviiT3_lPKT2_lT1_lS7_lS8_lS4_lPT4_lS8_li.num_agpr, 0
	.set _ZL32rocblas_gemvt_warp_reduce_kernelILb1ELi1024El19rocblas_complex_numIfEPKS1_S1_EviiT3_lPKT2_lT1_lS7_lS8_lS4_lPT4_lS8_li.numbered_sgpr, 52
	.set _ZL32rocblas_gemvt_warp_reduce_kernelILb1ELi1024El19rocblas_complex_numIfEPKS1_S1_EviiT3_lPKT2_lT1_lS7_lS8_lS4_lPT4_lS8_li.num_named_barrier, 0
	.set _ZL32rocblas_gemvt_warp_reduce_kernelILb1ELi1024El19rocblas_complex_numIfEPKS1_S1_EviiT3_lPKT2_lT1_lS7_lS8_lS4_lPT4_lS8_li.private_seg_size, 0
	.set _ZL32rocblas_gemvt_warp_reduce_kernelILb1ELi1024El19rocblas_complex_numIfEPKS1_S1_EviiT3_lPKT2_lT1_lS7_lS8_lS4_lPT4_lS8_li.uses_vcc, 1
	.set _ZL32rocblas_gemvt_warp_reduce_kernelILb1ELi1024El19rocblas_complex_numIfEPKS1_S1_EviiT3_lPKT2_lT1_lS7_lS8_lS4_lPT4_lS8_li.uses_flat_scratch, 0
	.set _ZL32rocblas_gemvt_warp_reduce_kernelILb1ELi1024El19rocblas_complex_numIfEPKS1_S1_EviiT3_lPKT2_lT1_lS7_lS8_lS4_lPT4_lS8_li.has_dyn_sized_stack, 0
	.set _ZL32rocblas_gemvt_warp_reduce_kernelILb1ELi1024El19rocblas_complex_numIfEPKS1_S1_EviiT3_lPKT2_lT1_lS7_lS8_lS4_lPT4_lS8_li.has_recursion, 0
	.set _ZL32rocblas_gemvt_warp_reduce_kernelILb1ELi1024El19rocblas_complex_numIfEPKS1_S1_EviiT3_lPKT2_lT1_lS7_lS8_lS4_lPT4_lS8_li.has_indirect_call, 0
	.section	.AMDGPU.csdata,"",@progbits
; Kernel info:
; codeLenInByte = 1808
; TotalNumSgprs: 54
; NumVgprs: 14
; ScratchSize: 0
; MemoryBound: 0
; FloatMode: 240
; IeeeMode: 1
; LDSByteSize: 256 bytes/workgroup (compile time only)
; SGPRBlocks: 0
; VGPRBlocks: 1
; NumSGPRsForWavesPerEU: 54
; NumVGPRsForWavesPerEU: 14
; Occupancy: 16
; WaveLimiterHint : 0
; COMPUTE_PGM_RSRC2:SCRATCH_EN: 0
; COMPUTE_PGM_RSRC2:USER_SGPR: 6
; COMPUTE_PGM_RSRC2:TRAP_HANDLER: 0
; COMPUTE_PGM_RSRC2:TGID_X_EN: 1
; COMPUTE_PGM_RSRC2:TGID_Y_EN: 0
; COMPUTE_PGM_RSRC2:TGID_Z_EN: 1
; COMPUTE_PGM_RSRC2:TIDIG_COMP_CNT: 0
	.section	.text._ZL32rocblas_gemvt_warp_reduce_kernelILb1ELi1024Ei19rocblas_complex_numIfES1_S1_EviiT3_lPKT2_lT1_lS5_lS6_lS2_lPT4_lS6_li,"axG",@progbits,_ZL32rocblas_gemvt_warp_reduce_kernelILb1ELi1024Ei19rocblas_complex_numIfES1_S1_EviiT3_lPKT2_lT1_lS5_lS6_lS2_lPT4_lS6_li,comdat
	.globl	_ZL32rocblas_gemvt_warp_reduce_kernelILb1ELi1024Ei19rocblas_complex_numIfES1_S1_EviiT3_lPKT2_lT1_lS5_lS6_lS2_lPT4_lS6_li ; -- Begin function _ZL32rocblas_gemvt_warp_reduce_kernelILb1ELi1024Ei19rocblas_complex_numIfES1_S1_EviiT3_lPKT2_lT1_lS5_lS6_lS2_lPT4_lS6_li
	.p2align	8
	.type	_ZL32rocblas_gemvt_warp_reduce_kernelILb1ELi1024Ei19rocblas_complex_numIfES1_S1_EviiT3_lPKT2_lT1_lS5_lS6_lS2_lPT4_lS6_li,@function
_ZL32rocblas_gemvt_warp_reduce_kernelILb1ELi1024Ei19rocblas_complex_numIfES1_S1_EviiT3_lPKT2_lT1_lS5_lS6_lS2_lPT4_lS6_li: ; @_ZL32rocblas_gemvt_warp_reduce_kernelILb1ELi1024Ei19rocblas_complex_numIfES1_S1_EviiT3_lPKT2_lT1_lS5_lS6_lS2_lPT4_lS6_li
; %bb.0:
	s_clause 0x1
	s_load_dwordx2 s[14:15], s[4:5], 0x8
	s_load_dwordx2 s[12:13], s[4:5], 0x58
	s_waitcnt lgkmcnt(0)
	v_cmp_neq_f32_e64 s0, s14, 0
	v_cmp_neq_f32_e64 s1, s15, 0
	s_or_b32 s0, s0, s1
	s_and_b32 vcc_lo, exec_lo, s0
	s_mov_b32 s0, -1
	s_cbranch_vccnz .LBB144_2
; %bb.1:
	v_cmp_neq_f32_e64 s0, s12, 1.0
	v_cmp_neq_f32_e64 s1, s13, 0
	s_or_b32 s0, s0, s1
.LBB144_2:
	s_andn2_b32 vcc_lo, exec_lo, s0
	s_cbranch_vccnz .LBB144_28
; %bb.3:
	s_clause 0x2
	s_load_dwordx2 s[8:9], s[4:5], 0x80
	s_load_dwordx4 s[0:3], s[4:5], 0x68
	s_load_dword s18, s[4:5], 0x78
	v_cmp_eq_u32_e32 vcc_lo, 0, v0
	s_waitcnt lgkmcnt(0)
	s_mul_i32 s9, s9, s7
	s_mul_hi_u32 s10, s8, s7
	s_mul_i32 s8, s8, s7
	s_add_i32 s9, s10, s9
	s_lshl_b64 s[8:9], s[8:9], 3
	s_add_u32 s8, s0, s8
	s_addc_u32 s9, s1, s9
	s_lshl_b64 s[0:1], s[2:3], 3
	s_add_u32 s16, s8, s0
	s_addc_u32 s17, s9, s1
	s_or_b32 s0, s14, s15
	s_bitset0_b32 s0, 31
	s_cmp_lg_u32 s0, 0
	s_mov_b32 s0, -1
	s_cbranch_scc1 .LBB144_9
; %bb.4:
	s_and_saveexec_b32 s2, vcc_lo
	s_cbranch_execz .LBB144_8
; %bb.5:
	v_cmp_neq_f32_e64 s0, s12, 0
	v_cmp_neq_f32_e64 s1, s13, 0
	v_mov_b32_e32 v2, 0
	v_mov_b32_e32 v3, 0
	v_mov_b32_e32 v1, 0
	s_or_b32 s1, s0, s1
	s_mul_i32 s0, s18, s6
	s_andn2_b32 vcc_lo, exec_lo, s1
	s_ashr_i32 s1, s0, 31
	s_cbranch_vccnz .LBB144_7
; %bb.6:
	s_lshl_b64 s[8:9], s[0:1], 3
	s_add_u32 s8, s16, s8
	s_addc_u32 s9, s17, s9
	s_load_dwordx2 s[8:9], s[8:9], 0x0
	s_waitcnt lgkmcnt(0)
	v_mul_f32_e64 v1, s13, s9
	v_mul_f32_e64 v2, s12, s9
	v_fma_f32 v1, s12, s8, -v1
	v_fmac_f32_e64 v2, s13, s8
.LBB144_7:
	s_lshl_b64 s[0:1], s[0:1], 3
	s_add_u32 s0, s16, s0
	s_addc_u32 s1, s17, s1
	global_store_dwordx2 v3, v[1:2], s[0:1]
.LBB144_8:
	s_or_b32 exec_lo, exec_lo, s2
	s_mov_b32 s0, 0
.LBB144_9:
	s_andn2_b32 vcc_lo, exec_lo, s0
	s_cbranch_vccnz .LBB144_28
; %bb.10:
	s_clause 0x6
	s_load_dwordx2 s[22:23], s[4:5], 0x50
	s_load_dwordx4 s[8:11], s[4:5], 0x30
	s_load_dwordx2 s[24:25], s[4:5], 0x40
	s_load_dword s21, s[4:5], 0x0
	s_load_dwordx4 s[0:3], s[4:5], 0x18
	s_load_dword s26, s[4:5], 0x28
	s_load_dword s5, s[4:5], 0x48
	v_mov_b32_e32 v5, 0
	v_mov_b32_e32 v6, 0
	s_waitcnt lgkmcnt(0)
	s_mul_i32 s4, s23, s7
	s_mul_hi_u32 s19, s22, s7
	s_mul_i32 s22, s22, s7
	s_add_i32 s23, s19, s4
	v_cmp_gt_i32_e32 vcc_lo, s21, v0
	s_lshl_b64 s[22:23], s[22:23], 3
	s_mul_i32 s9, s9, s7
	s_add_u32 s4, s10, s22
	s_addc_u32 s20, s11, s23
	s_lshl_b64 s[10:11], s[24:25], 3
	v_cndmask_b32_e32 v1, 0, v0, vcc_lo
	s_add_u32 s19, s4, s10
	s_addc_u32 s20, s20, s11
	s_ashr_i32 s4, s21, 31
	s_mul_hi_u32 s11, s8, s7
	s_lshr_b32 s4, s4, 22
	v_lshlrev_b32_e32 v7, 3, v1
	s_mul_i32 s10, s8, s7
	s_add_i32 s4, s21, s4
	s_mul_i32 s8, s26, s6
	s_and_b32 s4, s4, 0xfffffc00
	s_add_i32 s11, s11, s9
	s_mov_b32 s22, 0
	s_ashr_i32 s9, s8, 31
	s_mov_b32 s7, exec_lo
	v_cmpx_gt_i32_e64 s4, v0
	s_cbranch_execz .LBB144_14
; %bb.11:
	s_lshl_b64 s[24:25], s[10:11], 3
	s_lshl_b64 s[26:27], s[2:3], 3
	s_lshl_b32 s23, s5, 10
	s_add_u32 s26, s24, s26
	s_addc_u32 s27, s25, s27
	s_lshl_b64 s[24:25], s[8:9], 3
	v_mul_lo_u32 v1, v0, s5
	s_add_u32 s24, s26, s24
	s_addc_u32 s25, s27, s25
	s_add_u32 s24, s0, s24
	s_addc_u32 s25, s1, s25
	v_add_co_u32 v2, s24, s24, v7
	v_add_co_ci_u32_e64 v4, null, s25, 0, s24
	v_mov_b32_e32 v5, 0
	v_add_co_u32 v3, vcc_lo, v2, 4
	v_add_co_ci_u32_e64 v4, null, 0, v4, vcc_lo
	v_mov_b32_e32 v8, v0
	v_mov_b32_e32 v6, 0
	.p2align	6
.LBB144_12:                             ; =>This Inner Loop Header: Depth=1
	v_ashrrev_i32_e32 v2, 31, v1
	v_add_nc_u32_e32 v8, 0x400, v8
	v_lshlrev_b64 v[9:10], 3, v[1:2]
	v_add_nc_u32_e32 v1, s23, v1
	v_add_co_u32 v9, vcc_lo, s19, v9
	v_add_co_ci_u32_e64 v10, null, s20, v10, vcc_lo
	global_load_dwordx2 v[11:12], v[3:4], off offset:-4
	global_load_dwordx2 v[9:10], v[9:10], off
	v_add_co_u32 v3, vcc_lo, 0x2000, v3
	v_add_co_ci_u32_e64 v4, null, 0, v4, vcc_lo
	v_cmp_le_i32_e32 vcc_lo, s4, v8
	s_or_b32 s22, vcc_lo, s22
	s_waitcnt vmcnt(0)
	v_mul_f32_e32 v2, v12, v10
	v_mul_f32_e32 v12, v12, v9
	v_fmac_f32_e32 v2, v11, v9
	v_fma_f32 v9, v11, v10, -v12
	v_add_f32_e32 v6, v6, v2
	v_add_f32_e32 v5, v5, v9
	s_andn2_b32 exec_lo, exec_lo, s22
	s_cbranch_execnz .LBB144_12
; %bb.13:
	s_or_b32 exec_lo, exec_lo, s22
.LBB144_14:
	s_or_b32 exec_lo, exec_lo, s7
	v_or_b32_e32 v1, s4, v0
	s_mov_b32 s7, exec_lo
	v_cmpx_gt_i32_e64 s21, v1
	s_cbranch_execz .LBB144_16
; %bb.15:
	s_lshl_b64 s[10:11], s[10:11], 3
	v_mul_lo_u32 v1, s5, v1
	s_add_u32 s10, s0, s10
	s_addc_u32 s11, s1, s11
	s_lshl_b64 s[0:1], s[2:3], 3
	s_add_u32 s0, s10, s0
	s_addc_u32 s1, s11, s1
	v_add_co_u32 v3, s0, s0, v7
	v_ashrrev_i32_e32 v2, 31, v1
	v_add_co_ci_u32_e64 v4, null, s1, 0, s0
	s_lshl_b64 s[0:1], s[8:9], 3
	s_ashr_i32 s5, s4, 31
	v_add_co_u32 v3, vcc_lo, v3, s0
	v_lshlrev_b64 v[1:2], 3, v[1:2]
	v_add_co_ci_u32_e64 v4, null, s1, v4, vcc_lo
	s_lshl_b64 s[0:1], s[4:5], 3
	v_add_co_u32 v3, vcc_lo, v3, s0
	v_add_co_ci_u32_e64 v4, null, s1, v4, vcc_lo
	v_add_co_u32 v1, vcc_lo, s19, v1
	v_add_co_ci_u32_e64 v2, null, s20, v2, vcc_lo
	global_load_dwordx2 v[3:4], v[3:4], off
	global_load_dwordx2 v[1:2], v[1:2], off
	s_waitcnt vmcnt(0)
	v_mul_f32_e32 v7, v4, v2
	v_mul_f32_e32 v4, v4, v1
	v_fmac_f32_e32 v7, v3, v1
	v_fma_f32 v1, v3, v2, -v4
	v_add_f32_e32 v6, v6, v7
	v_add_f32_e32 v5, v5, v1
.LBB144_16:
	s_or_b32 exec_lo, exec_lo, s7
	v_and_b32_e32 v1, 31, v0
	v_cmp_gt_u32_e32 vcc_lo, 32, v0
	v_lshlrev_b32_e32 v7, 3, v1
	s_and_saveexec_b32 s0, vcc_lo
; %bb.17:
	v_mov_b32_e32 v2, 0
	v_mov_b32_e32 v3, v2
	ds_write_b64 v7, v[2:3]
; %bb.18:
	s_or_b32 exec_lo, exec_lo, s0
	v_mbcnt_lo_u32_b32 v2, -1, 0
	s_mov_b32 s1, exec_lo
	s_waitcnt lgkmcnt(0)
	s_waitcnt_vscnt null, 0x0
	s_barrier
	buffer_gl0_inv
	v_lshl_or_b32 v3, v2, 2, 64
	v_cmp_gt_u32_e64 s0, 24, v2
	ds_bpermute_b32 v8, v3, v6
	ds_bpermute_b32 v9, v3, v5
	v_cndmask_b32_e64 v4, 0, 8, s0
	v_cmp_gt_u32_e64 s0, 28, v2
	v_add_lshl_u32 v4, v4, v2, 2
	s_waitcnt lgkmcnt(1)
	v_add_f32_e32 v6, v6, v8
	s_waitcnt lgkmcnt(0)
	v_add_f32_e32 v8, v5, v9
	v_cndmask_b32_e64 v5, 0, 4, s0
	v_cmp_gt_u32_e64 s0, 30, v2
	ds_bpermute_b32 v9, v4, v6
	ds_bpermute_b32 v10, v4, v8
	v_add_lshl_u32 v5, v5, v2, 2
	s_waitcnt lgkmcnt(1)
	v_add_f32_e32 v9, v6, v9
	s_waitcnt lgkmcnt(0)
	v_add_f32_e32 v8, v8, v10
	v_cndmask_b32_e64 v6, 0, 2, s0
	v_cmp_ne_u32_e64 s0, 31, v2
	ds_bpermute_b32 v10, v5, v9
	ds_bpermute_b32 v11, v5, v8
	v_add_lshl_u32 v6, v6, v2, 2
	v_add_co_ci_u32_e64 v2, null, 0, v2, s0
	s_waitcnt lgkmcnt(1)
	v_add_f32_e32 v9, v9, v10
	s_waitcnt lgkmcnt(0)
	v_add_f32_e32 v10, v8, v11
	v_lshlrev_b32_e32 v8, 2, v2
	ds_bpermute_b32 v11, v6, v9
	ds_bpermute_b32 v12, v6, v10
	s_waitcnt lgkmcnt(1)
	v_add_f32_e32 v2, v9, v11
	s_waitcnt lgkmcnt(0)
	v_add_f32_e32 v10, v10, v12
	ds_bpermute_b32 v9, v8, v2
	ds_bpermute_b32 v11, v8, v10
	v_cmpx_eq_u32_e32 0, v1
	s_cbranch_execz .LBB144_20
; %bb.19:
	v_lshrrev_b32_e32 v1, 2, v0
	s_waitcnt lgkmcnt(0)
	v_add_f32_e32 v10, v10, v11
	v_add_f32_e32 v9, v2, v9
	v_and_b32_e32 v1, 0xf8, v1
	ds_write_b64 v1, v[9:10]
.LBB144_20:
	s_or_b32 exec_lo, exec_lo, s1
	v_mov_b32_e32 v2, 0
	v_mov_b32_e32 v1, 0
	s_waitcnt lgkmcnt(0)
	s_barrier
	buffer_gl0_inv
	s_and_saveexec_b32 s0, vcc_lo
; %bb.21:
	ds_read_b64 v[1:2], v7
; %bb.22:
	s_or_b32 exec_lo, exec_lo, s0
	s_and_saveexec_b32 s0, vcc_lo
	s_cbranch_execz .LBB144_24
; %bb.23:
	s_waitcnt lgkmcnt(0)
	ds_bpermute_b32 v7, v3, v1
	ds_bpermute_b32 v3, v3, v2
	s_waitcnt lgkmcnt(1)
	v_add_f32_e32 v1, v1, v7
	s_waitcnt lgkmcnt(0)
	v_add_f32_e32 v2, v2, v3
	ds_bpermute_b32 v3, v4, v1
	ds_bpermute_b32 v4, v4, v2
	s_waitcnt lgkmcnt(1)
	v_add_f32_e32 v1, v1, v3
	s_waitcnt lgkmcnt(0)
	v_add_f32_e32 v2, v2, v4
	;; [unrolled: 6-line block ×5, first 2 shown]
.LBB144_24:
	s_or_b32 exec_lo, exec_lo, s0
	s_mov_b32 s0, exec_lo
	v_cmpx_eq_u32_e32 0, v0
	s_cbranch_execz .LBB144_28
; %bb.25:
	s_waitcnt lgkmcnt(0)
	v_mul_f32_e32 v0, s15, v2
	v_mul_f32_e32 v3, s14, v2
	v_cmp_neq_f32_e64 s0, s12, 0
	v_cmp_neq_f32_e64 s1, s13, 0
	v_fma_f32 v2, v1, s14, -v0
	v_fmac_f32_e32 v3, s15, v1
	s_or_b32 s1, s0, s1
	s_mul_i32 s0, s18, s6
	s_andn2_b32 vcc_lo, exec_lo, s1
	s_ashr_i32 s1, s0, 31
	s_cbranch_vccnz .LBB144_27
; %bb.26:
	s_lshl_b64 s[2:3], s[0:1], 3
	v_mov_b32_e32 v0, 0
	s_add_u32 s2, s16, s2
	s_addc_u32 s3, s17, s3
	global_load_dwordx2 v[0:1], v0, s[2:3]
	s_waitcnt vmcnt(0)
	v_mul_f32_e32 v4, s13, v1
	v_mul_f32_e32 v1, s12, v1
	v_fma_f32 v4, s12, v0, -v4
	v_fmac_f32_e32 v1, s13, v0
	v_add_f32_e32 v2, v2, v4
	v_add_f32_e32 v3, v3, v1
.LBB144_27:
	s_lshl_b64 s[0:1], s[0:1], 3
	v_mov_b32_e32 v0, 0
	s_add_u32 s0, s16, s0
	s_addc_u32 s1, s17, s1
	global_store_dwordx2 v0, v[2:3], s[0:1]
.LBB144_28:
	s_endpgm
	.section	.rodata,"a",@progbits
	.p2align	6, 0x0
	.amdhsa_kernel _ZL32rocblas_gemvt_warp_reduce_kernelILb1ELi1024Ei19rocblas_complex_numIfES1_S1_EviiT3_lPKT2_lT1_lS5_lS6_lS2_lPT4_lS6_li
		.amdhsa_group_segment_fixed_size 256
		.amdhsa_private_segment_fixed_size 0
		.amdhsa_kernarg_size 140
		.amdhsa_user_sgpr_count 6
		.amdhsa_user_sgpr_private_segment_buffer 1
		.amdhsa_user_sgpr_dispatch_ptr 0
		.amdhsa_user_sgpr_queue_ptr 0
		.amdhsa_user_sgpr_kernarg_segment_ptr 1
		.amdhsa_user_sgpr_dispatch_id 0
		.amdhsa_user_sgpr_flat_scratch_init 0
		.amdhsa_user_sgpr_private_segment_size 0
		.amdhsa_wavefront_size32 1
		.amdhsa_uses_dynamic_stack 0
		.amdhsa_system_sgpr_private_segment_wavefront_offset 0
		.amdhsa_system_sgpr_workgroup_id_x 1
		.amdhsa_system_sgpr_workgroup_id_y 0
		.amdhsa_system_sgpr_workgroup_id_z 1
		.amdhsa_system_sgpr_workgroup_info 0
		.amdhsa_system_vgpr_workitem_id 0
		.amdhsa_next_free_vgpr 13
		.amdhsa_next_free_sgpr 28
		.amdhsa_reserve_vcc 1
		.amdhsa_reserve_flat_scratch 0
		.amdhsa_float_round_mode_32 0
		.amdhsa_float_round_mode_16_64 0
		.amdhsa_float_denorm_mode_32 3
		.amdhsa_float_denorm_mode_16_64 3
		.amdhsa_dx10_clamp 1
		.amdhsa_ieee_mode 1
		.amdhsa_fp16_overflow 0
		.amdhsa_workgroup_processor_mode 1
		.amdhsa_memory_ordered 1
		.amdhsa_forward_progress 1
		.amdhsa_shared_vgpr_count 0
		.amdhsa_exception_fp_ieee_invalid_op 0
		.amdhsa_exception_fp_denorm_src 0
		.amdhsa_exception_fp_ieee_div_zero 0
		.amdhsa_exception_fp_ieee_overflow 0
		.amdhsa_exception_fp_ieee_underflow 0
		.amdhsa_exception_fp_ieee_inexact 0
		.amdhsa_exception_int_div_zero 0
	.end_amdhsa_kernel
	.section	.text._ZL32rocblas_gemvt_warp_reduce_kernelILb1ELi1024Ei19rocblas_complex_numIfES1_S1_EviiT3_lPKT2_lT1_lS5_lS6_lS2_lPT4_lS6_li,"axG",@progbits,_ZL32rocblas_gemvt_warp_reduce_kernelILb1ELi1024Ei19rocblas_complex_numIfES1_S1_EviiT3_lPKT2_lT1_lS5_lS6_lS2_lPT4_lS6_li,comdat
.Lfunc_end144:
	.size	_ZL32rocblas_gemvt_warp_reduce_kernelILb1ELi1024Ei19rocblas_complex_numIfES1_S1_EviiT3_lPKT2_lT1_lS5_lS6_lS2_lPT4_lS6_li, .Lfunc_end144-_ZL32rocblas_gemvt_warp_reduce_kernelILb1ELi1024Ei19rocblas_complex_numIfES1_S1_EviiT3_lPKT2_lT1_lS5_lS6_lS2_lPT4_lS6_li
                                        ; -- End function
	.set _ZL32rocblas_gemvt_warp_reduce_kernelILb1ELi1024Ei19rocblas_complex_numIfES1_S1_EviiT3_lPKT2_lT1_lS5_lS6_lS2_lPT4_lS6_li.num_vgpr, 13
	.set _ZL32rocblas_gemvt_warp_reduce_kernelILb1ELi1024Ei19rocblas_complex_numIfES1_S1_EviiT3_lPKT2_lT1_lS5_lS6_lS2_lPT4_lS6_li.num_agpr, 0
	.set _ZL32rocblas_gemvt_warp_reduce_kernelILb1ELi1024Ei19rocblas_complex_numIfES1_S1_EviiT3_lPKT2_lT1_lS5_lS6_lS2_lPT4_lS6_li.numbered_sgpr, 28
	.set _ZL32rocblas_gemvt_warp_reduce_kernelILb1ELi1024Ei19rocblas_complex_numIfES1_S1_EviiT3_lPKT2_lT1_lS5_lS6_lS2_lPT4_lS6_li.num_named_barrier, 0
	.set _ZL32rocblas_gemvt_warp_reduce_kernelILb1ELi1024Ei19rocblas_complex_numIfES1_S1_EviiT3_lPKT2_lT1_lS5_lS6_lS2_lPT4_lS6_li.private_seg_size, 0
	.set _ZL32rocblas_gemvt_warp_reduce_kernelILb1ELi1024Ei19rocblas_complex_numIfES1_S1_EviiT3_lPKT2_lT1_lS5_lS6_lS2_lPT4_lS6_li.uses_vcc, 1
	.set _ZL32rocblas_gemvt_warp_reduce_kernelILb1ELi1024Ei19rocblas_complex_numIfES1_S1_EviiT3_lPKT2_lT1_lS5_lS6_lS2_lPT4_lS6_li.uses_flat_scratch, 0
	.set _ZL32rocblas_gemvt_warp_reduce_kernelILb1ELi1024Ei19rocblas_complex_numIfES1_S1_EviiT3_lPKT2_lT1_lS5_lS6_lS2_lPT4_lS6_li.has_dyn_sized_stack, 0
	.set _ZL32rocblas_gemvt_warp_reduce_kernelILb1ELi1024Ei19rocblas_complex_numIfES1_S1_EviiT3_lPKT2_lT1_lS5_lS6_lS2_lPT4_lS6_li.has_recursion, 0
	.set _ZL32rocblas_gemvt_warp_reduce_kernelILb1ELi1024Ei19rocblas_complex_numIfES1_S1_EviiT3_lPKT2_lT1_lS5_lS6_lS2_lPT4_lS6_li.has_indirect_call, 0
	.section	.AMDGPU.csdata,"",@progbits
; Kernel info:
; codeLenInByte = 1692
; TotalNumSgprs: 30
; NumVgprs: 13
; ScratchSize: 0
; MemoryBound: 0
; FloatMode: 240
; IeeeMode: 1
; LDSByteSize: 256 bytes/workgroup (compile time only)
; SGPRBlocks: 0
; VGPRBlocks: 1
; NumSGPRsForWavesPerEU: 30
; NumVGPRsForWavesPerEU: 13
; Occupancy: 16
; WaveLimiterHint : 1
; COMPUTE_PGM_RSRC2:SCRATCH_EN: 0
; COMPUTE_PGM_RSRC2:USER_SGPR: 6
; COMPUTE_PGM_RSRC2:TRAP_HANDLER: 0
; COMPUTE_PGM_RSRC2:TGID_X_EN: 1
; COMPUTE_PGM_RSRC2:TGID_Y_EN: 0
; COMPUTE_PGM_RSRC2:TGID_Z_EN: 1
; COMPUTE_PGM_RSRC2:TIDIG_COMP_CNT: 0
	.section	.text._ZL32rocblas_gemvt_warp_reduce_kernelILb1ELi1024El19rocblas_complex_numIfES1_S1_EviiT3_lPKT2_lT1_lS5_lS6_lS2_lPT4_lS6_li,"axG",@progbits,_ZL32rocblas_gemvt_warp_reduce_kernelILb1ELi1024El19rocblas_complex_numIfES1_S1_EviiT3_lPKT2_lT1_lS5_lS6_lS2_lPT4_lS6_li,comdat
	.globl	_ZL32rocblas_gemvt_warp_reduce_kernelILb1ELi1024El19rocblas_complex_numIfES1_S1_EviiT3_lPKT2_lT1_lS5_lS6_lS2_lPT4_lS6_li ; -- Begin function _ZL32rocblas_gemvt_warp_reduce_kernelILb1ELi1024El19rocblas_complex_numIfES1_S1_EviiT3_lPKT2_lT1_lS5_lS6_lS2_lPT4_lS6_li
	.p2align	8
	.type	_ZL32rocblas_gemvt_warp_reduce_kernelILb1ELi1024El19rocblas_complex_numIfES1_S1_EviiT3_lPKT2_lT1_lS5_lS6_lS2_lPT4_lS6_li,@function
_ZL32rocblas_gemvt_warp_reduce_kernelILb1ELi1024El19rocblas_complex_numIfES1_S1_EviiT3_lPKT2_lT1_lS5_lS6_lS2_lPT4_lS6_li: ; @_ZL32rocblas_gemvt_warp_reduce_kernelILb1ELi1024El19rocblas_complex_numIfES1_S1_EviiT3_lPKT2_lT1_lS5_lS6_lS2_lPT4_lS6_li
; %bb.0:
	s_clause 0x1
	s_load_dwordx2 s[28:29], s[4:5], 0x8
	s_load_dwordx2 s[2:3], s[4:5], 0x58
	s_waitcnt lgkmcnt(0)
	v_cmp_neq_f32_e64 s0, s28, 0
	v_cmp_neq_f32_e64 s1, s29, 0
	s_or_b32 s0, s0, s1
	s_and_b32 vcc_lo, exec_lo, s0
	s_mov_b32 s0, -1
	s_cbranch_vccnz .LBB145_2
; %bb.1:
	v_cmp_neq_f32_e64 s0, s2, 1.0
	v_cmp_neq_f32_e64 s1, s3, 0
	s_or_b32 s0, s0, s1
.LBB145_2:
	s_andn2_b32 vcc_lo, exec_lo, s0
	s_cbranch_vccnz .LBB145_28
; %bb.3:
	s_load_dwordx8 s[20:27], s[4:5], 0x68
	v_cmp_eq_u32_e32 vcc_lo, 0, v0
	s_waitcnt lgkmcnt(0)
	s_mul_i32 s1, s27, s7
	s_mul_hi_u32 s8, s26, s7
	s_mul_i32 s0, s26, s7
	s_add_i32 s1, s8, s1
	s_lshl_b64 s[0:1], s[0:1], 3
	s_add_u32 s8, s20, s0
	s_addc_u32 s9, s21, s1
	s_lshl_b64 s[0:1], s[22:23], 3
	s_add_u32 s30, s8, s0
	s_addc_u32 s31, s9, s1
	s_or_b32 s0, s28, s29
	s_bitset0_b32 s0, 31
	s_cmp_lg_u32 s0, 0
	s_mov_b32 s0, -1
	s_cbranch_scc1 .LBB145_9
; %bb.4:
	s_and_saveexec_b32 s8, vcc_lo
	s_cbranch_execz .LBB145_8
; %bb.5:
	v_cmp_neq_f32_e64 s0, s2, 0
	v_cmp_neq_f32_e64 s1, s3, 0
	s_ashr_i32 s9, s6, 31
	s_mul_hi_u32 s10, s24, s6
	v_mov_b32_e32 v2, 0
	v_mov_b32_e32 v3, 0
	s_or_b32 s0, s0, s1
	s_mul_i32 s1, s24, s9
	v_mov_b32_e32 v1, 0
	s_add_i32 s1, s10, s1
	s_mul_i32 s9, s25, s6
	s_andn2_b32 vcc_lo, exec_lo, s0
	s_add_i32 s1, s1, s9
	s_mul_i32 s0, s24, s6
	s_cbranch_vccnz .LBB145_7
; %bb.6:
	s_lshl_b64 s[10:11], s[0:1], 3
	s_add_u32 s10, s30, s10
	s_addc_u32 s11, s31, s11
	s_load_dwordx2 s[10:11], s[10:11], 0x0
	s_waitcnt lgkmcnt(0)
	v_mul_f32_e64 v1, s3, s11
	v_mul_f32_e64 v2, s2, s11
	v_fma_f32 v1, s2, s10, -v1
	v_fmac_f32_e64 v2, s3, s10
.LBB145_7:
	s_lshl_b64 s[0:1], s[0:1], 3
	s_add_u32 s0, s30, s0
	s_addc_u32 s1, s31, s1
	global_store_dwordx2 v3, v[1:2], s[0:1]
.LBB145_8:
	s_or_b32 exec_lo, exec_lo, s8
	s_mov_b32 s0, 0
.LBB145_9:
	s_andn2_b32 vcc_lo, exec_lo, s0
	s_cbranch_vccnz .LBB145_28
; %bb.10:
	s_clause 0x1
	s_load_dwordx16 s[8:23], s[4:5], 0x18
	s_load_dword s5, s[4:5], 0x0
	s_ashr_i32 s1, s6, 31
	v_mov_b32_e32 v5, 0
	v_mov_b32_e32 v7, 0
	s_waitcnt lgkmcnt(0)
	s_mul_i32 s0, s23, s7
	v_cmp_gt_i32_e32 vcc_lo, s5, v0
	s_mul_hi_u32 s4, s22, s7
	s_ashr_i32 s33, s5, 31
	s_mul_i32 s22, s22, s7
	s_mul_i32 s15, s15, s7
	v_cndmask_b32_e32 v1, 0, v0, vcc_lo
	s_mul_hi_u32 s26, s14, s7
	s_mul_i32 s14, s14, s7
	s_mul_hi_u32 s7, s12, s6
	s_mul_i32 s27, s12, s1
	s_add_i32 s23, s4, s0
	s_lshr_b32 s0, s33, 22
	v_lshlrev_b32_e32 v6, 3, v1
	s_mul_i32 s13, s13, s6
	s_add_i32 s0, s5, s0
	s_add_i32 s7, s7, s27
	;; [unrolled: 1-line block ×3, first 2 shown]
	s_and_b32 s4, s0, 0xfffffc00
	s_mov_b32 s33, 0
	s_add_i32 s13, s7, s13
	s_mul_i32 s12, s12, s6
	s_mov_b32 s7, exec_lo
	v_cmpx_gt_i32_e64 s4, v0
	s_cbranch_execz .LBB145_14
; %bb.11:
	v_mad_u64_u32 v[1:2], null, s20, v0, 0
	s_lshl_b64 s[34:35], s[18:19], 3
	s_lshl_b64 s[26:27], s[22:23], 3
	s_add_u32 s0, s16, s34
	s_addc_u32 s34, s17, s35
	s_add_u32 s0, s0, s26
	s_addc_u32 s38, s34, s27
	v_mad_u64_u32 v[2:3], null, s21, v0, v[2:3]
	s_lshl_b64 s[34:35], s[12:13], 3
	s_lshl_b64 s[36:37], s[14:15], 3
	;; [unrolled: 1-line block ×3, first 2 shown]
	s_add_u32 s36, s34, s36
	s_addc_u32 s37, s35, s37
	s_lshl_b64 s[34:35], s[10:11], 3
	v_lshlrev_b64 v[1:2], 3, v[1:2]
	s_add_u32 s34, s36, s34
	s_addc_u32 s35, s37, s35
	s_add_u32 s34, s8, s34
	s_addc_u32 s35, s9, s35
	v_mov_b32_e32 v5, 0
	v_add_co_u32 v1, vcc_lo, s0, v1
	v_add_co_ci_u32_e64 v2, null, s38, v2, vcc_lo
	v_add_co_u32 v3, s0, s34, v6
	v_add_co_ci_u32_e64 v4, null, s35, 0, s0
	v_add_co_u32 v1, vcc_lo, v1, 4
	v_add_co_ci_u32_e64 v2, null, 0, v2, vcc_lo
	v_add_co_u32 v3, vcc_lo, v3, 4
	v_add_co_ci_u32_e64 v4, null, 0, v4, vcc_lo
	v_mov_b32_e32 v8, v0
	v_mov_b32_e32 v7, 0
	.p2align	6
.LBB145_12:                             ; =>This Inner Loop Header: Depth=1
	global_load_dwordx2 v[9:10], v[3:4], off offset:-4
	global_load_dwordx2 v[11:12], v[1:2], off offset:-4
	v_add_nc_u32_e32 v8, 0x400, v8
	v_add_co_u32 v1, vcc_lo, v1, s26
	v_add_co_ci_u32_e64 v2, null, s27, v2, vcc_lo
	v_add_co_u32 v3, vcc_lo, 0x2000, v3
	v_cmp_le_i32_e64 s0, s4, v8
	v_add_co_ci_u32_e64 v4, null, 0, v4, vcc_lo
	s_or_b32 s33, s0, s33
	s_waitcnt vmcnt(0)
	v_mul_f32_e32 v13, v10, v12
	v_mul_f32_e32 v10, v10, v11
	v_fmac_f32_e32 v13, v9, v11
	v_fma_f32 v9, v9, v12, -v10
	v_add_f32_e32 v7, v7, v13
	v_add_f32_e32 v5, v5, v9
	s_andn2_b32 exec_lo, exec_lo, s33
	s_cbranch_execnz .LBB145_12
; %bb.13:
	s_or_b32 exec_lo, exec_lo, s33
.LBB145_14:
	s_or_b32 exec_lo, exec_lo, s7
	v_or_b32_e32 v1, s4, v0
	s_mov_b32 s0, exec_lo
	v_cmpx_gt_i32_e64 s5, v1
	s_cbranch_execz .LBB145_16
; %bb.15:
	v_ashrrev_i32_e32 v2, 31, v1
	s_lshl_b64 s[14:15], s[14:15], 3
	v_mul_lo_u32 v3, s21, v1
	s_add_u32 s5, s8, s14
	s_addc_u32 s7, s9, s15
	v_mul_lo_u32 v4, s20, v2
	v_mad_u64_u32 v[1:2], null, s20, v1, 0
	s_lshl_b64 s[8:9], s[10:11], 3
	s_add_u32 s5, s5, s8
	s_addc_u32 s7, s7, s9
	s_lshl_b64 s[10:11], s[22:23], 3
	v_add_co_u32 v6, s5, s5, v6
	s_lshl_b64 s[8:9], s[12:13], 3
	v_add3_u32 v2, v2, v4, v3
	s_add_u32 s12, s16, s10
	v_add_co_ci_u32_e64 v8, null, s7, 0, s5
	s_addc_u32 s13, s17, s11
	s_lshl_b64 s[10:11], s[18:19], 3
	v_add_co_u32 v3, vcc_lo, v6, s8
	s_add_u32 s7, s12, s10
	s_addc_u32 s10, s13, s11
	s_ashr_i32 s5, s4, 31
	v_lshlrev_b64 v[1:2], 3, v[1:2]
	v_add_co_ci_u32_e64 v4, null, s9, v8, vcc_lo
	s_lshl_b64 s[4:5], s[4:5], 3
	v_add_co_u32 v3, vcc_lo, v3, s4
	v_add_co_ci_u32_e64 v4, null, s5, v4, vcc_lo
	v_add_co_u32 v1, vcc_lo, s7, v1
	v_add_co_ci_u32_e64 v2, null, s10, v2, vcc_lo
	global_load_dwordx2 v[3:4], v[3:4], off
	global_load_dwordx2 v[1:2], v[1:2], off
	s_waitcnt vmcnt(0)
	v_mul_f32_e32 v6, v4, v2
	v_mul_f32_e32 v4, v4, v1
	v_fmac_f32_e32 v6, v3, v1
	v_fma_f32 v1, v3, v2, -v4
	v_add_f32_e32 v7, v7, v6
	v_add_f32_e32 v5, v5, v1
.LBB145_16:
	s_or_b32 exec_lo, exec_lo, s0
	v_and_b32_e32 v1, 31, v0
	v_cmp_gt_u32_e32 vcc_lo, 32, v0
	v_lshlrev_b32_e32 v6, 3, v1
	s_and_saveexec_b32 s0, vcc_lo
; %bb.17:
	v_mov_b32_e32 v2, 0
	v_mov_b32_e32 v3, v2
	ds_write_b64 v6, v[2:3]
; %bb.18:
	s_or_b32 exec_lo, exec_lo, s0
	v_mbcnt_lo_u32_b32 v2, -1, 0
	s_mov_b32 s4, exec_lo
	s_waitcnt lgkmcnt(0)
	s_waitcnt_vscnt null, 0x0
	s_barrier
	buffer_gl0_inv
	v_lshl_or_b32 v3, v2, 2, 64
	v_cmp_gt_u32_e64 s0, 24, v2
	ds_bpermute_b32 v8, v3, v7
	ds_bpermute_b32 v9, v3, v5
	v_cndmask_b32_e64 v4, 0, 8, s0
	v_cmp_gt_u32_e64 s0, 28, v2
	v_add_lshl_u32 v4, v4, v2, 2
	s_waitcnt lgkmcnt(1)
	v_add_f32_e32 v7, v7, v8
	s_waitcnt lgkmcnt(0)
	v_add_f32_e32 v8, v5, v9
	v_cndmask_b32_e64 v5, 0, 4, s0
	v_cmp_gt_u32_e64 s0, 30, v2
	ds_bpermute_b32 v9, v4, v7
	ds_bpermute_b32 v10, v4, v8
	v_add_lshl_u32 v5, v5, v2, 2
	s_waitcnt lgkmcnt(1)
	v_add_f32_e32 v9, v7, v9
	s_waitcnt lgkmcnt(0)
	v_add_f32_e32 v8, v8, v10
	v_cndmask_b32_e64 v7, 0, 2, s0
	v_cmp_ne_u32_e64 s0, 31, v2
	ds_bpermute_b32 v10, v5, v9
	ds_bpermute_b32 v11, v5, v8
	v_add_lshl_u32 v7, v7, v2, 2
	v_add_co_ci_u32_e64 v2, null, 0, v2, s0
	s_waitcnt lgkmcnt(1)
	v_add_f32_e32 v9, v9, v10
	s_waitcnt lgkmcnt(0)
	v_add_f32_e32 v10, v8, v11
	v_lshlrev_b32_e32 v8, 2, v2
	ds_bpermute_b32 v11, v7, v9
	ds_bpermute_b32 v12, v7, v10
	s_waitcnt lgkmcnt(1)
	v_add_f32_e32 v2, v9, v11
	s_waitcnt lgkmcnt(0)
	v_add_f32_e32 v10, v10, v12
	ds_bpermute_b32 v9, v8, v2
	ds_bpermute_b32 v11, v8, v10
	v_cmpx_eq_u32_e32 0, v1
	s_cbranch_execz .LBB145_20
; %bb.19:
	v_lshrrev_b32_e32 v1, 2, v0
	s_waitcnt lgkmcnt(0)
	v_add_f32_e32 v10, v10, v11
	v_add_f32_e32 v9, v2, v9
	v_and_b32_e32 v1, 0xf8, v1
	ds_write_b64 v1, v[9:10]
.LBB145_20:
	s_or_b32 exec_lo, exec_lo, s4
	v_mov_b32_e32 v2, 0
	v_mov_b32_e32 v1, 0
	s_waitcnt lgkmcnt(0)
	s_barrier
	buffer_gl0_inv
	s_and_saveexec_b32 s0, vcc_lo
; %bb.21:
	ds_read_b64 v[1:2], v6
; %bb.22:
	s_or_b32 exec_lo, exec_lo, s0
	s_and_saveexec_b32 s0, vcc_lo
	s_cbranch_execz .LBB145_24
; %bb.23:
	s_waitcnt lgkmcnt(0)
	ds_bpermute_b32 v6, v3, v1
	ds_bpermute_b32 v3, v3, v2
	s_waitcnt lgkmcnt(1)
	v_add_f32_e32 v1, v1, v6
	s_waitcnt lgkmcnt(0)
	v_add_f32_e32 v2, v2, v3
	ds_bpermute_b32 v3, v4, v1
	ds_bpermute_b32 v4, v4, v2
	s_waitcnt lgkmcnt(1)
	v_add_f32_e32 v1, v1, v3
	s_waitcnt lgkmcnt(0)
	v_add_f32_e32 v2, v2, v4
	ds_bpermute_b32 v3, v5, v1
	ds_bpermute_b32 v4, v5, v2
	s_waitcnt lgkmcnt(1)
	v_add_f32_e32 v1, v1, v3
	s_waitcnt lgkmcnt(0)
	v_add_f32_e32 v2, v2, v4
	ds_bpermute_b32 v3, v7, v1
	ds_bpermute_b32 v4, v7, v2
	s_waitcnt lgkmcnt(1)
	v_add_f32_e32 v1, v1, v3
	s_waitcnt lgkmcnt(0)
	v_add_f32_e32 v2, v2, v4
	ds_bpermute_b32 v3, v8, v1
	ds_bpermute_b32 v4, v8, v2
	s_waitcnt lgkmcnt(1)
	v_add_f32_e32 v1, v1, v3
	s_waitcnt lgkmcnt(0)
	v_add_f32_e32 v2, v2, v4
.LBB145_24:
	s_or_b32 exec_lo, exec_lo, s0
	s_mov_b32 s0, exec_lo
	v_cmpx_eq_u32_e32 0, v0
	s_cbranch_execz .LBB145_28
; %bb.25:
	v_cmp_neq_f32_e64 s0, s2, 0
	v_cmp_neq_f32_e64 s4, s3, 0
	s_waitcnt lgkmcnt(0)
	v_mul_f32_e32 v0, s29, v2
	v_mul_f32_e32 v4, s28, v2
	s_mul_i32 s1, s24, s1
	s_or_b32 s0, s0, s4
	s_mul_hi_u32 s4, s24, s6
	v_fma_f32 v3, v1, s28, -v0
	v_fmac_f32_e32 v4, s29, v1
	s_add_i32 s1, s4, s1
	s_mul_i32 s4, s25, s6
	s_andn2_b32 vcc_lo, exec_lo, s0
	s_add_i32 s1, s1, s4
	s_mul_i32 s0, s24, s6
	s_cbranch_vccnz .LBB145_27
; %bb.26:
	s_lshl_b64 s[4:5], s[0:1], 3
	v_mov_b32_e32 v0, 0
	s_add_u32 s4, s30, s4
	s_addc_u32 s5, s31, s5
	global_load_dwordx2 v[0:1], v0, s[4:5]
	s_waitcnt vmcnt(0)
	v_mul_f32_e32 v2, s3, v1
	v_mul_f32_e32 v1, s2, v1
	v_fma_f32 v2, s2, v0, -v2
	v_fmac_f32_e32 v1, s3, v0
	v_add_f32_e32 v3, v3, v2
	v_add_f32_e32 v4, v4, v1
.LBB145_27:
	s_lshl_b64 s[0:1], s[0:1], 3
	v_mov_b32_e32 v0, 0
	s_add_u32 s0, s30, s0
	s_addc_u32 s1, s31, s1
	global_store_dwordx2 v0, v[3:4], s[0:1]
.LBB145_28:
	s_endpgm
	.section	.rodata,"a",@progbits
	.p2align	6, 0x0
	.amdhsa_kernel _ZL32rocblas_gemvt_warp_reduce_kernelILb1ELi1024El19rocblas_complex_numIfES1_S1_EviiT3_lPKT2_lT1_lS5_lS6_lS2_lPT4_lS6_li
		.amdhsa_group_segment_fixed_size 256
		.amdhsa_private_segment_fixed_size 0
		.amdhsa_kernarg_size 140
		.amdhsa_user_sgpr_count 6
		.amdhsa_user_sgpr_private_segment_buffer 1
		.amdhsa_user_sgpr_dispatch_ptr 0
		.amdhsa_user_sgpr_queue_ptr 0
		.amdhsa_user_sgpr_kernarg_segment_ptr 1
		.amdhsa_user_sgpr_dispatch_id 0
		.amdhsa_user_sgpr_flat_scratch_init 0
		.amdhsa_user_sgpr_private_segment_size 0
		.amdhsa_wavefront_size32 1
		.amdhsa_uses_dynamic_stack 0
		.amdhsa_system_sgpr_private_segment_wavefront_offset 0
		.amdhsa_system_sgpr_workgroup_id_x 1
		.amdhsa_system_sgpr_workgroup_id_y 0
		.amdhsa_system_sgpr_workgroup_id_z 1
		.amdhsa_system_sgpr_workgroup_info 0
		.amdhsa_system_vgpr_workitem_id 0
		.amdhsa_next_free_vgpr 14
		.amdhsa_next_free_sgpr 39
		.amdhsa_reserve_vcc 1
		.amdhsa_reserve_flat_scratch 0
		.amdhsa_float_round_mode_32 0
		.amdhsa_float_round_mode_16_64 0
		.amdhsa_float_denorm_mode_32 3
		.amdhsa_float_denorm_mode_16_64 3
		.amdhsa_dx10_clamp 1
		.amdhsa_ieee_mode 1
		.amdhsa_fp16_overflow 0
		.amdhsa_workgroup_processor_mode 1
		.amdhsa_memory_ordered 1
		.amdhsa_forward_progress 1
		.amdhsa_shared_vgpr_count 0
		.amdhsa_exception_fp_ieee_invalid_op 0
		.amdhsa_exception_fp_denorm_src 0
		.amdhsa_exception_fp_ieee_div_zero 0
		.amdhsa_exception_fp_ieee_overflow 0
		.amdhsa_exception_fp_ieee_underflow 0
		.amdhsa_exception_fp_ieee_inexact 0
		.amdhsa_exception_int_div_zero 0
	.end_amdhsa_kernel
	.section	.text._ZL32rocblas_gemvt_warp_reduce_kernelILb1ELi1024El19rocblas_complex_numIfES1_S1_EviiT3_lPKT2_lT1_lS5_lS6_lS2_lPT4_lS6_li,"axG",@progbits,_ZL32rocblas_gemvt_warp_reduce_kernelILb1ELi1024El19rocblas_complex_numIfES1_S1_EviiT3_lPKT2_lT1_lS5_lS6_lS2_lPT4_lS6_li,comdat
.Lfunc_end145:
	.size	_ZL32rocblas_gemvt_warp_reduce_kernelILb1ELi1024El19rocblas_complex_numIfES1_S1_EviiT3_lPKT2_lT1_lS5_lS6_lS2_lPT4_lS6_li, .Lfunc_end145-_ZL32rocblas_gemvt_warp_reduce_kernelILb1ELi1024El19rocblas_complex_numIfES1_S1_EviiT3_lPKT2_lT1_lS5_lS6_lS2_lPT4_lS6_li
                                        ; -- End function
	.set _ZL32rocblas_gemvt_warp_reduce_kernelILb1ELi1024El19rocblas_complex_numIfES1_S1_EviiT3_lPKT2_lT1_lS5_lS6_lS2_lPT4_lS6_li.num_vgpr, 14
	.set _ZL32rocblas_gemvt_warp_reduce_kernelILb1ELi1024El19rocblas_complex_numIfES1_S1_EviiT3_lPKT2_lT1_lS5_lS6_lS2_lPT4_lS6_li.num_agpr, 0
	.set _ZL32rocblas_gemvt_warp_reduce_kernelILb1ELi1024El19rocblas_complex_numIfES1_S1_EviiT3_lPKT2_lT1_lS5_lS6_lS2_lPT4_lS6_li.numbered_sgpr, 39
	.set _ZL32rocblas_gemvt_warp_reduce_kernelILb1ELi1024El19rocblas_complex_numIfES1_S1_EviiT3_lPKT2_lT1_lS5_lS6_lS2_lPT4_lS6_li.num_named_barrier, 0
	.set _ZL32rocblas_gemvt_warp_reduce_kernelILb1ELi1024El19rocblas_complex_numIfES1_S1_EviiT3_lPKT2_lT1_lS5_lS6_lS2_lPT4_lS6_li.private_seg_size, 0
	.set _ZL32rocblas_gemvt_warp_reduce_kernelILb1ELi1024El19rocblas_complex_numIfES1_S1_EviiT3_lPKT2_lT1_lS5_lS6_lS2_lPT4_lS6_li.uses_vcc, 1
	.set _ZL32rocblas_gemvt_warp_reduce_kernelILb1ELi1024El19rocblas_complex_numIfES1_S1_EviiT3_lPKT2_lT1_lS5_lS6_lS2_lPT4_lS6_li.uses_flat_scratch, 0
	.set _ZL32rocblas_gemvt_warp_reduce_kernelILb1ELi1024El19rocblas_complex_numIfES1_S1_EviiT3_lPKT2_lT1_lS5_lS6_lS2_lPT4_lS6_li.has_dyn_sized_stack, 0
	.set _ZL32rocblas_gemvt_warp_reduce_kernelILb1ELi1024El19rocblas_complex_numIfES1_S1_EviiT3_lPKT2_lT1_lS5_lS6_lS2_lPT4_lS6_li.has_recursion, 0
	.set _ZL32rocblas_gemvt_warp_reduce_kernelILb1ELi1024El19rocblas_complex_numIfES1_S1_EviiT3_lPKT2_lT1_lS5_lS6_lS2_lPT4_lS6_li.has_indirect_call, 0
	.section	.AMDGPU.csdata,"",@progbits
; Kernel info:
; codeLenInByte = 1744
; TotalNumSgprs: 41
; NumVgprs: 14
; ScratchSize: 0
; MemoryBound: 0
; FloatMode: 240
; IeeeMode: 1
; LDSByteSize: 256 bytes/workgroup (compile time only)
; SGPRBlocks: 0
; VGPRBlocks: 1
; NumSGPRsForWavesPerEU: 41
; NumVGPRsForWavesPerEU: 14
; Occupancy: 16
; WaveLimiterHint : 1
; COMPUTE_PGM_RSRC2:SCRATCH_EN: 0
; COMPUTE_PGM_RSRC2:USER_SGPR: 6
; COMPUTE_PGM_RSRC2:TRAP_HANDLER: 0
; COMPUTE_PGM_RSRC2:TGID_X_EN: 1
; COMPUTE_PGM_RSRC2:TGID_Y_EN: 0
; COMPUTE_PGM_RSRC2:TGID_Z_EN: 1
; COMPUTE_PGM_RSRC2:TIDIG_COMP_CNT: 0
	.section	.text._ZL34rocblas_gemvn_sm_mn_batched_kernelILi32ELi24E19rocblas_complex_numIdEPKS1_S1_EviiT2_lPKT1_lilS7_lilS4_lPT3_lili,"axG",@progbits,_ZL34rocblas_gemvn_sm_mn_batched_kernelILi32ELi24E19rocblas_complex_numIdEPKS1_S1_EviiT2_lPKT1_lilS7_lilS4_lPT3_lili,comdat
	.globl	_ZL34rocblas_gemvn_sm_mn_batched_kernelILi32ELi24E19rocblas_complex_numIdEPKS1_S1_EviiT2_lPKT1_lilS7_lilS4_lPT3_lili ; -- Begin function _ZL34rocblas_gemvn_sm_mn_batched_kernelILi32ELi24E19rocblas_complex_numIdEPKS1_S1_EviiT2_lPKT1_lilS7_lilS4_lPT3_lili
	.p2align	8
	.type	_ZL34rocblas_gemvn_sm_mn_batched_kernelILi32ELi24E19rocblas_complex_numIdEPKS1_S1_EviiT2_lPKT1_lilS7_lilS4_lPT3_lili,@function
_ZL34rocblas_gemvn_sm_mn_batched_kernelILi32ELi24E19rocblas_complex_numIdEPKS1_S1_EviiT2_lPKT1_lilS7_lilS4_lPT3_lili: ; @_ZL34rocblas_gemvn_sm_mn_batched_kernelILi32ELi24E19rocblas_complex_numIdEPKS1_S1_EviiT2_lPKT1_lilS7_lilS4_lPT3_lili
; %bb.0:
	s_endpgm
	.section	.rodata,"a",@progbits
	.p2align	6, 0x0
	.amdhsa_kernel _ZL34rocblas_gemvn_sm_mn_batched_kernelILi32ELi24E19rocblas_complex_numIdEPKS1_S1_EviiT2_lPKT1_lilS7_lilS4_lPT3_lili
		.amdhsa_group_segment_fixed_size 0
		.amdhsa_private_segment_fixed_size 0
		.amdhsa_kernarg_size 140
		.amdhsa_user_sgpr_count 6
		.amdhsa_user_sgpr_private_segment_buffer 1
		.amdhsa_user_sgpr_dispatch_ptr 0
		.amdhsa_user_sgpr_queue_ptr 0
		.amdhsa_user_sgpr_kernarg_segment_ptr 1
		.amdhsa_user_sgpr_dispatch_id 0
		.amdhsa_user_sgpr_flat_scratch_init 0
		.amdhsa_user_sgpr_private_segment_size 0
		.amdhsa_wavefront_size32 1
		.amdhsa_uses_dynamic_stack 0
		.amdhsa_system_sgpr_private_segment_wavefront_offset 0
		.amdhsa_system_sgpr_workgroup_id_x 1
		.amdhsa_system_sgpr_workgroup_id_y 0
		.amdhsa_system_sgpr_workgroup_id_z 0
		.amdhsa_system_sgpr_workgroup_info 0
		.amdhsa_system_vgpr_workitem_id 0
		.amdhsa_next_free_vgpr 1
		.amdhsa_next_free_sgpr 1
		.amdhsa_reserve_vcc 0
		.amdhsa_reserve_flat_scratch 0
		.amdhsa_float_round_mode_32 0
		.amdhsa_float_round_mode_16_64 0
		.amdhsa_float_denorm_mode_32 3
		.amdhsa_float_denorm_mode_16_64 3
		.amdhsa_dx10_clamp 1
		.amdhsa_ieee_mode 1
		.amdhsa_fp16_overflow 0
		.amdhsa_workgroup_processor_mode 1
		.amdhsa_memory_ordered 1
		.amdhsa_forward_progress 1
		.amdhsa_shared_vgpr_count 0
		.amdhsa_exception_fp_ieee_invalid_op 0
		.amdhsa_exception_fp_denorm_src 0
		.amdhsa_exception_fp_ieee_div_zero 0
		.amdhsa_exception_fp_ieee_overflow 0
		.amdhsa_exception_fp_ieee_underflow 0
		.amdhsa_exception_fp_ieee_inexact 0
		.amdhsa_exception_int_div_zero 0
	.end_amdhsa_kernel
	.section	.text._ZL34rocblas_gemvn_sm_mn_batched_kernelILi32ELi24E19rocblas_complex_numIdEPKS1_S1_EviiT2_lPKT1_lilS7_lilS4_lPT3_lili,"axG",@progbits,_ZL34rocblas_gemvn_sm_mn_batched_kernelILi32ELi24E19rocblas_complex_numIdEPKS1_S1_EviiT2_lPKT1_lilS7_lilS4_lPT3_lili,comdat
.Lfunc_end146:
	.size	_ZL34rocblas_gemvn_sm_mn_batched_kernelILi32ELi24E19rocblas_complex_numIdEPKS1_S1_EviiT2_lPKT1_lilS7_lilS4_lPT3_lili, .Lfunc_end146-_ZL34rocblas_gemvn_sm_mn_batched_kernelILi32ELi24E19rocblas_complex_numIdEPKS1_S1_EviiT2_lPKT1_lilS7_lilS4_lPT3_lili
                                        ; -- End function
	.set _ZL34rocblas_gemvn_sm_mn_batched_kernelILi32ELi24E19rocblas_complex_numIdEPKS1_S1_EviiT2_lPKT1_lilS7_lilS4_lPT3_lili.num_vgpr, 0
	.set _ZL34rocblas_gemvn_sm_mn_batched_kernelILi32ELi24E19rocblas_complex_numIdEPKS1_S1_EviiT2_lPKT1_lilS7_lilS4_lPT3_lili.num_agpr, 0
	.set _ZL34rocblas_gemvn_sm_mn_batched_kernelILi32ELi24E19rocblas_complex_numIdEPKS1_S1_EviiT2_lPKT1_lilS7_lilS4_lPT3_lili.numbered_sgpr, 0
	.set _ZL34rocblas_gemvn_sm_mn_batched_kernelILi32ELi24E19rocblas_complex_numIdEPKS1_S1_EviiT2_lPKT1_lilS7_lilS4_lPT3_lili.num_named_barrier, 0
	.set _ZL34rocblas_gemvn_sm_mn_batched_kernelILi32ELi24E19rocblas_complex_numIdEPKS1_S1_EviiT2_lPKT1_lilS7_lilS4_lPT3_lili.private_seg_size, 0
	.set _ZL34rocblas_gemvn_sm_mn_batched_kernelILi32ELi24E19rocblas_complex_numIdEPKS1_S1_EviiT2_lPKT1_lilS7_lilS4_lPT3_lili.uses_vcc, 0
	.set _ZL34rocblas_gemvn_sm_mn_batched_kernelILi32ELi24E19rocblas_complex_numIdEPKS1_S1_EviiT2_lPKT1_lilS7_lilS4_lPT3_lili.uses_flat_scratch, 0
	.set _ZL34rocblas_gemvn_sm_mn_batched_kernelILi32ELi24E19rocblas_complex_numIdEPKS1_S1_EviiT2_lPKT1_lilS7_lilS4_lPT3_lili.has_dyn_sized_stack, 0
	.set _ZL34rocblas_gemvn_sm_mn_batched_kernelILi32ELi24E19rocblas_complex_numIdEPKS1_S1_EviiT2_lPKT1_lilS7_lilS4_lPT3_lili.has_recursion, 0
	.set _ZL34rocblas_gemvn_sm_mn_batched_kernelILi32ELi24E19rocblas_complex_numIdEPKS1_S1_EviiT2_lPKT1_lilS7_lilS4_lPT3_lili.has_indirect_call, 0
	.section	.AMDGPU.csdata,"",@progbits
; Kernel info:
; codeLenInByte = 4
; TotalNumSgprs: 0
; NumVgprs: 0
; ScratchSize: 0
; MemoryBound: 0
; FloatMode: 240
; IeeeMode: 1
; LDSByteSize: 0 bytes/workgroup (compile time only)
; SGPRBlocks: 0
; VGPRBlocks: 0
; NumSGPRsForWavesPerEU: 1
; NumVGPRsForWavesPerEU: 1
; Occupancy: 16
; WaveLimiterHint : 0
; COMPUTE_PGM_RSRC2:SCRATCH_EN: 0
; COMPUTE_PGM_RSRC2:USER_SGPR: 6
; COMPUTE_PGM_RSRC2:TRAP_HANDLER: 0
; COMPUTE_PGM_RSRC2:TGID_X_EN: 1
; COMPUTE_PGM_RSRC2:TGID_Y_EN: 0
; COMPUTE_PGM_RSRC2:TGID_Z_EN: 0
; COMPUTE_PGM_RSRC2:TIDIG_COMP_CNT: 0
	.section	.text._ZL34rocblas_gemvn_sm_mn_batched_kernelILi32ELi24E19rocblas_complex_numIdES1_S1_EviiT2_lPKT1_lilS5_lilS2_lPT3_lili,"axG",@progbits,_ZL34rocblas_gemvn_sm_mn_batched_kernelILi32ELi24E19rocblas_complex_numIdES1_S1_EviiT2_lPKT1_lilS5_lilS2_lPT3_lili,comdat
	.globl	_ZL34rocblas_gemvn_sm_mn_batched_kernelILi32ELi24E19rocblas_complex_numIdES1_S1_EviiT2_lPKT1_lilS5_lilS2_lPT3_lili ; -- Begin function _ZL34rocblas_gemvn_sm_mn_batched_kernelILi32ELi24E19rocblas_complex_numIdES1_S1_EviiT2_lPKT1_lilS5_lilS2_lPT3_lili
	.p2align	8
	.type	_ZL34rocblas_gemvn_sm_mn_batched_kernelILi32ELi24E19rocblas_complex_numIdES1_S1_EviiT2_lPKT1_lilS5_lilS2_lPT3_lili,@function
_ZL34rocblas_gemvn_sm_mn_batched_kernelILi32ELi24E19rocblas_complex_numIdES1_S1_EviiT2_lPKT1_lilS5_lilS2_lPT3_lili: ; @_ZL34rocblas_gemvn_sm_mn_batched_kernelILi32ELi24E19rocblas_complex_numIdES1_S1_EviiT2_lPKT1_lilS5_lilS2_lPT3_lili
; %bb.0:
	s_endpgm
	.section	.rodata,"a",@progbits
	.p2align	6, 0x0
	.amdhsa_kernel _ZL34rocblas_gemvn_sm_mn_batched_kernelILi32ELi24E19rocblas_complex_numIdES1_S1_EviiT2_lPKT1_lilS5_lilS2_lPT3_lili
		.amdhsa_group_segment_fixed_size 0
		.amdhsa_private_segment_fixed_size 0
		.amdhsa_kernarg_size 156
		.amdhsa_user_sgpr_count 6
		.amdhsa_user_sgpr_private_segment_buffer 1
		.amdhsa_user_sgpr_dispatch_ptr 0
		.amdhsa_user_sgpr_queue_ptr 0
		.amdhsa_user_sgpr_kernarg_segment_ptr 1
		.amdhsa_user_sgpr_dispatch_id 0
		.amdhsa_user_sgpr_flat_scratch_init 0
		.amdhsa_user_sgpr_private_segment_size 0
		.amdhsa_wavefront_size32 1
		.amdhsa_uses_dynamic_stack 0
		.amdhsa_system_sgpr_private_segment_wavefront_offset 0
		.amdhsa_system_sgpr_workgroup_id_x 1
		.amdhsa_system_sgpr_workgroup_id_y 0
		.amdhsa_system_sgpr_workgroup_id_z 0
		.amdhsa_system_sgpr_workgroup_info 0
		.amdhsa_system_vgpr_workitem_id 0
		.amdhsa_next_free_vgpr 1
		.amdhsa_next_free_sgpr 1
		.amdhsa_reserve_vcc 0
		.amdhsa_reserve_flat_scratch 0
		.amdhsa_float_round_mode_32 0
		.amdhsa_float_round_mode_16_64 0
		.amdhsa_float_denorm_mode_32 3
		.amdhsa_float_denorm_mode_16_64 3
		.amdhsa_dx10_clamp 1
		.amdhsa_ieee_mode 1
		.amdhsa_fp16_overflow 0
		.amdhsa_workgroup_processor_mode 1
		.amdhsa_memory_ordered 1
		.amdhsa_forward_progress 1
		.amdhsa_shared_vgpr_count 0
		.amdhsa_exception_fp_ieee_invalid_op 0
		.amdhsa_exception_fp_denorm_src 0
		.amdhsa_exception_fp_ieee_div_zero 0
		.amdhsa_exception_fp_ieee_overflow 0
		.amdhsa_exception_fp_ieee_underflow 0
		.amdhsa_exception_fp_ieee_inexact 0
		.amdhsa_exception_int_div_zero 0
	.end_amdhsa_kernel
	.section	.text._ZL34rocblas_gemvn_sm_mn_batched_kernelILi32ELi24E19rocblas_complex_numIdES1_S1_EviiT2_lPKT1_lilS5_lilS2_lPT3_lili,"axG",@progbits,_ZL34rocblas_gemvn_sm_mn_batched_kernelILi32ELi24E19rocblas_complex_numIdES1_S1_EviiT2_lPKT1_lilS5_lilS2_lPT3_lili,comdat
.Lfunc_end147:
	.size	_ZL34rocblas_gemvn_sm_mn_batched_kernelILi32ELi24E19rocblas_complex_numIdES1_S1_EviiT2_lPKT1_lilS5_lilS2_lPT3_lili, .Lfunc_end147-_ZL34rocblas_gemvn_sm_mn_batched_kernelILi32ELi24E19rocblas_complex_numIdES1_S1_EviiT2_lPKT1_lilS5_lilS2_lPT3_lili
                                        ; -- End function
	.set _ZL34rocblas_gemvn_sm_mn_batched_kernelILi32ELi24E19rocblas_complex_numIdES1_S1_EviiT2_lPKT1_lilS5_lilS2_lPT3_lili.num_vgpr, 0
	.set _ZL34rocblas_gemvn_sm_mn_batched_kernelILi32ELi24E19rocblas_complex_numIdES1_S1_EviiT2_lPKT1_lilS5_lilS2_lPT3_lili.num_agpr, 0
	.set _ZL34rocblas_gemvn_sm_mn_batched_kernelILi32ELi24E19rocblas_complex_numIdES1_S1_EviiT2_lPKT1_lilS5_lilS2_lPT3_lili.numbered_sgpr, 0
	.set _ZL34rocblas_gemvn_sm_mn_batched_kernelILi32ELi24E19rocblas_complex_numIdES1_S1_EviiT2_lPKT1_lilS5_lilS2_lPT3_lili.num_named_barrier, 0
	.set _ZL34rocblas_gemvn_sm_mn_batched_kernelILi32ELi24E19rocblas_complex_numIdES1_S1_EviiT2_lPKT1_lilS5_lilS2_lPT3_lili.private_seg_size, 0
	.set _ZL34rocblas_gemvn_sm_mn_batched_kernelILi32ELi24E19rocblas_complex_numIdES1_S1_EviiT2_lPKT1_lilS5_lilS2_lPT3_lili.uses_vcc, 0
	.set _ZL34rocblas_gemvn_sm_mn_batched_kernelILi32ELi24E19rocblas_complex_numIdES1_S1_EviiT2_lPKT1_lilS5_lilS2_lPT3_lili.uses_flat_scratch, 0
	.set _ZL34rocblas_gemvn_sm_mn_batched_kernelILi32ELi24E19rocblas_complex_numIdES1_S1_EviiT2_lPKT1_lilS5_lilS2_lPT3_lili.has_dyn_sized_stack, 0
	.set _ZL34rocblas_gemvn_sm_mn_batched_kernelILi32ELi24E19rocblas_complex_numIdES1_S1_EviiT2_lPKT1_lilS5_lilS2_lPT3_lili.has_recursion, 0
	.set _ZL34rocblas_gemvn_sm_mn_batched_kernelILi32ELi24E19rocblas_complex_numIdES1_S1_EviiT2_lPKT1_lilS5_lilS2_lPT3_lili.has_indirect_call, 0
	.section	.AMDGPU.csdata,"",@progbits
; Kernel info:
; codeLenInByte = 4
; TotalNumSgprs: 0
; NumVgprs: 0
; ScratchSize: 0
; MemoryBound: 0
; FloatMode: 240
; IeeeMode: 1
; LDSByteSize: 0 bytes/workgroup (compile time only)
; SGPRBlocks: 0
; VGPRBlocks: 0
; NumSGPRsForWavesPerEU: 1
; NumVGPRsForWavesPerEU: 1
; Occupancy: 16
; WaveLimiterHint : 0
; COMPUTE_PGM_RSRC2:SCRATCH_EN: 0
; COMPUTE_PGM_RSRC2:USER_SGPR: 6
; COMPUTE_PGM_RSRC2:TRAP_HANDLER: 0
; COMPUTE_PGM_RSRC2:TGID_X_EN: 1
; COMPUTE_PGM_RSRC2:TGID_Y_EN: 0
; COMPUTE_PGM_RSRC2:TGID_Z_EN: 0
; COMPUTE_PGM_RSRC2:TIDIG_COMP_CNT: 0
	.section	.text._ZL20rocblas_gemvn_kernelILi64ELi4Ei19rocblas_complex_numIdEPKS1_S1_EviiT3_lPKT2_lT1_lS7_lS8_lS4_lPT4_lS8_li,"axG",@progbits,_ZL20rocblas_gemvn_kernelILi64ELi4Ei19rocblas_complex_numIdEPKS1_S1_EviiT3_lPKT2_lT1_lS7_lS8_lS4_lPT4_lS8_li,comdat
	.globl	_ZL20rocblas_gemvn_kernelILi64ELi4Ei19rocblas_complex_numIdEPKS1_S1_EviiT3_lPKT2_lT1_lS7_lS8_lS4_lPT4_lS8_li ; -- Begin function _ZL20rocblas_gemvn_kernelILi64ELi4Ei19rocblas_complex_numIdEPKS1_S1_EviiT3_lPKT2_lT1_lS7_lS8_lS4_lPT4_lS8_li
	.p2align	8
	.type	_ZL20rocblas_gemvn_kernelILi64ELi4Ei19rocblas_complex_numIdEPKS1_S1_EviiT3_lPKT2_lT1_lS7_lS8_lS4_lPT4_lS8_li,@function
_ZL20rocblas_gemvn_kernelILi64ELi4Ei19rocblas_complex_numIdEPKS1_S1_EviiT3_lPKT2_lT1_lS7_lS8_lS4_lPT4_lS8_li: ; @_ZL20rocblas_gemvn_kernelILi64ELi4Ei19rocblas_complex_numIdEPKS1_S1_EviiT3_lPKT2_lT1_lS7_lS8_lS4_lPT4_lS8_li
; %bb.0:
	s_load_dwordx2 s[0:1], s[4:5], 0x9c
	s_waitcnt lgkmcnt(0)
	s_lshr_b32 s2, s0, 16
	s_and_b32 s0, s0, 0xffff
	s_and_b32 s1, s1, 0xffff
	s_mul_i32 s2, s2, s0
	s_mul_i32 s2, s2, s1
	s_cmpk_lg_i32 s2, 0x100
	s_cbranch_scc1 .LBB148_34
; %bb.1:
	s_clause 0x1
	s_load_dwordx8 s[8:15], s[4:5], 0x8
	s_load_dwordx8 s[16:23], s[4:5], 0x50
	s_waitcnt lgkmcnt(0)
	s_mul_i32 s1, s11, s7
	s_mul_hi_u32 s3, s10, s7
	s_mul_i32 s2, s10, s7
	s_add_i32 s3, s3, s1
	s_mul_i32 s1, s21, s7
	s_lshl_b64 s[2:3], s[2:3], 4
	s_add_u32 s2, s8, s2
	s_addc_u32 s3, s9, s3
	s_load_dwordx4 s[8:11], s[2:3], 0x0
	s_mul_hi_u32 s2, s20, s7
	s_add_i32 s3, s2, s1
	s_mul_i32 s2, s20, s7
	s_lshl_b64 s[2:3], s[2:3], 4
	s_add_u32 s2, s18, s2
	s_addc_u32 s3, s19, s3
	s_load_dwordx4 s[24:27], s[2:3], 0x0
	s_mov_b32 s2, -1
	s_waitcnt lgkmcnt(0)
	v_cmp_neq_f64_e64 s21, s[8:9], 0
	v_cmp_neq_f64_e64 s28, s[10:11], 0
	s_or_b32 s1, s21, s28
	s_and_b32 vcc_lo, exec_lo, s1
	s_cbranch_vccnz .LBB148_3
; %bb.2:
	v_cmp_neq_f64_e64 s2, s[24:25], 1.0
	v_cmp_neq_f64_e64 s3, s[26:27], 0
	s_or_b32 s2, s2, s3
.LBB148_3:
	s_andn2_b32 vcc_lo, exec_lo, s2
	s_cbranch_vccnz .LBB148_34
; %bb.4:
	s_clause 0x3
	s_load_dwordx2 s[20:21], s[4:5], 0x80
	s_load_dwordx2 s[28:29], s[4:5], 0x70
	s_load_dword s19, s[4:5], 0x78
	s_load_dwordx2 s[2:3], s[4:5], 0x0
	s_xor_b32 s30, s1, -1
	v_mad_u32_u24 v10, v1, s0, v0
	s_waitcnt lgkmcnt(0)
	s_mul_i32 s1, s21, s7
	s_mul_hi_u32 s18, s20, s7
	s_mul_i32 s20, s20, s7
	s_add_i32 s21, s18, s1
	s_lshl_b64 s[0:1], s[20:21], 4
	s_add_u32 s18, s22, s0
	s_addc_u32 s22, s23, s1
	s_lshl_b64 s[20:21], s[28:29], 4
	v_cmp_gt_u32_e64 s0, 64, v10
	s_add_u32 s1, s18, s20
	s_addc_u32 s18, s22, s21
	s_andn2_b32 vcc_lo, exec_lo, s30
	s_mov_b32 s20, 0
	s_cbranch_vccnz .LBB148_11
; %bb.5:
	s_mov_b32 s21, 0
                                        ; implicit-def: $vgpr2_vgpr3
                                        ; implicit-def: $vgpr8_vgpr9
	s_and_saveexec_b32 s22, s0
	s_cbranch_execz .LBB148_12
; %bb.6:
	v_lshl_or_b32 v0, s6, 6, v10
	v_mov_b32_e32 v1, 0
	s_ashr_i32 s29, s2, 31
	s_mov_b32 s28, s2
                                        ; implicit-def: $vgpr8_vgpr9
	v_cmp_gt_i64_e32 vcc_lo, s[28:29], v[0:1]
                                        ; implicit-def: $vgpr2_vgpr3
	s_and_saveexec_b32 s0, vcc_lo
	s_cbranch_execz .LBB148_10
; %bb.7:
	v_cmp_neq_f64_e64 s20, s[24:25], 0
	v_cmp_neq_f64_e64 s23, s[26:27], 0
	v_mad_u64_u32 v[8:9], null, v0, s19, 0
	s_ashr_i32 s28, s19, 31
	v_mov_b32_e32 v1, v9
	v_mad_u64_u32 v[4:5], null, v0, s28, v[1:2]
	v_mov_b32_e32 v2, 0
	v_mov_b32_e32 v0, 0
	v_mov_b32_e32 v3, 0
	v_mov_b32_e32 v1, 0
	v_mov_b32_e32 v9, v4
	s_or_b32 s20, s20, s23
	s_andn2_b32 vcc_lo, exec_lo, s20
	s_cbranch_vccnz .LBB148_9
; %bb.8:
	v_lshlrev_b64 v[0:1], 4, v[8:9]
	v_add_co_u32 v0, vcc_lo, s1, v0
	v_add_co_ci_u32_e64 v1, null, s18, v1, vcc_lo
	global_load_dwordx4 v[2:5], v[0:1], off
	s_waitcnt vmcnt(0)
	v_mul_f64 v[0:1], s[26:27], v[4:5]
	v_mul_f64 v[4:5], s[24:25], v[4:5]
	v_fma_f64 v[0:1], s[24:25], v[2:3], -v[0:1]
	v_fma_f64 v[2:3], s[26:27], v[2:3], v[4:5]
.LBB148_9:
	s_mov_b32 s20, exec_lo
.LBB148_10:
	s_or_b32 exec_lo, exec_lo, s0
	s_and_b32 s20, s20, exec_lo
	s_or_b32 exec_lo, exec_lo, s22
	s_and_b32 vcc_lo, exec_lo, s21
	s_cbranch_vccnz .LBB148_13
	s_branch .LBB148_32
.LBB148_11:
                                        ; implicit-def: $vgpr2_vgpr3
                                        ; implicit-def: $vgpr8_vgpr9
	s_cbranch_execnz .LBB148_13
	s_branch .LBB148_32
.LBB148_12:
	s_or_b32 exec_lo, exec_lo, s22
	s_and_b32 vcc_lo, exec_lo, s21
	s_cbranch_vccz .LBB148_32
.LBB148_13:
	s_clause 0x1
	s_load_dwordx4 s[28:31], s[4:5], 0x30
	s_load_dwordx2 s[22:23], s[4:5], 0x40
	v_and_b32_e32 v5, 63, v10
	v_mov_b32_e32 v2, 0
	v_mov_b32_e32 v0, 0
	v_lshrrev_b32_e32 v8, 6, v10
	v_mov_b32_e32 v3, 0
	v_mov_b32_e32 v1, 0
	s_waitcnt lgkmcnt(0)
	s_mul_i32 s0, s29, s7
	s_mul_hi_u32 s21, s28, s7
	s_mul_i32 s28, s28, s7
	s_add_i32 s29, s21, s0
	s_mul_i32 s0, s17, s7
	s_lshl_b64 s[28:29], s[28:29], 4
	s_mul_hi_u32 s17, s16, s7
	s_add_u32 s21, s12, s28
	s_addc_u32 s28, s13, s29
	s_lshl_b64 s[12:13], s[14:15], 4
	s_mul_i32 s14, s16, s7
	s_add_u32 s7, s21, s12
	s_addc_u32 s12, s28, s13
	s_clause 0x1
	s_load_dword s13, s[4:5], 0x28
	s_load_dword s5, s[4:5], 0x48
	s_add_i32 s15, s17, s0
	s_mov_b32 s16, exec_lo
	s_lshl_b64 s[14:15], s[14:15], 4
	s_add_u32 s0, s30, s14
	s_addc_u32 s4, s31, s15
	s_lshl_b64 s[14:15], s[22:23], 4
	s_add_u32 s14, s0, s14
	s_addc_u32 s15, s4, s15
	s_ashr_i32 s0, s3, 31
	s_lshl_b32 s4, s6, 6
	s_lshr_b32 s0, s0, 30
	v_or_b32_e32 v9, s4, v5
	s_add_i32 s0, s3, s0
	s_and_b32 s6, s0, -4
	v_cmpx_gt_i32_e64 s6, v8
	s_cbranch_execz .LBB148_19
; %bb.14:
	s_waitcnt lgkmcnt(0)
	v_mul_lo_u32 v0, s13, v8
	v_mov_b32_e32 v2, 0
	v_mov_b32_e32 v3, 0
	v_mul_lo_u32 v4, s5, v8
	s_lshl_b32 s17, s5, 2
	s_lshl_b32 s22, s13, 2
	s_mov_b32 s21, 0
	v_cmp_gt_i32_e32 vcc_lo, s2, v9
	v_add3_u32 v6, v0, s4, v5
	v_mov_b32_e32 v0, v2
	v_mov_b32_e32 v1, v3
	s_inst_prefetch 0x1
	s_branch .LBB148_16
	.p2align	6
.LBB148_15:                             ;   in Loop: Header=BB148_16 Depth=1
	s_or_b32 exec_lo, exec_lo, s23
	v_add_nc_u32_e32 v8, 4, v8
	v_add_nc_u32_e32 v4, s17, v4
	;; [unrolled: 1-line block ×3, first 2 shown]
	v_cmp_le_i32_e64 s0, s6, v8
	s_or_b32 s21, s0, s21
	s_andn2_b32 exec_lo, exec_lo, s21
	s_cbranch_execz .LBB148_18
.LBB148_16:                             ; =>This Inner Loop Header: Depth=1
	s_and_saveexec_b32 s23, vcc_lo
	s_cbranch_execz .LBB148_15
; %bb.17:                               ;   in Loop: Header=BB148_16 Depth=1
	v_ashrrev_i32_e32 v5, 31, v4
	v_ashrrev_i32_e32 v7, 31, v6
	v_lshlrev_b64 v[11:12], 4, v[4:5]
	v_lshlrev_b64 v[13:14], 4, v[6:7]
	v_add_co_u32 v11, s0, s14, v11
	v_add_co_ci_u32_e64 v12, null, s15, v12, s0
	v_add_co_u32 v15, s0, s7, v13
	v_add_co_ci_u32_e64 v16, null, s12, v14, s0
	global_load_dwordx4 v[11:14], v[11:12], off
	global_load_dwordx4 v[15:18], v[15:16], off
	s_waitcnt vmcnt(0)
	v_mul_f64 v[19:20], v[13:14], v[17:18]
	v_mul_f64 v[17:18], v[11:12], v[17:18]
	v_fma_f64 v[11:12], v[11:12], v[15:16], -v[19:20]
	v_fma_f64 v[13:14], v[13:14], v[15:16], v[17:18]
	v_add_f64 v[0:1], v[0:1], v[11:12]
	v_add_f64 v[2:3], v[2:3], v[13:14]
	s_branch .LBB148_15
.LBB148_18:
	s_inst_prefetch 0x2
	s_or_b32 exec_lo, exec_lo, s21
.LBB148_19:
	s_or_b32 exec_lo, exec_lo, s16
	s_sub_i32 s0, s3, s6
	s_cmp_lt_i32 s0, 1
	s_cbranch_scc1 .LBB148_25
; %bb.20:
	v_mov_b32_e32 v4, 0
	v_mov_b32_e32 v6, 0
	;; [unrolled: 1-line block ×4, first 2 shown]
	v_cmp_gt_i32_e32 vcc_lo, s3, v8
	s_and_saveexec_b32 s3, vcc_lo
	s_cbranch_execz .LBB148_22
; %bb.21:
	s_waitcnt lgkmcnt(0)
	v_mul_lo_u32 v4, v8, s5
	v_ashrrev_i32_e32 v5, 31, v4
	v_lshlrev_b64 v[4:5], 4, v[4:5]
	v_add_co_u32 v4, s0, s14, v4
	v_add_co_ci_u32_e64 v5, null, s15, v5, s0
	global_load_dwordx4 v[4:7], v[4:5], off
.LBB148_22:
	s_or_b32 exec_lo, exec_lo, s3
	s_mov_b32 s3, exec_lo
	v_cmpx_gt_i32_e64 s2, v9
	s_cbranch_execz .LBB148_24
; %bb.23:
	s_waitcnt lgkmcnt(0)
	v_mul_lo_u32 v8, v8, s13
	v_cndmask_b32_e32 v8, 0, v8, vcc_lo
	v_add_nc_u32_e32 v8, v8, v9
	v_ashrrev_i32_e32 v9, 31, v8
	v_lshlrev_b64 v[8:9], 4, v[8:9]
	v_add_co_u32 v8, vcc_lo, s7, v8
	v_add_co_ci_u32_e64 v9, null, s12, v9, vcc_lo
	global_load_dwordx4 v[11:14], v[8:9], off
	s_waitcnt vmcnt(0)
	v_mul_f64 v[8:9], v[6:7], v[13:14]
	v_mul_f64 v[13:14], v[4:5], v[13:14]
	v_fma_f64 v[4:5], v[4:5], v[11:12], -v[8:9]
	v_fma_f64 v[6:7], v[6:7], v[11:12], v[13:14]
	v_add_f64 v[0:1], v[0:1], v[4:5]
	v_add_f64 v[2:3], v[2:3], v[6:7]
.LBB148_24:
	s_or_b32 exec_lo, exec_lo, s3
.LBB148_25:
	v_lshlrev_b32_e32 v11, 4, v10
	s_mov_b32 s0, exec_lo
                                        ; implicit-def: $vgpr8_vgpr9
	ds_write_b128 v11, v[0:3]
	s_waitcnt vmcnt(0) lgkmcnt(0)
	s_barrier
	buffer_gl0_inv
                                        ; implicit-def: $vgpr2_vgpr3
	v_cmpx_gt_u32_e32 64, v10
	s_cbranch_execz .LBB148_31
; %bb.26:
	ds_read_b128 v[0:3], v11
	ds_read_b128 v[4:7], v11 offset:1024
	v_or_b32_e32 v10, s4, v10
	s_mov_b32 s3, s20
	v_cmp_gt_i32_e32 vcc_lo, s2, v10
	s_waitcnt lgkmcnt(0)
	v_add_f64 v[8:9], v[0:1], v[4:5]
	v_add_f64 v[12:13], v[2:3], v[6:7]
	ds_read_b128 v[0:3], v11 offset:2048
	ds_read_b128 v[4:7], v11 offset:3072
	s_waitcnt lgkmcnt(1)
	v_add_f64 v[0:1], v[8:9], v[0:1]
	v_add_f64 v[2:3], v[12:13], v[2:3]
                                        ; implicit-def: $vgpr8_vgpr9
	s_waitcnt lgkmcnt(0)
	v_add_f64 v[4:5], v[0:1], v[4:5]
	v_add_f64 v[6:7], v[2:3], v[6:7]
                                        ; implicit-def: $vgpr2_vgpr3
	ds_write_b128 v11, v[4:7]
	s_and_saveexec_b32 s2, vcc_lo
	s_cbranch_execz .LBB148_30
; %bb.27:
	v_mul_f64 v[0:1], s[10:11], v[6:7]
	v_mul_f64 v[2:3], s[8:9], v[6:7]
	v_cmp_neq_f64_e64 s3, s[24:25], 0
	v_cmp_neq_f64_e64 s4, s[26:27], 0
	v_mul_lo_u32 v8, v10, s19
	v_ashrrev_i32_e32 v9, 31, v8
	v_fma_f64 v[0:1], s[8:9], v[4:5], -v[0:1]
	v_fma_f64 v[2:3], s[10:11], v[4:5], v[2:3]
	s_or_b32 s3, s3, s4
	s_andn2_b32 vcc_lo, exec_lo, s3
	s_cbranch_vccnz .LBB148_29
; %bb.28:
	v_lshlrev_b64 v[4:5], 4, v[8:9]
	v_add_co_u32 v4, vcc_lo, s1, v4
	v_add_co_ci_u32_e64 v5, null, s18, v5, vcc_lo
	global_load_dwordx4 v[4:7], v[4:5], off
	s_waitcnt vmcnt(0)
	v_mul_f64 v[10:11], s[26:27], v[6:7]
	v_mul_f64 v[6:7], s[24:25], v[6:7]
	v_fma_f64 v[10:11], s[24:25], v[4:5], -v[10:11]
	v_fma_f64 v[4:5], s[26:27], v[4:5], v[6:7]
	v_add_f64 v[0:1], v[0:1], v[10:11]
	v_add_f64 v[2:3], v[2:3], v[4:5]
.LBB148_29:
	s_or_b32 s3, s20, exec_lo
.LBB148_30:
	s_or_b32 exec_lo, exec_lo, s2
	s_andn2_b32 s2, s20, exec_lo
	s_and_b32 s3, s3, exec_lo
	s_or_b32 s20, s2, s3
.LBB148_31:
	s_or_b32 exec_lo, exec_lo, s0
.LBB148_32:
	s_and_saveexec_b32 s0, s20
	s_cbranch_execz .LBB148_34
; %bb.33:
	v_lshlrev_b64 v[4:5], 4, v[8:9]
	v_add_co_u32 v4, vcc_lo, s1, v4
	v_add_co_ci_u32_e64 v5, null, s18, v5, vcc_lo
	global_store_dwordx4 v[4:5], v[0:3], off
.LBB148_34:
	s_endpgm
	.section	.rodata,"a",@progbits
	.p2align	6, 0x0
	.amdhsa_kernel _ZL20rocblas_gemvn_kernelILi64ELi4Ei19rocblas_complex_numIdEPKS1_S1_EviiT3_lPKT2_lT1_lS7_lS8_lS4_lPT4_lS8_li
		.amdhsa_group_segment_fixed_size 4096
		.amdhsa_private_segment_fixed_size 0
		.amdhsa_kernarg_size 400
		.amdhsa_user_sgpr_count 6
		.amdhsa_user_sgpr_private_segment_buffer 1
		.amdhsa_user_sgpr_dispatch_ptr 0
		.amdhsa_user_sgpr_queue_ptr 0
		.amdhsa_user_sgpr_kernarg_segment_ptr 1
		.amdhsa_user_sgpr_dispatch_id 0
		.amdhsa_user_sgpr_flat_scratch_init 0
		.amdhsa_user_sgpr_private_segment_size 0
		.amdhsa_wavefront_size32 1
		.amdhsa_uses_dynamic_stack 0
		.amdhsa_system_sgpr_private_segment_wavefront_offset 0
		.amdhsa_system_sgpr_workgroup_id_x 1
		.amdhsa_system_sgpr_workgroup_id_y 0
		.amdhsa_system_sgpr_workgroup_id_z 1
		.amdhsa_system_sgpr_workgroup_info 0
		.amdhsa_system_vgpr_workitem_id 1
		.amdhsa_next_free_vgpr 21
		.amdhsa_next_free_sgpr 32
		.amdhsa_reserve_vcc 1
		.amdhsa_reserve_flat_scratch 0
		.amdhsa_float_round_mode_32 0
		.amdhsa_float_round_mode_16_64 0
		.amdhsa_float_denorm_mode_32 3
		.amdhsa_float_denorm_mode_16_64 3
		.amdhsa_dx10_clamp 1
		.amdhsa_ieee_mode 1
		.amdhsa_fp16_overflow 0
		.amdhsa_workgroup_processor_mode 1
		.amdhsa_memory_ordered 1
		.amdhsa_forward_progress 1
		.amdhsa_shared_vgpr_count 0
		.amdhsa_exception_fp_ieee_invalid_op 0
		.amdhsa_exception_fp_denorm_src 0
		.amdhsa_exception_fp_ieee_div_zero 0
		.amdhsa_exception_fp_ieee_overflow 0
		.amdhsa_exception_fp_ieee_underflow 0
		.amdhsa_exception_fp_ieee_inexact 0
		.amdhsa_exception_int_div_zero 0
	.end_amdhsa_kernel
	.section	.text._ZL20rocblas_gemvn_kernelILi64ELi4Ei19rocblas_complex_numIdEPKS1_S1_EviiT3_lPKT2_lT1_lS7_lS8_lS4_lPT4_lS8_li,"axG",@progbits,_ZL20rocblas_gemvn_kernelILi64ELi4Ei19rocblas_complex_numIdEPKS1_S1_EviiT3_lPKT2_lT1_lS7_lS8_lS4_lPT4_lS8_li,comdat
.Lfunc_end148:
	.size	_ZL20rocblas_gemvn_kernelILi64ELi4Ei19rocblas_complex_numIdEPKS1_S1_EviiT3_lPKT2_lT1_lS7_lS8_lS4_lPT4_lS8_li, .Lfunc_end148-_ZL20rocblas_gemvn_kernelILi64ELi4Ei19rocblas_complex_numIdEPKS1_S1_EviiT3_lPKT2_lT1_lS7_lS8_lS4_lPT4_lS8_li
                                        ; -- End function
	.set _ZL20rocblas_gemvn_kernelILi64ELi4Ei19rocblas_complex_numIdEPKS1_S1_EviiT3_lPKT2_lT1_lS7_lS8_lS4_lPT4_lS8_li.num_vgpr, 21
	.set _ZL20rocblas_gemvn_kernelILi64ELi4Ei19rocblas_complex_numIdEPKS1_S1_EviiT3_lPKT2_lT1_lS7_lS8_lS4_lPT4_lS8_li.num_agpr, 0
	.set _ZL20rocblas_gemvn_kernelILi64ELi4Ei19rocblas_complex_numIdEPKS1_S1_EviiT3_lPKT2_lT1_lS7_lS8_lS4_lPT4_lS8_li.numbered_sgpr, 32
	.set _ZL20rocblas_gemvn_kernelILi64ELi4Ei19rocblas_complex_numIdEPKS1_S1_EviiT3_lPKT2_lT1_lS7_lS8_lS4_lPT4_lS8_li.num_named_barrier, 0
	.set _ZL20rocblas_gemvn_kernelILi64ELi4Ei19rocblas_complex_numIdEPKS1_S1_EviiT3_lPKT2_lT1_lS7_lS8_lS4_lPT4_lS8_li.private_seg_size, 0
	.set _ZL20rocblas_gemvn_kernelILi64ELi4Ei19rocblas_complex_numIdEPKS1_S1_EviiT3_lPKT2_lT1_lS7_lS8_lS4_lPT4_lS8_li.uses_vcc, 1
	.set _ZL20rocblas_gemvn_kernelILi64ELi4Ei19rocblas_complex_numIdEPKS1_S1_EviiT3_lPKT2_lT1_lS7_lS8_lS4_lPT4_lS8_li.uses_flat_scratch, 0
	.set _ZL20rocblas_gemvn_kernelILi64ELi4Ei19rocblas_complex_numIdEPKS1_S1_EviiT3_lPKT2_lT1_lS7_lS8_lS4_lPT4_lS8_li.has_dyn_sized_stack, 0
	.set _ZL20rocblas_gemvn_kernelILi64ELi4Ei19rocblas_complex_numIdEPKS1_S1_EviiT3_lPKT2_lT1_lS7_lS8_lS4_lPT4_lS8_li.has_recursion, 0
	.set _ZL20rocblas_gemvn_kernelILi64ELi4Ei19rocblas_complex_numIdEPKS1_S1_EviiT3_lPKT2_lT1_lS7_lS8_lS4_lPT4_lS8_li.has_indirect_call, 0
	.section	.AMDGPU.csdata,"",@progbits
; Kernel info:
; codeLenInByte = 1620
; TotalNumSgprs: 34
; NumVgprs: 21
; ScratchSize: 0
; MemoryBound: 1
; FloatMode: 240
; IeeeMode: 1
; LDSByteSize: 4096 bytes/workgroup (compile time only)
; SGPRBlocks: 0
; VGPRBlocks: 2
; NumSGPRsForWavesPerEU: 34
; NumVGPRsForWavesPerEU: 21
; Occupancy: 16
; WaveLimiterHint : 1
; COMPUTE_PGM_RSRC2:SCRATCH_EN: 0
; COMPUTE_PGM_RSRC2:USER_SGPR: 6
; COMPUTE_PGM_RSRC2:TRAP_HANDLER: 0
; COMPUTE_PGM_RSRC2:TGID_X_EN: 1
; COMPUTE_PGM_RSRC2:TGID_Y_EN: 0
; COMPUTE_PGM_RSRC2:TGID_Z_EN: 1
; COMPUTE_PGM_RSRC2:TIDIG_COMP_CNT: 1
	.section	.text._ZL20rocblas_gemvn_kernelILi64ELi4El19rocblas_complex_numIdEPKS1_S1_EviiT3_lPKT2_lT1_lS7_lS8_lS4_lPT4_lS8_li,"axG",@progbits,_ZL20rocblas_gemvn_kernelILi64ELi4El19rocblas_complex_numIdEPKS1_S1_EviiT3_lPKT2_lT1_lS7_lS8_lS4_lPT4_lS8_li,comdat
	.globl	_ZL20rocblas_gemvn_kernelILi64ELi4El19rocblas_complex_numIdEPKS1_S1_EviiT3_lPKT2_lT1_lS7_lS8_lS4_lPT4_lS8_li ; -- Begin function _ZL20rocblas_gemvn_kernelILi64ELi4El19rocblas_complex_numIdEPKS1_S1_EviiT3_lPKT2_lT1_lS7_lS8_lS4_lPT4_lS8_li
	.p2align	8
	.type	_ZL20rocblas_gemvn_kernelILi64ELi4El19rocblas_complex_numIdEPKS1_S1_EviiT3_lPKT2_lT1_lS7_lS8_lS4_lPT4_lS8_li,@function
_ZL20rocblas_gemvn_kernelILi64ELi4El19rocblas_complex_numIdEPKS1_S1_EviiT3_lPKT2_lT1_lS7_lS8_lS4_lPT4_lS8_li: ; @_ZL20rocblas_gemvn_kernelILi64ELi4El19rocblas_complex_numIdEPKS1_S1_EviiT3_lPKT2_lT1_lS7_lS8_lS4_lPT4_lS8_li
; %bb.0:
	s_load_dwordx2 s[0:1], s[4:5], 0x9c
	s_waitcnt lgkmcnt(0)
	s_lshr_b32 s2, s0, 16
	s_and_b32 s0, s0, 0xffff
	s_and_b32 s1, s1, 0xffff
	s_mul_i32 s2, s2, s0
	s_mul_i32 s2, s2, s1
	s_cmpk_lg_i32 s2, 0x100
	s_cbranch_scc1 .LBB149_34
; %bb.1:
	s_clause 0x1
	s_load_dwordx16 s[36:51], s[4:5], 0x8
	s_load_dwordx16 s[8:23], s[4:5], 0x48
	s_waitcnt lgkmcnt(0)
	s_mul_i32 s1, s39, s7
	s_mul_hi_u32 s3, s38, s7
	s_mul_i32 s2, s38, s7
	s_add_i32 s3, s3, s1
	s_mul_i32 s1, s15, s7
	s_lshl_b64 s[2:3], s[2:3], 4
	s_add_u32 s2, s36, s2
	s_addc_u32 s3, s37, s3
	s_load_dwordx4 s[24:27], s[2:3], 0x0
	s_mul_hi_u32 s2, s14, s7
	s_add_i32 s3, s2, s1
	s_mul_i32 s2, s14, s7
	s_lshl_b64 s[2:3], s[2:3], 4
	s_add_u32 s2, s12, s2
	s_addc_u32 s3, s13, s3
	s_load_dwordx4 s[12:15], s[2:3], 0x0
	s_mov_b32 s2, -1
	s_waitcnt lgkmcnt(0)
	v_cmp_neq_f64_e64 s28, s[24:25], 0
	v_cmp_neq_f64_e64 s29, s[26:27], 0
	s_or_b32 s1, s28, s29
	s_and_b32 vcc_lo, exec_lo, s1
	s_cbranch_vccnz .LBB149_3
; %bb.2:
	v_cmp_neq_f64_e64 s2, s[12:13], 1.0
	v_cmp_neq_f64_e64 s3, s[14:15], 0
	s_or_b32 s2, s2, s3
.LBB149_3:
	s_andn2_b32 vcc_lo, exec_lo, s2
	s_cbranch_vccnz .LBB149_34
; %bb.4:
	s_load_dwordx2 s[2:3], s[4:5], 0x0
	s_mul_i32 s4, s23, s7
	s_mul_hi_u32 s5, s22, s7
	v_mad_u32_u24 v10, v1, s0, v0
	s_add_i32 s5, s5, s4
	s_mul_i32 s4, s22, s7
	s_xor_b32 s22, s1, -1
	s_lshl_b64 s[4:5], s[4:5], 4
	s_add_u32 s4, s16, s4
	s_addc_u32 s5, s17, s5
	s_lshl_b64 s[0:1], s[18:19], 4
	s_add_u32 s18, s4, s0
	v_cmp_gt_u32_e64 s0, 64, v10
	s_addc_u32 s19, s5, s1
	s_andn2_b32 vcc_lo, exec_lo, s22
	s_mov_b32 s22, 0
	s_cbranch_vccnz .LBB149_11
; %bb.5:
	s_mov_b32 s1, 0
                                        ; implicit-def: $vgpr2_vgpr3
                                        ; implicit-def: $vgpr8_vgpr9
	s_and_saveexec_b32 s4, s0
	s_cbranch_execz .LBB149_12
; %bb.6:
	v_lshl_or_b32 v0, s6, 6, v10
	v_mov_b32_e32 v1, 0
	s_waitcnt lgkmcnt(0)
	s_ashr_i32 s17, s2, 31
	s_mov_b32 s16, s2
	s_mov_b32 s5, 0
                                        ; implicit-def: $vgpr8_vgpr9
	v_cmp_gt_i64_e32 vcc_lo, s[16:17], v[0:1]
                                        ; implicit-def: $vgpr2_vgpr3
	s_and_saveexec_b32 s0, vcc_lo
	s_cbranch_execz .LBB149_10
; %bb.7:
	v_cmp_neq_f64_e64 s5, s[12:13], 0
	v_cmp_neq_f64_e64 s16, s[14:15], 0
	v_mad_u64_u32 v[8:9], null, s20, v0, 0
	v_mov_b32_e32 v1, v9
	v_mad_u64_u32 v[4:5], null, s21, v0, v[1:2]
	v_mov_b32_e32 v2, 0
	v_mov_b32_e32 v0, 0
	;; [unrolled: 1-line block ×5, first 2 shown]
	s_or_b32 s5, s5, s16
	s_andn2_b32 vcc_lo, exec_lo, s5
	s_cbranch_vccnz .LBB149_9
; %bb.8:
	v_lshlrev_b64 v[0:1], 4, v[8:9]
	v_add_co_u32 v0, vcc_lo, s18, v0
	v_add_co_ci_u32_e64 v1, null, s19, v1, vcc_lo
	global_load_dwordx4 v[2:5], v[0:1], off
	s_waitcnt vmcnt(0)
	v_mul_f64 v[0:1], s[14:15], v[4:5]
	v_mul_f64 v[4:5], s[12:13], v[4:5]
	v_fma_f64 v[0:1], s[12:13], v[2:3], -v[0:1]
	v_fma_f64 v[2:3], s[14:15], v[2:3], v[4:5]
.LBB149_9:
	s_mov_b32 s5, exec_lo
.LBB149_10:
	s_or_b32 exec_lo, exec_lo, s0
	s_and_b32 s22, s5, exec_lo
	s_or_b32 exec_lo, exec_lo, s4
	s_and_b32 vcc_lo, exec_lo, s1
	s_cbranch_vccnz .LBB149_13
	s_branch .LBB149_32
.LBB149_11:
                                        ; implicit-def: $vgpr2_vgpr3
                                        ; implicit-def: $vgpr8_vgpr9
	s_cbranch_execnz .LBB149_13
	s_branch .LBB149_32
.LBB149_12:
	s_or_b32 exec_lo, exec_lo, s4
	s_and_b32 vcc_lo, exec_lo, s1
	s_cbranch_vccz .LBB149_32
.LBB149_13:
	v_and_b32_e32 v4, 63, v10
	s_waitcnt lgkmcnt(0)
	s_ashr_i32 s4, s3, 31
	s_lshl_b32 s23, s6, 6
	s_mul_i32 s0, s47, s7
	s_mul_hi_u32 s1, s46, s7
	s_lshr_b32 s4, s4, 30
	v_mov_b32_e32 v2, 0
	v_mov_b32_e32 v0, 0
	v_lshrrev_b32_e32 v9, 6, v10
	v_or_b32_e32 v8, s23, v4
	v_mov_b32_e32 v3, 0
	v_mov_b32_e32 v1, 0
	s_add_i32 s5, s1, s0
	s_mul_i32 s0, s11, s7
	s_mul_hi_u32 s1, s10, s7
	s_add_i32 s4, s3, s4
	s_add_i32 s11, s1, s0
	s_and_b32 s28, s4, -4
	s_mul_i32 s4, s46, s7
	s_mul_i32 s10, s10, s7
	s_mov_b32 s29, exec_lo
	v_cmpx_gt_i32_e64 s28, v9
	s_cbranch_execz .LBB149_19
; %bb.14:
	v_lshrrev_b32_e32 v7, 6, v10
	v_add_nc_u32_e32 v11, s23, v4
	s_lshl_b64 s[6:7], s[50:51], 4
	s_lshl_b64 s[0:1], s[10:11], 4
	s_add_u32 s6, s48, s6
	v_mad_u64_u32 v[0:1], null, s44, v7, 0
	v_mad_u64_u32 v[5:6], null, s8, v7, 0
	s_addc_u32 s7, s49, s7
	v_ashrrev_i32_e32 v12, 31, v11
	s_add_u32 s30, s6, s0
	s_addc_u32 s31, s7, s1
	v_mad_u64_u32 v[1:2], null, s45, v7, v[1:2]
	v_mov_b32_e32 v4, v6
	s_lshl_b64 s[0:1], s[4:5], 4
	s_lshl_b64 s[16:17], s[42:43], 4
	;; [unrolled: 1-line block ×3, first 2 shown]
	s_add_u32 s0, s16, s0
	v_mad_u64_u32 v[6:7], null, s9, v7, v[4:5]
	v_lshlrev_b64 v[0:1], 4, v[0:1]
	v_lshlrev_b64 v[11:12], 4, v[11:12]
	s_addc_u32 s1, s17, s1
	v_mov_b32_e32 v2, 0
	v_mov_b32_e32 v3, 0
	s_lshl_b64 s[16:17], s[44:45], 6
	v_add_co_u32 v4, s0, s0, v0
	v_add_co_ci_u32_e64 v7, null, s1, v1, s0
	v_lshlrev_b64 v[0:1], 4, v[5:6]
	v_add_co_u32 v4, s0, v4, v11
	v_add_co_ci_u32_e64 v5, null, v7, v12, s0
	v_cmp_gt_i32_e32 vcc_lo, s2, v8
	v_add_co_u32 v0, s0, s30, v0
	v_add_co_ci_u32_e64 v1, null, s31, v1, s0
	v_add_co_u32 v6, s0, s40, v4
	v_add_co_ci_u32_e64 v7, null, s41, v5, s0
	;; [unrolled: 2-line block ×3, first 2 shown]
	v_add_co_u32 v6, s0, v6, 8
	v_mov_b32_e32 v0, v2
	v_add_co_ci_u32_e64 v7, null, 0, v7, s0
	v_mov_b32_e32 v1, v3
	s_mov_b32 s30, 0
	s_inst_prefetch 0x1
	s_branch .LBB149_16
	.p2align	6
.LBB149_15:                             ;   in Loop: Header=BB149_16 Depth=1
	s_or_b32 exec_lo, exec_lo, s0
	v_add_nc_u32_e32 v9, 4, v9
	v_add_co_u32 v4, s0, v4, s6
	v_add_co_ci_u32_e64 v5, null, s7, v5, s0
	v_cmp_le_i32_e64 s0, s28, v9
	v_add_co_u32 v6, s1, v6, s16
	v_add_co_ci_u32_e64 v7, null, s17, v7, s1
	s_or_b32 s30, s0, s30
	s_andn2_b32 exec_lo, exec_lo, s30
	s_cbranch_execz .LBB149_18
.LBB149_16:                             ; =>This Inner Loop Header: Depth=1
	s_and_saveexec_b32 s0, vcc_lo
	s_cbranch_execz .LBB149_15
; %bb.17:                               ;   in Loop: Header=BB149_16 Depth=1
	global_load_dwordx4 v[11:14], v[4:5], off offset:-8
	global_load_dwordx4 v[15:18], v[6:7], off offset:-8
	s_waitcnt vmcnt(0)
	v_mul_f64 v[19:20], v[13:14], v[17:18]
	v_mul_f64 v[17:18], v[11:12], v[17:18]
	v_fma_f64 v[11:12], v[11:12], v[15:16], -v[19:20]
	v_fma_f64 v[13:14], v[13:14], v[15:16], v[17:18]
	v_add_f64 v[0:1], v[0:1], v[11:12]
	v_add_f64 v[2:3], v[2:3], v[13:14]
	s_branch .LBB149_15
.LBB149_18:
	s_inst_prefetch 0x2
	s_or_b32 exec_lo, exec_lo, s30
.LBB149_19:
	s_or_b32 exec_lo, exec_lo, s29
	s_sub_i32 s0, s3, s28
	s_cmp_lt_i32 s0, 1
	s_cbranch_scc1 .LBB149_25
; %bb.20:
	v_mov_b32_e32 v4, 0
	v_mov_b32_e32 v6, 0
	;; [unrolled: 1-line block ×4, first 2 shown]
	v_cmp_gt_i32_e32 vcc_lo, s3, v9
	s_and_saveexec_b32 s1, vcc_lo
	s_cbranch_execz .LBB149_22
; %bb.21:
	v_mad_u64_u32 v[4:5], null, s8, v9, 0
	s_lshl_b64 s[6:7], s[10:11], 4
	s_add_u32 s0, s48, s6
	s_addc_u32 s3, s49, s7
	s_lshl_b64 s[6:7], s[50:51], 4
	s_add_u32 s0, s0, s6
	v_mad_u64_u32 v[5:6], null, s9, v9, v[5:6]
	s_addc_u32 s3, s3, s7
	v_lshlrev_b64 v[4:5], 4, v[4:5]
	v_add_co_u32 v4, s0, s0, v4
	v_add_co_ci_u32_e64 v5, null, s3, v5, s0
	global_load_dwordx4 v[4:7], v[4:5], off
.LBB149_22:
	s_or_b32 exec_lo, exec_lo, s1
	s_mov_b32 s1, exec_lo
	v_cmpx_gt_i32_e64 s2, v8
	s_cbranch_execz .LBB149_24
; %bb.23:
	v_mad_u64_u32 v[11:12], null, s44, v9, 0
	s_lshl_b64 s[4:5], s[4:5], 4
	s_add_u32 s0, s40, s4
	s_addc_u32 s3, s41, s5
	s_lshl_b64 s[4:5], s[42:43], 4
	s_add_u32 s0, s0, s4
	v_mad_u64_u32 v[12:13], null, s45, v9, v[12:13]
	v_cndmask_b32_e32 v11, 0, v11, vcc_lo
	v_ashrrev_i32_e32 v9, 31, v8
	s_addc_u32 s3, s3, s5
	v_lshlrev_b64 v[8:9], 4, v[8:9]
	v_cndmask_b32_e32 v12, 0, v12, vcc_lo
	v_lshlrev_b64 v[11:12], 4, v[11:12]
	v_add_co_u32 v11, vcc_lo, s0, v11
	v_add_co_ci_u32_e64 v12, null, s3, v12, vcc_lo
	v_add_co_u32 v8, vcc_lo, v11, v8
	v_add_co_ci_u32_e64 v9, null, v12, v9, vcc_lo
	global_load_dwordx4 v[11:14], v[8:9], off
	s_waitcnt vmcnt(0)
	v_mul_f64 v[8:9], v[6:7], v[13:14]
	v_mul_f64 v[13:14], v[4:5], v[13:14]
	v_fma_f64 v[4:5], v[4:5], v[11:12], -v[8:9]
	v_fma_f64 v[6:7], v[6:7], v[11:12], v[13:14]
	v_add_f64 v[0:1], v[0:1], v[4:5]
	v_add_f64 v[2:3], v[2:3], v[6:7]
.LBB149_24:
	s_or_b32 exec_lo, exec_lo, s1
.LBB149_25:
	v_lshlrev_b32_e32 v11, 4, v10
	s_mov_b32 s0, exec_lo
                                        ; implicit-def: $vgpr8_vgpr9
	ds_write_b128 v11, v[0:3]
	s_waitcnt vmcnt(0) lgkmcnt(0)
	s_barrier
	buffer_gl0_inv
                                        ; implicit-def: $vgpr2_vgpr3
	v_cmpx_gt_u32_e32 64, v10
	s_cbranch_execz .LBB149_31
; %bb.26:
	ds_read_b128 v[0:3], v11
	ds_read_b128 v[4:7], v11 offset:1024
	v_or_b32_e32 v10, s23, v10
	v_cmp_gt_i32_e32 vcc_lo, s2, v10
	s_mov_b32 s2, s22
	s_waitcnt lgkmcnt(0)
	v_add_f64 v[8:9], v[0:1], v[4:5]
	v_add_f64 v[12:13], v[2:3], v[6:7]
	ds_read_b128 v[0:3], v11 offset:2048
	ds_read_b128 v[4:7], v11 offset:3072
	s_waitcnt lgkmcnt(1)
	v_add_f64 v[0:1], v[8:9], v[0:1]
	v_add_f64 v[2:3], v[12:13], v[2:3]
                                        ; implicit-def: $vgpr8_vgpr9
	s_waitcnt lgkmcnt(0)
	v_add_f64 v[4:5], v[0:1], v[4:5]
	v_add_f64 v[6:7], v[2:3], v[6:7]
                                        ; implicit-def: $vgpr2_vgpr3
	ds_write_b128 v11, v[4:7]
	s_and_saveexec_b32 s1, vcc_lo
	s_cbranch_execz .LBB149_30
; %bb.27:
	v_mul_f64 v[0:1], s[26:27], v[6:7]
	v_mul_f64 v[2:3], s[24:25], v[6:7]
	v_cmp_neq_f64_e64 s2, s[12:13], 0
	v_cmp_neq_f64_e64 s3, s[14:15], 0
	v_mad_u64_u32 v[8:9], null, s20, v10, 0
	v_fma_f64 v[0:1], s[24:25], v[4:5], -v[0:1]
	v_fma_f64 v[2:3], s[26:27], v[4:5], v[2:3]
	v_ashrrev_i32_e32 v4, 31, v10
	v_mul_lo_u32 v5, s21, v10
	s_or_b32 s2, s2, s3
	s_andn2_b32 vcc_lo, exec_lo, s2
	v_mul_lo_u32 v4, s20, v4
	v_add3_u32 v9, v9, v4, v5
	s_cbranch_vccnz .LBB149_29
; %bb.28:
	v_lshlrev_b64 v[4:5], 4, v[8:9]
	v_add_co_u32 v4, vcc_lo, s18, v4
	v_add_co_ci_u32_e64 v5, null, s19, v5, vcc_lo
	global_load_dwordx4 v[4:7], v[4:5], off
	s_waitcnt vmcnt(0)
	v_mul_f64 v[10:11], s[14:15], v[6:7]
	v_mul_f64 v[6:7], s[12:13], v[6:7]
	v_fma_f64 v[10:11], s[12:13], v[4:5], -v[10:11]
	v_fma_f64 v[4:5], s[14:15], v[4:5], v[6:7]
	v_add_f64 v[0:1], v[0:1], v[10:11]
	v_add_f64 v[2:3], v[2:3], v[4:5]
.LBB149_29:
	s_or_b32 s2, s22, exec_lo
.LBB149_30:
	s_or_b32 exec_lo, exec_lo, s1
	s_andn2_b32 s1, s22, exec_lo
	s_and_b32 s2, s2, exec_lo
	s_or_b32 s22, s1, s2
.LBB149_31:
	s_or_b32 exec_lo, exec_lo, s0
.LBB149_32:
	s_and_saveexec_b32 s0, s22
	s_cbranch_execz .LBB149_34
; %bb.33:
	v_lshlrev_b64 v[4:5], 4, v[8:9]
	v_add_co_u32 v4, vcc_lo, s18, v4
	v_add_co_ci_u32_e64 v5, null, s19, v5, vcc_lo
	global_store_dwordx4 v[4:5], v[0:3], off
.LBB149_34:
	s_endpgm
	.section	.rodata,"a",@progbits
	.p2align	6, 0x0
	.amdhsa_kernel _ZL20rocblas_gemvn_kernelILi64ELi4El19rocblas_complex_numIdEPKS1_S1_EviiT3_lPKT2_lT1_lS7_lS8_lS4_lPT4_lS8_li
		.amdhsa_group_segment_fixed_size 4096
		.amdhsa_private_segment_fixed_size 0
		.amdhsa_kernarg_size 400
		.amdhsa_user_sgpr_count 6
		.amdhsa_user_sgpr_private_segment_buffer 1
		.amdhsa_user_sgpr_dispatch_ptr 0
		.amdhsa_user_sgpr_queue_ptr 0
		.amdhsa_user_sgpr_kernarg_segment_ptr 1
		.amdhsa_user_sgpr_dispatch_id 0
		.amdhsa_user_sgpr_flat_scratch_init 0
		.amdhsa_user_sgpr_private_segment_size 0
		.amdhsa_wavefront_size32 1
		.amdhsa_uses_dynamic_stack 0
		.amdhsa_system_sgpr_private_segment_wavefront_offset 0
		.amdhsa_system_sgpr_workgroup_id_x 1
		.amdhsa_system_sgpr_workgroup_id_y 0
		.amdhsa_system_sgpr_workgroup_id_z 1
		.amdhsa_system_sgpr_workgroup_info 0
		.amdhsa_system_vgpr_workitem_id 1
		.amdhsa_next_free_vgpr 21
		.amdhsa_next_free_sgpr 52
		.amdhsa_reserve_vcc 1
		.amdhsa_reserve_flat_scratch 0
		.amdhsa_float_round_mode_32 0
		.amdhsa_float_round_mode_16_64 0
		.amdhsa_float_denorm_mode_32 3
		.amdhsa_float_denorm_mode_16_64 3
		.amdhsa_dx10_clamp 1
		.amdhsa_ieee_mode 1
		.amdhsa_fp16_overflow 0
		.amdhsa_workgroup_processor_mode 1
		.amdhsa_memory_ordered 1
		.amdhsa_forward_progress 1
		.amdhsa_shared_vgpr_count 0
		.amdhsa_exception_fp_ieee_invalid_op 0
		.amdhsa_exception_fp_denorm_src 0
		.amdhsa_exception_fp_ieee_div_zero 0
		.amdhsa_exception_fp_ieee_overflow 0
		.amdhsa_exception_fp_ieee_underflow 0
		.amdhsa_exception_fp_ieee_inexact 0
		.amdhsa_exception_int_div_zero 0
	.end_amdhsa_kernel
	.section	.text._ZL20rocblas_gemvn_kernelILi64ELi4El19rocblas_complex_numIdEPKS1_S1_EviiT3_lPKT2_lT1_lS7_lS8_lS4_lPT4_lS8_li,"axG",@progbits,_ZL20rocblas_gemvn_kernelILi64ELi4El19rocblas_complex_numIdEPKS1_S1_EviiT3_lPKT2_lT1_lS7_lS8_lS4_lPT4_lS8_li,comdat
.Lfunc_end149:
	.size	_ZL20rocblas_gemvn_kernelILi64ELi4El19rocblas_complex_numIdEPKS1_S1_EviiT3_lPKT2_lT1_lS7_lS8_lS4_lPT4_lS8_li, .Lfunc_end149-_ZL20rocblas_gemvn_kernelILi64ELi4El19rocblas_complex_numIdEPKS1_S1_EviiT3_lPKT2_lT1_lS7_lS8_lS4_lPT4_lS8_li
                                        ; -- End function
	.set _ZL20rocblas_gemvn_kernelILi64ELi4El19rocblas_complex_numIdEPKS1_S1_EviiT3_lPKT2_lT1_lS7_lS8_lS4_lPT4_lS8_li.num_vgpr, 21
	.set _ZL20rocblas_gemvn_kernelILi64ELi4El19rocblas_complex_numIdEPKS1_S1_EviiT3_lPKT2_lT1_lS7_lS8_lS4_lPT4_lS8_li.num_agpr, 0
	.set _ZL20rocblas_gemvn_kernelILi64ELi4El19rocblas_complex_numIdEPKS1_S1_EviiT3_lPKT2_lT1_lS7_lS8_lS4_lPT4_lS8_li.numbered_sgpr, 52
	.set _ZL20rocblas_gemvn_kernelILi64ELi4El19rocblas_complex_numIdEPKS1_S1_EviiT3_lPKT2_lT1_lS7_lS8_lS4_lPT4_lS8_li.num_named_barrier, 0
	.set _ZL20rocblas_gemvn_kernelILi64ELi4El19rocblas_complex_numIdEPKS1_S1_EviiT3_lPKT2_lT1_lS7_lS8_lS4_lPT4_lS8_li.private_seg_size, 0
	.set _ZL20rocblas_gemvn_kernelILi64ELi4El19rocblas_complex_numIdEPKS1_S1_EviiT3_lPKT2_lT1_lS7_lS8_lS4_lPT4_lS8_li.uses_vcc, 1
	.set _ZL20rocblas_gemvn_kernelILi64ELi4El19rocblas_complex_numIdEPKS1_S1_EviiT3_lPKT2_lT1_lS7_lS8_lS4_lPT4_lS8_li.uses_flat_scratch, 0
	.set _ZL20rocblas_gemvn_kernelILi64ELi4El19rocblas_complex_numIdEPKS1_S1_EviiT3_lPKT2_lT1_lS7_lS8_lS4_lPT4_lS8_li.has_dyn_sized_stack, 0
	.set _ZL20rocblas_gemvn_kernelILi64ELi4El19rocblas_complex_numIdEPKS1_S1_EviiT3_lPKT2_lT1_lS7_lS8_lS4_lPT4_lS8_li.has_recursion, 0
	.set _ZL20rocblas_gemvn_kernelILi64ELi4El19rocblas_complex_numIdEPKS1_S1_EviiT3_lPKT2_lT1_lS7_lS8_lS4_lPT4_lS8_li.has_indirect_call, 0
	.section	.AMDGPU.csdata,"",@progbits
; Kernel info:
; codeLenInByte = 1752
; TotalNumSgprs: 54
; NumVgprs: 21
; ScratchSize: 0
; MemoryBound: 0
; FloatMode: 240
; IeeeMode: 1
; LDSByteSize: 4096 bytes/workgroup (compile time only)
; SGPRBlocks: 0
; VGPRBlocks: 2
; NumSGPRsForWavesPerEU: 54
; NumVGPRsForWavesPerEU: 21
; Occupancy: 16
; WaveLimiterHint : 0
; COMPUTE_PGM_RSRC2:SCRATCH_EN: 0
; COMPUTE_PGM_RSRC2:USER_SGPR: 6
; COMPUTE_PGM_RSRC2:TRAP_HANDLER: 0
; COMPUTE_PGM_RSRC2:TGID_X_EN: 1
; COMPUTE_PGM_RSRC2:TGID_Y_EN: 0
; COMPUTE_PGM_RSRC2:TGID_Z_EN: 1
; COMPUTE_PGM_RSRC2:TIDIG_COMP_CNT: 1
	.section	.text._ZL20rocblas_gemvn_kernelILi64ELi4Ei19rocblas_complex_numIdES1_S1_EviiT3_lPKT2_lT1_lS5_lS6_lS2_lPT4_lS6_li,"axG",@progbits,_ZL20rocblas_gemvn_kernelILi64ELi4Ei19rocblas_complex_numIdES1_S1_EviiT3_lPKT2_lT1_lS5_lS6_lS2_lPT4_lS6_li,comdat
	.globl	_ZL20rocblas_gemvn_kernelILi64ELi4Ei19rocblas_complex_numIdES1_S1_EviiT3_lPKT2_lT1_lS5_lS6_lS2_lPT4_lS6_li ; -- Begin function _ZL20rocblas_gemvn_kernelILi64ELi4Ei19rocblas_complex_numIdES1_S1_EviiT3_lPKT2_lT1_lS5_lS6_lS2_lPT4_lS6_li
	.p2align	8
	.type	_ZL20rocblas_gemvn_kernelILi64ELi4Ei19rocblas_complex_numIdES1_S1_EviiT3_lPKT2_lT1_lS5_lS6_lS2_lPT4_lS6_li,@function
_ZL20rocblas_gemvn_kernelILi64ELi4Ei19rocblas_complex_numIdES1_S1_EviiT3_lPKT2_lT1_lS5_lS6_lS2_lPT4_lS6_li: ; @_ZL20rocblas_gemvn_kernelILi64ELi4Ei19rocblas_complex_numIdES1_S1_EviiT3_lPKT2_lT1_lS5_lS6_lS2_lPT4_lS6_li
; %bb.0:
	s_load_dwordx2 s[0:1], s[4:5], 0xac
	s_waitcnt lgkmcnt(0)
	s_lshr_b32 s2, s0, 16
	s_and_b32 s0, s0, 0xffff
	s_and_b32 s1, s1, 0xffff
	s_mul_i32 s2, s2, s0
	s_mul_i32 s2, s2, s1
	s_cmpk_lg_i32 s2, 0x100
	s_cbranch_scc1 .LBB150_34
; %bb.1:
	s_clause 0x2
	s_load_dwordx4 s[12:15], s[4:5], 0x8
	s_load_dwordx4 s[8:11], s[4:5], 0x58
	s_load_dwordx2 s[2:3], s[4:5], 0x68
	s_waitcnt lgkmcnt(0)
	v_cmp_neq_f64_e64 s1, s[12:13], 0
	v_cmp_neq_f64_e64 s16, s[14:15], 0
	s_or_b32 s1, s1, s16
	s_mov_b32 s16, -1
	s_and_b32 vcc_lo, exec_lo, s1
	s_cbranch_vccnz .LBB150_3
; %bb.2:
	v_cmp_neq_f64_e64 s16, s[10:11], 1.0
	v_cmp_neq_f64_e64 s17, s[2:3], 0
	s_or_b32 s16, s16, s17
.LBB150_3:
	s_andn2_b32 vcc_lo, exec_lo, s16
	s_cbranch_vccnz .LBB150_34
; %bb.4:
	s_clause 0x3
	s_load_dwordx2 s[24:25], s[4:5], 0x90
	s_load_dwordx4 s[20:23], s[4:5], 0x78
	s_load_dword s19, s[4:5], 0x88
	s_load_dwordx2 s[16:17], s[4:5], 0x0
	s_xor_b32 s26, s1, -1
	v_mad_u32_u24 v10, v1, s0, v0
	s_waitcnt lgkmcnt(0)
	s_mul_i32 s1, s25, s7
	s_mul_hi_u32 s18, s24, s7
	s_mul_i32 s24, s24, s7
	s_add_i32 s25, s18, s1
	s_lshl_b64 s[0:1], s[24:25], 4
	s_add_u32 s18, s20, s0
	s_addc_u32 s24, s21, s1
	s_lshl_b64 s[20:21], s[22:23], 4
	v_cmp_gt_u32_e64 s0, 64, v10
	s_add_u32 s1, s18, s20
	s_addc_u32 s18, s24, s21
	s_andn2_b32 vcc_lo, exec_lo, s26
	s_mov_b32 s20, 0
	s_cbranch_vccnz .LBB150_11
; %bb.5:
	s_mov_b32 s21, 0
                                        ; implicit-def: $vgpr2_vgpr3
                                        ; implicit-def: $vgpr8_vgpr9
	s_and_saveexec_b32 s22, s0
	s_cbranch_execz .LBB150_12
; %bb.6:
	v_lshl_or_b32 v0, s6, 6, v10
	v_mov_b32_e32 v1, 0
	s_ashr_i32 s25, s16, 31
	s_mov_b32 s24, s16
                                        ; implicit-def: $vgpr8_vgpr9
	v_cmp_gt_i64_e32 vcc_lo, s[24:25], v[0:1]
                                        ; implicit-def: $vgpr2_vgpr3
	s_and_saveexec_b32 s0, vcc_lo
	s_cbranch_execz .LBB150_10
; %bb.7:
	v_cmp_neq_f64_e64 s20, s[10:11], 0
	v_cmp_neq_f64_e64 s23, s[2:3], 0
	v_mad_u64_u32 v[8:9], null, v0, s19, 0
	s_ashr_i32 s24, s19, 31
	v_mov_b32_e32 v1, v9
	v_mad_u64_u32 v[4:5], null, v0, s24, v[1:2]
	v_mov_b32_e32 v2, 0
	v_mov_b32_e32 v0, 0
	;; [unrolled: 1-line block ×5, first 2 shown]
	s_or_b32 s20, s20, s23
	s_andn2_b32 vcc_lo, exec_lo, s20
	s_cbranch_vccnz .LBB150_9
; %bb.8:
	v_lshlrev_b64 v[0:1], 4, v[8:9]
	v_add_co_u32 v0, vcc_lo, s1, v0
	v_add_co_ci_u32_e64 v1, null, s18, v1, vcc_lo
	global_load_dwordx4 v[2:5], v[0:1], off
	s_waitcnt vmcnt(0)
	v_mul_f64 v[0:1], s[2:3], v[4:5]
	v_mul_f64 v[4:5], s[10:11], v[4:5]
	v_fma_f64 v[0:1], s[10:11], v[2:3], -v[0:1]
	v_fma_f64 v[2:3], s[2:3], v[2:3], v[4:5]
.LBB150_9:
	s_mov_b32 s20, exec_lo
.LBB150_10:
	s_or_b32 exec_lo, exec_lo, s0
	s_and_b32 s20, s20, exec_lo
	s_or_b32 exec_lo, exec_lo, s22
	s_and_b32 vcc_lo, exec_lo, s21
	s_cbranch_vccnz .LBB150_13
	s_branch .LBB150_32
.LBB150_11:
                                        ; implicit-def: $vgpr2_vgpr3
                                        ; implicit-def: $vgpr8_vgpr9
	s_cbranch_execnz .LBB150_13
	s_branch .LBB150_32
.LBB150_12:
	s_or_b32 exec_lo, exec_lo, s22
	s_and_b32 vcc_lo, exec_lo, s21
	s_cbranch_vccz .LBB150_32
.LBB150_13:
	s_clause 0x4
	s_load_dwordx4 s[24:27], s[4:5], 0x38
	s_load_dwordx4 s[28:31], s[4:5], 0x20
	s_load_dword s21, s[4:5], 0x30
	s_load_dwordx2 s[22:23], s[4:5], 0x48
	s_load_dword s5, s[4:5], 0x50
	v_and_b32_e32 v5, 63, v10
	v_mov_b32_e32 v2, 0
	v_mov_b32_e32 v0, 0
	v_lshrrev_b32_e32 v8, 6, v10
	v_mov_b32_e32 v3, 0
	v_mov_b32_e32 v1, 0
	s_waitcnt lgkmcnt(0)
	s_mul_i32 s0, s25, s7
	s_mul_hi_u32 s25, s24, s7
	s_mul_i32 s24, s24, s7
	s_add_i32 s25, s25, s0
	s_mul_i32 s0, s9, s7
	s_lshl_b64 s[24:25], s[24:25], 4
	s_mul_hi_u32 s9, s8, s7
	s_add_u32 s33, s28, s24
	s_addc_u32 s29, s29, s25
	s_lshl_b64 s[24:25], s[30:31], 4
	s_mul_i32 s28, s8, s7
	s_add_u32 s7, s33, s24
	s_addc_u32 s8, s29, s25
	s_add_i32 s29, s9, s0
	s_lshl_b64 s[24:25], s[28:29], 4
	s_add_u32 s0, s26, s24
	s_addc_u32 s4, s27, s25
	s_lshl_b64 s[22:23], s[22:23], 4
	s_add_u32 s9, s0, s22
	s_addc_u32 s22, s4, s23
	s_ashr_i32 s0, s17, 31
	s_lshl_b32 s4, s6, 6
	s_lshr_b32 s0, s0, 30
	v_or_b32_e32 v9, s4, v5
	s_add_i32 s0, s17, s0
	s_mov_b32 s23, exec_lo
	s_and_b32 s6, s0, -4
	v_cmpx_gt_i32_e64 s6, v8
	s_cbranch_execz .LBB150_19
; %bb.14:
	v_mul_lo_u32 v0, s21, v8
	v_mov_b32_e32 v2, 0
	v_mov_b32_e32 v3, 0
	v_mul_lo_u32 v4, s5, v8
	s_lshl_b32 s24, s5, 2
	s_lshl_b32 s26, s21, 2
	s_mov_b32 s25, 0
	v_cmp_gt_i32_e32 vcc_lo, s16, v9
	v_add3_u32 v6, v0, s4, v5
	v_mov_b32_e32 v0, v2
	v_mov_b32_e32 v1, v3
	s_inst_prefetch 0x1
	s_branch .LBB150_16
	.p2align	6
.LBB150_15:                             ;   in Loop: Header=BB150_16 Depth=1
	s_or_b32 exec_lo, exec_lo, s27
	v_add_nc_u32_e32 v8, 4, v8
	v_add_nc_u32_e32 v4, s24, v4
	;; [unrolled: 1-line block ×3, first 2 shown]
	v_cmp_le_i32_e64 s0, s6, v8
	s_or_b32 s25, s0, s25
	s_andn2_b32 exec_lo, exec_lo, s25
	s_cbranch_execz .LBB150_18
.LBB150_16:                             ; =>This Inner Loop Header: Depth=1
	s_and_saveexec_b32 s27, vcc_lo
	s_cbranch_execz .LBB150_15
; %bb.17:                               ;   in Loop: Header=BB150_16 Depth=1
	v_ashrrev_i32_e32 v5, 31, v4
	v_ashrrev_i32_e32 v7, 31, v6
	v_lshlrev_b64 v[11:12], 4, v[4:5]
	v_lshlrev_b64 v[13:14], 4, v[6:7]
	v_add_co_u32 v11, s0, s9, v11
	v_add_co_ci_u32_e64 v12, null, s22, v12, s0
	v_add_co_u32 v15, s0, s7, v13
	v_add_co_ci_u32_e64 v16, null, s8, v14, s0
	global_load_dwordx4 v[11:14], v[11:12], off
	global_load_dwordx4 v[15:18], v[15:16], off
	s_waitcnt vmcnt(0)
	v_mul_f64 v[19:20], v[13:14], v[17:18]
	v_mul_f64 v[17:18], v[11:12], v[17:18]
	v_fma_f64 v[11:12], v[11:12], v[15:16], -v[19:20]
	v_fma_f64 v[13:14], v[13:14], v[15:16], v[17:18]
	v_add_f64 v[0:1], v[0:1], v[11:12]
	v_add_f64 v[2:3], v[2:3], v[13:14]
	s_branch .LBB150_15
.LBB150_18:
	s_inst_prefetch 0x2
	s_or_b32 exec_lo, exec_lo, s25
.LBB150_19:
	s_or_b32 exec_lo, exec_lo, s23
	s_sub_i32 s0, s17, s6
	s_cmp_lt_i32 s0, 1
	s_cbranch_scc1 .LBB150_25
; %bb.20:
	v_mov_b32_e32 v4, 0
	v_mov_b32_e32 v6, 0
	;; [unrolled: 1-line block ×4, first 2 shown]
	v_cmp_gt_i32_e32 vcc_lo, s17, v8
	s_and_saveexec_b32 s6, vcc_lo
	s_cbranch_execz .LBB150_22
; %bb.21:
	v_mul_lo_u32 v4, v8, s5
	v_ashrrev_i32_e32 v5, 31, v4
	v_lshlrev_b64 v[4:5], 4, v[4:5]
	v_add_co_u32 v4, s0, s9, v4
	v_add_co_ci_u32_e64 v5, null, s22, v5, s0
	global_load_dwordx4 v[4:7], v[4:5], off
.LBB150_22:
	s_or_b32 exec_lo, exec_lo, s6
	s_mov_b32 s5, exec_lo
	v_cmpx_gt_i32_e64 s16, v9
	s_cbranch_execz .LBB150_24
; %bb.23:
	v_mul_lo_u32 v8, v8, s21
	v_cndmask_b32_e32 v8, 0, v8, vcc_lo
	v_add_nc_u32_e32 v8, v8, v9
	v_ashrrev_i32_e32 v9, 31, v8
	v_lshlrev_b64 v[8:9], 4, v[8:9]
	v_add_co_u32 v8, vcc_lo, s7, v8
	v_add_co_ci_u32_e64 v9, null, s8, v9, vcc_lo
	global_load_dwordx4 v[11:14], v[8:9], off
	s_waitcnt vmcnt(0)
	v_mul_f64 v[8:9], v[6:7], v[13:14]
	v_mul_f64 v[13:14], v[4:5], v[13:14]
	v_fma_f64 v[4:5], v[4:5], v[11:12], -v[8:9]
	v_fma_f64 v[6:7], v[6:7], v[11:12], v[13:14]
	v_add_f64 v[0:1], v[0:1], v[4:5]
	v_add_f64 v[2:3], v[2:3], v[6:7]
.LBB150_24:
	s_or_b32 exec_lo, exec_lo, s5
.LBB150_25:
	v_lshlrev_b32_e32 v11, 4, v10
	s_mov_b32 s0, exec_lo
                                        ; implicit-def: $vgpr8_vgpr9
	ds_write_b128 v11, v[0:3]
	s_waitcnt vmcnt(0) lgkmcnt(0)
	s_barrier
	buffer_gl0_inv
                                        ; implicit-def: $vgpr2_vgpr3
	v_cmpx_gt_u32_e32 64, v10
	s_cbranch_execz .LBB150_31
; %bb.26:
	ds_read_b128 v[0:3], v11
	ds_read_b128 v[4:7], v11 offset:1024
	v_or_b32_e32 v10, s4, v10
	s_mov_b32 s5, s20
	s_mov_b32 s4, exec_lo
	s_waitcnt lgkmcnt(0)
	v_add_f64 v[8:9], v[0:1], v[4:5]
	v_add_f64 v[12:13], v[2:3], v[6:7]
	ds_read_b128 v[0:3], v11 offset:2048
	ds_read_b128 v[4:7], v11 offset:3072
	s_waitcnt lgkmcnt(1)
	v_add_f64 v[0:1], v[8:9], v[0:1]
	v_add_f64 v[2:3], v[12:13], v[2:3]
                                        ; implicit-def: $vgpr8_vgpr9
	s_waitcnt lgkmcnt(0)
	v_add_f64 v[4:5], v[0:1], v[4:5]
	v_add_f64 v[6:7], v[2:3], v[6:7]
                                        ; implicit-def: $vgpr2_vgpr3
	ds_write_b128 v11, v[4:7]
	v_cmpx_gt_i32_e64 s16, v10
	s_cbranch_execz .LBB150_30
; %bb.27:
	v_mul_f64 v[0:1], s[14:15], v[6:7]
	v_mul_f64 v[2:3], s[12:13], v[6:7]
	v_cmp_neq_f64_e64 s5, s[10:11], 0
	v_cmp_neq_f64_e64 s6, s[2:3], 0
	v_mul_lo_u32 v8, v10, s19
	v_ashrrev_i32_e32 v9, 31, v8
	v_fma_f64 v[0:1], s[12:13], v[4:5], -v[0:1]
	v_fma_f64 v[2:3], s[14:15], v[4:5], v[2:3]
	s_or_b32 s5, s5, s6
	s_andn2_b32 vcc_lo, exec_lo, s5
	s_cbranch_vccnz .LBB150_29
; %bb.28:
	v_lshlrev_b64 v[4:5], 4, v[8:9]
	v_add_co_u32 v4, vcc_lo, s1, v4
	v_add_co_ci_u32_e64 v5, null, s18, v5, vcc_lo
	global_load_dwordx4 v[4:7], v[4:5], off
	s_waitcnt vmcnt(0)
	v_mul_f64 v[10:11], s[2:3], v[6:7]
	v_mul_f64 v[6:7], s[10:11], v[6:7]
	v_fma_f64 v[10:11], s[10:11], v[4:5], -v[10:11]
	v_fma_f64 v[4:5], s[2:3], v[4:5], v[6:7]
	v_add_f64 v[0:1], v[0:1], v[10:11]
	v_add_f64 v[2:3], v[2:3], v[4:5]
.LBB150_29:
	s_or_b32 s5, s20, exec_lo
.LBB150_30:
	s_or_b32 exec_lo, exec_lo, s4
	s_andn2_b32 s2, s20, exec_lo
	s_and_b32 s3, s5, exec_lo
	s_or_b32 s20, s2, s3
.LBB150_31:
	s_or_b32 exec_lo, exec_lo, s0
.LBB150_32:
	s_and_saveexec_b32 s0, s20
	s_cbranch_execz .LBB150_34
; %bb.33:
	v_lshlrev_b64 v[4:5], 4, v[8:9]
	v_add_co_u32 v4, vcc_lo, s1, v4
	v_add_co_ci_u32_e64 v5, null, s18, v5, vcc_lo
	global_store_dwordx4 v[4:5], v[0:3], off
.LBB150_34:
	s_endpgm
	.section	.rodata,"a",@progbits
	.p2align	6, 0x0
	.amdhsa_kernel _ZL20rocblas_gemvn_kernelILi64ELi4Ei19rocblas_complex_numIdES1_S1_EviiT3_lPKT2_lT1_lS5_lS6_lS2_lPT4_lS6_li
		.amdhsa_group_segment_fixed_size 4096
		.amdhsa_private_segment_fixed_size 0
		.amdhsa_kernarg_size 416
		.amdhsa_user_sgpr_count 6
		.amdhsa_user_sgpr_private_segment_buffer 1
		.amdhsa_user_sgpr_dispatch_ptr 0
		.amdhsa_user_sgpr_queue_ptr 0
		.amdhsa_user_sgpr_kernarg_segment_ptr 1
		.amdhsa_user_sgpr_dispatch_id 0
		.amdhsa_user_sgpr_flat_scratch_init 0
		.amdhsa_user_sgpr_private_segment_size 0
		.amdhsa_wavefront_size32 1
		.amdhsa_uses_dynamic_stack 0
		.amdhsa_system_sgpr_private_segment_wavefront_offset 0
		.amdhsa_system_sgpr_workgroup_id_x 1
		.amdhsa_system_sgpr_workgroup_id_y 0
		.amdhsa_system_sgpr_workgroup_id_z 1
		.amdhsa_system_sgpr_workgroup_info 0
		.amdhsa_system_vgpr_workitem_id 1
		.amdhsa_next_free_vgpr 21
		.amdhsa_next_free_sgpr 34
		.amdhsa_reserve_vcc 1
		.amdhsa_reserve_flat_scratch 0
		.amdhsa_float_round_mode_32 0
		.amdhsa_float_round_mode_16_64 0
		.amdhsa_float_denorm_mode_32 3
		.amdhsa_float_denorm_mode_16_64 3
		.amdhsa_dx10_clamp 1
		.amdhsa_ieee_mode 1
		.amdhsa_fp16_overflow 0
		.amdhsa_workgroup_processor_mode 1
		.amdhsa_memory_ordered 1
		.amdhsa_forward_progress 1
		.amdhsa_shared_vgpr_count 0
		.amdhsa_exception_fp_ieee_invalid_op 0
		.amdhsa_exception_fp_denorm_src 0
		.amdhsa_exception_fp_ieee_div_zero 0
		.amdhsa_exception_fp_ieee_overflow 0
		.amdhsa_exception_fp_ieee_underflow 0
		.amdhsa_exception_fp_ieee_inexact 0
		.amdhsa_exception_int_div_zero 0
	.end_amdhsa_kernel
	.section	.text._ZL20rocblas_gemvn_kernelILi64ELi4Ei19rocblas_complex_numIdES1_S1_EviiT3_lPKT2_lT1_lS5_lS6_lS2_lPT4_lS6_li,"axG",@progbits,_ZL20rocblas_gemvn_kernelILi64ELi4Ei19rocblas_complex_numIdES1_S1_EviiT3_lPKT2_lT1_lS5_lS6_lS2_lPT4_lS6_li,comdat
.Lfunc_end150:
	.size	_ZL20rocblas_gemvn_kernelILi64ELi4Ei19rocblas_complex_numIdES1_S1_EviiT3_lPKT2_lT1_lS5_lS6_lS2_lPT4_lS6_li, .Lfunc_end150-_ZL20rocblas_gemvn_kernelILi64ELi4Ei19rocblas_complex_numIdES1_S1_EviiT3_lPKT2_lT1_lS5_lS6_lS2_lPT4_lS6_li
                                        ; -- End function
	.set _ZL20rocblas_gemvn_kernelILi64ELi4Ei19rocblas_complex_numIdES1_S1_EviiT3_lPKT2_lT1_lS5_lS6_lS2_lPT4_lS6_li.num_vgpr, 21
	.set _ZL20rocblas_gemvn_kernelILi64ELi4Ei19rocblas_complex_numIdES1_S1_EviiT3_lPKT2_lT1_lS5_lS6_lS2_lPT4_lS6_li.num_agpr, 0
	.set _ZL20rocblas_gemvn_kernelILi64ELi4Ei19rocblas_complex_numIdES1_S1_EviiT3_lPKT2_lT1_lS5_lS6_lS2_lPT4_lS6_li.numbered_sgpr, 34
	.set _ZL20rocblas_gemvn_kernelILi64ELi4Ei19rocblas_complex_numIdES1_S1_EviiT3_lPKT2_lT1_lS5_lS6_lS2_lPT4_lS6_li.num_named_barrier, 0
	.set _ZL20rocblas_gemvn_kernelILi64ELi4Ei19rocblas_complex_numIdES1_S1_EviiT3_lPKT2_lT1_lS5_lS6_lS2_lPT4_lS6_li.private_seg_size, 0
	.set _ZL20rocblas_gemvn_kernelILi64ELi4Ei19rocblas_complex_numIdES1_S1_EviiT3_lPKT2_lT1_lS5_lS6_lS2_lPT4_lS6_li.uses_vcc, 1
	.set _ZL20rocblas_gemvn_kernelILi64ELi4Ei19rocblas_complex_numIdES1_S1_EviiT3_lPKT2_lT1_lS5_lS6_lS2_lPT4_lS6_li.uses_flat_scratch, 0
	.set _ZL20rocblas_gemvn_kernelILi64ELi4Ei19rocblas_complex_numIdES1_S1_EviiT3_lPKT2_lT1_lS5_lS6_lS2_lPT4_lS6_li.has_dyn_sized_stack, 0
	.set _ZL20rocblas_gemvn_kernelILi64ELi4Ei19rocblas_complex_numIdES1_S1_EviiT3_lPKT2_lT1_lS5_lS6_lS2_lPT4_lS6_li.has_recursion, 0
	.set _ZL20rocblas_gemvn_kernelILi64ELi4Ei19rocblas_complex_numIdES1_S1_EviiT3_lPKT2_lT1_lS5_lS6_lS2_lPT4_lS6_li.has_indirect_call, 0
	.section	.AMDGPU.csdata,"",@progbits
; Kernel info:
; codeLenInByte = 1552
; TotalNumSgprs: 36
; NumVgprs: 21
; ScratchSize: 0
; MemoryBound: 1
; FloatMode: 240
; IeeeMode: 1
; LDSByteSize: 4096 bytes/workgroup (compile time only)
; SGPRBlocks: 0
; VGPRBlocks: 2
; NumSGPRsForWavesPerEU: 36
; NumVGPRsForWavesPerEU: 21
; Occupancy: 16
; WaveLimiterHint : 1
; COMPUTE_PGM_RSRC2:SCRATCH_EN: 0
; COMPUTE_PGM_RSRC2:USER_SGPR: 6
; COMPUTE_PGM_RSRC2:TRAP_HANDLER: 0
; COMPUTE_PGM_RSRC2:TGID_X_EN: 1
; COMPUTE_PGM_RSRC2:TGID_Y_EN: 0
; COMPUTE_PGM_RSRC2:TGID_Z_EN: 1
; COMPUTE_PGM_RSRC2:TIDIG_COMP_CNT: 1
	.section	.text._ZL20rocblas_gemvn_kernelILi64ELi4El19rocblas_complex_numIdES1_S1_EviiT3_lPKT2_lT1_lS5_lS6_lS2_lPT4_lS6_li,"axG",@progbits,_ZL20rocblas_gemvn_kernelILi64ELi4El19rocblas_complex_numIdES1_S1_EviiT3_lPKT2_lT1_lS5_lS6_lS2_lPT4_lS6_li,comdat
	.globl	_ZL20rocblas_gemvn_kernelILi64ELi4El19rocblas_complex_numIdES1_S1_EviiT3_lPKT2_lT1_lS5_lS6_lS2_lPT4_lS6_li ; -- Begin function _ZL20rocblas_gemvn_kernelILi64ELi4El19rocblas_complex_numIdES1_S1_EviiT3_lPKT2_lT1_lS5_lS6_lS2_lPT4_lS6_li
	.p2align	8
	.type	_ZL20rocblas_gemvn_kernelILi64ELi4El19rocblas_complex_numIdES1_S1_EviiT3_lPKT2_lT1_lS5_lS6_lS2_lPT4_lS6_li,@function
_ZL20rocblas_gemvn_kernelILi64ELi4El19rocblas_complex_numIdES1_S1_EviiT3_lPKT2_lT1_lS5_lS6_lS2_lPT4_lS6_li: ; @_ZL20rocblas_gemvn_kernelILi64ELi4El19rocblas_complex_numIdES1_S1_EviiT3_lPKT2_lT1_lS5_lS6_lS2_lPT4_lS6_li
; %bb.0:
	s_load_dwordx2 s[0:1], s[4:5], 0xac
	s_waitcnt lgkmcnt(0)
	s_lshr_b32 s2, s0, 16
	s_and_b32 s0, s0, 0xffff
	s_and_b32 s1, s1, 0xffff
	s_mul_i32 s2, s2, s0
	s_mul_i32 s2, s2, s1
	s_cmpk_lg_i32 s2, 0x100
	s_cbranch_scc1 .LBB151_34
; %bb.1:
	s_clause 0x1
	s_load_dwordx4 s[36:39], s[4:5], 0x8
	s_load_dwordx4 s[28:31], s[4:5], 0x60
	s_waitcnt lgkmcnt(0)
	v_cmp_neq_f64_e64 s1, s[36:37], 0
	v_cmp_neq_f64_e64 s2, s[38:39], 0
	s_or_b32 s1, s1, s2
	s_mov_b32 s2, -1
	s_and_b32 vcc_lo, exec_lo, s1
	s_cbranch_vccnz .LBB151_3
; %bb.2:
	v_cmp_neq_f64_e64 s2, s[28:29], 1.0
	v_cmp_neq_f64_e64 s3, s[30:31], 0
	s_or_b32 s2, s2, s3
.LBB151_3:
	s_andn2_b32 vcc_lo, exec_lo, s2
	s_cbranch_vccnz .LBB151_34
; %bb.4:
	s_clause 0x1
	s_load_dwordx8 s[20:27], s[4:5], 0x78
	s_load_dwordx2 s[2:3], s[4:5], 0x0
	s_xor_b32 s10, s1, -1
	v_mad_u32_u24 v10, v1, s0, v0
	s_mov_b32 s33, 0
	s_waitcnt lgkmcnt(0)
	s_mul_i32 s1, s27, s7
	s_mul_hi_u32 s9, s26, s7
	s_mul_i32 s8, s26, s7
	s_add_i32 s9, s9, s1
	s_lshl_b64 s[0:1], s[8:9], 4
	s_add_u32 s11, s20, s0
	s_addc_u32 s1, s21, s1
	s_lshl_b64 s[8:9], s[22:23], 4
	v_cmp_gt_u32_e64 s0, 64, v10
	s_add_u32 s26, s11, s8
	s_addc_u32 s27, s1, s9
	s_andn2_b32 vcc_lo, exec_lo, s10
	s_cbranch_vccnz .LBB151_11
; %bb.5:
	s_mov_b32 s1, 0
                                        ; implicit-def: $vgpr2_vgpr3
                                        ; implicit-def: $vgpr8_vgpr9
	s_and_saveexec_b32 s8, s0
	s_cbranch_execz .LBB151_12
; %bb.6:
	v_lshl_or_b32 v0, s6, 6, v10
	v_mov_b32_e32 v1, 0
	s_ashr_i32 s11, s2, 31
	s_mov_b32 s10, s2
	s_mov_b32 s9, 0
                                        ; implicit-def: $vgpr8_vgpr9
	v_cmp_gt_i64_e32 vcc_lo, s[10:11], v[0:1]
                                        ; implicit-def: $vgpr2_vgpr3
	s_and_saveexec_b32 s0, vcc_lo
	s_cbranch_execz .LBB151_10
; %bb.7:
	v_cmp_neq_f64_e64 s9, s[28:29], 0
	v_cmp_neq_f64_e64 s10, s[30:31], 0
	v_mad_u64_u32 v[8:9], null, s24, v0, 0
	v_mov_b32_e32 v1, v9
	v_mad_u64_u32 v[4:5], null, s25, v0, v[1:2]
	v_mov_b32_e32 v2, 0
	v_mov_b32_e32 v0, 0
	;; [unrolled: 1-line block ×5, first 2 shown]
	s_or_b32 s9, s9, s10
	s_andn2_b32 vcc_lo, exec_lo, s9
	s_cbranch_vccnz .LBB151_9
; %bb.8:
	v_lshlrev_b64 v[0:1], 4, v[8:9]
	v_add_co_u32 v0, vcc_lo, s26, v0
	v_add_co_ci_u32_e64 v1, null, s27, v1, vcc_lo
	global_load_dwordx4 v[2:5], v[0:1], off
	s_waitcnt vmcnt(0)
	v_mul_f64 v[0:1], s[30:31], v[4:5]
	v_mul_f64 v[4:5], s[28:29], v[4:5]
	v_fma_f64 v[0:1], s[28:29], v[2:3], -v[0:1]
	v_fma_f64 v[2:3], s[30:31], v[2:3], v[4:5]
.LBB151_9:
	s_mov_b32 s9, exec_lo
.LBB151_10:
	s_or_b32 exec_lo, exec_lo, s0
	s_and_b32 s33, s9, exec_lo
	s_or_b32 exec_lo, exec_lo, s8
	s_and_b32 vcc_lo, exec_lo, s1
	s_cbranch_vccnz .LBB151_13
	s_branch .LBB151_32
.LBB151_11:
                                        ; implicit-def: $vgpr2_vgpr3
                                        ; implicit-def: $vgpr8_vgpr9
	s_cbranch_execnz .LBB151_13
	s_branch .LBB151_32
.LBB151_12:
	s_or_b32 exec_lo, exec_lo, s8
	s_and_b32 vcc_lo, exec_lo, s1
	s_cbranch_vccz .LBB151_32
.LBB151_13:
	s_load_dwordx16 s[8:23], s[4:5], 0x20
	v_and_b32_e32 v4, 63, v10
	s_ashr_i32 s0, s3, 31
	s_lshl_b32 s34, s6, 6
	s_lshr_b32 s0, s0, 30
	v_mov_b32_e32 v2, 0
	s_add_i32 s0, s3, s0
	v_mov_b32_e32 v0, 0
	v_lshrrev_b32_e32 v9, 6, v10
	v_mov_b32_e32 v3, 0
	v_mov_b32_e32 v1, 0
	v_or_b32_e32 v8, s34, v4
	s_and_b32 s35, s0, -4
	s_mov_b32 s40, exec_lo
	s_waitcnt lgkmcnt(0)
	s_mul_i32 s0, s15, s7
	s_mul_hi_u32 s1, s14, s7
	s_mul_i32 s4, s14, s7
	s_mul_i32 s6, s23, s7
	s_mul_hi_u32 s14, s22, s7
	s_add_i32 s5, s1, s0
	s_add_i32 s15, s14, s6
	s_mul_i32 s14, s22, s7
	v_cmpx_gt_i32_e64 s35, v9
	s_cbranch_execz .LBB151_19
; %bb.14:
	v_lshrrev_b32_e32 v7, 6, v10
	v_add_nc_u32_e32 v11, s34, v4
	s_lshl_b64 s[6:7], s[18:19], 4
	s_lshl_b64 s[0:1], s[14:15], 4
	s_add_u32 s6, s16, s6
	v_mad_u64_u32 v[0:1], null, s12, v7, 0
	v_mad_u64_u32 v[5:6], null, s20, v7, 0
	s_addc_u32 s7, s17, s7
	v_ashrrev_i32_e32 v12, 31, v11
	s_add_u32 s41, s6, s0
	s_addc_u32 s42, s7, s1
	v_mad_u64_u32 v[1:2], null, s13, v7, v[1:2]
	v_mov_b32_e32 v4, v6
	s_lshl_b64 s[0:1], s[4:5], 4
	s_lshl_b64 s[22:23], s[10:11], 4
	;; [unrolled: 1-line block ×3, first 2 shown]
	s_add_u32 s0, s22, s0
	v_mad_u64_u32 v[6:7], null, s21, v7, v[4:5]
	v_lshlrev_b64 v[0:1], 4, v[0:1]
	v_lshlrev_b64 v[11:12], 4, v[11:12]
	s_addc_u32 s1, s23, s1
	v_mov_b32_e32 v2, 0
	v_mov_b32_e32 v3, 0
	s_lshl_b64 s[22:23], s[12:13], 6
	v_add_co_u32 v4, s0, s0, v0
	v_add_co_ci_u32_e64 v7, null, s1, v1, s0
	v_lshlrev_b64 v[0:1], 4, v[5:6]
	v_add_co_u32 v4, s0, v4, v11
	v_add_co_ci_u32_e64 v5, null, v7, v12, s0
	v_cmp_gt_i32_e32 vcc_lo, s2, v8
	v_add_co_u32 v0, s0, s41, v0
	v_add_co_ci_u32_e64 v1, null, s42, v1, s0
	v_add_co_u32 v6, s0, s8, v4
	v_add_co_ci_u32_e64 v7, null, s9, v5, s0
	;; [unrolled: 2-line block ×3, first 2 shown]
	v_add_co_u32 v6, s0, v6, 8
	v_mov_b32_e32 v0, v2
	v_add_co_ci_u32_e64 v7, null, 0, v7, s0
	v_mov_b32_e32 v1, v3
	s_mov_b32 s41, 0
	s_inst_prefetch 0x1
	s_branch .LBB151_16
	.p2align	6
.LBB151_15:                             ;   in Loop: Header=BB151_16 Depth=1
	s_or_b32 exec_lo, exec_lo, s0
	v_add_nc_u32_e32 v9, 4, v9
	v_add_co_u32 v4, s0, v4, s6
	v_add_co_ci_u32_e64 v5, null, s7, v5, s0
	v_cmp_le_i32_e64 s0, s35, v9
	v_add_co_u32 v6, s1, v6, s22
	v_add_co_ci_u32_e64 v7, null, s23, v7, s1
	s_or_b32 s41, s0, s41
	s_andn2_b32 exec_lo, exec_lo, s41
	s_cbranch_execz .LBB151_18
.LBB151_16:                             ; =>This Inner Loop Header: Depth=1
	s_and_saveexec_b32 s0, vcc_lo
	s_cbranch_execz .LBB151_15
; %bb.17:                               ;   in Loop: Header=BB151_16 Depth=1
	global_load_dwordx4 v[11:14], v[4:5], off offset:-8
	global_load_dwordx4 v[15:18], v[6:7], off offset:-8
	s_waitcnt vmcnt(0)
	v_mul_f64 v[19:20], v[13:14], v[17:18]
	v_mul_f64 v[17:18], v[11:12], v[17:18]
	v_fma_f64 v[11:12], v[11:12], v[15:16], -v[19:20]
	v_fma_f64 v[13:14], v[13:14], v[15:16], v[17:18]
	v_add_f64 v[0:1], v[0:1], v[11:12]
	v_add_f64 v[2:3], v[2:3], v[13:14]
	s_branch .LBB151_15
.LBB151_18:
	s_inst_prefetch 0x2
	s_or_b32 exec_lo, exec_lo, s41
.LBB151_19:
	s_or_b32 exec_lo, exec_lo, s40
	s_sub_i32 s0, s3, s35
	s_cmp_lt_i32 s0, 1
	s_cbranch_scc1 .LBB151_25
; %bb.20:
	v_mov_b32_e32 v4, 0
	v_mov_b32_e32 v6, 0
	;; [unrolled: 1-line block ×4, first 2 shown]
	v_cmp_gt_i32_e32 vcc_lo, s3, v9
	s_and_saveexec_b32 s1, vcc_lo
	s_cbranch_execz .LBB151_22
; %bb.21:
	v_mad_u64_u32 v[4:5], null, s20, v9, 0
	s_lshl_b64 s[6:7], s[14:15], 4
	s_add_u32 s0, s16, s6
	s_addc_u32 s3, s17, s7
	s_lshl_b64 s[6:7], s[18:19], 4
	s_add_u32 s0, s0, s6
	v_mad_u64_u32 v[5:6], null, s21, v9, v[5:6]
	s_addc_u32 s3, s3, s7
	v_lshlrev_b64 v[4:5], 4, v[4:5]
	v_add_co_u32 v4, s0, s0, v4
	v_add_co_ci_u32_e64 v5, null, s3, v5, s0
	global_load_dwordx4 v[4:7], v[4:5], off
.LBB151_22:
	s_or_b32 exec_lo, exec_lo, s1
	s_mov_b32 s1, exec_lo
	v_cmpx_gt_i32_e64 s2, v8
	s_cbranch_execz .LBB151_24
; %bb.23:
	v_mad_u64_u32 v[11:12], null, s12, v9, 0
	s_lshl_b64 s[4:5], s[4:5], 4
	s_add_u32 s0, s8, s4
	s_addc_u32 s3, s9, s5
	s_lshl_b64 s[4:5], s[10:11], 4
	s_add_u32 s0, s0, s4
	v_mad_u64_u32 v[12:13], null, s13, v9, v[12:13]
	v_cndmask_b32_e32 v11, 0, v11, vcc_lo
	v_ashrrev_i32_e32 v9, 31, v8
	s_addc_u32 s3, s3, s5
	v_lshlrev_b64 v[8:9], 4, v[8:9]
	v_cndmask_b32_e32 v12, 0, v12, vcc_lo
	v_lshlrev_b64 v[11:12], 4, v[11:12]
	v_add_co_u32 v11, vcc_lo, s0, v11
	v_add_co_ci_u32_e64 v12, null, s3, v12, vcc_lo
	v_add_co_u32 v8, vcc_lo, v11, v8
	v_add_co_ci_u32_e64 v9, null, v12, v9, vcc_lo
	global_load_dwordx4 v[11:14], v[8:9], off
	s_waitcnt vmcnt(0)
	v_mul_f64 v[8:9], v[6:7], v[13:14]
	v_mul_f64 v[13:14], v[4:5], v[13:14]
	v_fma_f64 v[4:5], v[4:5], v[11:12], -v[8:9]
	v_fma_f64 v[6:7], v[6:7], v[11:12], v[13:14]
	v_add_f64 v[0:1], v[0:1], v[4:5]
	v_add_f64 v[2:3], v[2:3], v[6:7]
.LBB151_24:
	s_or_b32 exec_lo, exec_lo, s1
.LBB151_25:
	v_lshlrev_b32_e32 v11, 4, v10
	s_mov_b32 s0, exec_lo
                                        ; implicit-def: $vgpr8_vgpr9
	ds_write_b128 v11, v[0:3]
	s_waitcnt vmcnt(0) lgkmcnt(0)
	s_barrier
	buffer_gl0_inv
                                        ; implicit-def: $vgpr2_vgpr3
	v_cmpx_gt_u32_e32 64, v10
	s_cbranch_execz .LBB151_31
; %bb.26:
	ds_read_b128 v[0:3], v11
	ds_read_b128 v[4:7], v11 offset:1024
	v_or_b32_e32 v10, s34, v10
	v_cmp_gt_i32_e32 vcc_lo, s2, v10
	s_mov_b32 s2, s33
	s_waitcnt lgkmcnt(0)
	v_add_f64 v[8:9], v[0:1], v[4:5]
	v_add_f64 v[12:13], v[2:3], v[6:7]
	ds_read_b128 v[0:3], v11 offset:2048
	ds_read_b128 v[4:7], v11 offset:3072
	s_waitcnt lgkmcnt(1)
	v_add_f64 v[0:1], v[8:9], v[0:1]
	v_add_f64 v[2:3], v[12:13], v[2:3]
                                        ; implicit-def: $vgpr8_vgpr9
	s_waitcnt lgkmcnt(0)
	v_add_f64 v[4:5], v[0:1], v[4:5]
	v_add_f64 v[6:7], v[2:3], v[6:7]
                                        ; implicit-def: $vgpr2_vgpr3
	ds_write_b128 v11, v[4:7]
	s_and_saveexec_b32 s1, vcc_lo
	s_cbranch_execz .LBB151_30
; %bb.27:
	v_mul_f64 v[0:1], s[38:39], v[6:7]
	v_mul_f64 v[2:3], s[36:37], v[6:7]
	v_cmp_neq_f64_e64 s2, s[28:29], 0
	v_cmp_neq_f64_e64 s3, s[30:31], 0
	v_mad_u64_u32 v[8:9], null, s24, v10, 0
	v_fma_f64 v[0:1], s[36:37], v[4:5], -v[0:1]
	v_fma_f64 v[2:3], s[38:39], v[4:5], v[2:3]
	v_ashrrev_i32_e32 v4, 31, v10
	v_mul_lo_u32 v5, s25, v10
	s_or_b32 s2, s2, s3
	s_andn2_b32 vcc_lo, exec_lo, s2
	v_mul_lo_u32 v4, s24, v4
	v_add3_u32 v9, v9, v4, v5
	s_cbranch_vccnz .LBB151_29
; %bb.28:
	v_lshlrev_b64 v[4:5], 4, v[8:9]
	v_add_co_u32 v4, vcc_lo, s26, v4
	v_add_co_ci_u32_e64 v5, null, s27, v5, vcc_lo
	global_load_dwordx4 v[4:7], v[4:5], off
	s_waitcnt vmcnt(0)
	v_mul_f64 v[10:11], s[30:31], v[6:7]
	v_mul_f64 v[6:7], s[28:29], v[6:7]
	v_fma_f64 v[10:11], s[28:29], v[4:5], -v[10:11]
	v_fma_f64 v[4:5], s[30:31], v[4:5], v[6:7]
	v_add_f64 v[0:1], v[0:1], v[10:11]
	v_add_f64 v[2:3], v[2:3], v[4:5]
.LBB151_29:
	s_or_b32 s2, s33, exec_lo
.LBB151_30:
	s_or_b32 exec_lo, exec_lo, s1
	s_andn2_b32 s1, s33, exec_lo
	s_and_b32 s2, s2, exec_lo
	s_or_b32 s33, s1, s2
.LBB151_31:
	s_or_b32 exec_lo, exec_lo, s0
.LBB151_32:
	s_and_saveexec_b32 s0, s33
	s_cbranch_execz .LBB151_34
; %bb.33:
	v_lshlrev_b64 v[4:5], 4, v[8:9]
	v_add_co_u32 v4, vcc_lo, s26, v4
	v_add_co_ci_u32_e64 v5, null, s27, v5, vcc_lo
	global_store_dwordx4 v[4:5], v[0:3], off
.LBB151_34:
	s_endpgm
	.section	.rodata,"a",@progbits
	.p2align	6, 0x0
	.amdhsa_kernel _ZL20rocblas_gemvn_kernelILi64ELi4El19rocblas_complex_numIdES1_S1_EviiT3_lPKT2_lT1_lS5_lS6_lS2_lPT4_lS6_li
		.amdhsa_group_segment_fixed_size 4096
		.amdhsa_private_segment_fixed_size 0
		.amdhsa_kernarg_size 416
		.amdhsa_user_sgpr_count 6
		.amdhsa_user_sgpr_private_segment_buffer 1
		.amdhsa_user_sgpr_dispatch_ptr 0
		.amdhsa_user_sgpr_queue_ptr 0
		.amdhsa_user_sgpr_kernarg_segment_ptr 1
		.amdhsa_user_sgpr_dispatch_id 0
		.amdhsa_user_sgpr_flat_scratch_init 0
		.amdhsa_user_sgpr_private_segment_size 0
		.amdhsa_wavefront_size32 1
		.amdhsa_uses_dynamic_stack 0
		.amdhsa_system_sgpr_private_segment_wavefront_offset 0
		.amdhsa_system_sgpr_workgroup_id_x 1
		.amdhsa_system_sgpr_workgroup_id_y 0
		.amdhsa_system_sgpr_workgroup_id_z 1
		.amdhsa_system_sgpr_workgroup_info 0
		.amdhsa_system_vgpr_workitem_id 1
		.amdhsa_next_free_vgpr 21
		.amdhsa_next_free_sgpr 43
		.amdhsa_reserve_vcc 1
		.amdhsa_reserve_flat_scratch 0
		.amdhsa_float_round_mode_32 0
		.amdhsa_float_round_mode_16_64 0
		.amdhsa_float_denorm_mode_32 3
		.amdhsa_float_denorm_mode_16_64 3
		.amdhsa_dx10_clamp 1
		.amdhsa_ieee_mode 1
		.amdhsa_fp16_overflow 0
		.amdhsa_workgroup_processor_mode 1
		.amdhsa_memory_ordered 1
		.amdhsa_forward_progress 1
		.amdhsa_shared_vgpr_count 0
		.amdhsa_exception_fp_ieee_invalid_op 0
		.amdhsa_exception_fp_denorm_src 0
		.amdhsa_exception_fp_ieee_div_zero 0
		.amdhsa_exception_fp_ieee_overflow 0
		.amdhsa_exception_fp_ieee_underflow 0
		.amdhsa_exception_fp_ieee_inexact 0
		.amdhsa_exception_int_div_zero 0
	.end_amdhsa_kernel
	.section	.text._ZL20rocblas_gemvn_kernelILi64ELi4El19rocblas_complex_numIdES1_S1_EviiT3_lPKT2_lT1_lS5_lS6_lS2_lPT4_lS6_li,"axG",@progbits,_ZL20rocblas_gemvn_kernelILi64ELi4El19rocblas_complex_numIdES1_S1_EviiT3_lPKT2_lT1_lS5_lS6_lS2_lPT4_lS6_li,comdat
.Lfunc_end151:
	.size	_ZL20rocblas_gemvn_kernelILi64ELi4El19rocblas_complex_numIdES1_S1_EviiT3_lPKT2_lT1_lS5_lS6_lS2_lPT4_lS6_li, .Lfunc_end151-_ZL20rocblas_gemvn_kernelILi64ELi4El19rocblas_complex_numIdES1_S1_EviiT3_lPKT2_lT1_lS5_lS6_lS2_lPT4_lS6_li
                                        ; -- End function
	.set _ZL20rocblas_gemvn_kernelILi64ELi4El19rocblas_complex_numIdES1_S1_EviiT3_lPKT2_lT1_lS5_lS6_lS2_lPT4_lS6_li.num_vgpr, 21
	.set _ZL20rocblas_gemvn_kernelILi64ELi4El19rocblas_complex_numIdES1_S1_EviiT3_lPKT2_lT1_lS5_lS6_lS2_lPT4_lS6_li.num_agpr, 0
	.set _ZL20rocblas_gemvn_kernelILi64ELi4El19rocblas_complex_numIdES1_S1_EviiT3_lPKT2_lT1_lS5_lS6_lS2_lPT4_lS6_li.numbered_sgpr, 43
	.set _ZL20rocblas_gemvn_kernelILi64ELi4El19rocblas_complex_numIdES1_S1_EviiT3_lPKT2_lT1_lS5_lS6_lS2_lPT4_lS6_li.num_named_barrier, 0
	.set _ZL20rocblas_gemvn_kernelILi64ELi4El19rocblas_complex_numIdES1_S1_EviiT3_lPKT2_lT1_lS5_lS6_lS2_lPT4_lS6_li.private_seg_size, 0
	.set _ZL20rocblas_gemvn_kernelILi64ELi4El19rocblas_complex_numIdES1_S1_EviiT3_lPKT2_lT1_lS5_lS6_lS2_lPT4_lS6_li.uses_vcc, 1
	.set _ZL20rocblas_gemvn_kernelILi64ELi4El19rocblas_complex_numIdES1_S1_EviiT3_lPKT2_lT1_lS5_lS6_lS2_lPT4_lS6_li.uses_flat_scratch, 0
	.set _ZL20rocblas_gemvn_kernelILi64ELi4El19rocblas_complex_numIdES1_S1_EviiT3_lPKT2_lT1_lS5_lS6_lS2_lPT4_lS6_li.has_dyn_sized_stack, 0
	.set _ZL20rocblas_gemvn_kernelILi64ELi4El19rocblas_complex_numIdES1_S1_EviiT3_lPKT2_lT1_lS5_lS6_lS2_lPT4_lS6_li.has_recursion, 0
	.set _ZL20rocblas_gemvn_kernelILi64ELi4El19rocblas_complex_numIdES1_S1_EviiT3_lPKT2_lT1_lS5_lS6_lS2_lPT4_lS6_li.has_indirect_call, 0
	.section	.AMDGPU.csdata,"",@progbits
; Kernel info:
; codeLenInByte = 1688
; TotalNumSgprs: 45
; NumVgprs: 21
; ScratchSize: 0
; MemoryBound: 0
; FloatMode: 240
; IeeeMode: 1
; LDSByteSize: 4096 bytes/workgroup (compile time only)
; SGPRBlocks: 0
; VGPRBlocks: 2
; NumSGPRsForWavesPerEU: 45
; NumVGPRsForWavesPerEU: 21
; Occupancy: 16
; WaveLimiterHint : 1
; COMPUTE_PGM_RSRC2:SCRATCH_EN: 0
; COMPUTE_PGM_RSRC2:USER_SGPR: 6
; COMPUTE_PGM_RSRC2:TRAP_HANDLER: 0
; COMPUTE_PGM_RSRC2:TGID_X_EN: 1
; COMPUTE_PGM_RSRC2:TGID_Y_EN: 0
; COMPUTE_PGM_RSRC2:TGID_Z_EN: 1
; COMPUTE_PGM_RSRC2:TIDIG_COMP_CNT: 1
	.section	.text._ZL20rocblas_gemvn_kernelILi32ELi16Ei19rocblas_complex_numIdEPKS1_S1_EviiT3_lPKT2_lT1_lS7_lS8_lS4_lPT4_lS8_li,"axG",@progbits,_ZL20rocblas_gemvn_kernelILi32ELi16Ei19rocblas_complex_numIdEPKS1_S1_EviiT3_lPKT2_lT1_lS7_lS8_lS4_lPT4_lS8_li,comdat
	.globl	_ZL20rocblas_gemvn_kernelILi32ELi16Ei19rocblas_complex_numIdEPKS1_S1_EviiT3_lPKT2_lT1_lS7_lS8_lS4_lPT4_lS8_li ; -- Begin function _ZL20rocblas_gemvn_kernelILi32ELi16Ei19rocblas_complex_numIdEPKS1_S1_EviiT3_lPKT2_lT1_lS7_lS8_lS4_lPT4_lS8_li
	.p2align	8
	.type	_ZL20rocblas_gemvn_kernelILi32ELi16Ei19rocblas_complex_numIdEPKS1_S1_EviiT3_lPKT2_lT1_lS7_lS8_lS4_lPT4_lS8_li,@function
_ZL20rocblas_gemvn_kernelILi32ELi16Ei19rocblas_complex_numIdEPKS1_S1_EviiT3_lPKT2_lT1_lS7_lS8_lS4_lPT4_lS8_li: ; @_ZL20rocblas_gemvn_kernelILi32ELi16Ei19rocblas_complex_numIdEPKS1_S1_EviiT3_lPKT2_lT1_lS7_lS8_lS4_lPT4_lS8_li
; %bb.0:
	s_load_dwordx2 s[0:1], s[4:5], 0x9c
	s_waitcnt lgkmcnt(0)
	s_lshr_b32 s2, s0, 16
	s_and_b32 s0, s0, 0xffff
	s_and_b32 s1, s1, 0xffff
	s_mul_i32 s2, s2, s0
	s_mul_i32 s2, s2, s1
	s_cmpk_lg_i32 s2, 0x200
	s_cbranch_scc1 .LBB152_34
; %bb.1:
	s_clause 0x1
	s_load_dwordx8 s[8:15], s[4:5], 0x8
	s_load_dwordx8 s[16:23], s[4:5], 0x50
	s_waitcnt lgkmcnt(0)
	s_mul_i32 s1, s11, s7
	s_mul_hi_u32 s3, s10, s7
	s_mul_i32 s2, s10, s7
	s_add_i32 s3, s3, s1
	s_mul_i32 s1, s21, s7
	s_lshl_b64 s[2:3], s[2:3], 4
	s_add_u32 s2, s8, s2
	s_addc_u32 s3, s9, s3
	s_load_dwordx4 s[8:11], s[2:3], 0x0
	s_mul_hi_u32 s2, s20, s7
	s_add_i32 s3, s2, s1
	s_mul_i32 s2, s20, s7
	s_lshl_b64 s[2:3], s[2:3], 4
	s_add_u32 s2, s18, s2
	s_addc_u32 s3, s19, s3
	s_load_dwordx4 s[24:27], s[2:3], 0x0
	s_mov_b32 s2, -1
	s_waitcnt lgkmcnt(0)
	v_cmp_neq_f64_e64 s21, s[8:9], 0
	v_cmp_neq_f64_e64 s28, s[10:11], 0
	s_or_b32 s1, s21, s28
	s_and_b32 vcc_lo, exec_lo, s1
	s_cbranch_vccnz .LBB152_3
; %bb.2:
	v_cmp_neq_f64_e64 s2, s[24:25], 1.0
	v_cmp_neq_f64_e64 s3, s[26:27], 0
	s_or_b32 s2, s2, s3
.LBB152_3:
	s_andn2_b32 vcc_lo, exec_lo, s2
	s_cbranch_vccnz .LBB152_34
; %bb.4:
	s_clause 0x3
	s_load_dwordx2 s[20:21], s[4:5], 0x80
	s_load_dwordx2 s[28:29], s[4:5], 0x70
	s_load_dword s19, s[4:5], 0x78
	s_load_dwordx2 s[2:3], s[4:5], 0x0
	s_xor_b32 s30, s1, -1
	v_mad_u32_u24 v10, v1, s0, v0
	s_waitcnt lgkmcnt(0)
	s_mul_i32 s1, s21, s7
	s_mul_hi_u32 s18, s20, s7
	s_mul_i32 s20, s20, s7
	s_add_i32 s21, s18, s1
	s_lshl_b64 s[0:1], s[20:21], 4
	s_add_u32 s18, s22, s0
	s_addc_u32 s22, s23, s1
	s_lshl_b64 s[20:21], s[28:29], 4
	v_cmp_gt_u32_e64 s0, 32, v10
	s_add_u32 s1, s18, s20
	s_addc_u32 s18, s22, s21
	s_andn2_b32 vcc_lo, exec_lo, s30
	s_mov_b32 s20, 0
	s_cbranch_vccnz .LBB152_11
; %bb.5:
	s_mov_b32 s21, 0
                                        ; implicit-def: $vgpr2_vgpr3
                                        ; implicit-def: $vgpr8_vgpr9
	s_and_saveexec_b32 s22, s0
	s_cbranch_execz .LBB152_12
; %bb.6:
	v_lshl_or_b32 v0, s6, 5, v10
	v_mov_b32_e32 v1, 0
	s_ashr_i32 s29, s2, 31
	s_mov_b32 s28, s2
                                        ; implicit-def: $vgpr8_vgpr9
	v_cmp_gt_i64_e32 vcc_lo, s[28:29], v[0:1]
                                        ; implicit-def: $vgpr2_vgpr3
	s_and_saveexec_b32 s0, vcc_lo
	s_cbranch_execz .LBB152_10
; %bb.7:
	v_cmp_neq_f64_e64 s20, s[24:25], 0
	v_cmp_neq_f64_e64 s23, s[26:27], 0
	v_mad_u64_u32 v[8:9], null, v0, s19, 0
	s_ashr_i32 s28, s19, 31
	v_mov_b32_e32 v1, v9
	v_mad_u64_u32 v[4:5], null, v0, s28, v[1:2]
	v_mov_b32_e32 v2, 0
	v_mov_b32_e32 v0, 0
	;; [unrolled: 1-line block ×5, first 2 shown]
	s_or_b32 s20, s20, s23
	s_andn2_b32 vcc_lo, exec_lo, s20
	s_cbranch_vccnz .LBB152_9
; %bb.8:
	v_lshlrev_b64 v[0:1], 4, v[8:9]
	v_add_co_u32 v0, vcc_lo, s1, v0
	v_add_co_ci_u32_e64 v1, null, s18, v1, vcc_lo
	global_load_dwordx4 v[2:5], v[0:1], off
	s_waitcnt vmcnt(0)
	v_mul_f64 v[0:1], s[26:27], v[4:5]
	v_mul_f64 v[4:5], s[24:25], v[4:5]
	v_fma_f64 v[0:1], s[24:25], v[2:3], -v[0:1]
	v_fma_f64 v[2:3], s[26:27], v[2:3], v[4:5]
.LBB152_9:
	s_mov_b32 s20, exec_lo
.LBB152_10:
	s_or_b32 exec_lo, exec_lo, s0
	s_and_b32 s20, s20, exec_lo
	s_or_b32 exec_lo, exec_lo, s22
	s_and_b32 vcc_lo, exec_lo, s21
	s_cbranch_vccnz .LBB152_13
	s_branch .LBB152_32
.LBB152_11:
                                        ; implicit-def: $vgpr2_vgpr3
                                        ; implicit-def: $vgpr8_vgpr9
	s_cbranch_execnz .LBB152_13
	s_branch .LBB152_32
.LBB152_12:
	s_or_b32 exec_lo, exec_lo, s22
	s_and_b32 vcc_lo, exec_lo, s21
	s_cbranch_vccz .LBB152_32
.LBB152_13:
	s_clause 0x1
	s_load_dwordx4 s[28:31], s[4:5], 0x30
	s_load_dwordx2 s[22:23], s[4:5], 0x40
	v_and_b32_e32 v5, 31, v10
	v_mov_b32_e32 v2, 0
	v_mov_b32_e32 v0, 0
	v_lshrrev_b32_e32 v8, 5, v10
	v_mov_b32_e32 v3, 0
	v_mov_b32_e32 v1, 0
	s_waitcnt lgkmcnt(0)
	s_mul_i32 s0, s29, s7
	s_mul_hi_u32 s21, s28, s7
	s_mul_i32 s28, s28, s7
	s_add_i32 s29, s21, s0
	s_mul_i32 s0, s17, s7
	s_lshl_b64 s[28:29], s[28:29], 4
	s_mul_hi_u32 s17, s16, s7
	s_add_u32 s21, s12, s28
	s_addc_u32 s28, s13, s29
	s_lshl_b64 s[12:13], s[14:15], 4
	s_mul_i32 s14, s16, s7
	s_add_u32 s7, s21, s12
	s_addc_u32 s12, s28, s13
	s_clause 0x1
	s_load_dword s13, s[4:5], 0x28
	s_load_dword s5, s[4:5], 0x48
	s_add_i32 s15, s17, s0
	s_mov_b32 s16, exec_lo
	s_lshl_b64 s[14:15], s[14:15], 4
	s_add_u32 s0, s30, s14
	s_addc_u32 s4, s31, s15
	s_lshl_b64 s[14:15], s[22:23], 4
	s_add_u32 s14, s0, s14
	s_addc_u32 s15, s4, s15
	s_ashr_i32 s0, s3, 31
	s_lshl_b32 s4, s6, 5
	s_lshr_b32 s0, s0, 28
	v_or_b32_e32 v9, s4, v5
	s_add_i32 s0, s3, s0
	s_and_b32 s6, s0, -16
	v_cmpx_gt_i32_e64 s6, v8
	s_cbranch_execz .LBB152_19
; %bb.14:
	s_waitcnt lgkmcnt(0)
	v_mul_lo_u32 v0, s13, v8
	v_mov_b32_e32 v2, 0
	v_mov_b32_e32 v3, 0
	v_mul_lo_u32 v4, s5, v8
	s_lshl_b32 s17, s5, 4
	s_lshl_b32 s22, s13, 4
	s_mov_b32 s21, 0
	v_cmp_gt_i32_e32 vcc_lo, s2, v9
	v_add3_u32 v6, v0, s4, v5
	v_mov_b32_e32 v0, v2
	v_mov_b32_e32 v1, v3
	s_inst_prefetch 0x1
	s_branch .LBB152_16
	.p2align	6
.LBB152_15:                             ;   in Loop: Header=BB152_16 Depth=1
	s_or_b32 exec_lo, exec_lo, s23
	v_add_nc_u32_e32 v8, 16, v8
	v_add_nc_u32_e32 v4, s17, v4
	;; [unrolled: 1-line block ×3, first 2 shown]
	v_cmp_le_i32_e64 s0, s6, v8
	s_or_b32 s21, s0, s21
	s_andn2_b32 exec_lo, exec_lo, s21
	s_cbranch_execz .LBB152_18
.LBB152_16:                             ; =>This Inner Loop Header: Depth=1
	s_and_saveexec_b32 s23, vcc_lo
	s_cbranch_execz .LBB152_15
; %bb.17:                               ;   in Loop: Header=BB152_16 Depth=1
	v_ashrrev_i32_e32 v5, 31, v4
	v_ashrrev_i32_e32 v7, 31, v6
	v_lshlrev_b64 v[11:12], 4, v[4:5]
	v_lshlrev_b64 v[13:14], 4, v[6:7]
	v_add_co_u32 v11, s0, s14, v11
	v_add_co_ci_u32_e64 v12, null, s15, v12, s0
	v_add_co_u32 v15, s0, s7, v13
	v_add_co_ci_u32_e64 v16, null, s12, v14, s0
	global_load_dwordx4 v[11:14], v[11:12], off
	global_load_dwordx4 v[15:18], v[15:16], off
	s_waitcnt vmcnt(0)
	v_mul_f64 v[19:20], v[13:14], v[17:18]
	v_mul_f64 v[17:18], v[11:12], v[17:18]
	v_fma_f64 v[11:12], v[11:12], v[15:16], -v[19:20]
	v_fma_f64 v[13:14], v[13:14], v[15:16], v[17:18]
	v_add_f64 v[0:1], v[0:1], v[11:12]
	v_add_f64 v[2:3], v[2:3], v[13:14]
	s_branch .LBB152_15
.LBB152_18:
	s_inst_prefetch 0x2
	s_or_b32 exec_lo, exec_lo, s21
.LBB152_19:
	s_or_b32 exec_lo, exec_lo, s16
	s_sub_i32 s0, s3, s6
	s_cmp_lt_i32 s0, 1
	s_cbranch_scc1 .LBB152_25
; %bb.20:
	v_mov_b32_e32 v4, 0
	v_mov_b32_e32 v6, 0
	;; [unrolled: 1-line block ×4, first 2 shown]
	v_cmp_gt_i32_e32 vcc_lo, s3, v8
	s_and_saveexec_b32 s3, vcc_lo
	s_cbranch_execz .LBB152_22
; %bb.21:
	s_waitcnt lgkmcnt(0)
	v_mul_lo_u32 v4, v8, s5
	v_ashrrev_i32_e32 v5, 31, v4
	v_lshlrev_b64 v[4:5], 4, v[4:5]
	v_add_co_u32 v4, s0, s14, v4
	v_add_co_ci_u32_e64 v5, null, s15, v5, s0
	global_load_dwordx4 v[4:7], v[4:5], off
.LBB152_22:
	s_or_b32 exec_lo, exec_lo, s3
	s_mov_b32 s3, exec_lo
	v_cmpx_gt_i32_e64 s2, v9
	s_cbranch_execz .LBB152_24
; %bb.23:
	s_waitcnt lgkmcnt(0)
	v_mul_lo_u32 v8, v8, s13
	v_cndmask_b32_e32 v8, 0, v8, vcc_lo
	v_add_nc_u32_e32 v8, v8, v9
	v_ashrrev_i32_e32 v9, 31, v8
	v_lshlrev_b64 v[8:9], 4, v[8:9]
	v_add_co_u32 v8, vcc_lo, s7, v8
	v_add_co_ci_u32_e64 v9, null, s12, v9, vcc_lo
	global_load_dwordx4 v[11:14], v[8:9], off
	s_waitcnt vmcnt(0)
	v_mul_f64 v[8:9], v[6:7], v[13:14]
	v_mul_f64 v[13:14], v[4:5], v[13:14]
	v_fma_f64 v[4:5], v[4:5], v[11:12], -v[8:9]
	v_fma_f64 v[6:7], v[6:7], v[11:12], v[13:14]
	v_add_f64 v[0:1], v[0:1], v[4:5]
	v_add_f64 v[2:3], v[2:3], v[6:7]
.LBB152_24:
	s_or_b32 exec_lo, exec_lo, s3
.LBB152_25:
	v_lshlrev_b32_e32 v11, 4, v10
	s_mov_b32 s0, exec_lo
                                        ; implicit-def: $vgpr8_vgpr9
	ds_write_b128 v11, v[0:3]
	s_waitcnt vmcnt(0) lgkmcnt(0)
	s_barrier
	buffer_gl0_inv
                                        ; implicit-def: $vgpr2_vgpr3
	v_cmpx_gt_u32_e32 32, v10
	s_cbranch_execz .LBB152_31
; %bb.26:
	ds_read_b128 v[0:3], v11
	ds_read_b128 v[4:7], v11 offset:512
	v_or_b32_e32 v10, s4, v10
	s_mov_b32 s3, s20
	v_cmp_gt_i32_e32 vcc_lo, s2, v10
	s_waitcnt lgkmcnt(0)
	v_add_f64 v[8:9], v[0:1], v[4:5]
	v_add_f64 v[12:13], v[2:3], v[6:7]
	ds_read_b128 v[0:3], v11 offset:1024
	ds_read_b128 v[4:7], v11 offset:1536
	s_waitcnt lgkmcnt(1)
	v_add_f64 v[0:1], v[8:9], v[0:1]
	v_add_f64 v[2:3], v[12:13], v[2:3]
	s_waitcnt lgkmcnt(0)
	v_add_f64 v[8:9], v[0:1], v[4:5]
	v_add_f64 v[12:13], v[2:3], v[6:7]
	ds_read_b128 v[0:3], v11 offset:2048
	ds_read_b128 v[4:7], v11 offset:2560
	s_waitcnt lgkmcnt(1)
	v_add_f64 v[0:1], v[8:9], v[0:1]
	v_add_f64 v[2:3], v[12:13], v[2:3]
	;; [unrolled: 8-line block ×7, first 2 shown]
                                        ; implicit-def: $vgpr8_vgpr9
	s_waitcnt lgkmcnt(0)
	v_add_f64 v[4:5], v[0:1], v[4:5]
	v_add_f64 v[6:7], v[2:3], v[6:7]
                                        ; implicit-def: $vgpr2_vgpr3
	ds_write_b128 v11, v[4:7]
	s_and_saveexec_b32 s2, vcc_lo
	s_cbranch_execz .LBB152_30
; %bb.27:
	v_mul_f64 v[0:1], s[10:11], v[6:7]
	v_mul_f64 v[2:3], s[8:9], v[6:7]
	v_cmp_neq_f64_e64 s3, s[24:25], 0
	v_cmp_neq_f64_e64 s4, s[26:27], 0
	v_mul_lo_u32 v8, v10, s19
	v_ashrrev_i32_e32 v9, 31, v8
	v_fma_f64 v[0:1], s[8:9], v[4:5], -v[0:1]
	v_fma_f64 v[2:3], s[10:11], v[4:5], v[2:3]
	s_or_b32 s3, s3, s4
	s_andn2_b32 vcc_lo, exec_lo, s3
	s_cbranch_vccnz .LBB152_29
; %bb.28:
	v_lshlrev_b64 v[4:5], 4, v[8:9]
	v_add_co_u32 v4, vcc_lo, s1, v4
	v_add_co_ci_u32_e64 v5, null, s18, v5, vcc_lo
	global_load_dwordx4 v[4:7], v[4:5], off
	s_waitcnt vmcnt(0)
	v_mul_f64 v[10:11], s[26:27], v[6:7]
	v_mul_f64 v[6:7], s[24:25], v[6:7]
	v_fma_f64 v[10:11], s[24:25], v[4:5], -v[10:11]
	v_fma_f64 v[4:5], s[26:27], v[4:5], v[6:7]
	v_add_f64 v[0:1], v[0:1], v[10:11]
	v_add_f64 v[2:3], v[2:3], v[4:5]
.LBB152_29:
	s_or_b32 s3, s20, exec_lo
.LBB152_30:
	s_or_b32 exec_lo, exec_lo, s2
	s_andn2_b32 s2, s20, exec_lo
	s_and_b32 s3, s3, exec_lo
	s_or_b32 s20, s2, s3
.LBB152_31:
	s_or_b32 exec_lo, exec_lo, s0
.LBB152_32:
	s_and_saveexec_b32 s0, s20
	s_cbranch_execz .LBB152_34
; %bb.33:
	v_lshlrev_b64 v[4:5], 4, v[8:9]
	v_add_co_u32 v4, vcc_lo, s1, v4
	v_add_co_ci_u32_e64 v5, null, s18, v5, vcc_lo
	global_store_dwordx4 v[4:5], v[0:3], off
.LBB152_34:
	s_endpgm
	.section	.rodata,"a",@progbits
	.p2align	6, 0x0
	.amdhsa_kernel _ZL20rocblas_gemvn_kernelILi32ELi16Ei19rocblas_complex_numIdEPKS1_S1_EviiT3_lPKT2_lT1_lS7_lS8_lS4_lPT4_lS8_li
		.amdhsa_group_segment_fixed_size 8192
		.amdhsa_private_segment_fixed_size 0
		.amdhsa_kernarg_size 400
		.amdhsa_user_sgpr_count 6
		.amdhsa_user_sgpr_private_segment_buffer 1
		.amdhsa_user_sgpr_dispatch_ptr 0
		.amdhsa_user_sgpr_queue_ptr 0
		.amdhsa_user_sgpr_kernarg_segment_ptr 1
		.amdhsa_user_sgpr_dispatch_id 0
		.amdhsa_user_sgpr_flat_scratch_init 0
		.amdhsa_user_sgpr_private_segment_size 0
		.amdhsa_wavefront_size32 1
		.amdhsa_uses_dynamic_stack 0
		.amdhsa_system_sgpr_private_segment_wavefront_offset 0
		.amdhsa_system_sgpr_workgroup_id_x 1
		.amdhsa_system_sgpr_workgroup_id_y 0
		.amdhsa_system_sgpr_workgroup_id_z 1
		.amdhsa_system_sgpr_workgroup_info 0
		.amdhsa_system_vgpr_workitem_id 1
		.amdhsa_next_free_vgpr 21
		.amdhsa_next_free_sgpr 32
		.amdhsa_reserve_vcc 1
		.amdhsa_reserve_flat_scratch 0
		.amdhsa_float_round_mode_32 0
		.amdhsa_float_round_mode_16_64 0
		.amdhsa_float_denorm_mode_32 3
		.amdhsa_float_denorm_mode_16_64 3
		.amdhsa_dx10_clamp 1
		.amdhsa_ieee_mode 1
		.amdhsa_fp16_overflow 0
		.amdhsa_workgroup_processor_mode 1
		.amdhsa_memory_ordered 1
		.amdhsa_forward_progress 1
		.amdhsa_shared_vgpr_count 0
		.amdhsa_exception_fp_ieee_invalid_op 0
		.amdhsa_exception_fp_denorm_src 0
		.amdhsa_exception_fp_ieee_div_zero 0
		.amdhsa_exception_fp_ieee_overflow 0
		.amdhsa_exception_fp_ieee_underflow 0
		.amdhsa_exception_fp_ieee_inexact 0
		.amdhsa_exception_int_div_zero 0
	.end_amdhsa_kernel
	.section	.text._ZL20rocblas_gemvn_kernelILi32ELi16Ei19rocblas_complex_numIdEPKS1_S1_EviiT3_lPKT2_lT1_lS7_lS8_lS4_lPT4_lS8_li,"axG",@progbits,_ZL20rocblas_gemvn_kernelILi32ELi16Ei19rocblas_complex_numIdEPKS1_S1_EviiT3_lPKT2_lT1_lS7_lS8_lS4_lPT4_lS8_li,comdat
.Lfunc_end152:
	.size	_ZL20rocblas_gemvn_kernelILi32ELi16Ei19rocblas_complex_numIdEPKS1_S1_EviiT3_lPKT2_lT1_lS7_lS8_lS4_lPT4_lS8_li, .Lfunc_end152-_ZL20rocblas_gemvn_kernelILi32ELi16Ei19rocblas_complex_numIdEPKS1_S1_EviiT3_lPKT2_lT1_lS7_lS8_lS4_lPT4_lS8_li
                                        ; -- End function
	.set _ZL20rocblas_gemvn_kernelILi32ELi16Ei19rocblas_complex_numIdEPKS1_S1_EviiT3_lPKT2_lT1_lS7_lS8_lS4_lPT4_lS8_li.num_vgpr, 21
	.set _ZL20rocblas_gemvn_kernelILi32ELi16Ei19rocblas_complex_numIdEPKS1_S1_EviiT3_lPKT2_lT1_lS7_lS8_lS4_lPT4_lS8_li.num_agpr, 0
	.set _ZL20rocblas_gemvn_kernelILi32ELi16Ei19rocblas_complex_numIdEPKS1_S1_EviiT3_lPKT2_lT1_lS7_lS8_lS4_lPT4_lS8_li.numbered_sgpr, 32
	.set _ZL20rocblas_gemvn_kernelILi32ELi16Ei19rocblas_complex_numIdEPKS1_S1_EviiT3_lPKT2_lT1_lS7_lS8_lS4_lPT4_lS8_li.num_named_barrier, 0
	.set _ZL20rocblas_gemvn_kernelILi32ELi16Ei19rocblas_complex_numIdEPKS1_S1_EviiT3_lPKT2_lT1_lS7_lS8_lS4_lPT4_lS8_li.private_seg_size, 0
	.set _ZL20rocblas_gemvn_kernelILi32ELi16Ei19rocblas_complex_numIdEPKS1_S1_EviiT3_lPKT2_lT1_lS7_lS8_lS4_lPT4_lS8_li.uses_vcc, 1
	.set _ZL20rocblas_gemvn_kernelILi32ELi16Ei19rocblas_complex_numIdEPKS1_S1_EviiT3_lPKT2_lT1_lS7_lS8_lS4_lPT4_lS8_li.uses_flat_scratch, 0
	.set _ZL20rocblas_gemvn_kernelILi32ELi16Ei19rocblas_complex_numIdEPKS1_S1_EviiT3_lPKT2_lT1_lS7_lS8_lS4_lPT4_lS8_li.has_dyn_sized_stack, 0
	.set _ZL20rocblas_gemvn_kernelILi32ELi16Ei19rocblas_complex_numIdEPKS1_S1_EviiT3_lPKT2_lT1_lS7_lS8_lS4_lPT4_lS8_li.has_recursion, 0
	.set _ZL20rocblas_gemvn_kernelILi32ELi16Ei19rocblas_complex_numIdEPKS1_S1_EviiT3_lPKT2_lT1_lS7_lS8_lS4_lPT4_lS8_li.has_indirect_call, 0
	.section	.AMDGPU.csdata,"",@progbits
; Kernel info:
; codeLenInByte = 1956
; TotalNumSgprs: 34
; NumVgprs: 21
; ScratchSize: 0
; MemoryBound: 1
; FloatMode: 240
; IeeeMode: 1
; LDSByteSize: 8192 bytes/workgroup (compile time only)
; SGPRBlocks: 0
; VGPRBlocks: 2
; NumSGPRsForWavesPerEU: 34
; NumVGPRsForWavesPerEU: 21
; Occupancy: 16
; WaveLimiterHint : 1
; COMPUTE_PGM_RSRC2:SCRATCH_EN: 0
; COMPUTE_PGM_RSRC2:USER_SGPR: 6
; COMPUTE_PGM_RSRC2:TRAP_HANDLER: 0
; COMPUTE_PGM_RSRC2:TGID_X_EN: 1
; COMPUTE_PGM_RSRC2:TGID_Y_EN: 0
; COMPUTE_PGM_RSRC2:TGID_Z_EN: 1
; COMPUTE_PGM_RSRC2:TIDIG_COMP_CNT: 1
	.section	.text._ZL20rocblas_gemvn_kernelILi32ELi16El19rocblas_complex_numIdEPKS1_S1_EviiT3_lPKT2_lT1_lS7_lS8_lS4_lPT4_lS8_li,"axG",@progbits,_ZL20rocblas_gemvn_kernelILi32ELi16El19rocblas_complex_numIdEPKS1_S1_EviiT3_lPKT2_lT1_lS7_lS8_lS4_lPT4_lS8_li,comdat
	.globl	_ZL20rocblas_gemvn_kernelILi32ELi16El19rocblas_complex_numIdEPKS1_S1_EviiT3_lPKT2_lT1_lS7_lS8_lS4_lPT4_lS8_li ; -- Begin function _ZL20rocblas_gemvn_kernelILi32ELi16El19rocblas_complex_numIdEPKS1_S1_EviiT3_lPKT2_lT1_lS7_lS8_lS4_lPT4_lS8_li
	.p2align	8
	.type	_ZL20rocblas_gemvn_kernelILi32ELi16El19rocblas_complex_numIdEPKS1_S1_EviiT3_lPKT2_lT1_lS7_lS8_lS4_lPT4_lS8_li,@function
_ZL20rocblas_gemvn_kernelILi32ELi16El19rocblas_complex_numIdEPKS1_S1_EviiT3_lPKT2_lT1_lS7_lS8_lS4_lPT4_lS8_li: ; @_ZL20rocblas_gemvn_kernelILi32ELi16El19rocblas_complex_numIdEPKS1_S1_EviiT3_lPKT2_lT1_lS7_lS8_lS4_lPT4_lS8_li
; %bb.0:
	s_load_dwordx2 s[0:1], s[4:5], 0x9c
	s_waitcnt lgkmcnt(0)
	s_lshr_b32 s2, s0, 16
	s_and_b32 s0, s0, 0xffff
	s_and_b32 s1, s1, 0xffff
	s_mul_i32 s2, s2, s0
	s_mul_i32 s2, s2, s1
	s_cmpk_lg_i32 s2, 0x200
	s_cbranch_scc1 .LBB153_34
; %bb.1:
	s_clause 0x1
	s_load_dwordx16 s[36:51], s[4:5], 0x8
	s_load_dwordx16 s[8:23], s[4:5], 0x48
	s_waitcnt lgkmcnt(0)
	s_mul_i32 s1, s39, s7
	s_mul_hi_u32 s3, s38, s7
	s_mul_i32 s2, s38, s7
	s_add_i32 s3, s3, s1
	s_mul_i32 s1, s15, s7
	s_lshl_b64 s[2:3], s[2:3], 4
	s_add_u32 s2, s36, s2
	s_addc_u32 s3, s37, s3
	s_load_dwordx4 s[24:27], s[2:3], 0x0
	s_mul_hi_u32 s2, s14, s7
	s_add_i32 s3, s2, s1
	s_mul_i32 s2, s14, s7
	s_lshl_b64 s[2:3], s[2:3], 4
	s_add_u32 s2, s12, s2
	s_addc_u32 s3, s13, s3
	s_load_dwordx4 s[12:15], s[2:3], 0x0
	s_mov_b32 s2, -1
	s_waitcnt lgkmcnt(0)
	v_cmp_neq_f64_e64 s28, s[24:25], 0
	v_cmp_neq_f64_e64 s29, s[26:27], 0
	s_or_b32 s1, s28, s29
	s_and_b32 vcc_lo, exec_lo, s1
	s_cbranch_vccnz .LBB153_3
; %bb.2:
	v_cmp_neq_f64_e64 s2, s[12:13], 1.0
	v_cmp_neq_f64_e64 s3, s[14:15], 0
	s_or_b32 s2, s2, s3
.LBB153_3:
	s_andn2_b32 vcc_lo, exec_lo, s2
	s_cbranch_vccnz .LBB153_34
; %bb.4:
	s_load_dwordx2 s[2:3], s[4:5], 0x0
	s_mul_i32 s4, s23, s7
	s_mul_hi_u32 s5, s22, s7
	v_mad_u32_u24 v10, v1, s0, v0
	s_add_i32 s5, s5, s4
	s_mul_i32 s4, s22, s7
	s_xor_b32 s22, s1, -1
	s_lshl_b64 s[4:5], s[4:5], 4
	s_add_u32 s4, s16, s4
	s_addc_u32 s5, s17, s5
	s_lshl_b64 s[0:1], s[18:19], 4
	s_add_u32 s18, s4, s0
	v_cmp_gt_u32_e64 s0, 32, v10
	s_addc_u32 s19, s5, s1
	s_andn2_b32 vcc_lo, exec_lo, s22
	s_mov_b32 s22, 0
	s_cbranch_vccnz .LBB153_11
; %bb.5:
	s_mov_b32 s1, 0
                                        ; implicit-def: $vgpr2_vgpr3
                                        ; implicit-def: $vgpr8_vgpr9
	s_and_saveexec_b32 s4, s0
	s_cbranch_execz .LBB153_12
; %bb.6:
	v_lshl_or_b32 v0, s6, 5, v10
	v_mov_b32_e32 v1, 0
	s_waitcnt lgkmcnt(0)
	s_ashr_i32 s17, s2, 31
	s_mov_b32 s16, s2
	s_mov_b32 s5, 0
                                        ; implicit-def: $vgpr8_vgpr9
	v_cmp_gt_i64_e32 vcc_lo, s[16:17], v[0:1]
                                        ; implicit-def: $vgpr2_vgpr3
	s_and_saveexec_b32 s0, vcc_lo
	s_cbranch_execz .LBB153_10
; %bb.7:
	v_cmp_neq_f64_e64 s5, s[12:13], 0
	v_cmp_neq_f64_e64 s16, s[14:15], 0
	v_mad_u64_u32 v[8:9], null, s20, v0, 0
	v_mov_b32_e32 v1, v9
	v_mad_u64_u32 v[4:5], null, s21, v0, v[1:2]
	v_mov_b32_e32 v2, 0
	v_mov_b32_e32 v0, 0
	;; [unrolled: 1-line block ×5, first 2 shown]
	s_or_b32 s5, s5, s16
	s_andn2_b32 vcc_lo, exec_lo, s5
	s_cbranch_vccnz .LBB153_9
; %bb.8:
	v_lshlrev_b64 v[0:1], 4, v[8:9]
	v_add_co_u32 v0, vcc_lo, s18, v0
	v_add_co_ci_u32_e64 v1, null, s19, v1, vcc_lo
	global_load_dwordx4 v[2:5], v[0:1], off
	s_waitcnt vmcnt(0)
	v_mul_f64 v[0:1], s[14:15], v[4:5]
	v_mul_f64 v[4:5], s[12:13], v[4:5]
	v_fma_f64 v[0:1], s[12:13], v[2:3], -v[0:1]
	v_fma_f64 v[2:3], s[14:15], v[2:3], v[4:5]
.LBB153_9:
	s_mov_b32 s5, exec_lo
.LBB153_10:
	s_or_b32 exec_lo, exec_lo, s0
	s_and_b32 s22, s5, exec_lo
	s_or_b32 exec_lo, exec_lo, s4
	s_and_b32 vcc_lo, exec_lo, s1
	s_cbranch_vccnz .LBB153_13
	s_branch .LBB153_32
.LBB153_11:
                                        ; implicit-def: $vgpr2_vgpr3
                                        ; implicit-def: $vgpr8_vgpr9
	s_cbranch_execnz .LBB153_13
	s_branch .LBB153_32
.LBB153_12:
	s_or_b32 exec_lo, exec_lo, s4
	s_and_b32 vcc_lo, exec_lo, s1
	s_cbranch_vccz .LBB153_32
.LBB153_13:
	v_and_b32_e32 v4, 31, v10
	s_waitcnt lgkmcnt(0)
	s_ashr_i32 s4, s3, 31
	s_lshl_b32 s23, s6, 5
	s_mul_i32 s0, s47, s7
	s_mul_hi_u32 s1, s46, s7
	s_lshr_b32 s4, s4, 28
	v_mov_b32_e32 v2, 0
	v_mov_b32_e32 v0, 0
	v_lshrrev_b32_e32 v9, 5, v10
	v_or_b32_e32 v8, s23, v4
	v_mov_b32_e32 v3, 0
	v_mov_b32_e32 v1, 0
	s_add_i32 s5, s1, s0
	s_mul_i32 s0, s11, s7
	s_mul_hi_u32 s1, s10, s7
	s_add_i32 s4, s3, s4
	s_add_i32 s11, s1, s0
	s_and_b32 s28, s4, -16
	s_mul_i32 s4, s46, s7
	s_mul_i32 s10, s10, s7
	s_mov_b32 s29, exec_lo
	v_cmpx_gt_i32_e64 s28, v9
	s_cbranch_execz .LBB153_19
; %bb.14:
	v_lshrrev_b32_e32 v7, 5, v10
	v_add_nc_u32_e32 v11, s23, v4
	s_lshl_b64 s[6:7], s[50:51], 4
	s_lshl_b64 s[0:1], s[10:11], 4
	s_add_u32 s6, s48, s6
	v_mad_u64_u32 v[0:1], null, s44, v7, 0
	v_mad_u64_u32 v[5:6], null, s8, v7, 0
	s_addc_u32 s7, s49, s7
	v_ashrrev_i32_e32 v12, 31, v11
	s_add_u32 s30, s6, s0
	s_addc_u32 s31, s7, s1
	v_mad_u64_u32 v[1:2], null, s45, v7, v[1:2]
	v_mov_b32_e32 v4, v6
	s_lshl_b64 s[0:1], s[4:5], 4
	s_lshl_b64 s[16:17], s[42:43], 4
	;; [unrolled: 1-line block ×3, first 2 shown]
	s_add_u32 s0, s16, s0
	v_mad_u64_u32 v[6:7], null, s9, v7, v[4:5]
	v_lshlrev_b64 v[0:1], 4, v[0:1]
	v_lshlrev_b64 v[11:12], 4, v[11:12]
	s_addc_u32 s1, s17, s1
	v_mov_b32_e32 v2, 0
	v_mov_b32_e32 v3, 0
	s_lshl_b64 s[16:17], s[44:45], 8
	v_add_co_u32 v4, s0, s0, v0
	v_add_co_ci_u32_e64 v7, null, s1, v1, s0
	v_lshlrev_b64 v[0:1], 4, v[5:6]
	v_add_co_u32 v4, s0, v4, v11
	v_add_co_ci_u32_e64 v5, null, v7, v12, s0
	v_cmp_gt_i32_e32 vcc_lo, s2, v8
	v_add_co_u32 v0, s0, s30, v0
	v_add_co_ci_u32_e64 v1, null, s31, v1, s0
	v_add_co_u32 v6, s0, s40, v4
	v_add_co_ci_u32_e64 v7, null, s41, v5, s0
	;; [unrolled: 2-line block ×3, first 2 shown]
	v_add_co_u32 v6, s0, v6, 8
	v_mov_b32_e32 v0, v2
	v_add_co_ci_u32_e64 v7, null, 0, v7, s0
	v_mov_b32_e32 v1, v3
	s_mov_b32 s30, 0
	s_inst_prefetch 0x1
	s_branch .LBB153_16
	.p2align	6
.LBB153_15:                             ;   in Loop: Header=BB153_16 Depth=1
	s_or_b32 exec_lo, exec_lo, s0
	v_add_nc_u32_e32 v9, 16, v9
	v_add_co_u32 v4, s0, v4, s6
	v_add_co_ci_u32_e64 v5, null, s7, v5, s0
	v_cmp_le_i32_e64 s0, s28, v9
	v_add_co_u32 v6, s1, v6, s16
	v_add_co_ci_u32_e64 v7, null, s17, v7, s1
	s_or_b32 s30, s0, s30
	s_andn2_b32 exec_lo, exec_lo, s30
	s_cbranch_execz .LBB153_18
.LBB153_16:                             ; =>This Inner Loop Header: Depth=1
	s_and_saveexec_b32 s0, vcc_lo
	s_cbranch_execz .LBB153_15
; %bb.17:                               ;   in Loop: Header=BB153_16 Depth=1
	global_load_dwordx4 v[11:14], v[4:5], off offset:-8
	global_load_dwordx4 v[15:18], v[6:7], off offset:-8
	s_waitcnt vmcnt(0)
	v_mul_f64 v[19:20], v[13:14], v[17:18]
	v_mul_f64 v[17:18], v[11:12], v[17:18]
	v_fma_f64 v[11:12], v[11:12], v[15:16], -v[19:20]
	v_fma_f64 v[13:14], v[13:14], v[15:16], v[17:18]
	v_add_f64 v[0:1], v[0:1], v[11:12]
	v_add_f64 v[2:3], v[2:3], v[13:14]
	s_branch .LBB153_15
.LBB153_18:
	s_inst_prefetch 0x2
	s_or_b32 exec_lo, exec_lo, s30
.LBB153_19:
	s_or_b32 exec_lo, exec_lo, s29
	s_sub_i32 s0, s3, s28
	s_cmp_lt_i32 s0, 1
	s_cbranch_scc1 .LBB153_25
; %bb.20:
	v_mov_b32_e32 v4, 0
	v_mov_b32_e32 v6, 0
	;; [unrolled: 1-line block ×4, first 2 shown]
	v_cmp_gt_i32_e32 vcc_lo, s3, v9
	s_and_saveexec_b32 s1, vcc_lo
	s_cbranch_execz .LBB153_22
; %bb.21:
	v_mad_u64_u32 v[4:5], null, s8, v9, 0
	s_lshl_b64 s[6:7], s[10:11], 4
	s_add_u32 s0, s48, s6
	s_addc_u32 s3, s49, s7
	s_lshl_b64 s[6:7], s[50:51], 4
	s_add_u32 s0, s0, s6
	v_mad_u64_u32 v[5:6], null, s9, v9, v[5:6]
	s_addc_u32 s3, s3, s7
	v_lshlrev_b64 v[4:5], 4, v[4:5]
	v_add_co_u32 v4, s0, s0, v4
	v_add_co_ci_u32_e64 v5, null, s3, v5, s0
	global_load_dwordx4 v[4:7], v[4:5], off
.LBB153_22:
	s_or_b32 exec_lo, exec_lo, s1
	s_mov_b32 s1, exec_lo
	v_cmpx_gt_i32_e64 s2, v8
	s_cbranch_execz .LBB153_24
; %bb.23:
	v_mad_u64_u32 v[11:12], null, s44, v9, 0
	s_lshl_b64 s[4:5], s[4:5], 4
	s_add_u32 s0, s40, s4
	s_addc_u32 s3, s41, s5
	s_lshl_b64 s[4:5], s[42:43], 4
	s_add_u32 s0, s0, s4
	v_mad_u64_u32 v[12:13], null, s45, v9, v[12:13]
	v_cndmask_b32_e32 v11, 0, v11, vcc_lo
	v_ashrrev_i32_e32 v9, 31, v8
	s_addc_u32 s3, s3, s5
	v_lshlrev_b64 v[8:9], 4, v[8:9]
	v_cndmask_b32_e32 v12, 0, v12, vcc_lo
	v_lshlrev_b64 v[11:12], 4, v[11:12]
	v_add_co_u32 v11, vcc_lo, s0, v11
	v_add_co_ci_u32_e64 v12, null, s3, v12, vcc_lo
	v_add_co_u32 v8, vcc_lo, v11, v8
	v_add_co_ci_u32_e64 v9, null, v12, v9, vcc_lo
	global_load_dwordx4 v[11:14], v[8:9], off
	s_waitcnt vmcnt(0)
	v_mul_f64 v[8:9], v[6:7], v[13:14]
	v_mul_f64 v[13:14], v[4:5], v[13:14]
	v_fma_f64 v[4:5], v[4:5], v[11:12], -v[8:9]
	v_fma_f64 v[6:7], v[6:7], v[11:12], v[13:14]
	v_add_f64 v[0:1], v[0:1], v[4:5]
	v_add_f64 v[2:3], v[2:3], v[6:7]
.LBB153_24:
	s_or_b32 exec_lo, exec_lo, s1
.LBB153_25:
	v_lshlrev_b32_e32 v11, 4, v10
	s_mov_b32 s0, exec_lo
                                        ; implicit-def: $vgpr8_vgpr9
	ds_write_b128 v11, v[0:3]
	s_waitcnt vmcnt(0) lgkmcnt(0)
	s_barrier
	buffer_gl0_inv
                                        ; implicit-def: $vgpr2_vgpr3
	v_cmpx_gt_u32_e32 32, v10
	s_cbranch_execz .LBB153_31
; %bb.26:
	ds_read_b128 v[0:3], v11
	ds_read_b128 v[4:7], v11 offset:512
	v_or_b32_e32 v10, s23, v10
	v_cmp_gt_i32_e32 vcc_lo, s2, v10
	s_mov_b32 s2, s22
	s_waitcnt lgkmcnt(0)
	v_add_f64 v[8:9], v[0:1], v[4:5]
	v_add_f64 v[12:13], v[2:3], v[6:7]
	ds_read_b128 v[0:3], v11 offset:1024
	ds_read_b128 v[4:7], v11 offset:1536
	s_waitcnt lgkmcnt(1)
	v_add_f64 v[0:1], v[8:9], v[0:1]
	v_add_f64 v[2:3], v[12:13], v[2:3]
	s_waitcnt lgkmcnt(0)
	v_add_f64 v[8:9], v[0:1], v[4:5]
	v_add_f64 v[12:13], v[2:3], v[6:7]
	ds_read_b128 v[0:3], v11 offset:2048
	ds_read_b128 v[4:7], v11 offset:2560
	s_waitcnt lgkmcnt(1)
	v_add_f64 v[0:1], v[8:9], v[0:1]
	v_add_f64 v[2:3], v[12:13], v[2:3]
	;; [unrolled: 8-line block ×7, first 2 shown]
                                        ; implicit-def: $vgpr8_vgpr9
	s_waitcnt lgkmcnt(0)
	v_add_f64 v[4:5], v[0:1], v[4:5]
	v_add_f64 v[6:7], v[2:3], v[6:7]
                                        ; implicit-def: $vgpr2_vgpr3
	ds_write_b128 v11, v[4:7]
	s_and_saveexec_b32 s1, vcc_lo
	s_cbranch_execz .LBB153_30
; %bb.27:
	v_mul_f64 v[0:1], s[26:27], v[6:7]
	v_mul_f64 v[2:3], s[24:25], v[6:7]
	v_cmp_neq_f64_e64 s2, s[12:13], 0
	v_cmp_neq_f64_e64 s3, s[14:15], 0
	v_mad_u64_u32 v[8:9], null, s20, v10, 0
	v_fma_f64 v[0:1], s[24:25], v[4:5], -v[0:1]
	v_fma_f64 v[2:3], s[26:27], v[4:5], v[2:3]
	v_ashrrev_i32_e32 v4, 31, v10
	v_mul_lo_u32 v5, s21, v10
	s_or_b32 s2, s2, s3
	s_andn2_b32 vcc_lo, exec_lo, s2
	v_mul_lo_u32 v4, s20, v4
	v_add3_u32 v9, v9, v4, v5
	s_cbranch_vccnz .LBB153_29
; %bb.28:
	v_lshlrev_b64 v[4:5], 4, v[8:9]
	v_add_co_u32 v4, vcc_lo, s18, v4
	v_add_co_ci_u32_e64 v5, null, s19, v5, vcc_lo
	global_load_dwordx4 v[4:7], v[4:5], off
	s_waitcnt vmcnt(0)
	v_mul_f64 v[10:11], s[14:15], v[6:7]
	v_mul_f64 v[6:7], s[12:13], v[6:7]
	v_fma_f64 v[10:11], s[12:13], v[4:5], -v[10:11]
	v_fma_f64 v[4:5], s[14:15], v[4:5], v[6:7]
	v_add_f64 v[0:1], v[0:1], v[10:11]
	v_add_f64 v[2:3], v[2:3], v[4:5]
.LBB153_29:
	s_or_b32 s2, s22, exec_lo
.LBB153_30:
	s_or_b32 exec_lo, exec_lo, s1
	s_andn2_b32 s1, s22, exec_lo
	s_and_b32 s2, s2, exec_lo
	s_or_b32 s22, s1, s2
.LBB153_31:
	s_or_b32 exec_lo, exec_lo, s0
.LBB153_32:
	s_and_saveexec_b32 s0, s22
	s_cbranch_execz .LBB153_34
; %bb.33:
	v_lshlrev_b64 v[4:5], 4, v[8:9]
	v_add_co_u32 v4, vcc_lo, s18, v4
	v_add_co_ci_u32_e64 v5, null, s19, v5, vcc_lo
	global_store_dwordx4 v[4:5], v[0:3], off
.LBB153_34:
	s_endpgm
	.section	.rodata,"a",@progbits
	.p2align	6, 0x0
	.amdhsa_kernel _ZL20rocblas_gemvn_kernelILi32ELi16El19rocblas_complex_numIdEPKS1_S1_EviiT3_lPKT2_lT1_lS7_lS8_lS4_lPT4_lS8_li
		.amdhsa_group_segment_fixed_size 8192
		.amdhsa_private_segment_fixed_size 0
		.amdhsa_kernarg_size 400
		.amdhsa_user_sgpr_count 6
		.amdhsa_user_sgpr_private_segment_buffer 1
		.amdhsa_user_sgpr_dispatch_ptr 0
		.amdhsa_user_sgpr_queue_ptr 0
		.amdhsa_user_sgpr_kernarg_segment_ptr 1
		.amdhsa_user_sgpr_dispatch_id 0
		.amdhsa_user_sgpr_flat_scratch_init 0
		.amdhsa_user_sgpr_private_segment_size 0
		.amdhsa_wavefront_size32 1
		.amdhsa_uses_dynamic_stack 0
		.amdhsa_system_sgpr_private_segment_wavefront_offset 0
		.amdhsa_system_sgpr_workgroup_id_x 1
		.amdhsa_system_sgpr_workgroup_id_y 0
		.amdhsa_system_sgpr_workgroup_id_z 1
		.amdhsa_system_sgpr_workgroup_info 0
		.amdhsa_system_vgpr_workitem_id 1
		.amdhsa_next_free_vgpr 21
		.amdhsa_next_free_sgpr 52
		.amdhsa_reserve_vcc 1
		.amdhsa_reserve_flat_scratch 0
		.amdhsa_float_round_mode_32 0
		.amdhsa_float_round_mode_16_64 0
		.amdhsa_float_denorm_mode_32 3
		.amdhsa_float_denorm_mode_16_64 3
		.amdhsa_dx10_clamp 1
		.amdhsa_ieee_mode 1
		.amdhsa_fp16_overflow 0
		.amdhsa_workgroup_processor_mode 1
		.amdhsa_memory_ordered 1
		.amdhsa_forward_progress 1
		.amdhsa_shared_vgpr_count 0
		.amdhsa_exception_fp_ieee_invalid_op 0
		.amdhsa_exception_fp_denorm_src 0
		.amdhsa_exception_fp_ieee_div_zero 0
		.amdhsa_exception_fp_ieee_overflow 0
		.amdhsa_exception_fp_ieee_underflow 0
		.amdhsa_exception_fp_ieee_inexact 0
		.amdhsa_exception_int_div_zero 0
	.end_amdhsa_kernel
	.section	.text._ZL20rocblas_gemvn_kernelILi32ELi16El19rocblas_complex_numIdEPKS1_S1_EviiT3_lPKT2_lT1_lS7_lS8_lS4_lPT4_lS8_li,"axG",@progbits,_ZL20rocblas_gemvn_kernelILi32ELi16El19rocblas_complex_numIdEPKS1_S1_EviiT3_lPKT2_lT1_lS7_lS8_lS4_lPT4_lS8_li,comdat
.Lfunc_end153:
	.size	_ZL20rocblas_gemvn_kernelILi32ELi16El19rocblas_complex_numIdEPKS1_S1_EviiT3_lPKT2_lT1_lS7_lS8_lS4_lPT4_lS8_li, .Lfunc_end153-_ZL20rocblas_gemvn_kernelILi32ELi16El19rocblas_complex_numIdEPKS1_S1_EviiT3_lPKT2_lT1_lS7_lS8_lS4_lPT4_lS8_li
                                        ; -- End function
	.set _ZL20rocblas_gemvn_kernelILi32ELi16El19rocblas_complex_numIdEPKS1_S1_EviiT3_lPKT2_lT1_lS7_lS8_lS4_lPT4_lS8_li.num_vgpr, 21
	.set _ZL20rocblas_gemvn_kernelILi32ELi16El19rocblas_complex_numIdEPKS1_S1_EviiT3_lPKT2_lT1_lS7_lS8_lS4_lPT4_lS8_li.num_agpr, 0
	.set _ZL20rocblas_gemvn_kernelILi32ELi16El19rocblas_complex_numIdEPKS1_S1_EviiT3_lPKT2_lT1_lS7_lS8_lS4_lPT4_lS8_li.numbered_sgpr, 52
	.set _ZL20rocblas_gemvn_kernelILi32ELi16El19rocblas_complex_numIdEPKS1_S1_EviiT3_lPKT2_lT1_lS7_lS8_lS4_lPT4_lS8_li.num_named_barrier, 0
	.set _ZL20rocblas_gemvn_kernelILi32ELi16El19rocblas_complex_numIdEPKS1_S1_EviiT3_lPKT2_lT1_lS7_lS8_lS4_lPT4_lS8_li.private_seg_size, 0
	.set _ZL20rocblas_gemvn_kernelILi32ELi16El19rocblas_complex_numIdEPKS1_S1_EviiT3_lPKT2_lT1_lS7_lS8_lS4_lPT4_lS8_li.uses_vcc, 1
	.set _ZL20rocblas_gemvn_kernelILi32ELi16El19rocblas_complex_numIdEPKS1_S1_EviiT3_lPKT2_lT1_lS7_lS8_lS4_lPT4_lS8_li.uses_flat_scratch, 0
	.set _ZL20rocblas_gemvn_kernelILi32ELi16El19rocblas_complex_numIdEPKS1_S1_EviiT3_lPKT2_lT1_lS7_lS8_lS4_lPT4_lS8_li.has_dyn_sized_stack, 0
	.set _ZL20rocblas_gemvn_kernelILi32ELi16El19rocblas_complex_numIdEPKS1_S1_EviiT3_lPKT2_lT1_lS7_lS8_lS4_lPT4_lS8_li.has_recursion, 0
	.set _ZL20rocblas_gemvn_kernelILi32ELi16El19rocblas_complex_numIdEPKS1_S1_EviiT3_lPKT2_lT1_lS7_lS8_lS4_lPT4_lS8_li.has_indirect_call, 0
	.section	.AMDGPU.csdata,"",@progbits
; Kernel info:
; codeLenInByte = 2088
; TotalNumSgprs: 54
; NumVgprs: 21
; ScratchSize: 0
; MemoryBound: 0
; FloatMode: 240
; IeeeMode: 1
; LDSByteSize: 8192 bytes/workgroup (compile time only)
; SGPRBlocks: 0
; VGPRBlocks: 2
; NumSGPRsForWavesPerEU: 54
; NumVGPRsForWavesPerEU: 21
; Occupancy: 16
; WaveLimiterHint : 0
; COMPUTE_PGM_RSRC2:SCRATCH_EN: 0
; COMPUTE_PGM_RSRC2:USER_SGPR: 6
; COMPUTE_PGM_RSRC2:TRAP_HANDLER: 0
; COMPUTE_PGM_RSRC2:TGID_X_EN: 1
; COMPUTE_PGM_RSRC2:TGID_Y_EN: 0
; COMPUTE_PGM_RSRC2:TGID_Z_EN: 1
; COMPUTE_PGM_RSRC2:TIDIG_COMP_CNT: 1
	.section	.text._ZL20rocblas_gemvn_kernelILi32ELi16Ei19rocblas_complex_numIdES1_S1_EviiT3_lPKT2_lT1_lS5_lS6_lS2_lPT4_lS6_li,"axG",@progbits,_ZL20rocblas_gemvn_kernelILi32ELi16Ei19rocblas_complex_numIdES1_S1_EviiT3_lPKT2_lT1_lS5_lS6_lS2_lPT4_lS6_li,comdat
	.globl	_ZL20rocblas_gemvn_kernelILi32ELi16Ei19rocblas_complex_numIdES1_S1_EviiT3_lPKT2_lT1_lS5_lS6_lS2_lPT4_lS6_li ; -- Begin function _ZL20rocblas_gemvn_kernelILi32ELi16Ei19rocblas_complex_numIdES1_S1_EviiT3_lPKT2_lT1_lS5_lS6_lS2_lPT4_lS6_li
	.p2align	8
	.type	_ZL20rocblas_gemvn_kernelILi32ELi16Ei19rocblas_complex_numIdES1_S1_EviiT3_lPKT2_lT1_lS5_lS6_lS2_lPT4_lS6_li,@function
_ZL20rocblas_gemvn_kernelILi32ELi16Ei19rocblas_complex_numIdES1_S1_EviiT3_lPKT2_lT1_lS5_lS6_lS2_lPT4_lS6_li: ; @_ZL20rocblas_gemvn_kernelILi32ELi16Ei19rocblas_complex_numIdES1_S1_EviiT3_lPKT2_lT1_lS5_lS6_lS2_lPT4_lS6_li
; %bb.0:
	s_load_dwordx2 s[0:1], s[4:5], 0xac
	s_waitcnt lgkmcnt(0)
	s_lshr_b32 s2, s0, 16
	s_and_b32 s0, s0, 0xffff
	s_and_b32 s1, s1, 0xffff
	s_mul_i32 s2, s2, s0
	s_mul_i32 s2, s2, s1
	s_cmpk_lg_i32 s2, 0x200
	s_cbranch_scc1 .LBB154_34
; %bb.1:
	s_clause 0x2
	s_load_dwordx4 s[12:15], s[4:5], 0x8
	s_load_dwordx4 s[8:11], s[4:5], 0x58
	s_load_dwordx2 s[2:3], s[4:5], 0x68
	s_waitcnt lgkmcnt(0)
	v_cmp_neq_f64_e64 s1, s[12:13], 0
	v_cmp_neq_f64_e64 s16, s[14:15], 0
	s_or_b32 s1, s1, s16
	s_mov_b32 s16, -1
	s_and_b32 vcc_lo, exec_lo, s1
	s_cbranch_vccnz .LBB154_3
; %bb.2:
	v_cmp_neq_f64_e64 s16, s[10:11], 1.0
	v_cmp_neq_f64_e64 s17, s[2:3], 0
	s_or_b32 s16, s16, s17
.LBB154_3:
	s_andn2_b32 vcc_lo, exec_lo, s16
	s_cbranch_vccnz .LBB154_34
; %bb.4:
	s_clause 0x3
	s_load_dwordx2 s[24:25], s[4:5], 0x90
	s_load_dwordx4 s[20:23], s[4:5], 0x78
	s_load_dword s19, s[4:5], 0x88
	s_load_dwordx2 s[16:17], s[4:5], 0x0
	s_xor_b32 s26, s1, -1
	v_mad_u32_u24 v10, v1, s0, v0
	s_waitcnt lgkmcnt(0)
	s_mul_i32 s1, s25, s7
	s_mul_hi_u32 s18, s24, s7
	s_mul_i32 s24, s24, s7
	s_add_i32 s25, s18, s1
	s_lshl_b64 s[0:1], s[24:25], 4
	s_add_u32 s18, s20, s0
	s_addc_u32 s24, s21, s1
	s_lshl_b64 s[20:21], s[22:23], 4
	v_cmp_gt_u32_e64 s0, 32, v10
	s_add_u32 s1, s18, s20
	s_addc_u32 s18, s24, s21
	s_andn2_b32 vcc_lo, exec_lo, s26
	s_mov_b32 s20, 0
	s_cbranch_vccnz .LBB154_11
; %bb.5:
	s_mov_b32 s21, 0
                                        ; implicit-def: $vgpr2_vgpr3
                                        ; implicit-def: $vgpr8_vgpr9
	s_and_saveexec_b32 s22, s0
	s_cbranch_execz .LBB154_12
; %bb.6:
	v_lshl_or_b32 v0, s6, 5, v10
	v_mov_b32_e32 v1, 0
	s_ashr_i32 s25, s16, 31
	s_mov_b32 s24, s16
                                        ; implicit-def: $vgpr8_vgpr9
	v_cmp_gt_i64_e32 vcc_lo, s[24:25], v[0:1]
                                        ; implicit-def: $vgpr2_vgpr3
	s_and_saveexec_b32 s0, vcc_lo
	s_cbranch_execz .LBB154_10
; %bb.7:
	v_cmp_neq_f64_e64 s20, s[10:11], 0
	v_cmp_neq_f64_e64 s23, s[2:3], 0
	v_mad_u64_u32 v[8:9], null, v0, s19, 0
	s_ashr_i32 s24, s19, 31
	v_mov_b32_e32 v1, v9
	v_mad_u64_u32 v[4:5], null, v0, s24, v[1:2]
	v_mov_b32_e32 v2, 0
	v_mov_b32_e32 v0, 0
	;; [unrolled: 1-line block ×5, first 2 shown]
	s_or_b32 s20, s20, s23
	s_andn2_b32 vcc_lo, exec_lo, s20
	s_cbranch_vccnz .LBB154_9
; %bb.8:
	v_lshlrev_b64 v[0:1], 4, v[8:9]
	v_add_co_u32 v0, vcc_lo, s1, v0
	v_add_co_ci_u32_e64 v1, null, s18, v1, vcc_lo
	global_load_dwordx4 v[2:5], v[0:1], off
	s_waitcnt vmcnt(0)
	v_mul_f64 v[0:1], s[2:3], v[4:5]
	v_mul_f64 v[4:5], s[10:11], v[4:5]
	v_fma_f64 v[0:1], s[10:11], v[2:3], -v[0:1]
	v_fma_f64 v[2:3], s[2:3], v[2:3], v[4:5]
.LBB154_9:
	s_mov_b32 s20, exec_lo
.LBB154_10:
	s_or_b32 exec_lo, exec_lo, s0
	s_and_b32 s20, s20, exec_lo
	s_or_b32 exec_lo, exec_lo, s22
	s_and_b32 vcc_lo, exec_lo, s21
	s_cbranch_vccnz .LBB154_13
	s_branch .LBB154_32
.LBB154_11:
                                        ; implicit-def: $vgpr2_vgpr3
                                        ; implicit-def: $vgpr8_vgpr9
	s_cbranch_execnz .LBB154_13
	s_branch .LBB154_32
.LBB154_12:
	s_or_b32 exec_lo, exec_lo, s22
	s_and_b32 vcc_lo, exec_lo, s21
	s_cbranch_vccz .LBB154_32
.LBB154_13:
	s_clause 0x4
	s_load_dwordx4 s[24:27], s[4:5], 0x38
	s_load_dwordx4 s[28:31], s[4:5], 0x20
	s_load_dword s21, s[4:5], 0x30
	s_load_dwordx2 s[22:23], s[4:5], 0x48
	s_load_dword s5, s[4:5], 0x50
	v_and_b32_e32 v5, 31, v10
	v_mov_b32_e32 v2, 0
	v_mov_b32_e32 v0, 0
	v_lshrrev_b32_e32 v8, 5, v10
	v_mov_b32_e32 v3, 0
	v_mov_b32_e32 v1, 0
	s_waitcnt lgkmcnt(0)
	s_mul_i32 s0, s25, s7
	s_mul_hi_u32 s25, s24, s7
	s_mul_i32 s24, s24, s7
	s_add_i32 s25, s25, s0
	s_mul_i32 s0, s9, s7
	s_lshl_b64 s[24:25], s[24:25], 4
	s_mul_hi_u32 s9, s8, s7
	s_add_u32 s33, s28, s24
	s_addc_u32 s29, s29, s25
	s_lshl_b64 s[24:25], s[30:31], 4
	s_mul_i32 s28, s8, s7
	s_add_u32 s7, s33, s24
	s_addc_u32 s8, s29, s25
	s_add_i32 s29, s9, s0
	s_lshl_b64 s[24:25], s[28:29], 4
	s_add_u32 s0, s26, s24
	s_addc_u32 s4, s27, s25
	s_lshl_b64 s[22:23], s[22:23], 4
	s_add_u32 s9, s0, s22
	s_addc_u32 s22, s4, s23
	s_ashr_i32 s0, s17, 31
	s_lshl_b32 s4, s6, 5
	s_lshr_b32 s0, s0, 28
	v_or_b32_e32 v9, s4, v5
	s_add_i32 s0, s17, s0
	s_mov_b32 s23, exec_lo
	s_and_b32 s6, s0, -16
	v_cmpx_gt_i32_e64 s6, v8
	s_cbranch_execz .LBB154_19
; %bb.14:
	v_mul_lo_u32 v0, s21, v8
	v_mov_b32_e32 v2, 0
	v_mov_b32_e32 v3, 0
	v_mul_lo_u32 v4, s5, v8
	s_lshl_b32 s24, s5, 4
	s_lshl_b32 s26, s21, 4
	s_mov_b32 s25, 0
	v_cmp_gt_i32_e32 vcc_lo, s16, v9
	v_add3_u32 v6, v0, s4, v5
	v_mov_b32_e32 v0, v2
	v_mov_b32_e32 v1, v3
	s_inst_prefetch 0x1
	s_branch .LBB154_16
	.p2align	6
.LBB154_15:                             ;   in Loop: Header=BB154_16 Depth=1
	s_or_b32 exec_lo, exec_lo, s27
	v_add_nc_u32_e32 v8, 16, v8
	v_add_nc_u32_e32 v4, s24, v4
	;; [unrolled: 1-line block ×3, first 2 shown]
	v_cmp_le_i32_e64 s0, s6, v8
	s_or_b32 s25, s0, s25
	s_andn2_b32 exec_lo, exec_lo, s25
	s_cbranch_execz .LBB154_18
.LBB154_16:                             ; =>This Inner Loop Header: Depth=1
	s_and_saveexec_b32 s27, vcc_lo
	s_cbranch_execz .LBB154_15
; %bb.17:                               ;   in Loop: Header=BB154_16 Depth=1
	v_ashrrev_i32_e32 v5, 31, v4
	v_ashrrev_i32_e32 v7, 31, v6
	v_lshlrev_b64 v[11:12], 4, v[4:5]
	v_lshlrev_b64 v[13:14], 4, v[6:7]
	v_add_co_u32 v11, s0, s9, v11
	v_add_co_ci_u32_e64 v12, null, s22, v12, s0
	v_add_co_u32 v15, s0, s7, v13
	v_add_co_ci_u32_e64 v16, null, s8, v14, s0
	global_load_dwordx4 v[11:14], v[11:12], off
	global_load_dwordx4 v[15:18], v[15:16], off
	s_waitcnt vmcnt(0)
	v_mul_f64 v[19:20], v[13:14], v[17:18]
	v_mul_f64 v[17:18], v[11:12], v[17:18]
	v_fma_f64 v[11:12], v[11:12], v[15:16], -v[19:20]
	v_fma_f64 v[13:14], v[13:14], v[15:16], v[17:18]
	v_add_f64 v[0:1], v[0:1], v[11:12]
	v_add_f64 v[2:3], v[2:3], v[13:14]
	s_branch .LBB154_15
.LBB154_18:
	s_inst_prefetch 0x2
	s_or_b32 exec_lo, exec_lo, s25
.LBB154_19:
	s_or_b32 exec_lo, exec_lo, s23
	s_sub_i32 s0, s17, s6
	s_cmp_lt_i32 s0, 1
	s_cbranch_scc1 .LBB154_25
; %bb.20:
	v_mov_b32_e32 v4, 0
	v_mov_b32_e32 v6, 0
	;; [unrolled: 1-line block ×4, first 2 shown]
	v_cmp_gt_i32_e32 vcc_lo, s17, v8
	s_and_saveexec_b32 s6, vcc_lo
	s_cbranch_execz .LBB154_22
; %bb.21:
	v_mul_lo_u32 v4, v8, s5
	v_ashrrev_i32_e32 v5, 31, v4
	v_lshlrev_b64 v[4:5], 4, v[4:5]
	v_add_co_u32 v4, s0, s9, v4
	v_add_co_ci_u32_e64 v5, null, s22, v5, s0
	global_load_dwordx4 v[4:7], v[4:5], off
.LBB154_22:
	s_or_b32 exec_lo, exec_lo, s6
	s_mov_b32 s5, exec_lo
	v_cmpx_gt_i32_e64 s16, v9
	s_cbranch_execz .LBB154_24
; %bb.23:
	v_mul_lo_u32 v8, v8, s21
	v_cndmask_b32_e32 v8, 0, v8, vcc_lo
	v_add_nc_u32_e32 v8, v8, v9
	v_ashrrev_i32_e32 v9, 31, v8
	v_lshlrev_b64 v[8:9], 4, v[8:9]
	v_add_co_u32 v8, vcc_lo, s7, v8
	v_add_co_ci_u32_e64 v9, null, s8, v9, vcc_lo
	global_load_dwordx4 v[11:14], v[8:9], off
	s_waitcnt vmcnt(0)
	v_mul_f64 v[8:9], v[6:7], v[13:14]
	v_mul_f64 v[13:14], v[4:5], v[13:14]
	v_fma_f64 v[4:5], v[4:5], v[11:12], -v[8:9]
	v_fma_f64 v[6:7], v[6:7], v[11:12], v[13:14]
	v_add_f64 v[0:1], v[0:1], v[4:5]
	v_add_f64 v[2:3], v[2:3], v[6:7]
.LBB154_24:
	s_or_b32 exec_lo, exec_lo, s5
.LBB154_25:
	v_lshlrev_b32_e32 v11, 4, v10
	s_mov_b32 s0, exec_lo
                                        ; implicit-def: $vgpr8_vgpr9
	ds_write_b128 v11, v[0:3]
	s_waitcnt vmcnt(0) lgkmcnt(0)
	s_barrier
	buffer_gl0_inv
                                        ; implicit-def: $vgpr2_vgpr3
	v_cmpx_gt_u32_e32 32, v10
	s_cbranch_execz .LBB154_31
; %bb.26:
	ds_read_b128 v[0:3], v11
	ds_read_b128 v[4:7], v11 offset:512
	v_or_b32_e32 v10, s4, v10
	s_mov_b32 s5, s20
	s_mov_b32 s4, exec_lo
	s_waitcnt lgkmcnt(0)
	v_add_f64 v[8:9], v[0:1], v[4:5]
	v_add_f64 v[12:13], v[2:3], v[6:7]
	ds_read_b128 v[0:3], v11 offset:1024
	ds_read_b128 v[4:7], v11 offset:1536
	s_waitcnt lgkmcnt(1)
	v_add_f64 v[0:1], v[8:9], v[0:1]
	v_add_f64 v[2:3], v[12:13], v[2:3]
	s_waitcnt lgkmcnt(0)
	v_add_f64 v[8:9], v[0:1], v[4:5]
	v_add_f64 v[12:13], v[2:3], v[6:7]
	ds_read_b128 v[0:3], v11 offset:2048
	ds_read_b128 v[4:7], v11 offset:2560
	s_waitcnt lgkmcnt(1)
	v_add_f64 v[0:1], v[8:9], v[0:1]
	v_add_f64 v[2:3], v[12:13], v[2:3]
	;; [unrolled: 8-line block ×7, first 2 shown]
                                        ; implicit-def: $vgpr8_vgpr9
	s_waitcnt lgkmcnt(0)
	v_add_f64 v[4:5], v[0:1], v[4:5]
	v_add_f64 v[6:7], v[2:3], v[6:7]
                                        ; implicit-def: $vgpr2_vgpr3
	ds_write_b128 v11, v[4:7]
	v_cmpx_gt_i32_e64 s16, v10
	s_cbranch_execz .LBB154_30
; %bb.27:
	v_mul_f64 v[0:1], s[14:15], v[6:7]
	v_mul_f64 v[2:3], s[12:13], v[6:7]
	v_cmp_neq_f64_e64 s5, s[10:11], 0
	v_cmp_neq_f64_e64 s6, s[2:3], 0
	v_mul_lo_u32 v8, v10, s19
	v_ashrrev_i32_e32 v9, 31, v8
	v_fma_f64 v[0:1], s[12:13], v[4:5], -v[0:1]
	v_fma_f64 v[2:3], s[14:15], v[4:5], v[2:3]
	s_or_b32 s5, s5, s6
	s_andn2_b32 vcc_lo, exec_lo, s5
	s_cbranch_vccnz .LBB154_29
; %bb.28:
	v_lshlrev_b64 v[4:5], 4, v[8:9]
	v_add_co_u32 v4, vcc_lo, s1, v4
	v_add_co_ci_u32_e64 v5, null, s18, v5, vcc_lo
	global_load_dwordx4 v[4:7], v[4:5], off
	s_waitcnt vmcnt(0)
	v_mul_f64 v[10:11], s[2:3], v[6:7]
	v_mul_f64 v[6:7], s[10:11], v[6:7]
	v_fma_f64 v[10:11], s[10:11], v[4:5], -v[10:11]
	v_fma_f64 v[4:5], s[2:3], v[4:5], v[6:7]
	v_add_f64 v[0:1], v[0:1], v[10:11]
	v_add_f64 v[2:3], v[2:3], v[4:5]
.LBB154_29:
	s_or_b32 s5, s20, exec_lo
.LBB154_30:
	s_or_b32 exec_lo, exec_lo, s4
	s_andn2_b32 s2, s20, exec_lo
	s_and_b32 s3, s5, exec_lo
	s_or_b32 s20, s2, s3
.LBB154_31:
	s_or_b32 exec_lo, exec_lo, s0
.LBB154_32:
	s_and_saveexec_b32 s0, s20
	s_cbranch_execz .LBB154_34
; %bb.33:
	v_lshlrev_b64 v[4:5], 4, v[8:9]
	v_add_co_u32 v4, vcc_lo, s1, v4
	v_add_co_ci_u32_e64 v5, null, s18, v5, vcc_lo
	global_store_dwordx4 v[4:5], v[0:3], off
.LBB154_34:
	s_endpgm
	.section	.rodata,"a",@progbits
	.p2align	6, 0x0
	.amdhsa_kernel _ZL20rocblas_gemvn_kernelILi32ELi16Ei19rocblas_complex_numIdES1_S1_EviiT3_lPKT2_lT1_lS5_lS6_lS2_lPT4_lS6_li
		.amdhsa_group_segment_fixed_size 8192
		.amdhsa_private_segment_fixed_size 0
		.amdhsa_kernarg_size 416
		.amdhsa_user_sgpr_count 6
		.amdhsa_user_sgpr_private_segment_buffer 1
		.amdhsa_user_sgpr_dispatch_ptr 0
		.amdhsa_user_sgpr_queue_ptr 0
		.amdhsa_user_sgpr_kernarg_segment_ptr 1
		.amdhsa_user_sgpr_dispatch_id 0
		.amdhsa_user_sgpr_flat_scratch_init 0
		.amdhsa_user_sgpr_private_segment_size 0
		.amdhsa_wavefront_size32 1
		.amdhsa_uses_dynamic_stack 0
		.amdhsa_system_sgpr_private_segment_wavefront_offset 0
		.amdhsa_system_sgpr_workgroup_id_x 1
		.amdhsa_system_sgpr_workgroup_id_y 0
		.amdhsa_system_sgpr_workgroup_id_z 1
		.amdhsa_system_sgpr_workgroup_info 0
		.amdhsa_system_vgpr_workitem_id 1
		.amdhsa_next_free_vgpr 21
		.amdhsa_next_free_sgpr 34
		.amdhsa_reserve_vcc 1
		.amdhsa_reserve_flat_scratch 0
		.amdhsa_float_round_mode_32 0
		.amdhsa_float_round_mode_16_64 0
		.amdhsa_float_denorm_mode_32 3
		.amdhsa_float_denorm_mode_16_64 3
		.amdhsa_dx10_clamp 1
		.amdhsa_ieee_mode 1
		.amdhsa_fp16_overflow 0
		.amdhsa_workgroup_processor_mode 1
		.amdhsa_memory_ordered 1
		.amdhsa_forward_progress 1
		.amdhsa_shared_vgpr_count 0
		.amdhsa_exception_fp_ieee_invalid_op 0
		.amdhsa_exception_fp_denorm_src 0
		.amdhsa_exception_fp_ieee_div_zero 0
		.amdhsa_exception_fp_ieee_overflow 0
		.amdhsa_exception_fp_ieee_underflow 0
		.amdhsa_exception_fp_ieee_inexact 0
		.amdhsa_exception_int_div_zero 0
	.end_amdhsa_kernel
	.section	.text._ZL20rocblas_gemvn_kernelILi32ELi16Ei19rocblas_complex_numIdES1_S1_EviiT3_lPKT2_lT1_lS5_lS6_lS2_lPT4_lS6_li,"axG",@progbits,_ZL20rocblas_gemvn_kernelILi32ELi16Ei19rocblas_complex_numIdES1_S1_EviiT3_lPKT2_lT1_lS5_lS6_lS2_lPT4_lS6_li,comdat
.Lfunc_end154:
	.size	_ZL20rocblas_gemvn_kernelILi32ELi16Ei19rocblas_complex_numIdES1_S1_EviiT3_lPKT2_lT1_lS5_lS6_lS2_lPT4_lS6_li, .Lfunc_end154-_ZL20rocblas_gemvn_kernelILi32ELi16Ei19rocblas_complex_numIdES1_S1_EviiT3_lPKT2_lT1_lS5_lS6_lS2_lPT4_lS6_li
                                        ; -- End function
	.set _ZL20rocblas_gemvn_kernelILi32ELi16Ei19rocblas_complex_numIdES1_S1_EviiT3_lPKT2_lT1_lS5_lS6_lS2_lPT4_lS6_li.num_vgpr, 21
	.set _ZL20rocblas_gemvn_kernelILi32ELi16Ei19rocblas_complex_numIdES1_S1_EviiT3_lPKT2_lT1_lS5_lS6_lS2_lPT4_lS6_li.num_agpr, 0
	.set _ZL20rocblas_gemvn_kernelILi32ELi16Ei19rocblas_complex_numIdES1_S1_EviiT3_lPKT2_lT1_lS5_lS6_lS2_lPT4_lS6_li.numbered_sgpr, 34
	.set _ZL20rocblas_gemvn_kernelILi32ELi16Ei19rocblas_complex_numIdES1_S1_EviiT3_lPKT2_lT1_lS5_lS6_lS2_lPT4_lS6_li.num_named_barrier, 0
	.set _ZL20rocblas_gemvn_kernelILi32ELi16Ei19rocblas_complex_numIdES1_S1_EviiT3_lPKT2_lT1_lS5_lS6_lS2_lPT4_lS6_li.private_seg_size, 0
	.set _ZL20rocblas_gemvn_kernelILi32ELi16Ei19rocblas_complex_numIdES1_S1_EviiT3_lPKT2_lT1_lS5_lS6_lS2_lPT4_lS6_li.uses_vcc, 1
	.set _ZL20rocblas_gemvn_kernelILi32ELi16Ei19rocblas_complex_numIdES1_S1_EviiT3_lPKT2_lT1_lS5_lS6_lS2_lPT4_lS6_li.uses_flat_scratch, 0
	.set _ZL20rocblas_gemvn_kernelILi32ELi16Ei19rocblas_complex_numIdES1_S1_EviiT3_lPKT2_lT1_lS5_lS6_lS2_lPT4_lS6_li.has_dyn_sized_stack, 0
	.set _ZL20rocblas_gemvn_kernelILi32ELi16Ei19rocblas_complex_numIdES1_S1_EviiT3_lPKT2_lT1_lS5_lS6_lS2_lPT4_lS6_li.has_recursion, 0
	.set _ZL20rocblas_gemvn_kernelILi32ELi16Ei19rocblas_complex_numIdES1_S1_EviiT3_lPKT2_lT1_lS5_lS6_lS2_lPT4_lS6_li.has_indirect_call, 0
	.section	.AMDGPU.csdata,"",@progbits
; Kernel info:
; codeLenInByte = 1888
; TotalNumSgprs: 36
; NumVgprs: 21
; ScratchSize: 0
; MemoryBound: 1
; FloatMode: 240
; IeeeMode: 1
; LDSByteSize: 8192 bytes/workgroup (compile time only)
; SGPRBlocks: 0
; VGPRBlocks: 2
; NumSGPRsForWavesPerEU: 36
; NumVGPRsForWavesPerEU: 21
; Occupancy: 16
; WaveLimiterHint : 1
; COMPUTE_PGM_RSRC2:SCRATCH_EN: 0
; COMPUTE_PGM_RSRC2:USER_SGPR: 6
; COMPUTE_PGM_RSRC2:TRAP_HANDLER: 0
; COMPUTE_PGM_RSRC2:TGID_X_EN: 1
; COMPUTE_PGM_RSRC2:TGID_Y_EN: 0
; COMPUTE_PGM_RSRC2:TGID_Z_EN: 1
; COMPUTE_PGM_RSRC2:TIDIG_COMP_CNT: 1
	.section	.text._ZL20rocblas_gemvn_kernelILi32ELi16El19rocblas_complex_numIdES1_S1_EviiT3_lPKT2_lT1_lS5_lS6_lS2_lPT4_lS6_li,"axG",@progbits,_ZL20rocblas_gemvn_kernelILi32ELi16El19rocblas_complex_numIdES1_S1_EviiT3_lPKT2_lT1_lS5_lS6_lS2_lPT4_lS6_li,comdat
	.globl	_ZL20rocblas_gemvn_kernelILi32ELi16El19rocblas_complex_numIdES1_S1_EviiT3_lPKT2_lT1_lS5_lS6_lS2_lPT4_lS6_li ; -- Begin function _ZL20rocblas_gemvn_kernelILi32ELi16El19rocblas_complex_numIdES1_S1_EviiT3_lPKT2_lT1_lS5_lS6_lS2_lPT4_lS6_li
	.p2align	8
	.type	_ZL20rocblas_gemvn_kernelILi32ELi16El19rocblas_complex_numIdES1_S1_EviiT3_lPKT2_lT1_lS5_lS6_lS2_lPT4_lS6_li,@function
_ZL20rocblas_gemvn_kernelILi32ELi16El19rocblas_complex_numIdES1_S1_EviiT3_lPKT2_lT1_lS5_lS6_lS2_lPT4_lS6_li: ; @_ZL20rocblas_gemvn_kernelILi32ELi16El19rocblas_complex_numIdES1_S1_EviiT3_lPKT2_lT1_lS5_lS6_lS2_lPT4_lS6_li
; %bb.0:
	s_load_dwordx2 s[0:1], s[4:5], 0xac
	s_waitcnt lgkmcnt(0)
	s_lshr_b32 s2, s0, 16
	s_and_b32 s0, s0, 0xffff
	s_and_b32 s1, s1, 0xffff
	s_mul_i32 s2, s2, s0
	s_mul_i32 s2, s2, s1
	s_cmpk_lg_i32 s2, 0x200
	s_cbranch_scc1 .LBB155_34
; %bb.1:
	s_clause 0x1
	s_load_dwordx4 s[36:39], s[4:5], 0x8
	s_load_dwordx4 s[28:31], s[4:5], 0x60
	s_waitcnt lgkmcnt(0)
	v_cmp_neq_f64_e64 s1, s[36:37], 0
	v_cmp_neq_f64_e64 s2, s[38:39], 0
	s_or_b32 s1, s1, s2
	s_mov_b32 s2, -1
	s_and_b32 vcc_lo, exec_lo, s1
	s_cbranch_vccnz .LBB155_3
; %bb.2:
	v_cmp_neq_f64_e64 s2, s[28:29], 1.0
	v_cmp_neq_f64_e64 s3, s[30:31], 0
	s_or_b32 s2, s2, s3
.LBB155_3:
	s_andn2_b32 vcc_lo, exec_lo, s2
	s_cbranch_vccnz .LBB155_34
; %bb.4:
	s_clause 0x1
	s_load_dwordx8 s[20:27], s[4:5], 0x78
	s_load_dwordx2 s[2:3], s[4:5], 0x0
	s_xor_b32 s10, s1, -1
	v_mad_u32_u24 v10, v1, s0, v0
	s_mov_b32 s33, 0
	s_waitcnt lgkmcnt(0)
	s_mul_i32 s1, s27, s7
	s_mul_hi_u32 s9, s26, s7
	s_mul_i32 s8, s26, s7
	s_add_i32 s9, s9, s1
	s_lshl_b64 s[0:1], s[8:9], 4
	s_add_u32 s11, s20, s0
	s_addc_u32 s1, s21, s1
	s_lshl_b64 s[8:9], s[22:23], 4
	v_cmp_gt_u32_e64 s0, 32, v10
	s_add_u32 s26, s11, s8
	s_addc_u32 s27, s1, s9
	s_andn2_b32 vcc_lo, exec_lo, s10
	s_cbranch_vccnz .LBB155_11
; %bb.5:
	s_mov_b32 s1, 0
                                        ; implicit-def: $vgpr2_vgpr3
                                        ; implicit-def: $vgpr8_vgpr9
	s_and_saveexec_b32 s8, s0
	s_cbranch_execz .LBB155_12
; %bb.6:
	v_lshl_or_b32 v0, s6, 5, v10
	v_mov_b32_e32 v1, 0
	s_ashr_i32 s11, s2, 31
	s_mov_b32 s10, s2
	s_mov_b32 s9, 0
                                        ; implicit-def: $vgpr8_vgpr9
	v_cmp_gt_i64_e32 vcc_lo, s[10:11], v[0:1]
                                        ; implicit-def: $vgpr2_vgpr3
	s_and_saveexec_b32 s0, vcc_lo
	s_cbranch_execz .LBB155_10
; %bb.7:
	v_cmp_neq_f64_e64 s9, s[28:29], 0
	v_cmp_neq_f64_e64 s10, s[30:31], 0
	v_mad_u64_u32 v[8:9], null, s24, v0, 0
	v_mov_b32_e32 v1, v9
	v_mad_u64_u32 v[4:5], null, s25, v0, v[1:2]
	v_mov_b32_e32 v2, 0
	v_mov_b32_e32 v0, 0
	;; [unrolled: 1-line block ×5, first 2 shown]
	s_or_b32 s9, s9, s10
	s_andn2_b32 vcc_lo, exec_lo, s9
	s_cbranch_vccnz .LBB155_9
; %bb.8:
	v_lshlrev_b64 v[0:1], 4, v[8:9]
	v_add_co_u32 v0, vcc_lo, s26, v0
	v_add_co_ci_u32_e64 v1, null, s27, v1, vcc_lo
	global_load_dwordx4 v[2:5], v[0:1], off
	s_waitcnt vmcnt(0)
	v_mul_f64 v[0:1], s[30:31], v[4:5]
	v_mul_f64 v[4:5], s[28:29], v[4:5]
	v_fma_f64 v[0:1], s[28:29], v[2:3], -v[0:1]
	v_fma_f64 v[2:3], s[30:31], v[2:3], v[4:5]
.LBB155_9:
	s_mov_b32 s9, exec_lo
.LBB155_10:
	s_or_b32 exec_lo, exec_lo, s0
	s_and_b32 s33, s9, exec_lo
	s_or_b32 exec_lo, exec_lo, s8
	s_and_b32 vcc_lo, exec_lo, s1
	s_cbranch_vccnz .LBB155_13
	s_branch .LBB155_32
.LBB155_11:
                                        ; implicit-def: $vgpr2_vgpr3
                                        ; implicit-def: $vgpr8_vgpr9
	s_cbranch_execnz .LBB155_13
	s_branch .LBB155_32
.LBB155_12:
	s_or_b32 exec_lo, exec_lo, s8
	s_and_b32 vcc_lo, exec_lo, s1
	s_cbranch_vccz .LBB155_32
.LBB155_13:
	s_load_dwordx16 s[8:23], s[4:5], 0x20
	v_and_b32_e32 v4, 31, v10
	s_ashr_i32 s0, s3, 31
	s_lshl_b32 s34, s6, 5
	s_lshr_b32 s0, s0, 28
	v_mov_b32_e32 v2, 0
	s_add_i32 s0, s3, s0
	v_mov_b32_e32 v0, 0
	v_lshrrev_b32_e32 v9, 5, v10
	v_mov_b32_e32 v3, 0
	v_mov_b32_e32 v1, 0
	v_or_b32_e32 v8, s34, v4
	s_and_b32 s35, s0, -16
	s_mov_b32 s40, exec_lo
	s_waitcnt lgkmcnt(0)
	s_mul_i32 s0, s15, s7
	s_mul_hi_u32 s1, s14, s7
	s_mul_i32 s4, s14, s7
	s_mul_i32 s6, s23, s7
	s_mul_hi_u32 s14, s22, s7
	s_add_i32 s5, s1, s0
	s_add_i32 s15, s14, s6
	s_mul_i32 s14, s22, s7
	v_cmpx_gt_i32_e64 s35, v9
	s_cbranch_execz .LBB155_19
; %bb.14:
	v_lshrrev_b32_e32 v7, 5, v10
	v_add_nc_u32_e32 v11, s34, v4
	s_lshl_b64 s[6:7], s[18:19], 4
	s_lshl_b64 s[0:1], s[14:15], 4
	s_add_u32 s6, s16, s6
	v_mad_u64_u32 v[0:1], null, s12, v7, 0
	v_mad_u64_u32 v[5:6], null, s20, v7, 0
	s_addc_u32 s7, s17, s7
	v_ashrrev_i32_e32 v12, 31, v11
	s_add_u32 s41, s6, s0
	s_addc_u32 s42, s7, s1
	v_mad_u64_u32 v[1:2], null, s13, v7, v[1:2]
	v_mov_b32_e32 v4, v6
	s_lshl_b64 s[0:1], s[4:5], 4
	s_lshl_b64 s[22:23], s[10:11], 4
	;; [unrolled: 1-line block ×3, first 2 shown]
	s_add_u32 s0, s22, s0
	v_mad_u64_u32 v[6:7], null, s21, v7, v[4:5]
	v_lshlrev_b64 v[0:1], 4, v[0:1]
	v_lshlrev_b64 v[11:12], 4, v[11:12]
	s_addc_u32 s1, s23, s1
	v_mov_b32_e32 v2, 0
	v_mov_b32_e32 v3, 0
	s_lshl_b64 s[22:23], s[12:13], 8
	v_add_co_u32 v4, s0, s0, v0
	v_add_co_ci_u32_e64 v7, null, s1, v1, s0
	v_lshlrev_b64 v[0:1], 4, v[5:6]
	v_add_co_u32 v4, s0, v4, v11
	v_add_co_ci_u32_e64 v5, null, v7, v12, s0
	v_cmp_gt_i32_e32 vcc_lo, s2, v8
	v_add_co_u32 v0, s0, s41, v0
	v_add_co_ci_u32_e64 v1, null, s42, v1, s0
	v_add_co_u32 v6, s0, s8, v4
	v_add_co_ci_u32_e64 v7, null, s9, v5, s0
	;; [unrolled: 2-line block ×3, first 2 shown]
	v_add_co_u32 v6, s0, v6, 8
	v_mov_b32_e32 v0, v2
	v_add_co_ci_u32_e64 v7, null, 0, v7, s0
	v_mov_b32_e32 v1, v3
	s_mov_b32 s41, 0
	s_inst_prefetch 0x1
	s_branch .LBB155_16
	.p2align	6
.LBB155_15:                             ;   in Loop: Header=BB155_16 Depth=1
	s_or_b32 exec_lo, exec_lo, s0
	v_add_nc_u32_e32 v9, 16, v9
	v_add_co_u32 v4, s0, v4, s6
	v_add_co_ci_u32_e64 v5, null, s7, v5, s0
	v_cmp_le_i32_e64 s0, s35, v9
	v_add_co_u32 v6, s1, v6, s22
	v_add_co_ci_u32_e64 v7, null, s23, v7, s1
	s_or_b32 s41, s0, s41
	s_andn2_b32 exec_lo, exec_lo, s41
	s_cbranch_execz .LBB155_18
.LBB155_16:                             ; =>This Inner Loop Header: Depth=1
	s_and_saveexec_b32 s0, vcc_lo
	s_cbranch_execz .LBB155_15
; %bb.17:                               ;   in Loop: Header=BB155_16 Depth=1
	global_load_dwordx4 v[11:14], v[4:5], off offset:-8
	global_load_dwordx4 v[15:18], v[6:7], off offset:-8
	s_waitcnt vmcnt(0)
	v_mul_f64 v[19:20], v[13:14], v[17:18]
	v_mul_f64 v[17:18], v[11:12], v[17:18]
	v_fma_f64 v[11:12], v[11:12], v[15:16], -v[19:20]
	v_fma_f64 v[13:14], v[13:14], v[15:16], v[17:18]
	v_add_f64 v[0:1], v[0:1], v[11:12]
	v_add_f64 v[2:3], v[2:3], v[13:14]
	s_branch .LBB155_15
.LBB155_18:
	s_inst_prefetch 0x2
	s_or_b32 exec_lo, exec_lo, s41
.LBB155_19:
	s_or_b32 exec_lo, exec_lo, s40
	s_sub_i32 s0, s3, s35
	s_cmp_lt_i32 s0, 1
	s_cbranch_scc1 .LBB155_25
; %bb.20:
	v_mov_b32_e32 v4, 0
	v_mov_b32_e32 v6, 0
	;; [unrolled: 1-line block ×4, first 2 shown]
	v_cmp_gt_i32_e32 vcc_lo, s3, v9
	s_and_saveexec_b32 s1, vcc_lo
	s_cbranch_execz .LBB155_22
; %bb.21:
	v_mad_u64_u32 v[4:5], null, s20, v9, 0
	s_lshl_b64 s[6:7], s[14:15], 4
	s_add_u32 s0, s16, s6
	s_addc_u32 s3, s17, s7
	s_lshl_b64 s[6:7], s[18:19], 4
	s_add_u32 s0, s0, s6
	v_mad_u64_u32 v[5:6], null, s21, v9, v[5:6]
	s_addc_u32 s3, s3, s7
	v_lshlrev_b64 v[4:5], 4, v[4:5]
	v_add_co_u32 v4, s0, s0, v4
	v_add_co_ci_u32_e64 v5, null, s3, v5, s0
	global_load_dwordx4 v[4:7], v[4:5], off
.LBB155_22:
	s_or_b32 exec_lo, exec_lo, s1
	s_mov_b32 s1, exec_lo
	v_cmpx_gt_i32_e64 s2, v8
	s_cbranch_execz .LBB155_24
; %bb.23:
	v_mad_u64_u32 v[11:12], null, s12, v9, 0
	s_lshl_b64 s[4:5], s[4:5], 4
	s_add_u32 s0, s8, s4
	s_addc_u32 s3, s9, s5
	s_lshl_b64 s[4:5], s[10:11], 4
	s_add_u32 s0, s0, s4
	v_mad_u64_u32 v[12:13], null, s13, v9, v[12:13]
	v_cndmask_b32_e32 v11, 0, v11, vcc_lo
	v_ashrrev_i32_e32 v9, 31, v8
	s_addc_u32 s3, s3, s5
	v_lshlrev_b64 v[8:9], 4, v[8:9]
	v_cndmask_b32_e32 v12, 0, v12, vcc_lo
	v_lshlrev_b64 v[11:12], 4, v[11:12]
	v_add_co_u32 v11, vcc_lo, s0, v11
	v_add_co_ci_u32_e64 v12, null, s3, v12, vcc_lo
	v_add_co_u32 v8, vcc_lo, v11, v8
	v_add_co_ci_u32_e64 v9, null, v12, v9, vcc_lo
	global_load_dwordx4 v[11:14], v[8:9], off
	s_waitcnt vmcnt(0)
	v_mul_f64 v[8:9], v[6:7], v[13:14]
	v_mul_f64 v[13:14], v[4:5], v[13:14]
	v_fma_f64 v[4:5], v[4:5], v[11:12], -v[8:9]
	v_fma_f64 v[6:7], v[6:7], v[11:12], v[13:14]
	v_add_f64 v[0:1], v[0:1], v[4:5]
	v_add_f64 v[2:3], v[2:3], v[6:7]
.LBB155_24:
	s_or_b32 exec_lo, exec_lo, s1
.LBB155_25:
	v_lshlrev_b32_e32 v11, 4, v10
	s_mov_b32 s0, exec_lo
                                        ; implicit-def: $vgpr8_vgpr9
	ds_write_b128 v11, v[0:3]
	s_waitcnt vmcnt(0) lgkmcnt(0)
	s_barrier
	buffer_gl0_inv
                                        ; implicit-def: $vgpr2_vgpr3
	v_cmpx_gt_u32_e32 32, v10
	s_cbranch_execz .LBB155_31
; %bb.26:
	ds_read_b128 v[0:3], v11
	ds_read_b128 v[4:7], v11 offset:512
	v_or_b32_e32 v10, s34, v10
	v_cmp_gt_i32_e32 vcc_lo, s2, v10
	s_mov_b32 s2, s33
	s_waitcnt lgkmcnt(0)
	v_add_f64 v[8:9], v[0:1], v[4:5]
	v_add_f64 v[12:13], v[2:3], v[6:7]
	ds_read_b128 v[0:3], v11 offset:1024
	ds_read_b128 v[4:7], v11 offset:1536
	s_waitcnt lgkmcnt(1)
	v_add_f64 v[0:1], v[8:9], v[0:1]
	v_add_f64 v[2:3], v[12:13], v[2:3]
	s_waitcnt lgkmcnt(0)
	v_add_f64 v[8:9], v[0:1], v[4:5]
	v_add_f64 v[12:13], v[2:3], v[6:7]
	ds_read_b128 v[0:3], v11 offset:2048
	ds_read_b128 v[4:7], v11 offset:2560
	s_waitcnt lgkmcnt(1)
	v_add_f64 v[0:1], v[8:9], v[0:1]
	v_add_f64 v[2:3], v[12:13], v[2:3]
	;; [unrolled: 8-line block ×7, first 2 shown]
                                        ; implicit-def: $vgpr8_vgpr9
	s_waitcnt lgkmcnt(0)
	v_add_f64 v[4:5], v[0:1], v[4:5]
	v_add_f64 v[6:7], v[2:3], v[6:7]
                                        ; implicit-def: $vgpr2_vgpr3
	ds_write_b128 v11, v[4:7]
	s_and_saveexec_b32 s1, vcc_lo
	s_cbranch_execz .LBB155_30
; %bb.27:
	v_mul_f64 v[0:1], s[38:39], v[6:7]
	v_mul_f64 v[2:3], s[36:37], v[6:7]
	v_cmp_neq_f64_e64 s2, s[28:29], 0
	v_cmp_neq_f64_e64 s3, s[30:31], 0
	v_mad_u64_u32 v[8:9], null, s24, v10, 0
	v_fma_f64 v[0:1], s[36:37], v[4:5], -v[0:1]
	v_fma_f64 v[2:3], s[38:39], v[4:5], v[2:3]
	v_ashrrev_i32_e32 v4, 31, v10
	v_mul_lo_u32 v5, s25, v10
	s_or_b32 s2, s2, s3
	s_andn2_b32 vcc_lo, exec_lo, s2
	v_mul_lo_u32 v4, s24, v4
	v_add3_u32 v9, v9, v4, v5
	s_cbranch_vccnz .LBB155_29
; %bb.28:
	v_lshlrev_b64 v[4:5], 4, v[8:9]
	v_add_co_u32 v4, vcc_lo, s26, v4
	v_add_co_ci_u32_e64 v5, null, s27, v5, vcc_lo
	global_load_dwordx4 v[4:7], v[4:5], off
	s_waitcnt vmcnt(0)
	v_mul_f64 v[10:11], s[30:31], v[6:7]
	v_mul_f64 v[6:7], s[28:29], v[6:7]
	v_fma_f64 v[10:11], s[28:29], v[4:5], -v[10:11]
	v_fma_f64 v[4:5], s[30:31], v[4:5], v[6:7]
	v_add_f64 v[0:1], v[0:1], v[10:11]
	v_add_f64 v[2:3], v[2:3], v[4:5]
.LBB155_29:
	s_or_b32 s2, s33, exec_lo
.LBB155_30:
	s_or_b32 exec_lo, exec_lo, s1
	s_andn2_b32 s1, s33, exec_lo
	s_and_b32 s2, s2, exec_lo
	s_or_b32 s33, s1, s2
.LBB155_31:
	s_or_b32 exec_lo, exec_lo, s0
.LBB155_32:
	s_and_saveexec_b32 s0, s33
	s_cbranch_execz .LBB155_34
; %bb.33:
	v_lshlrev_b64 v[4:5], 4, v[8:9]
	v_add_co_u32 v4, vcc_lo, s26, v4
	v_add_co_ci_u32_e64 v5, null, s27, v5, vcc_lo
	global_store_dwordx4 v[4:5], v[0:3], off
.LBB155_34:
	s_endpgm
	.section	.rodata,"a",@progbits
	.p2align	6, 0x0
	.amdhsa_kernel _ZL20rocblas_gemvn_kernelILi32ELi16El19rocblas_complex_numIdES1_S1_EviiT3_lPKT2_lT1_lS5_lS6_lS2_lPT4_lS6_li
		.amdhsa_group_segment_fixed_size 8192
		.amdhsa_private_segment_fixed_size 0
		.amdhsa_kernarg_size 416
		.amdhsa_user_sgpr_count 6
		.amdhsa_user_sgpr_private_segment_buffer 1
		.amdhsa_user_sgpr_dispatch_ptr 0
		.amdhsa_user_sgpr_queue_ptr 0
		.amdhsa_user_sgpr_kernarg_segment_ptr 1
		.amdhsa_user_sgpr_dispatch_id 0
		.amdhsa_user_sgpr_flat_scratch_init 0
		.amdhsa_user_sgpr_private_segment_size 0
		.amdhsa_wavefront_size32 1
		.amdhsa_uses_dynamic_stack 0
		.amdhsa_system_sgpr_private_segment_wavefront_offset 0
		.amdhsa_system_sgpr_workgroup_id_x 1
		.amdhsa_system_sgpr_workgroup_id_y 0
		.amdhsa_system_sgpr_workgroup_id_z 1
		.amdhsa_system_sgpr_workgroup_info 0
		.amdhsa_system_vgpr_workitem_id 1
		.amdhsa_next_free_vgpr 21
		.amdhsa_next_free_sgpr 43
		.amdhsa_reserve_vcc 1
		.amdhsa_reserve_flat_scratch 0
		.amdhsa_float_round_mode_32 0
		.amdhsa_float_round_mode_16_64 0
		.amdhsa_float_denorm_mode_32 3
		.amdhsa_float_denorm_mode_16_64 3
		.amdhsa_dx10_clamp 1
		.amdhsa_ieee_mode 1
		.amdhsa_fp16_overflow 0
		.amdhsa_workgroup_processor_mode 1
		.amdhsa_memory_ordered 1
		.amdhsa_forward_progress 1
		.amdhsa_shared_vgpr_count 0
		.amdhsa_exception_fp_ieee_invalid_op 0
		.amdhsa_exception_fp_denorm_src 0
		.amdhsa_exception_fp_ieee_div_zero 0
		.amdhsa_exception_fp_ieee_overflow 0
		.amdhsa_exception_fp_ieee_underflow 0
		.amdhsa_exception_fp_ieee_inexact 0
		.amdhsa_exception_int_div_zero 0
	.end_amdhsa_kernel
	.section	.text._ZL20rocblas_gemvn_kernelILi32ELi16El19rocblas_complex_numIdES1_S1_EviiT3_lPKT2_lT1_lS5_lS6_lS2_lPT4_lS6_li,"axG",@progbits,_ZL20rocblas_gemvn_kernelILi32ELi16El19rocblas_complex_numIdES1_S1_EviiT3_lPKT2_lT1_lS5_lS6_lS2_lPT4_lS6_li,comdat
.Lfunc_end155:
	.size	_ZL20rocblas_gemvn_kernelILi32ELi16El19rocblas_complex_numIdES1_S1_EviiT3_lPKT2_lT1_lS5_lS6_lS2_lPT4_lS6_li, .Lfunc_end155-_ZL20rocblas_gemvn_kernelILi32ELi16El19rocblas_complex_numIdES1_S1_EviiT3_lPKT2_lT1_lS5_lS6_lS2_lPT4_lS6_li
                                        ; -- End function
	.set _ZL20rocblas_gemvn_kernelILi32ELi16El19rocblas_complex_numIdES1_S1_EviiT3_lPKT2_lT1_lS5_lS6_lS2_lPT4_lS6_li.num_vgpr, 21
	.set _ZL20rocblas_gemvn_kernelILi32ELi16El19rocblas_complex_numIdES1_S1_EviiT3_lPKT2_lT1_lS5_lS6_lS2_lPT4_lS6_li.num_agpr, 0
	.set _ZL20rocblas_gemvn_kernelILi32ELi16El19rocblas_complex_numIdES1_S1_EviiT3_lPKT2_lT1_lS5_lS6_lS2_lPT4_lS6_li.numbered_sgpr, 43
	.set _ZL20rocblas_gemvn_kernelILi32ELi16El19rocblas_complex_numIdES1_S1_EviiT3_lPKT2_lT1_lS5_lS6_lS2_lPT4_lS6_li.num_named_barrier, 0
	.set _ZL20rocblas_gemvn_kernelILi32ELi16El19rocblas_complex_numIdES1_S1_EviiT3_lPKT2_lT1_lS5_lS6_lS2_lPT4_lS6_li.private_seg_size, 0
	.set _ZL20rocblas_gemvn_kernelILi32ELi16El19rocblas_complex_numIdES1_S1_EviiT3_lPKT2_lT1_lS5_lS6_lS2_lPT4_lS6_li.uses_vcc, 1
	.set _ZL20rocblas_gemvn_kernelILi32ELi16El19rocblas_complex_numIdES1_S1_EviiT3_lPKT2_lT1_lS5_lS6_lS2_lPT4_lS6_li.uses_flat_scratch, 0
	.set _ZL20rocblas_gemvn_kernelILi32ELi16El19rocblas_complex_numIdES1_S1_EviiT3_lPKT2_lT1_lS5_lS6_lS2_lPT4_lS6_li.has_dyn_sized_stack, 0
	.set _ZL20rocblas_gemvn_kernelILi32ELi16El19rocblas_complex_numIdES1_S1_EviiT3_lPKT2_lT1_lS5_lS6_lS2_lPT4_lS6_li.has_recursion, 0
	.set _ZL20rocblas_gemvn_kernelILi32ELi16El19rocblas_complex_numIdES1_S1_EviiT3_lPKT2_lT1_lS5_lS6_lS2_lPT4_lS6_li.has_indirect_call, 0
	.section	.AMDGPU.csdata,"",@progbits
; Kernel info:
; codeLenInByte = 2024
; TotalNumSgprs: 45
; NumVgprs: 21
; ScratchSize: 0
; MemoryBound: 0
; FloatMode: 240
; IeeeMode: 1
; LDSByteSize: 8192 bytes/workgroup (compile time only)
; SGPRBlocks: 0
; VGPRBlocks: 2
; NumSGPRsForWavesPerEU: 45
; NumVGPRsForWavesPerEU: 21
; Occupancy: 16
; WaveLimiterHint : 1
; COMPUTE_PGM_RSRC2:SCRATCH_EN: 0
; COMPUTE_PGM_RSRC2:USER_SGPR: 6
; COMPUTE_PGM_RSRC2:TRAP_HANDLER: 0
; COMPUTE_PGM_RSRC2:TGID_X_EN: 1
; COMPUTE_PGM_RSRC2:TGID_Y_EN: 0
; COMPUTE_PGM_RSRC2:TGID_Z_EN: 1
; COMPUTE_PGM_RSRC2:TIDIG_COMP_CNT: 1
	.section	.text._ZL20rocblas_gemvn_kernelILi64ELi16Ei19rocblas_complex_numIdEPKS1_S1_EviiT3_lPKT2_lT1_lS7_lS8_lS4_lPT4_lS8_li,"axG",@progbits,_ZL20rocblas_gemvn_kernelILi64ELi16Ei19rocblas_complex_numIdEPKS1_S1_EviiT3_lPKT2_lT1_lS7_lS8_lS4_lPT4_lS8_li,comdat
	.globl	_ZL20rocblas_gemvn_kernelILi64ELi16Ei19rocblas_complex_numIdEPKS1_S1_EviiT3_lPKT2_lT1_lS7_lS8_lS4_lPT4_lS8_li ; -- Begin function _ZL20rocblas_gemvn_kernelILi64ELi16Ei19rocblas_complex_numIdEPKS1_S1_EviiT3_lPKT2_lT1_lS7_lS8_lS4_lPT4_lS8_li
	.p2align	8
	.type	_ZL20rocblas_gemvn_kernelILi64ELi16Ei19rocblas_complex_numIdEPKS1_S1_EviiT3_lPKT2_lT1_lS7_lS8_lS4_lPT4_lS8_li,@function
_ZL20rocblas_gemvn_kernelILi64ELi16Ei19rocblas_complex_numIdEPKS1_S1_EviiT3_lPKT2_lT1_lS7_lS8_lS4_lPT4_lS8_li: ; @_ZL20rocblas_gemvn_kernelILi64ELi16Ei19rocblas_complex_numIdEPKS1_S1_EviiT3_lPKT2_lT1_lS7_lS8_lS4_lPT4_lS8_li
; %bb.0:
	s_load_dwordx2 s[0:1], s[4:5], 0x9c
	s_waitcnt lgkmcnt(0)
	s_lshr_b32 s2, s0, 16
	s_and_b32 s0, s0, 0xffff
	s_and_b32 s1, s1, 0xffff
	s_mul_i32 s2, s2, s0
	s_mul_i32 s2, s2, s1
	s_cmpk_lg_i32 s2, 0x400
	s_cbranch_scc1 .LBB156_34
; %bb.1:
	s_clause 0x1
	s_load_dwordx8 s[8:15], s[4:5], 0x8
	s_load_dwordx8 s[16:23], s[4:5], 0x50
	s_waitcnt lgkmcnt(0)
	s_mul_i32 s1, s11, s7
	s_mul_hi_u32 s3, s10, s7
	s_mul_i32 s2, s10, s7
	s_add_i32 s3, s3, s1
	s_mul_i32 s1, s21, s7
	s_lshl_b64 s[2:3], s[2:3], 4
	s_add_u32 s2, s8, s2
	s_addc_u32 s3, s9, s3
	s_load_dwordx4 s[8:11], s[2:3], 0x0
	s_mul_hi_u32 s2, s20, s7
	s_add_i32 s3, s2, s1
	s_mul_i32 s2, s20, s7
	s_lshl_b64 s[2:3], s[2:3], 4
	s_add_u32 s2, s18, s2
	s_addc_u32 s3, s19, s3
	s_load_dwordx4 s[24:27], s[2:3], 0x0
	s_mov_b32 s2, -1
	s_waitcnt lgkmcnt(0)
	v_cmp_neq_f64_e64 s21, s[8:9], 0
	v_cmp_neq_f64_e64 s28, s[10:11], 0
	s_or_b32 s1, s21, s28
	s_and_b32 vcc_lo, exec_lo, s1
	s_cbranch_vccnz .LBB156_3
; %bb.2:
	v_cmp_neq_f64_e64 s2, s[24:25], 1.0
	v_cmp_neq_f64_e64 s3, s[26:27], 0
	s_or_b32 s2, s2, s3
.LBB156_3:
	s_andn2_b32 vcc_lo, exec_lo, s2
	s_cbranch_vccnz .LBB156_34
; %bb.4:
	s_clause 0x3
	s_load_dwordx2 s[20:21], s[4:5], 0x80
	s_load_dwordx2 s[28:29], s[4:5], 0x70
	s_load_dword s19, s[4:5], 0x78
	s_load_dwordx2 s[2:3], s[4:5], 0x0
	s_xor_b32 s30, s1, -1
	v_mad_u32_u24 v10, v1, s0, v0
	s_waitcnt lgkmcnt(0)
	s_mul_i32 s1, s21, s7
	s_mul_hi_u32 s18, s20, s7
	s_mul_i32 s20, s20, s7
	s_add_i32 s21, s18, s1
	s_lshl_b64 s[0:1], s[20:21], 4
	s_add_u32 s18, s22, s0
	s_addc_u32 s22, s23, s1
	s_lshl_b64 s[20:21], s[28:29], 4
	v_cmp_gt_u32_e64 s0, 64, v10
	s_add_u32 s1, s18, s20
	s_addc_u32 s18, s22, s21
	s_andn2_b32 vcc_lo, exec_lo, s30
	s_mov_b32 s20, 0
	s_cbranch_vccnz .LBB156_11
; %bb.5:
	s_mov_b32 s21, 0
                                        ; implicit-def: $vgpr2_vgpr3
                                        ; implicit-def: $vgpr8_vgpr9
	s_and_saveexec_b32 s22, s0
	s_cbranch_execz .LBB156_12
; %bb.6:
	v_lshl_or_b32 v0, s6, 6, v10
	v_mov_b32_e32 v1, 0
	s_ashr_i32 s29, s2, 31
	s_mov_b32 s28, s2
                                        ; implicit-def: $vgpr8_vgpr9
	v_cmp_gt_i64_e32 vcc_lo, s[28:29], v[0:1]
                                        ; implicit-def: $vgpr2_vgpr3
	s_and_saveexec_b32 s0, vcc_lo
	s_cbranch_execz .LBB156_10
; %bb.7:
	v_cmp_neq_f64_e64 s20, s[24:25], 0
	v_cmp_neq_f64_e64 s23, s[26:27], 0
	v_mad_u64_u32 v[8:9], null, v0, s19, 0
	s_ashr_i32 s28, s19, 31
	v_mov_b32_e32 v1, v9
	v_mad_u64_u32 v[4:5], null, v0, s28, v[1:2]
	v_mov_b32_e32 v2, 0
	v_mov_b32_e32 v0, 0
	;; [unrolled: 1-line block ×5, first 2 shown]
	s_or_b32 s20, s20, s23
	s_andn2_b32 vcc_lo, exec_lo, s20
	s_cbranch_vccnz .LBB156_9
; %bb.8:
	v_lshlrev_b64 v[0:1], 4, v[8:9]
	v_add_co_u32 v0, vcc_lo, s1, v0
	v_add_co_ci_u32_e64 v1, null, s18, v1, vcc_lo
	global_load_dwordx4 v[2:5], v[0:1], off
	s_waitcnt vmcnt(0)
	v_mul_f64 v[0:1], s[26:27], v[4:5]
	v_mul_f64 v[4:5], s[24:25], v[4:5]
	v_fma_f64 v[0:1], s[24:25], v[2:3], -v[0:1]
	v_fma_f64 v[2:3], s[26:27], v[2:3], v[4:5]
.LBB156_9:
	s_mov_b32 s20, exec_lo
.LBB156_10:
	s_or_b32 exec_lo, exec_lo, s0
	s_and_b32 s20, s20, exec_lo
	s_or_b32 exec_lo, exec_lo, s22
	s_and_b32 vcc_lo, exec_lo, s21
	s_cbranch_vccnz .LBB156_13
	s_branch .LBB156_32
.LBB156_11:
                                        ; implicit-def: $vgpr2_vgpr3
                                        ; implicit-def: $vgpr8_vgpr9
	s_cbranch_execnz .LBB156_13
	s_branch .LBB156_32
.LBB156_12:
	s_or_b32 exec_lo, exec_lo, s22
	s_and_b32 vcc_lo, exec_lo, s21
	s_cbranch_vccz .LBB156_32
.LBB156_13:
	s_clause 0x1
	s_load_dwordx4 s[28:31], s[4:5], 0x30
	s_load_dwordx2 s[22:23], s[4:5], 0x40
	v_and_b32_e32 v5, 63, v10
	v_mov_b32_e32 v2, 0
	v_mov_b32_e32 v0, 0
	v_lshrrev_b32_e32 v8, 6, v10
	v_mov_b32_e32 v3, 0
	v_mov_b32_e32 v1, 0
	s_waitcnt lgkmcnt(0)
	s_mul_i32 s0, s29, s7
	s_mul_hi_u32 s21, s28, s7
	s_mul_i32 s28, s28, s7
	s_add_i32 s29, s21, s0
	s_mul_i32 s0, s17, s7
	s_lshl_b64 s[28:29], s[28:29], 4
	s_mul_hi_u32 s17, s16, s7
	s_add_u32 s21, s12, s28
	s_addc_u32 s28, s13, s29
	s_lshl_b64 s[12:13], s[14:15], 4
	s_mul_i32 s14, s16, s7
	s_add_u32 s7, s21, s12
	s_addc_u32 s12, s28, s13
	s_clause 0x1
	s_load_dword s13, s[4:5], 0x28
	s_load_dword s5, s[4:5], 0x48
	s_add_i32 s15, s17, s0
	s_mov_b32 s16, exec_lo
	s_lshl_b64 s[14:15], s[14:15], 4
	s_add_u32 s0, s30, s14
	s_addc_u32 s4, s31, s15
	s_lshl_b64 s[14:15], s[22:23], 4
	s_add_u32 s14, s0, s14
	s_addc_u32 s15, s4, s15
	s_ashr_i32 s0, s3, 31
	s_lshl_b32 s4, s6, 6
	s_lshr_b32 s0, s0, 28
	v_or_b32_e32 v9, s4, v5
	s_add_i32 s0, s3, s0
	s_and_b32 s6, s0, -16
	v_cmpx_gt_i32_e64 s6, v8
	s_cbranch_execz .LBB156_19
; %bb.14:
	s_waitcnt lgkmcnt(0)
	v_mul_lo_u32 v0, s13, v8
	v_mov_b32_e32 v2, 0
	v_mov_b32_e32 v3, 0
	v_mul_lo_u32 v4, s5, v8
	s_lshl_b32 s17, s5, 4
	s_lshl_b32 s22, s13, 4
	s_mov_b32 s21, 0
	v_cmp_gt_i32_e32 vcc_lo, s2, v9
	v_add3_u32 v6, v0, s4, v5
	v_mov_b32_e32 v0, v2
	v_mov_b32_e32 v1, v3
	s_inst_prefetch 0x1
	s_branch .LBB156_16
	.p2align	6
.LBB156_15:                             ;   in Loop: Header=BB156_16 Depth=1
	s_or_b32 exec_lo, exec_lo, s23
	v_add_nc_u32_e32 v8, 16, v8
	v_add_nc_u32_e32 v4, s17, v4
	;; [unrolled: 1-line block ×3, first 2 shown]
	v_cmp_le_i32_e64 s0, s6, v8
	s_or_b32 s21, s0, s21
	s_andn2_b32 exec_lo, exec_lo, s21
	s_cbranch_execz .LBB156_18
.LBB156_16:                             ; =>This Inner Loop Header: Depth=1
	s_and_saveexec_b32 s23, vcc_lo
	s_cbranch_execz .LBB156_15
; %bb.17:                               ;   in Loop: Header=BB156_16 Depth=1
	v_ashrrev_i32_e32 v5, 31, v4
	v_ashrrev_i32_e32 v7, 31, v6
	v_lshlrev_b64 v[11:12], 4, v[4:5]
	v_lshlrev_b64 v[13:14], 4, v[6:7]
	v_add_co_u32 v11, s0, s14, v11
	v_add_co_ci_u32_e64 v12, null, s15, v12, s0
	v_add_co_u32 v15, s0, s7, v13
	v_add_co_ci_u32_e64 v16, null, s12, v14, s0
	global_load_dwordx4 v[11:14], v[11:12], off
	global_load_dwordx4 v[15:18], v[15:16], off
	s_waitcnt vmcnt(0)
	v_mul_f64 v[19:20], v[13:14], v[17:18]
	v_mul_f64 v[17:18], v[11:12], v[17:18]
	v_fma_f64 v[11:12], v[11:12], v[15:16], -v[19:20]
	v_fma_f64 v[13:14], v[13:14], v[15:16], v[17:18]
	v_add_f64 v[0:1], v[0:1], v[11:12]
	v_add_f64 v[2:3], v[2:3], v[13:14]
	s_branch .LBB156_15
.LBB156_18:
	s_inst_prefetch 0x2
	s_or_b32 exec_lo, exec_lo, s21
.LBB156_19:
	s_or_b32 exec_lo, exec_lo, s16
	s_sub_i32 s0, s3, s6
	s_cmp_lt_i32 s0, 1
	s_cbranch_scc1 .LBB156_25
; %bb.20:
	v_mov_b32_e32 v4, 0
	v_mov_b32_e32 v6, 0
	;; [unrolled: 1-line block ×4, first 2 shown]
	v_cmp_gt_i32_e32 vcc_lo, s3, v8
	s_and_saveexec_b32 s3, vcc_lo
	s_cbranch_execz .LBB156_22
; %bb.21:
	s_waitcnt lgkmcnt(0)
	v_mul_lo_u32 v4, v8, s5
	v_ashrrev_i32_e32 v5, 31, v4
	v_lshlrev_b64 v[4:5], 4, v[4:5]
	v_add_co_u32 v4, s0, s14, v4
	v_add_co_ci_u32_e64 v5, null, s15, v5, s0
	global_load_dwordx4 v[4:7], v[4:5], off
.LBB156_22:
	s_or_b32 exec_lo, exec_lo, s3
	s_mov_b32 s3, exec_lo
	v_cmpx_gt_i32_e64 s2, v9
	s_cbranch_execz .LBB156_24
; %bb.23:
	s_waitcnt lgkmcnt(0)
	v_mul_lo_u32 v8, v8, s13
	v_cndmask_b32_e32 v8, 0, v8, vcc_lo
	v_add_nc_u32_e32 v8, v8, v9
	v_ashrrev_i32_e32 v9, 31, v8
	v_lshlrev_b64 v[8:9], 4, v[8:9]
	v_add_co_u32 v8, vcc_lo, s7, v8
	v_add_co_ci_u32_e64 v9, null, s12, v9, vcc_lo
	global_load_dwordx4 v[11:14], v[8:9], off
	s_waitcnt vmcnt(0)
	v_mul_f64 v[8:9], v[6:7], v[13:14]
	v_mul_f64 v[13:14], v[4:5], v[13:14]
	v_fma_f64 v[4:5], v[4:5], v[11:12], -v[8:9]
	v_fma_f64 v[6:7], v[6:7], v[11:12], v[13:14]
	v_add_f64 v[0:1], v[0:1], v[4:5]
	v_add_f64 v[2:3], v[2:3], v[6:7]
.LBB156_24:
	s_or_b32 exec_lo, exec_lo, s3
.LBB156_25:
	v_lshlrev_b32_e32 v11, 4, v10
	s_mov_b32 s0, exec_lo
                                        ; implicit-def: $vgpr8_vgpr9
	ds_write_b128 v11, v[0:3]
	s_waitcnt vmcnt(0) lgkmcnt(0)
	s_barrier
	buffer_gl0_inv
                                        ; implicit-def: $vgpr2_vgpr3
	v_cmpx_gt_u32_e32 64, v10
	s_cbranch_execz .LBB156_31
; %bb.26:
	ds_read_b128 v[0:3], v11
	ds_read_b128 v[4:7], v11 offset:1024
	v_or_b32_e32 v10, s4, v10
	s_mov_b32 s3, s20
	v_cmp_gt_i32_e32 vcc_lo, s2, v10
	s_waitcnt lgkmcnt(0)
	v_add_f64 v[8:9], v[0:1], v[4:5]
	v_add_f64 v[12:13], v[2:3], v[6:7]
	ds_read_b128 v[0:3], v11 offset:2048
	ds_read_b128 v[4:7], v11 offset:3072
	s_waitcnt lgkmcnt(1)
	v_add_f64 v[0:1], v[8:9], v[0:1]
	v_add_f64 v[2:3], v[12:13], v[2:3]
	s_waitcnt lgkmcnt(0)
	v_add_f64 v[8:9], v[0:1], v[4:5]
	v_add_f64 v[12:13], v[2:3], v[6:7]
	ds_read_b128 v[0:3], v11 offset:4096
	ds_read_b128 v[4:7], v11 offset:5120
	s_waitcnt lgkmcnt(1)
	v_add_f64 v[0:1], v[8:9], v[0:1]
	v_add_f64 v[2:3], v[12:13], v[2:3]
	;; [unrolled: 8-line block ×7, first 2 shown]
                                        ; implicit-def: $vgpr8_vgpr9
	s_waitcnt lgkmcnt(0)
	v_add_f64 v[4:5], v[0:1], v[4:5]
	v_add_f64 v[6:7], v[2:3], v[6:7]
                                        ; implicit-def: $vgpr2_vgpr3
	ds_write_b128 v11, v[4:7]
	s_and_saveexec_b32 s2, vcc_lo
	s_cbranch_execz .LBB156_30
; %bb.27:
	v_mul_f64 v[0:1], s[10:11], v[6:7]
	v_mul_f64 v[2:3], s[8:9], v[6:7]
	v_cmp_neq_f64_e64 s3, s[24:25], 0
	v_cmp_neq_f64_e64 s4, s[26:27], 0
	v_mul_lo_u32 v8, v10, s19
	v_ashrrev_i32_e32 v9, 31, v8
	v_fma_f64 v[0:1], s[8:9], v[4:5], -v[0:1]
	v_fma_f64 v[2:3], s[10:11], v[4:5], v[2:3]
	s_or_b32 s3, s3, s4
	s_andn2_b32 vcc_lo, exec_lo, s3
	s_cbranch_vccnz .LBB156_29
; %bb.28:
	v_lshlrev_b64 v[4:5], 4, v[8:9]
	v_add_co_u32 v4, vcc_lo, s1, v4
	v_add_co_ci_u32_e64 v5, null, s18, v5, vcc_lo
	global_load_dwordx4 v[4:7], v[4:5], off
	s_waitcnt vmcnt(0)
	v_mul_f64 v[10:11], s[26:27], v[6:7]
	v_mul_f64 v[6:7], s[24:25], v[6:7]
	v_fma_f64 v[10:11], s[24:25], v[4:5], -v[10:11]
	v_fma_f64 v[4:5], s[26:27], v[4:5], v[6:7]
	v_add_f64 v[0:1], v[0:1], v[10:11]
	v_add_f64 v[2:3], v[2:3], v[4:5]
.LBB156_29:
	s_or_b32 s3, s20, exec_lo
.LBB156_30:
	s_or_b32 exec_lo, exec_lo, s2
	s_andn2_b32 s2, s20, exec_lo
	s_and_b32 s3, s3, exec_lo
	s_or_b32 s20, s2, s3
.LBB156_31:
	s_or_b32 exec_lo, exec_lo, s0
.LBB156_32:
	s_and_saveexec_b32 s0, s20
	s_cbranch_execz .LBB156_34
; %bb.33:
	v_lshlrev_b64 v[4:5], 4, v[8:9]
	v_add_co_u32 v4, vcc_lo, s1, v4
	v_add_co_ci_u32_e64 v5, null, s18, v5, vcc_lo
	global_store_dwordx4 v[4:5], v[0:3], off
.LBB156_34:
	s_endpgm
	.section	.rodata,"a",@progbits
	.p2align	6, 0x0
	.amdhsa_kernel _ZL20rocblas_gemvn_kernelILi64ELi16Ei19rocblas_complex_numIdEPKS1_S1_EviiT3_lPKT2_lT1_lS7_lS8_lS4_lPT4_lS8_li
		.amdhsa_group_segment_fixed_size 16384
		.amdhsa_private_segment_fixed_size 0
		.amdhsa_kernarg_size 400
		.amdhsa_user_sgpr_count 6
		.amdhsa_user_sgpr_private_segment_buffer 1
		.amdhsa_user_sgpr_dispatch_ptr 0
		.amdhsa_user_sgpr_queue_ptr 0
		.amdhsa_user_sgpr_kernarg_segment_ptr 1
		.amdhsa_user_sgpr_dispatch_id 0
		.amdhsa_user_sgpr_flat_scratch_init 0
		.amdhsa_user_sgpr_private_segment_size 0
		.amdhsa_wavefront_size32 1
		.amdhsa_uses_dynamic_stack 0
		.amdhsa_system_sgpr_private_segment_wavefront_offset 0
		.amdhsa_system_sgpr_workgroup_id_x 1
		.amdhsa_system_sgpr_workgroup_id_y 0
		.amdhsa_system_sgpr_workgroup_id_z 1
		.amdhsa_system_sgpr_workgroup_info 0
		.amdhsa_system_vgpr_workitem_id 1
		.amdhsa_next_free_vgpr 21
		.amdhsa_next_free_sgpr 32
		.amdhsa_reserve_vcc 1
		.amdhsa_reserve_flat_scratch 0
		.amdhsa_float_round_mode_32 0
		.amdhsa_float_round_mode_16_64 0
		.amdhsa_float_denorm_mode_32 3
		.amdhsa_float_denorm_mode_16_64 3
		.amdhsa_dx10_clamp 1
		.amdhsa_ieee_mode 1
		.amdhsa_fp16_overflow 0
		.amdhsa_workgroup_processor_mode 1
		.amdhsa_memory_ordered 1
		.amdhsa_forward_progress 1
		.amdhsa_shared_vgpr_count 0
		.amdhsa_exception_fp_ieee_invalid_op 0
		.amdhsa_exception_fp_denorm_src 0
		.amdhsa_exception_fp_ieee_div_zero 0
		.amdhsa_exception_fp_ieee_overflow 0
		.amdhsa_exception_fp_ieee_underflow 0
		.amdhsa_exception_fp_ieee_inexact 0
		.amdhsa_exception_int_div_zero 0
	.end_amdhsa_kernel
	.section	.text._ZL20rocblas_gemvn_kernelILi64ELi16Ei19rocblas_complex_numIdEPKS1_S1_EviiT3_lPKT2_lT1_lS7_lS8_lS4_lPT4_lS8_li,"axG",@progbits,_ZL20rocblas_gemvn_kernelILi64ELi16Ei19rocblas_complex_numIdEPKS1_S1_EviiT3_lPKT2_lT1_lS7_lS8_lS4_lPT4_lS8_li,comdat
.Lfunc_end156:
	.size	_ZL20rocblas_gemvn_kernelILi64ELi16Ei19rocblas_complex_numIdEPKS1_S1_EviiT3_lPKT2_lT1_lS7_lS8_lS4_lPT4_lS8_li, .Lfunc_end156-_ZL20rocblas_gemvn_kernelILi64ELi16Ei19rocblas_complex_numIdEPKS1_S1_EviiT3_lPKT2_lT1_lS7_lS8_lS4_lPT4_lS8_li
                                        ; -- End function
	.set _ZL20rocblas_gemvn_kernelILi64ELi16Ei19rocblas_complex_numIdEPKS1_S1_EviiT3_lPKT2_lT1_lS7_lS8_lS4_lPT4_lS8_li.num_vgpr, 21
	.set _ZL20rocblas_gemvn_kernelILi64ELi16Ei19rocblas_complex_numIdEPKS1_S1_EviiT3_lPKT2_lT1_lS7_lS8_lS4_lPT4_lS8_li.num_agpr, 0
	.set _ZL20rocblas_gemvn_kernelILi64ELi16Ei19rocblas_complex_numIdEPKS1_S1_EviiT3_lPKT2_lT1_lS7_lS8_lS4_lPT4_lS8_li.numbered_sgpr, 32
	.set _ZL20rocblas_gemvn_kernelILi64ELi16Ei19rocblas_complex_numIdEPKS1_S1_EviiT3_lPKT2_lT1_lS7_lS8_lS4_lPT4_lS8_li.num_named_barrier, 0
	.set _ZL20rocblas_gemvn_kernelILi64ELi16Ei19rocblas_complex_numIdEPKS1_S1_EviiT3_lPKT2_lT1_lS7_lS8_lS4_lPT4_lS8_li.private_seg_size, 0
	.set _ZL20rocblas_gemvn_kernelILi64ELi16Ei19rocblas_complex_numIdEPKS1_S1_EviiT3_lPKT2_lT1_lS7_lS8_lS4_lPT4_lS8_li.uses_vcc, 1
	.set _ZL20rocblas_gemvn_kernelILi64ELi16Ei19rocblas_complex_numIdEPKS1_S1_EviiT3_lPKT2_lT1_lS7_lS8_lS4_lPT4_lS8_li.uses_flat_scratch, 0
	.set _ZL20rocblas_gemvn_kernelILi64ELi16Ei19rocblas_complex_numIdEPKS1_S1_EviiT3_lPKT2_lT1_lS7_lS8_lS4_lPT4_lS8_li.has_dyn_sized_stack, 0
	.set _ZL20rocblas_gemvn_kernelILi64ELi16Ei19rocblas_complex_numIdEPKS1_S1_EviiT3_lPKT2_lT1_lS7_lS8_lS4_lPT4_lS8_li.has_recursion, 0
	.set _ZL20rocblas_gemvn_kernelILi64ELi16Ei19rocblas_complex_numIdEPKS1_S1_EviiT3_lPKT2_lT1_lS7_lS8_lS4_lPT4_lS8_li.has_indirect_call, 0
	.section	.AMDGPU.csdata,"",@progbits
; Kernel info:
; codeLenInByte = 1956
; TotalNumSgprs: 34
; NumVgprs: 21
; ScratchSize: 0
; MemoryBound: 1
; FloatMode: 240
; IeeeMode: 1
; LDSByteSize: 16384 bytes/workgroup (compile time only)
; SGPRBlocks: 0
; VGPRBlocks: 2
; NumSGPRsForWavesPerEU: 34
; NumVGPRsForWavesPerEU: 21
; Occupancy: 16
; WaveLimiterHint : 1
; COMPUTE_PGM_RSRC2:SCRATCH_EN: 0
; COMPUTE_PGM_RSRC2:USER_SGPR: 6
; COMPUTE_PGM_RSRC2:TRAP_HANDLER: 0
; COMPUTE_PGM_RSRC2:TGID_X_EN: 1
; COMPUTE_PGM_RSRC2:TGID_Y_EN: 0
; COMPUTE_PGM_RSRC2:TGID_Z_EN: 1
; COMPUTE_PGM_RSRC2:TIDIG_COMP_CNT: 1
	.section	.text._ZL20rocblas_gemvn_kernelILi64ELi16El19rocblas_complex_numIdEPKS1_S1_EviiT3_lPKT2_lT1_lS7_lS8_lS4_lPT4_lS8_li,"axG",@progbits,_ZL20rocblas_gemvn_kernelILi64ELi16El19rocblas_complex_numIdEPKS1_S1_EviiT3_lPKT2_lT1_lS7_lS8_lS4_lPT4_lS8_li,comdat
	.globl	_ZL20rocblas_gemvn_kernelILi64ELi16El19rocblas_complex_numIdEPKS1_S1_EviiT3_lPKT2_lT1_lS7_lS8_lS4_lPT4_lS8_li ; -- Begin function _ZL20rocblas_gemvn_kernelILi64ELi16El19rocblas_complex_numIdEPKS1_S1_EviiT3_lPKT2_lT1_lS7_lS8_lS4_lPT4_lS8_li
	.p2align	8
	.type	_ZL20rocblas_gemvn_kernelILi64ELi16El19rocblas_complex_numIdEPKS1_S1_EviiT3_lPKT2_lT1_lS7_lS8_lS4_lPT4_lS8_li,@function
_ZL20rocblas_gemvn_kernelILi64ELi16El19rocblas_complex_numIdEPKS1_S1_EviiT3_lPKT2_lT1_lS7_lS8_lS4_lPT4_lS8_li: ; @_ZL20rocblas_gemvn_kernelILi64ELi16El19rocblas_complex_numIdEPKS1_S1_EviiT3_lPKT2_lT1_lS7_lS8_lS4_lPT4_lS8_li
; %bb.0:
	s_load_dwordx2 s[0:1], s[4:5], 0x9c
	s_waitcnt lgkmcnt(0)
	s_lshr_b32 s2, s0, 16
	s_and_b32 s0, s0, 0xffff
	s_and_b32 s1, s1, 0xffff
	s_mul_i32 s2, s2, s0
	s_mul_i32 s2, s2, s1
	s_cmpk_lg_i32 s2, 0x400
	s_cbranch_scc1 .LBB157_34
; %bb.1:
	s_clause 0x1
	s_load_dwordx16 s[36:51], s[4:5], 0x8
	s_load_dwordx16 s[8:23], s[4:5], 0x48
	s_waitcnt lgkmcnt(0)
	s_mul_i32 s1, s39, s7
	s_mul_hi_u32 s3, s38, s7
	s_mul_i32 s2, s38, s7
	s_add_i32 s3, s3, s1
	s_mul_i32 s1, s15, s7
	s_lshl_b64 s[2:3], s[2:3], 4
	s_add_u32 s2, s36, s2
	s_addc_u32 s3, s37, s3
	s_load_dwordx4 s[24:27], s[2:3], 0x0
	s_mul_hi_u32 s2, s14, s7
	s_add_i32 s3, s2, s1
	s_mul_i32 s2, s14, s7
	s_lshl_b64 s[2:3], s[2:3], 4
	s_add_u32 s2, s12, s2
	s_addc_u32 s3, s13, s3
	s_load_dwordx4 s[12:15], s[2:3], 0x0
	s_mov_b32 s2, -1
	s_waitcnt lgkmcnt(0)
	v_cmp_neq_f64_e64 s28, s[24:25], 0
	v_cmp_neq_f64_e64 s29, s[26:27], 0
	s_or_b32 s1, s28, s29
	s_and_b32 vcc_lo, exec_lo, s1
	s_cbranch_vccnz .LBB157_3
; %bb.2:
	v_cmp_neq_f64_e64 s2, s[12:13], 1.0
	v_cmp_neq_f64_e64 s3, s[14:15], 0
	s_or_b32 s2, s2, s3
.LBB157_3:
	s_andn2_b32 vcc_lo, exec_lo, s2
	s_cbranch_vccnz .LBB157_34
; %bb.4:
	s_load_dwordx2 s[2:3], s[4:5], 0x0
	s_mul_i32 s4, s23, s7
	s_mul_hi_u32 s5, s22, s7
	v_mad_u32_u24 v10, v1, s0, v0
	s_add_i32 s5, s5, s4
	s_mul_i32 s4, s22, s7
	s_xor_b32 s22, s1, -1
	s_lshl_b64 s[4:5], s[4:5], 4
	s_add_u32 s4, s16, s4
	s_addc_u32 s5, s17, s5
	s_lshl_b64 s[0:1], s[18:19], 4
	s_add_u32 s18, s4, s0
	v_cmp_gt_u32_e64 s0, 64, v10
	s_addc_u32 s19, s5, s1
	s_andn2_b32 vcc_lo, exec_lo, s22
	s_mov_b32 s22, 0
	s_cbranch_vccnz .LBB157_11
; %bb.5:
	s_mov_b32 s1, 0
                                        ; implicit-def: $vgpr2_vgpr3
                                        ; implicit-def: $vgpr8_vgpr9
	s_and_saveexec_b32 s4, s0
	s_cbranch_execz .LBB157_12
; %bb.6:
	v_lshl_or_b32 v0, s6, 6, v10
	v_mov_b32_e32 v1, 0
	s_waitcnt lgkmcnt(0)
	s_ashr_i32 s17, s2, 31
	s_mov_b32 s16, s2
	s_mov_b32 s5, 0
                                        ; implicit-def: $vgpr8_vgpr9
	v_cmp_gt_i64_e32 vcc_lo, s[16:17], v[0:1]
                                        ; implicit-def: $vgpr2_vgpr3
	s_and_saveexec_b32 s0, vcc_lo
	s_cbranch_execz .LBB157_10
; %bb.7:
	v_cmp_neq_f64_e64 s5, s[12:13], 0
	v_cmp_neq_f64_e64 s16, s[14:15], 0
	v_mad_u64_u32 v[8:9], null, s20, v0, 0
	v_mov_b32_e32 v1, v9
	v_mad_u64_u32 v[4:5], null, s21, v0, v[1:2]
	v_mov_b32_e32 v2, 0
	v_mov_b32_e32 v0, 0
	;; [unrolled: 1-line block ×5, first 2 shown]
	s_or_b32 s5, s5, s16
	s_andn2_b32 vcc_lo, exec_lo, s5
	s_cbranch_vccnz .LBB157_9
; %bb.8:
	v_lshlrev_b64 v[0:1], 4, v[8:9]
	v_add_co_u32 v0, vcc_lo, s18, v0
	v_add_co_ci_u32_e64 v1, null, s19, v1, vcc_lo
	global_load_dwordx4 v[2:5], v[0:1], off
	s_waitcnt vmcnt(0)
	v_mul_f64 v[0:1], s[14:15], v[4:5]
	v_mul_f64 v[4:5], s[12:13], v[4:5]
	v_fma_f64 v[0:1], s[12:13], v[2:3], -v[0:1]
	v_fma_f64 v[2:3], s[14:15], v[2:3], v[4:5]
.LBB157_9:
	s_mov_b32 s5, exec_lo
.LBB157_10:
	s_or_b32 exec_lo, exec_lo, s0
	s_and_b32 s22, s5, exec_lo
	s_or_b32 exec_lo, exec_lo, s4
	s_and_b32 vcc_lo, exec_lo, s1
	s_cbranch_vccnz .LBB157_13
	s_branch .LBB157_32
.LBB157_11:
                                        ; implicit-def: $vgpr2_vgpr3
                                        ; implicit-def: $vgpr8_vgpr9
	s_cbranch_execnz .LBB157_13
	s_branch .LBB157_32
.LBB157_12:
	s_or_b32 exec_lo, exec_lo, s4
	s_and_b32 vcc_lo, exec_lo, s1
	s_cbranch_vccz .LBB157_32
.LBB157_13:
	v_and_b32_e32 v4, 63, v10
	s_waitcnt lgkmcnt(0)
	s_ashr_i32 s4, s3, 31
	s_lshl_b32 s23, s6, 6
	s_mul_i32 s0, s47, s7
	s_mul_hi_u32 s1, s46, s7
	s_lshr_b32 s4, s4, 28
	v_mov_b32_e32 v2, 0
	v_mov_b32_e32 v0, 0
	v_lshrrev_b32_e32 v9, 6, v10
	v_or_b32_e32 v8, s23, v4
	v_mov_b32_e32 v3, 0
	v_mov_b32_e32 v1, 0
	s_add_i32 s5, s1, s0
	s_mul_i32 s0, s11, s7
	s_mul_hi_u32 s1, s10, s7
	s_add_i32 s4, s3, s4
	s_add_i32 s11, s1, s0
	s_and_b32 s28, s4, -16
	s_mul_i32 s4, s46, s7
	s_mul_i32 s10, s10, s7
	s_mov_b32 s29, exec_lo
	v_cmpx_gt_i32_e64 s28, v9
	s_cbranch_execz .LBB157_19
; %bb.14:
	v_lshrrev_b32_e32 v7, 6, v10
	v_add_nc_u32_e32 v11, s23, v4
	s_lshl_b64 s[6:7], s[50:51], 4
	s_lshl_b64 s[0:1], s[10:11], 4
	s_add_u32 s6, s48, s6
	v_mad_u64_u32 v[0:1], null, s44, v7, 0
	v_mad_u64_u32 v[5:6], null, s8, v7, 0
	s_addc_u32 s7, s49, s7
	v_ashrrev_i32_e32 v12, 31, v11
	s_add_u32 s30, s6, s0
	s_addc_u32 s31, s7, s1
	v_mad_u64_u32 v[1:2], null, s45, v7, v[1:2]
	v_mov_b32_e32 v4, v6
	s_lshl_b64 s[0:1], s[4:5], 4
	s_lshl_b64 s[16:17], s[42:43], 4
	;; [unrolled: 1-line block ×3, first 2 shown]
	s_add_u32 s0, s16, s0
	v_mad_u64_u32 v[6:7], null, s9, v7, v[4:5]
	v_lshlrev_b64 v[0:1], 4, v[0:1]
	v_lshlrev_b64 v[11:12], 4, v[11:12]
	s_addc_u32 s1, s17, s1
	v_mov_b32_e32 v2, 0
	v_mov_b32_e32 v3, 0
	s_lshl_b64 s[16:17], s[44:45], 8
	v_add_co_u32 v4, s0, s0, v0
	v_add_co_ci_u32_e64 v7, null, s1, v1, s0
	v_lshlrev_b64 v[0:1], 4, v[5:6]
	v_add_co_u32 v4, s0, v4, v11
	v_add_co_ci_u32_e64 v5, null, v7, v12, s0
	v_cmp_gt_i32_e32 vcc_lo, s2, v8
	v_add_co_u32 v0, s0, s30, v0
	v_add_co_ci_u32_e64 v1, null, s31, v1, s0
	v_add_co_u32 v6, s0, s40, v4
	v_add_co_ci_u32_e64 v7, null, s41, v5, s0
	;; [unrolled: 2-line block ×3, first 2 shown]
	v_add_co_u32 v6, s0, v6, 8
	v_mov_b32_e32 v0, v2
	v_add_co_ci_u32_e64 v7, null, 0, v7, s0
	v_mov_b32_e32 v1, v3
	s_mov_b32 s30, 0
	s_inst_prefetch 0x1
	s_branch .LBB157_16
	.p2align	6
.LBB157_15:                             ;   in Loop: Header=BB157_16 Depth=1
	s_or_b32 exec_lo, exec_lo, s0
	v_add_nc_u32_e32 v9, 16, v9
	v_add_co_u32 v4, s0, v4, s6
	v_add_co_ci_u32_e64 v5, null, s7, v5, s0
	v_cmp_le_i32_e64 s0, s28, v9
	v_add_co_u32 v6, s1, v6, s16
	v_add_co_ci_u32_e64 v7, null, s17, v7, s1
	s_or_b32 s30, s0, s30
	s_andn2_b32 exec_lo, exec_lo, s30
	s_cbranch_execz .LBB157_18
.LBB157_16:                             ; =>This Inner Loop Header: Depth=1
	s_and_saveexec_b32 s0, vcc_lo
	s_cbranch_execz .LBB157_15
; %bb.17:                               ;   in Loop: Header=BB157_16 Depth=1
	global_load_dwordx4 v[11:14], v[4:5], off offset:-8
	global_load_dwordx4 v[15:18], v[6:7], off offset:-8
	s_waitcnt vmcnt(0)
	v_mul_f64 v[19:20], v[13:14], v[17:18]
	v_mul_f64 v[17:18], v[11:12], v[17:18]
	v_fma_f64 v[11:12], v[11:12], v[15:16], -v[19:20]
	v_fma_f64 v[13:14], v[13:14], v[15:16], v[17:18]
	v_add_f64 v[0:1], v[0:1], v[11:12]
	v_add_f64 v[2:3], v[2:3], v[13:14]
	s_branch .LBB157_15
.LBB157_18:
	s_inst_prefetch 0x2
	s_or_b32 exec_lo, exec_lo, s30
.LBB157_19:
	s_or_b32 exec_lo, exec_lo, s29
	s_sub_i32 s0, s3, s28
	s_cmp_lt_i32 s0, 1
	s_cbranch_scc1 .LBB157_25
; %bb.20:
	v_mov_b32_e32 v4, 0
	v_mov_b32_e32 v6, 0
	;; [unrolled: 1-line block ×4, first 2 shown]
	v_cmp_gt_i32_e32 vcc_lo, s3, v9
	s_and_saveexec_b32 s1, vcc_lo
	s_cbranch_execz .LBB157_22
; %bb.21:
	v_mad_u64_u32 v[4:5], null, s8, v9, 0
	s_lshl_b64 s[6:7], s[10:11], 4
	s_add_u32 s0, s48, s6
	s_addc_u32 s3, s49, s7
	s_lshl_b64 s[6:7], s[50:51], 4
	s_add_u32 s0, s0, s6
	v_mad_u64_u32 v[5:6], null, s9, v9, v[5:6]
	s_addc_u32 s3, s3, s7
	v_lshlrev_b64 v[4:5], 4, v[4:5]
	v_add_co_u32 v4, s0, s0, v4
	v_add_co_ci_u32_e64 v5, null, s3, v5, s0
	global_load_dwordx4 v[4:7], v[4:5], off
.LBB157_22:
	s_or_b32 exec_lo, exec_lo, s1
	s_mov_b32 s1, exec_lo
	v_cmpx_gt_i32_e64 s2, v8
	s_cbranch_execz .LBB157_24
; %bb.23:
	v_mad_u64_u32 v[11:12], null, s44, v9, 0
	s_lshl_b64 s[4:5], s[4:5], 4
	s_add_u32 s0, s40, s4
	s_addc_u32 s3, s41, s5
	s_lshl_b64 s[4:5], s[42:43], 4
	s_add_u32 s0, s0, s4
	v_mad_u64_u32 v[12:13], null, s45, v9, v[12:13]
	v_cndmask_b32_e32 v11, 0, v11, vcc_lo
	v_ashrrev_i32_e32 v9, 31, v8
	s_addc_u32 s3, s3, s5
	v_lshlrev_b64 v[8:9], 4, v[8:9]
	v_cndmask_b32_e32 v12, 0, v12, vcc_lo
	v_lshlrev_b64 v[11:12], 4, v[11:12]
	v_add_co_u32 v11, vcc_lo, s0, v11
	v_add_co_ci_u32_e64 v12, null, s3, v12, vcc_lo
	v_add_co_u32 v8, vcc_lo, v11, v8
	v_add_co_ci_u32_e64 v9, null, v12, v9, vcc_lo
	global_load_dwordx4 v[11:14], v[8:9], off
	s_waitcnt vmcnt(0)
	v_mul_f64 v[8:9], v[6:7], v[13:14]
	v_mul_f64 v[13:14], v[4:5], v[13:14]
	v_fma_f64 v[4:5], v[4:5], v[11:12], -v[8:9]
	v_fma_f64 v[6:7], v[6:7], v[11:12], v[13:14]
	v_add_f64 v[0:1], v[0:1], v[4:5]
	v_add_f64 v[2:3], v[2:3], v[6:7]
.LBB157_24:
	s_or_b32 exec_lo, exec_lo, s1
.LBB157_25:
	v_lshlrev_b32_e32 v11, 4, v10
	s_mov_b32 s0, exec_lo
                                        ; implicit-def: $vgpr8_vgpr9
	ds_write_b128 v11, v[0:3]
	s_waitcnt vmcnt(0) lgkmcnt(0)
	s_barrier
	buffer_gl0_inv
                                        ; implicit-def: $vgpr2_vgpr3
	v_cmpx_gt_u32_e32 64, v10
	s_cbranch_execz .LBB157_31
; %bb.26:
	ds_read_b128 v[0:3], v11
	ds_read_b128 v[4:7], v11 offset:1024
	v_or_b32_e32 v10, s23, v10
	v_cmp_gt_i32_e32 vcc_lo, s2, v10
	s_mov_b32 s2, s22
	s_waitcnt lgkmcnt(0)
	v_add_f64 v[8:9], v[0:1], v[4:5]
	v_add_f64 v[12:13], v[2:3], v[6:7]
	ds_read_b128 v[0:3], v11 offset:2048
	ds_read_b128 v[4:7], v11 offset:3072
	s_waitcnt lgkmcnt(1)
	v_add_f64 v[0:1], v[8:9], v[0:1]
	v_add_f64 v[2:3], v[12:13], v[2:3]
	s_waitcnt lgkmcnt(0)
	v_add_f64 v[8:9], v[0:1], v[4:5]
	v_add_f64 v[12:13], v[2:3], v[6:7]
	ds_read_b128 v[0:3], v11 offset:4096
	ds_read_b128 v[4:7], v11 offset:5120
	s_waitcnt lgkmcnt(1)
	v_add_f64 v[0:1], v[8:9], v[0:1]
	v_add_f64 v[2:3], v[12:13], v[2:3]
	;; [unrolled: 8-line block ×7, first 2 shown]
                                        ; implicit-def: $vgpr8_vgpr9
	s_waitcnt lgkmcnt(0)
	v_add_f64 v[4:5], v[0:1], v[4:5]
	v_add_f64 v[6:7], v[2:3], v[6:7]
                                        ; implicit-def: $vgpr2_vgpr3
	ds_write_b128 v11, v[4:7]
	s_and_saveexec_b32 s1, vcc_lo
	s_cbranch_execz .LBB157_30
; %bb.27:
	v_mul_f64 v[0:1], s[26:27], v[6:7]
	v_mul_f64 v[2:3], s[24:25], v[6:7]
	v_cmp_neq_f64_e64 s2, s[12:13], 0
	v_cmp_neq_f64_e64 s3, s[14:15], 0
	v_mad_u64_u32 v[8:9], null, s20, v10, 0
	v_fma_f64 v[0:1], s[24:25], v[4:5], -v[0:1]
	v_fma_f64 v[2:3], s[26:27], v[4:5], v[2:3]
	v_ashrrev_i32_e32 v4, 31, v10
	v_mul_lo_u32 v5, s21, v10
	s_or_b32 s2, s2, s3
	s_andn2_b32 vcc_lo, exec_lo, s2
	v_mul_lo_u32 v4, s20, v4
	v_add3_u32 v9, v9, v4, v5
	s_cbranch_vccnz .LBB157_29
; %bb.28:
	v_lshlrev_b64 v[4:5], 4, v[8:9]
	v_add_co_u32 v4, vcc_lo, s18, v4
	v_add_co_ci_u32_e64 v5, null, s19, v5, vcc_lo
	global_load_dwordx4 v[4:7], v[4:5], off
	s_waitcnt vmcnt(0)
	v_mul_f64 v[10:11], s[14:15], v[6:7]
	v_mul_f64 v[6:7], s[12:13], v[6:7]
	v_fma_f64 v[10:11], s[12:13], v[4:5], -v[10:11]
	v_fma_f64 v[4:5], s[14:15], v[4:5], v[6:7]
	v_add_f64 v[0:1], v[0:1], v[10:11]
	v_add_f64 v[2:3], v[2:3], v[4:5]
.LBB157_29:
	s_or_b32 s2, s22, exec_lo
.LBB157_30:
	s_or_b32 exec_lo, exec_lo, s1
	s_andn2_b32 s1, s22, exec_lo
	s_and_b32 s2, s2, exec_lo
	s_or_b32 s22, s1, s2
.LBB157_31:
	s_or_b32 exec_lo, exec_lo, s0
.LBB157_32:
	s_and_saveexec_b32 s0, s22
	s_cbranch_execz .LBB157_34
; %bb.33:
	v_lshlrev_b64 v[4:5], 4, v[8:9]
	v_add_co_u32 v4, vcc_lo, s18, v4
	v_add_co_ci_u32_e64 v5, null, s19, v5, vcc_lo
	global_store_dwordx4 v[4:5], v[0:3], off
.LBB157_34:
	s_endpgm
	.section	.rodata,"a",@progbits
	.p2align	6, 0x0
	.amdhsa_kernel _ZL20rocblas_gemvn_kernelILi64ELi16El19rocblas_complex_numIdEPKS1_S1_EviiT3_lPKT2_lT1_lS7_lS8_lS4_lPT4_lS8_li
		.amdhsa_group_segment_fixed_size 16384
		.amdhsa_private_segment_fixed_size 0
		.amdhsa_kernarg_size 400
		.amdhsa_user_sgpr_count 6
		.amdhsa_user_sgpr_private_segment_buffer 1
		.amdhsa_user_sgpr_dispatch_ptr 0
		.amdhsa_user_sgpr_queue_ptr 0
		.amdhsa_user_sgpr_kernarg_segment_ptr 1
		.amdhsa_user_sgpr_dispatch_id 0
		.amdhsa_user_sgpr_flat_scratch_init 0
		.amdhsa_user_sgpr_private_segment_size 0
		.amdhsa_wavefront_size32 1
		.amdhsa_uses_dynamic_stack 0
		.amdhsa_system_sgpr_private_segment_wavefront_offset 0
		.amdhsa_system_sgpr_workgroup_id_x 1
		.amdhsa_system_sgpr_workgroup_id_y 0
		.amdhsa_system_sgpr_workgroup_id_z 1
		.amdhsa_system_sgpr_workgroup_info 0
		.amdhsa_system_vgpr_workitem_id 1
		.amdhsa_next_free_vgpr 21
		.amdhsa_next_free_sgpr 52
		.amdhsa_reserve_vcc 1
		.amdhsa_reserve_flat_scratch 0
		.amdhsa_float_round_mode_32 0
		.amdhsa_float_round_mode_16_64 0
		.amdhsa_float_denorm_mode_32 3
		.amdhsa_float_denorm_mode_16_64 3
		.amdhsa_dx10_clamp 1
		.amdhsa_ieee_mode 1
		.amdhsa_fp16_overflow 0
		.amdhsa_workgroup_processor_mode 1
		.amdhsa_memory_ordered 1
		.amdhsa_forward_progress 1
		.amdhsa_shared_vgpr_count 0
		.amdhsa_exception_fp_ieee_invalid_op 0
		.amdhsa_exception_fp_denorm_src 0
		.amdhsa_exception_fp_ieee_div_zero 0
		.amdhsa_exception_fp_ieee_overflow 0
		.amdhsa_exception_fp_ieee_underflow 0
		.amdhsa_exception_fp_ieee_inexact 0
		.amdhsa_exception_int_div_zero 0
	.end_amdhsa_kernel
	.section	.text._ZL20rocblas_gemvn_kernelILi64ELi16El19rocblas_complex_numIdEPKS1_S1_EviiT3_lPKT2_lT1_lS7_lS8_lS4_lPT4_lS8_li,"axG",@progbits,_ZL20rocblas_gemvn_kernelILi64ELi16El19rocblas_complex_numIdEPKS1_S1_EviiT3_lPKT2_lT1_lS7_lS8_lS4_lPT4_lS8_li,comdat
.Lfunc_end157:
	.size	_ZL20rocblas_gemvn_kernelILi64ELi16El19rocblas_complex_numIdEPKS1_S1_EviiT3_lPKT2_lT1_lS7_lS8_lS4_lPT4_lS8_li, .Lfunc_end157-_ZL20rocblas_gemvn_kernelILi64ELi16El19rocblas_complex_numIdEPKS1_S1_EviiT3_lPKT2_lT1_lS7_lS8_lS4_lPT4_lS8_li
                                        ; -- End function
	.set _ZL20rocblas_gemvn_kernelILi64ELi16El19rocblas_complex_numIdEPKS1_S1_EviiT3_lPKT2_lT1_lS7_lS8_lS4_lPT4_lS8_li.num_vgpr, 21
	.set _ZL20rocblas_gemvn_kernelILi64ELi16El19rocblas_complex_numIdEPKS1_S1_EviiT3_lPKT2_lT1_lS7_lS8_lS4_lPT4_lS8_li.num_agpr, 0
	.set _ZL20rocblas_gemvn_kernelILi64ELi16El19rocblas_complex_numIdEPKS1_S1_EviiT3_lPKT2_lT1_lS7_lS8_lS4_lPT4_lS8_li.numbered_sgpr, 52
	.set _ZL20rocblas_gemvn_kernelILi64ELi16El19rocblas_complex_numIdEPKS1_S1_EviiT3_lPKT2_lT1_lS7_lS8_lS4_lPT4_lS8_li.num_named_barrier, 0
	.set _ZL20rocblas_gemvn_kernelILi64ELi16El19rocblas_complex_numIdEPKS1_S1_EviiT3_lPKT2_lT1_lS7_lS8_lS4_lPT4_lS8_li.private_seg_size, 0
	.set _ZL20rocblas_gemvn_kernelILi64ELi16El19rocblas_complex_numIdEPKS1_S1_EviiT3_lPKT2_lT1_lS7_lS8_lS4_lPT4_lS8_li.uses_vcc, 1
	.set _ZL20rocblas_gemvn_kernelILi64ELi16El19rocblas_complex_numIdEPKS1_S1_EviiT3_lPKT2_lT1_lS7_lS8_lS4_lPT4_lS8_li.uses_flat_scratch, 0
	.set _ZL20rocblas_gemvn_kernelILi64ELi16El19rocblas_complex_numIdEPKS1_S1_EviiT3_lPKT2_lT1_lS7_lS8_lS4_lPT4_lS8_li.has_dyn_sized_stack, 0
	.set _ZL20rocblas_gemvn_kernelILi64ELi16El19rocblas_complex_numIdEPKS1_S1_EviiT3_lPKT2_lT1_lS7_lS8_lS4_lPT4_lS8_li.has_recursion, 0
	.set _ZL20rocblas_gemvn_kernelILi64ELi16El19rocblas_complex_numIdEPKS1_S1_EviiT3_lPKT2_lT1_lS7_lS8_lS4_lPT4_lS8_li.has_indirect_call, 0
	.section	.AMDGPU.csdata,"",@progbits
; Kernel info:
; codeLenInByte = 2088
; TotalNumSgprs: 54
; NumVgprs: 21
; ScratchSize: 0
; MemoryBound: 0
; FloatMode: 240
; IeeeMode: 1
; LDSByteSize: 16384 bytes/workgroup (compile time only)
; SGPRBlocks: 0
; VGPRBlocks: 2
; NumSGPRsForWavesPerEU: 54
; NumVGPRsForWavesPerEU: 21
; Occupancy: 16
; WaveLimiterHint : 0
; COMPUTE_PGM_RSRC2:SCRATCH_EN: 0
; COMPUTE_PGM_RSRC2:USER_SGPR: 6
; COMPUTE_PGM_RSRC2:TRAP_HANDLER: 0
; COMPUTE_PGM_RSRC2:TGID_X_EN: 1
; COMPUTE_PGM_RSRC2:TGID_Y_EN: 0
; COMPUTE_PGM_RSRC2:TGID_Z_EN: 1
; COMPUTE_PGM_RSRC2:TIDIG_COMP_CNT: 1
	.section	.text._ZL20rocblas_gemvn_kernelILi64ELi16Ei19rocblas_complex_numIdES1_S1_EviiT3_lPKT2_lT1_lS5_lS6_lS2_lPT4_lS6_li,"axG",@progbits,_ZL20rocblas_gemvn_kernelILi64ELi16Ei19rocblas_complex_numIdES1_S1_EviiT3_lPKT2_lT1_lS5_lS6_lS2_lPT4_lS6_li,comdat
	.globl	_ZL20rocblas_gemvn_kernelILi64ELi16Ei19rocblas_complex_numIdES1_S1_EviiT3_lPKT2_lT1_lS5_lS6_lS2_lPT4_lS6_li ; -- Begin function _ZL20rocblas_gemvn_kernelILi64ELi16Ei19rocblas_complex_numIdES1_S1_EviiT3_lPKT2_lT1_lS5_lS6_lS2_lPT4_lS6_li
	.p2align	8
	.type	_ZL20rocblas_gemvn_kernelILi64ELi16Ei19rocblas_complex_numIdES1_S1_EviiT3_lPKT2_lT1_lS5_lS6_lS2_lPT4_lS6_li,@function
_ZL20rocblas_gemvn_kernelILi64ELi16Ei19rocblas_complex_numIdES1_S1_EviiT3_lPKT2_lT1_lS5_lS6_lS2_lPT4_lS6_li: ; @_ZL20rocblas_gemvn_kernelILi64ELi16Ei19rocblas_complex_numIdES1_S1_EviiT3_lPKT2_lT1_lS5_lS6_lS2_lPT4_lS6_li
; %bb.0:
	s_load_dwordx2 s[0:1], s[4:5], 0xac
	s_waitcnt lgkmcnt(0)
	s_lshr_b32 s2, s0, 16
	s_and_b32 s0, s0, 0xffff
	s_and_b32 s1, s1, 0xffff
	s_mul_i32 s2, s2, s0
	s_mul_i32 s2, s2, s1
	s_cmpk_lg_i32 s2, 0x400
	s_cbranch_scc1 .LBB158_34
; %bb.1:
	s_clause 0x2
	s_load_dwordx4 s[12:15], s[4:5], 0x8
	s_load_dwordx4 s[8:11], s[4:5], 0x58
	s_load_dwordx2 s[2:3], s[4:5], 0x68
	s_waitcnt lgkmcnt(0)
	v_cmp_neq_f64_e64 s1, s[12:13], 0
	v_cmp_neq_f64_e64 s16, s[14:15], 0
	s_or_b32 s1, s1, s16
	s_mov_b32 s16, -1
	s_and_b32 vcc_lo, exec_lo, s1
	s_cbranch_vccnz .LBB158_3
; %bb.2:
	v_cmp_neq_f64_e64 s16, s[10:11], 1.0
	v_cmp_neq_f64_e64 s17, s[2:3], 0
	s_or_b32 s16, s16, s17
.LBB158_3:
	s_andn2_b32 vcc_lo, exec_lo, s16
	s_cbranch_vccnz .LBB158_34
; %bb.4:
	s_clause 0x3
	s_load_dwordx2 s[24:25], s[4:5], 0x90
	s_load_dwordx4 s[20:23], s[4:5], 0x78
	s_load_dword s19, s[4:5], 0x88
	s_load_dwordx2 s[16:17], s[4:5], 0x0
	s_xor_b32 s26, s1, -1
	v_mad_u32_u24 v10, v1, s0, v0
	s_waitcnt lgkmcnt(0)
	s_mul_i32 s1, s25, s7
	s_mul_hi_u32 s18, s24, s7
	s_mul_i32 s24, s24, s7
	s_add_i32 s25, s18, s1
	s_lshl_b64 s[0:1], s[24:25], 4
	s_add_u32 s18, s20, s0
	s_addc_u32 s24, s21, s1
	s_lshl_b64 s[20:21], s[22:23], 4
	v_cmp_gt_u32_e64 s0, 64, v10
	s_add_u32 s1, s18, s20
	s_addc_u32 s18, s24, s21
	s_andn2_b32 vcc_lo, exec_lo, s26
	s_mov_b32 s20, 0
	s_cbranch_vccnz .LBB158_11
; %bb.5:
	s_mov_b32 s21, 0
                                        ; implicit-def: $vgpr2_vgpr3
                                        ; implicit-def: $vgpr8_vgpr9
	s_and_saveexec_b32 s22, s0
	s_cbranch_execz .LBB158_12
; %bb.6:
	v_lshl_or_b32 v0, s6, 6, v10
	v_mov_b32_e32 v1, 0
	s_ashr_i32 s25, s16, 31
	s_mov_b32 s24, s16
                                        ; implicit-def: $vgpr8_vgpr9
	v_cmp_gt_i64_e32 vcc_lo, s[24:25], v[0:1]
                                        ; implicit-def: $vgpr2_vgpr3
	s_and_saveexec_b32 s0, vcc_lo
	s_cbranch_execz .LBB158_10
; %bb.7:
	v_cmp_neq_f64_e64 s20, s[10:11], 0
	v_cmp_neq_f64_e64 s23, s[2:3], 0
	v_mad_u64_u32 v[8:9], null, v0, s19, 0
	s_ashr_i32 s24, s19, 31
	v_mov_b32_e32 v1, v9
	v_mad_u64_u32 v[4:5], null, v0, s24, v[1:2]
	v_mov_b32_e32 v2, 0
	v_mov_b32_e32 v0, 0
	;; [unrolled: 1-line block ×5, first 2 shown]
	s_or_b32 s20, s20, s23
	s_andn2_b32 vcc_lo, exec_lo, s20
	s_cbranch_vccnz .LBB158_9
; %bb.8:
	v_lshlrev_b64 v[0:1], 4, v[8:9]
	v_add_co_u32 v0, vcc_lo, s1, v0
	v_add_co_ci_u32_e64 v1, null, s18, v1, vcc_lo
	global_load_dwordx4 v[2:5], v[0:1], off
	s_waitcnt vmcnt(0)
	v_mul_f64 v[0:1], s[2:3], v[4:5]
	v_mul_f64 v[4:5], s[10:11], v[4:5]
	v_fma_f64 v[0:1], s[10:11], v[2:3], -v[0:1]
	v_fma_f64 v[2:3], s[2:3], v[2:3], v[4:5]
.LBB158_9:
	s_mov_b32 s20, exec_lo
.LBB158_10:
	s_or_b32 exec_lo, exec_lo, s0
	s_and_b32 s20, s20, exec_lo
	s_or_b32 exec_lo, exec_lo, s22
	s_and_b32 vcc_lo, exec_lo, s21
	s_cbranch_vccnz .LBB158_13
	s_branch .LBB158_32
.LBB158_11:
                                        ; implicit-def: $vgpr2_vgpr3
                                        ; implicit-def: $vgpr8_vgpr9
	s_cbranch_execnz .LBB158_13
	s_branch .LBB158_32
.LBB158_12:
	s_or_b32 exec_lo, exec_lo, s22
	s_and_b32 vcc_lo, exec_lo, s21
	s_cbranch_vccz .LBB158_32
.LBB158_13:
	s_clause 0x4
	s_load_dwordx4 s[24:27], s[4:5], 0x38
	s_load_dwordx4 s[28:31], s[4:5], 0x20
	s_load_dword s21, s[4:5], 0x30
	s_load_dwordx2 s[22:23], s[4:5], 0x48
	s_load_dword s5, s[4:5], 0x50
	v_and_b32_e32 v5, 63, v10
	v_mov_b32_e32 v2, 0
	v_mov_b32_e32 v0, 0
	v_lshrrev_b32_e32 v8, 6, v10
	v_mov_b32_e32 v3, 0
	v_mov_b32_e32 v1, 0
	s_waitcnt lgkmcnt(0)
	s_mul_i32 s0, s25, s7
	s_mul_hi_u32 s25, s24, s7
	s_mul_i32 s24, s24, s7
	s_add_i32 s25, s25, s0
	s_mul_i32 s0, s9, s7
	s_lshl_b64 s[24:25], s[24:25], 4
	s_mul_hi_u32 s9, s8, s7
	s_add_u32 s33, s28, s24
	s_addc_u32 s29, s29, s25
	s_lshl_b64 s[24:25], s[30:31], 4
	s_mul_i32 s28, s8, s7
	s_add_u32 s7, s33, s24
	s_addc_u32 s8, s29, s25
	s_add_i32 s29, s9, s0
	s_lshl_b64 s[24:25], s[28:29], 4
	s_add_u32 s0, s26, s24
	s_addc_u32 s4, s27, s25
	s_lshl_b64 s[22:23], s[22:23], 4
	s_add_u32 s9, s0, s22
	s_addc_u32 s22, s4, s23
	s_ashr_i32 s0, s17, 31
	s_lshl_b32 s4, s6, 6
	s_lshr_b32 s0, s0, 28
	v_or_b32_e32 v9, s4, v5
	s_add_i32 s0, s17, s0
	s_mov_b32 s23, exec_lo
	s_and_b32 s6, s0, -16
	v_cmpx_gt_i32_e64 s6, v8
	s_cbranch_execz .LBB158_19
; %bb.14:
	v_mul_lo_u32 v0, s21, v8
	v_mov_b32_e32 v2, 0
	v_mov_b32_e32 v3, 0
	v_mul_lo_u32 v4, s5, v8
	s_lshl_b32 s24, s5, 4
	s_lshl_b32 s26, s21, 4
	s_mov_b32 s25, 0
	v_cmp_gt_i32_e32 vcc_lo, s16, v9
	v_add3_u32 v6, v0, s4, v5
	v_mov_b32_e32 v0, v2
	v_mov_b32_e32 v1, v3
	s_inst_prefetch 0x1
	s_branch .LBB158_16
	.p2align	6
.LBB158_15:                             ;   in Loop: Header=BB158_16 Depth=1
	s_or_b32 exec_lo, exec_lo, s27
	v_add_nc_u32_e32 v8, 16, v8
	v_add_nc_u32_e32 v4, s24, v4
	;; [unrolled: 1-line block ×3, first 2 shown]
	v_cmp_le_i32_e64 s0, s6, v8
	s_or_b32 s25, s0, s25
	s_andn2_b32 exec_lo, exec_lo, s25
	s_cbranch_execz .LBB158_18
.LBB158_16:                             ; =>This Inner Loop Header: Depth=1
	s_and_saveexec_b32 s27, vcc_lo
	s_cbranch_execz .LBB158_15
; %bb.17:                               ;   in Loop: Header=BB158_16 Depth=1
	v_ashrrev_i32_e32 v5, 31, v4
	v_ashrrev_i32_e32 v7, 31, v6
	v_lshlrev_b64 v[11:12], 4, v[4:5]
	v_lshlrev_b64 v[13:14], 4, v[6:7]
	v_add_co_u32 v11, s0, s9, v11
	v_add_co_ci_u32_e64 v12, null, s22, v12, s0
	v_add_co_u32 v15, s0, s7, v13
	v_add_co_ci_u32_e64 v16, null, s8, v14, s0
	global_load_dwordx4 v[11:14], v[11:12], off
	global_load_dwordx4 v[15:18], v[15:16], off
	s_waitcnt vmcnt(0)
	v_mul_f64 v[19:20], v[13:14], v[17:18]
	v_mul_f64 v[17:18], v[11:12], v[17:18]
	v_fma_f64 v[11:12], v[11:12], v[15:16], -v[19:20]
	v_fma_f64 v[13:14], v[13:14], v[15:16], v[17:18]
	v_add_f64 v[0:1], v[0:1], v[11:12]
	v_add_f64 v[2:3], v[2:3], v[13:14]
	s_branch .LBB158_15
.LBB158_18:
	s_inst_prefetch 0x2
	s_or_b32 exec_lo, exec_lo, s25
.LBB158_19:
	s_or_b32 exec_lo, exec_lo, s23
	s_sub_i32 s0, s17, s6
	s_cmp_lt_i32 s0, 1
	s_cbranch_scc1 .LBB158_25
; %bb.20:
	v_mov_b32_e32 v4, 0
	v_mov_b32_e32 v6, 0
	;; [unrolled: 1-line block ×4, first 2 shown]
	v_cmp_gt_i32_e32 vcc_lo, s17, v8
	s_and_saveexec_b32 s6, vcc_lo
	s_cbranch_execz .LBB158_22
; %bb.21:
	v_mul_lo_u32 v4, v8, s5
	v_ashrrev_i32_e32 v5, 31, v4
	v_lshlrev_b64 v[4:5], 4, v[4:5]
	v_add_co_u32 v4, s0, s9, v4
	v_add_co_ci_u32_e64 v5, null, s22, v5, s0
	global_load_dwordx4 v[4:7], v[4:5], off
.LBB158_22:
	s_or_b32 exec_lo, exec_lo, s6
	s_mov_b32 s5, exec_lo
	v_cmpx_gt_i32_e64 s16, v9
	s_cbranch_execz .LBB158_24
; %bb.23:
	v_mul_lo_u32 v8, v8, s21
	v_cndmask_b32_e32 v8, 0, v8, vcc_lo
	v_add_nc_u32_e32 v8, v8, v9
	v_ashrrev_i32_e32 v9, 31, v8
	v_lshlrev_b64 v[8:9], 4, v[8:9]
	v_add_co_u32 v8, vcc_lo, s7, v8
	v_add_co_ci_u32_e64 v9, null, s8, v9, vcc_lo
	global_load_dwordx4 v[11:14], v[8:9], off
	s_waitcnt vmcnt(0)
	v_mul_f64 v[8:9], v[6:7], v[13:14]
	v_mul_f64 v[13:14], v[4:5], v[13:14]
	v_fma_f64 v[4:5], v[4:5], v[11:12], -v[8:9]
	v_fma_f64 v[6:7], v[6:7], v[11:12], v[13:14]
	v_add_f64 v[0:1], v[0:1], v[4:5]
	v_add_f64 v[2:3], v[2:3], v[6:7]
.LBB158_24:
	s_or_b32 exec_lo, exec_lo, s5
.LBB158_25:
	v_lshlrev_b32_e32 v11, 4, v10
	s_mov_b32 s0, exec_lo
                                        ; implicit-def: $vgpr8_vgpr9
	ds_write_b128 v11, v[0:3]
	s_waitcnt vmcnt(0) lgkmcnt(0)
	s_barrier
	buffer_gl0_inv
                                        ; implicit-def: $vgpr2_vgpr3
	v_cmpx_gt_u32_e32 64, v10
	s_cbranch_execz .LBB158_31
; %bb.26:
	ds_read_b128 v[0:3], v11
	ds_read_b128 v[4:7], v11 offset:1024
	v_or_b32_e32 v10, s4, v10
	s_mov_b32 s5, s20
	s_mov_b32 s4, exec_lo
	s_waitcnt lgkmcnt(0)
	v_add_f64 v[8:9], v[0:1], v[4:5]
	v_add_f64 v[12:13], v[2:3], v[6:7]
	ds_read_b128 v[0:3], v11 offset:2048
	ds_read_b128 v[4:7], v11 offset:3072
	s_waitcnt lgkmcnt(1)
	v_add_f64 v[0:1], v[8:9], v[0:1]
	v_add_f64 v[2:3], v[12:13], v[2:3]
	s_waitcnt lgkmcnt(0)
	v_add_f64 v[8:9], v[0:1], v[4:5]
	v_add_f64 v[12:13], v[2:3], v[6:7]
	ds_read_b128 v[0:3], v11 offset:4096
	ds_read_b128 v[4:7], v11 offset:5120
	s_waitcnt lgkmcnt(1)
	v_add_f64 v[0:1], v[8:9], v[0:1]
	v_add_f64 v[2:3], v[12:13], v[2:3]
	;; [unrolled: 8-line block ×7, first 2 shown]
                                        ; implicit-def: $vgpr8_vgpr9
	s_waitcnt lgkmcnt(0)
	v_add_f64 v[4:5], v[0:1], v[4:5]
	v_add_f64 v[6:7], v[2:3], v[6:7]
                                        ; implicit-def: $vgpr2_vgpr3
	ds_write_b128 v11, v[4:7]
	v_cmpx_gt_i32_e64 s16, v10
	s_cbranch_execz .LBB158_30
; %bb.27:
	v_mul_f64 v[0:1], s[14:15], v[6:7]
	v_mul_f64 v[2:3], s[12:13], v[6:7]
	v_cmp_neq_f64_e64 s5, s[10:11], 0
	v_cmp_neq_f64_e64 s6, s[2:3], 0
	v_mul_lo_u32 v8, v10, s19
	v_ashrrev_i32_e32 v9, 31, v8
	v_fma_f64 v[0:1], s[12:13], v[4:5], -v[0:1]
	v_fma_f64 v[2:3], s[14:15], v[4:5], v[2:3]
	s_or_b32 s5, s5, s6
	s_andn2_b32 vcc_lo, exec_lo, s5
	s_cbranch_vccnz .LBB158_29
; %bb.28:
	v_lshlrev_b64 v[4:5], 4, v[8:9]
	v_add_co_u32 v4, vcc_lo, s1, v4
	v_add_co_ci_u32_e64 v5, null, s18, v5, vcc_lo
	global_load_dwordx4 v[4:7], v[4:5], off
	s_waitcnt vmcnt(0)
	v_mul_f64 v[10:11], s[2:3], v[6:7]
	v_mul_f64 v[6:7], s[10:11], v[6:7]
	v_fma_f64 v[10:11], s[10:11], v[4:5], -v[10:11]
	v_fma_f64 v[4:5], s[2:3], v[4:5], v[6:7]
	v_add_f64 v[0:1], v[0:1], v[10:11]
	v_add_f64 v[2:3], v[2:3], v[4:5]
.LBB158_29:
	s_or_b32 s5, s20, exec_lo
.LBB158_30:
	s_or_b32 exec_lo, exec_lo, s4
	s_andn2_b32 s2, s20, exec_lo
	s_and_b32 s3, s5, exec_lo
	s_or_b32 s20, s2, s3
.LBB158_31:
	s_or_b32 exec_lo, exec_lo, s0
.LBB158_32:
	s_and_saveexec_b32 s0, s20
	s_cbranch_execz .LBB158_34
; %bb.33:
	v_lshlrev_b64 v[4:5], 4, v[8:9]
	v_add_co_u32 v4, vcc_lo, s1, v4
	v_add_co_ci_u32_e64 v5, null, s18, v5, vcc_lo
	global_store_dwordx4 v[4:5], v[0:3], off
.LBB158_34:
	s_endpgm
	.section	.rodata,"a",@progbits
	.p2align	6, 0x0
	.amdhsa_kernel _ZL20rocblas_gemvn_kernelILi64ELi16Ei19rocblas_complex_numIdES1_S1_EviiT3_lPKT2_lT1_lS5_lS6_lS2_lPT4_lS6_li
		.amdhsa_group_segment_fixed_size 16384
		.amdhsa_private_segment_fixed_size 0
		.amdhsa_kernarg_size 416
		.amdhsa_user_sgpr_count 6
		.amdhsa_user_sgpr_private_segment_buffer 1
		.amdhsa_user_sgpr_dispatch_ptr 0
		.amdhsa_user_sgpr_queue_ptr 0
		.amdhsa_user_sgpr_kernarg_segment_ptr 1
		.amdhsa_user_sgpr_dispatch_id 0
		.amdhsa_user_sgpr_flat_scratch_init 0
		.amdhsa_user_sgpr_private_segment_size 0
		.amdhsa_wavefront_size32 1
		.amdhsa_uses_dynamic_stack 0
		.amdhsa_system_sgpr_private_segment_wavefront_offset 0
		.amdhsa_system_sgpr_workgroup_id_x 1
		.amdhsa_system_sgpr_workgroup_id_y 0
		.amdhsa_system_sgpr_workgroup_id_z 1
		.amdhsa_system_sgpr_workgroup_info 0
		.amdhsa_system_vgpr_workitem_id 1
		.amdhsa_next_free_vgpr 21
		.amdhsa_next_free_sgpr 34
		.amdhsa_reserve_vcc 1
		.amdhsa_reserve_flat_scratch 0
		.amdhsa_float_round_mode_32 0
		.amdhsa_float_round_mode_16_64 0
		.amdhsa_float_denorm_mode_32 3
		.amdhsa_float_denorm_mode_16_64 3
		.amdhsa_dx10_clamp 1
		.amdhsa_ieee_mode 1
		.amdhsa_fp16_overflow 0
		.amdhsa_workgroup_processor_mode 1
		.amdhsa_memory_ordered 1
		.amdhsa_forward_progress 1
		.amdhsa_shared_vgpr_count 0
		.amdhsa_exception_fp_ieee_invalid_op 0
		.amdhsa_exception_fp_denorm_src 0
		.amdhsa_exception_fp_ieee_div_zero 0
		.amdhsa_exception_fp_ieee_overflow 0
		.amdhsa_exception_fp_ieee_underflow 0
		.amdhsa_exception_fp_ieee_inexact 0
		.amdhsa_exception_int_div_zero 0
	.end_amdhsa_kernel
	.section	.text._ZL20rocblas_gemvn_kernelILi64ELi16Ei19rocblas_complex_numIdES1_S1_EviiT3_lPKT2_lT1_lS5_lS6_lS2_lPT4_lS6_li,"axG",@progbits,_ZL20rocblas_gemvn_kernelILi64ELi16Ei19rocblas_complex_numIdES1_S1_EviiT3_lPKT2_lT1_lS5_lS6_lS2_lPT4_lS6_li,comdat
.Lfunc_end158:
	.size	_ZL20rocblas_gemvn_kernelILi64ELi16Ei19rocblas_complex_numIdES1_S1_EviiT3_lPKT2_lT1_lS5_lS6_lS2_lPT4_lS6_li, .Lfunc_end158-_ZL20rocblas_gemvn_kernelILi64ELi16Ei19rocblas_complex_numIdES1_S1_EviiT3_lPKT2_lT1_lS5_lS6_lS2_lPT4_lS6_li
                                        ; -- End function
	.set _ZL20rocblas_gemvn_kernelILi64ELi16Ei19rocblas_complex_numIdES1_S1_EviiT3_lPKT2_lT1_lS5_lS6_lS2_lPT4_lS6_li.num_vgpr, 21
	.set _ZL20rocblas_gemvn_kernelILi64ELi16Ei19rocblas_complex_numIdES1_S1_EviiT3_lPKT2_lT1_lS5_lS6_lS2_lPT4_lS6_li.num_agpr, 0
	.set _ZL20rocblas_gemvn_kernelILi64ELi16Ei19rocblas_complex_numIdES1_S1_EviiT3_lPKT2_lT1_lS5_lS6_lS2_lPT4_lS6_li.numbered_sgpr, 34
	.set _ZL20rocblas_gemvn_kernelILi64ELi16Ei19rocblas_complex_numIdES1_S1_EviiT3_lPKT2_lT1_lS5_lS6_lS2_lPT4_lS6_li.num_named_barrier, 0
	.set _ZL20rocblas_gemvn_kernelILi64ELi16Ei19rocblas_complex_numIdES1_S1_EviiT3_lPKT2_lT1_lS5_lS6_lS2_lPT4_lS6_li.private_seg_size, 0
	.set _ZL20rocblas_gemvn_kernelILi64ELi16Ei19rocblas_complex_numIdES1_S1_EviiT3_lPKT2_lT1_lS5_lS6_lS2_lPT4_lS6_li.uses_vcc, 1
	.set _ZL20rocblas_gemvn_kernelILi64ELi16Ei19rocblas_complex_numIdES1_S1_EviiT3_lPKT2_lT1_lS5_lS6_lS2_lPT4_lS6_li.uses_flat_scratch, 0
	.set _ZL20rocblas_gemvn_kernelILi64ELi16Ei19rocblas_complex_numIdES1_S1_EviiT3_lPKT2_lT1_lS5_lS6_lS2_lPT4_lS6_li.has_dyn_sized_stack, 0
	.set _ZL20rocblas_gemvn_kernelILi64ELi16Ei19rocblas_complex_numIdES1_S1_EviiT3_lPKT2_lT1_lS5_lS6_lS2_lPT4_lS6_li.has_recursion, 0
	.set _ZL20rocblas_gemvn_kernelILi64ELi16Ei19rocblas_complex_numIdES1_S1_EviiT3_lPKT2_lT1_lS5_lS6_lS2_lPT4_lS6_li.has_indirect_call, 0
	.section	.AMDGPU.csdata,"",@progbits
; Kernel info:
; codeLenInByte = 1888
; TotalNumSgprs: 36
; NumVgprs: 21
; ScratchSize: 0
; MemoryBound: 1
; FloatMode: 240
; IeeeMode: 1
; LDSByteSize: 16384 bytes/workgroup (compile time only)
; SGPRBlocks: 0
; VGPRBlocks: 2
; NumSGPRsForWavesPerEU: 36
; NumVGPRsForWavesPerEU: 21
; Occupancy: 16
; WaveLimiterHint : 1
; COMPUTE_PGM_RSRC2:SCRATCH_EN: 0
; COMPUTE_PGM_RSRC2:USER_SGPR: 6
; COMPUTE_PGM_RSRC2:TRAP_HANDLER: 0
; COMPUTE_PGM_RSRC2:TGID_X_EN: 1
; COMPUTE_PGM_RSRC2:TGID_Y_EN: 0
; COMPUTE_PGM_RSRC2:TGID_Z_EN: 1
; COMPUTE_PGM_RSRC2:TIDIG_COMP_CNT: 1
	.section	.text._ZL20rocblas_gemvn_kernelILi64ELi16El19rocblas_complex_numIdES1_S1_EviiT3_lPKT2_lT1_lS5_lS6_lS2_lPT4_lS6_li,"axG",@progbits,_ZL20rocblas_gemvn_kernelILi64ELi16El19rocblas_complex_numIdES1_S1_EviiT3_lPKT2_lT1_lS5_lS6_lS2_lPT4_lS6_li,comdat
	.globl	_ZL20rocblas_gemvn_kernelILi64ELi16El19rocblas_complex_numIdES1_S1_EviiT3_lPKT2_lT1_lS5_lS6_lS2_lPT4_lS6_li ; -- Begin function _ZL20rocblas_gemvn_kernelILi64ELi16El19rocblas_complex_numIdES1_S1_EviiT3_lPKT2_lT1_lS5_lS6_lS2_lPT4_lS6_li
	.p2align	8
	.type	_ZL20rocblas_gemvn_kernelILi64ELi16El19rocblas_complex_numIdES1_S1_EviiT3_lPKT2_lT1_lS5_lS6_lS2_lPT4_lS6_li,@function
_ZL20rocblas_gemvn_kernelILi64ELi16El19rocblas_complex_numIdES1_S1_EviiT3_lPKT2_lT1_lS5_lS6_lS2_lPT4_lS6_li: ; @_ZL20rocblas_gemvn_kernelILi64ELi16El19rocblas_complex_numIdES1_S1_EviiT3_lPKT2_lT1_lS5_lS6_lS2_lPT4_lS6_li
; %bb.0:
	s_load_dwordx2 s[0:1], s[4:5], 0xac
	s_waitcnt lgkmcnt(0)
	s_lshr_b32 s2, s0, 16
	s_and_b32 s0, s0, 0xffff
	s_and_b32 s1, s1, 0xffff
	s_mul_i32 s2, s2, s0
	s_mul_i32 s2, s2, s1
	s_cmpk_lg_i32 s2, 0x400
	s_cbranch_scc1 .LBB159_34
; %bb.1:
	s_clause 0x1
	s_load_dwordx4 s[36:39], s[4:5], 0x8
	s_load_dwordx4 s[28:31], s[4:5], 0x60
	s_waitcnt lgkmcnt(0)
	v_cmp_neq_f64_e64 s1, s[36:37], 0
	v_cmp_neq_f64_e64 s2, s[38:39], 0
	s_or_b32 s1, s1, s2
	s_mov_b32 s2, -1
	s_and_b32 vcc_lo, exec_lo, s1
	s_cbranch_vccnz .LBB159_3
; %bb.2:
	v_cmp_neq_f64_e64 s2, s[28:29], 1.0
	v_cmp_neq_f64_e64 s3, s[30:31], 0
	s_or_b32 s2, s2, s3
.LBB159_3:
	s_andn2_b32 vcc_lo, exec_lo, s2
	s_cbranch_vccnz .LBB159_34
; %bb.4:
	s_clause 0x1
	s_load_dwordx8 s[20:27], s[4:5], 0x78
	s_load_dwordx2 s[2:3], s[4:5], 0x0
	s_xor_b32 s10, s1, -1
	v_mad_u32_u24 v10, v1, s0, v0
	s_mov_b32 s33, 0
	s_waitcnt lgkmcnt(0)
	s_mul_i32 s1, s27, s7
	s_mul_hi_u32 s9, s26, s7
	s_mul_i32 s8, s26, s7
	s_add_i32 s9, s9, s1
	s_lshl_b64 s[0:1], s[8:9], 4
	s_add_u32 s11, s20, s0
	s_addc_u32 s1, s21, s1
	s_lshl_b64 s[8:9], s[22:23], 4
	v_cmp_gt_u32_e64 s0, 64, v10
	s_add_u32 s26, s11, s8
	s_addc_u32 s27, s1, s9
	s_andn2_b32 vcc_lo, exec_lo, s10
	s_cbranch_vccnz .LBB159_11
; %bb.5:
	s_mov_b32 s1, 0
                                        ; implicit-def: $vgpr2_vgpr3
                                        ; implicit-def: $vgpr8_vgpr9
	s_and_saveexec_b32 s8, s0
	s_cbranch_execz .LBB159_12
; %bb.6:
	v_lshl_or_b32 v0, s6, 6, v10
	v_mov_b32_e32 v1, 0
	s_ashr_i32 s11, s2, 31
	s_mov_b32 s10, s2
	s_mov_b32 s9, 0
                                        ; implicit-def: $vgpr8_vgpr9
	v_cmp_gt_i64_e32 vcc_lo, s[10:11], v[0:1]
                                        ; implicit-def: $vgpr2_vgpr3
	s_and_saveexec_b32 s0, vcc_lo
	s_cbranch_execz .LBB159_10
; %bb.7:
	v_cmp_neq_f64_e64 s9, s[28:29], 0
	v_cmp_neq_f64_e64 s10, s[30:31], 0
	v_mad_u64_u32 v[8:9], null, s24, v0, 0
	v_mov_b32_e32 v1, v9
	v_mad_u64_u32 v[4:5], null, s25, v0, v[1:2]
	v_mov_b32_e32 v2, 0
	v_mov_b32_e32 v0, 0
	;; [unrolled: 1-line block ×5, first 2 shown]
	s_or_b32 s9, s9, s10
	s_andn2_b32 vcc_lo, exec_lo, s9
	s_cbranch_vccnz .LBB159_9
; %bb.8:
	v_lshlrev_b64 v[0:1], 4, v[8:9]
	v_add_co_u32 v0, vcc_lo, s26, v0
	v_add_co_ci_u32_e64 v1, null, s27, v1, vcc_lo
	global_load_dwordx4 v[2:5], v[0:1], off
	s_waitcnt vmcnt(0)
	v_mul_f64 v[0:1], s[30:31], v[4:5]
	v_mul_f64 v[4:5], s[28:29], v[4:5]
	v_fma_f64 v[0:1], s[28:29], v[2:3], -v[0:1]
	v_fma_f64 v[2:3], s[30:31], v[2:3], v[4:5]
.LBB159_9:
	s_mov_b32 s9, exec_lo
.LBB159_10:
	s_or_b32 exec_lo, exec_lo, s0
	s_and_b32 s33, s9, exec_lo
	s_or_b32 exec_lo, exec_lo, s8
	s_and_b32 vcc_lo, exec_lo, s1
	s_cbranch_vccnz .LBB159_13
	s_branch .LBB159_32
.LBB159_11:
                                        ; implicit-def: $vgpr2_vgpr3
                                        ; implicit-def: $vgpr8_vgpr9
	s_cbranch_execnz .LBB159_13
	s_branch .LBB159_32
.LBB159_12:
	s_or_b32 exec_lo, exec_lo, s8
	s_and_b32 vcc_lo, exec_lo, s1
	s_cbranch_vccz .LBB159_32
.LBB159_13:
	s_load_dwordx16 s[8:23], s[4:5], 0x20
	v_and_b32_e32 v4, 63, v10
	s_ashr_i32 s0, s3, 31
	s_lshl_b32 s34, s6, 6
	s_lshr_b32 s0, s0, 28
	v_mov_b32_e32 v2, 0
	s_add_i32 s0, s3, s0
	v_mov_b32_e32 v0, 0
	v_lshrrev_b32_e32 v9, 6, v10
	v_mov_b32_e32 v3, 0
	v_mov_b32_e32 v1, 0
	v_or_b32_e32 v8, s34, v4
	s_and_b32 s35, s0, -16
	s_mov_b32 s40, exec_lo
	s_waitcnt lgkmcnt(0)
	s_mul_i32 s0, s15, s7
	s_mul_hi_u32 s1, s14, s7
	s_mul_i32 s4, s14, s7
	s_mul_i32 s6, s23, s7
	s_mul_hi_u32 s14, s22, s7
	s_add_i32 s5, s1, s0
	s_add_i32 s15, s14, s6
	s_mul_i32 s14, s22, s7
	v_cmpx_gt_i32_e64 s35, v9
	s_cbranch_execz .LBB159_19
; %bb.14:
	v_lshrrev_b32_e32 v7, 6, v10
	v_add_nc_u32_e32 v11, s34, v4
	s_lshl_b64 s[6:7], s[18:19], 4
	s_lshl_b64 s[0:1], s[14:15], 4
	s_add_u32 s6, s16, s6
	v_mad_u64_u32 v[0:1], null, s12, v7, 0
	v_mad_u64_u32 v[5:6], null, s20, v7, 0
	s_addc_u32 s7, s17, s7
	v_ashrrev_i32_e32 v12, 31, v11
	s_add_u32 s41, s6, s0
	s_addc_u32 s42, s7, s1
	v_mad_u64_u32 v[1:2], null, s13, v7, v[1:2]
	v_mov_b32_e32 v4, v6
	s_lshl_b64 s[0:1], s[4:5], 4
	s_lshl_b64 s[22:23], s[10:11], 4
	;; [unrolled: 1-line block ×3, first 2 shown]
	s_add_u32 s0, s22, s0
	v_mad_u64_u32 v[6:7], null, s21, v7, v[4:5]
	v_lshlrev_b64 v[0:1], 4, v[0:1]
	v_lshlrev_b64 v[11:12], 4, v[11:12]
	s_addc_u32 s1, s23, s1
	v_mov_b32_e32 v2, 0
	v_mov_b32_e32 v3, 0
	s_lshl_b64 s[22:23], s[12:13], 8
	v_add_co_u32 v4, s0, s0, v0
	v_add_co_ci_u32_e64 v7, null, s1, v1, s0
	v_lshlrev_b64 v[0:1], 4, v[5:6]
	v_add_co_u32 v4, s0, v4, v11
	v_add_co_ci_u32_e64 v5, null, v7, v12, s0
	v_cmp_gt_i32_e32 vcc_lo, s2, v8
	v_add_co_u32 v0, s0, s41, v0
	v_add_co_ci_u32_e64 v1, null, s42, v1, s0
	v_add_co_u32 v6, s0, s8, v4
	v_add_co_ci_u32_e64 v7, null, s9, v5, s0
	;; [unrolled: 2-line block ×3, first 2 shown]
	v_add_co_u32 v6, s0, v6, 8
	v_mov_b32_e32 v0, v2
	v_add_co_ci_u32_e64 v7, null, 0, v7, s0
	v_mov_b32_e32 v1, v3
	s_mov_b32 s41, 0
	s_inst_prefetch 0x1
	s_branch .LBB159_16
	.p2align	6
.LBB159_15:                             ;   in Loop: Header=BB159_16 Depth=1
	s_or_b32 exec_lo, exec_lo, s0
	v_add_nc_u32_e32 v9, 16, v9
	v_add_co_u32 v4, s0, v4, s6
	v_add_co_ci_u32_e64 v5, null, s7, v5, s0
	v_cmp_le_i32_e64 s0, s35, v9
	v_add_co_u32 v6, s1, v6, s22
	v_add_co_ci_u32_e64 v7, null, s23, v7, s1
	s_or_b32 s41, s0, s41
	s_andn2_b32 exec_lo, exec_lo, s41
	s_cbranch_execz .LBB159_18
.LBB159_16:                             ; =>This Inner Loop Header: Depth=1
	s_and_saveexec_b32 s0, vcc_lo
	s_cbranch_execz .LBB159_15
; %bb.17:                               ;   in Loop: Header=BB159_16 Depth=1
	global_load_dwordx4 v[11:14], v[4:5], off offset:-8
	global_load_dwordx4 v[15:18], v[6:7], off offset:-8
	s_waitcnt vmcnt(0)
	v_mul_f64 v[19:20], v[13:14], v[17:18]
	v_mul_f64 v[17:18], v[11:12], v[17:18]
	v_fma_f64 v[11:12], v[11:12], v[15:16], -v[19:20]
	v_fma_f64 v[13:14], v[13:14], v[15:16], v[17:18]
	v_add_f64 v[0:1], v[0:1], v[11:12]
	v_add_f64 v[2:3], v[2:3], v[13:14]
	s_branch .LBB159_15
.LBB159_18:
	s_inst_prefetch 0x2
	s_or_b32 exec_lo, exec_lo, s41
.LBB159_19:
	s_or_b32 exec_lo, exec_lo, s40
	s_sub_i32 s0, s3, s35
	s_cmp_lt_i32 s0, 1
	s_cbranch_scc1 .LBB159_25
; %bb.20:
	v_mov_b32_e32 v4, 0
	v_mov_b32_e32 v6, 0
	;; [unrolled: 1-line block ×4, first 2 shown]
	v_cmp_gt_i32_e32 vcc_lo, s3, v9
	s_and_saveexec_b32 s1, vcc_lo
	s_cbranch_execz .LBB159_22
; %bb.21:
	v_mad_u64_u32 v[4:5], null, s20, v9, 0
	s_lshl_b64 s[6:7], s[14:15], 4
	s_add_u32 s0, s16, s6
	s_addc_u32 s3, s17, s7
	s_lshl_b64 s[6:7], s[18:19], 4
	s_add_u32 s0, s0, s6
	v_mad_u64_u32 v[5:6], null, s21, v9, v[5:6]
	s_addc_u32 s3, s3, s7
	v_lshlrev_b64 v[4:5], 4, v[4:5]
	v_add_co_u32 v4, s0, s0, v4
	v_add_co_ci_u32_e64 v5, null, s3, v5, s0
	global_load_dwordx4 v[4:7], v[4:5], off
.LBB159_22:
	s_or_b32 exec_lo, exec_lo, s1
	s_mov_b32 s1, exec_lo
	v_cmpx_gt_i32_e64 s2, v8
	s_cbranch_execz .LBB159_24
; %bb.23:
	v_mad_u64_u32 v[11:12], null, s12, v9, 0
	s_lshl_b64 s[4:5], s[4:5], 4
	s_add_u32 s0, s8, s4
	s_addc_u32 s3, s9, s5
	s_lshl_b64 s[4:5], s[10:11], 4
	s_add_u32 s0, s0, s4
	v_mad_u64_u32 v[12:13], null, s13, v9, v[12:13]
	v_cndmask_b32_e32 v11, 0, v11, vcc_lo
	v_ashrrev_i32_e32 v9, 31, v8
	s_addc_u32 s3, s3, s5
	v_lshlrev_b64 v[8:9], 4, v[8:9]
	v_cndmask_b32_e32 v12, 0, v12, vcc_lo
	v_lshlrev_b64 v[11:12], 4, v[11:12]
	v_add_co_u32 v11, vcc_lo, s0, v11
	v_add_co_ci_u32_e64 v12, null, s3, v12, vcc_lo
	v_add_co_u32 v8, vcc_lo, v11, v8
	v_add_co_ci_u32_e64 v9, null, v12, v9, vcc_lo
	global_load_dwordx4 v[11:14], v[8:9], off
	s_waitcnt vmcnt(0)
	v_mul_f64 v[8:9], v[6:7], v[13:14]
	v_mul_f64 v[13:14], v[4:5], v[13:14]
	v_fma_f64 v[4:5], v[4:5], v[11:12], -v[8:9]
	v_fma_f64 v[6:7], v[6:7], v[11:12], v[13:14]
	v_add_f64 v[0:1], v[0:1], v[4:5]
	v_add_f64 v[2:3], v[2:3], v[6:7]
.LBB159_24:
	s_or_b32 exec_lo, exec_lo, s1
.LBB159_25:
	v_lshlrev_b32_e32 v11, 4, v10
	s_mov_b32 s0, exec_lo
                                        ; implicit-def: $vgpr8_vgpr9
	ds_write_b128 v11, v[0:3]
	s_waitcnt vmcnt(0) lgkmcnt(0)
	s_barrier
	buffer_gl0_inv
                                        ; implicit-def: $vgpr2_vgpr3
	v_cmpx_gt_u32_e32 64, v10
	s_cbranch_execz .LBB159_31
; %bb.26:
	ds_read_b128 v[0:3], v11
	ds_read_b128 v[4:7], v11 offset:1024
	v_or_b32_e32 v10, s34, v10
	v_cmp_gt_i32_e32 vcc_lo, s2, v10
	s_mov_b32 s2, s33
	s_waitcnt lgkmcnt(0)
	v_add_f64 v[8:9], v[0:1], v[4:5]
	v_add_f64 v[12:13], v[2:3], v[6:7]
	ds_read_b128 v[0:3], v11 offset:2048
	ds_read_b128 v[4:7], v11 offset:3072
	s_waitcnt lgkmcnt(1)
	v_add_f64 v[0:1], v[8:9], v[0:1]
	v_add_f64 v[2:3], v[12:13], v[2:3]
	s_waitcnt lgkmcnt(0)
	v_add_f64 v[8:9], v[0:1], v[4:5]
	v_add_f64 v[12:13], v[2:3], v[6:7]
	ds_read_b128 v[0:3], v11 offset:4096
	ds_read_b128 v[4:7], v11 offset:5120
	s_waitcnt lgkmcnt(1)
	v_add_f64 v[0:1], v[8:9], v[0:1]
	v_add_f64 v[2:3], v[12:13], v[2:3]
	;; [unrolled: 8-line block ×7, first 2 shown]
                                        ; implicit-def: $vgpr8_vgpr9
	s_waitcnt lgkmcnt(0)
	v_add_f64 v[4:5], v[0:1], v[4:5]
	v_add_f64 v[6:7], v[2:3], v[6:7]
                                        ; implicit-def: $vgpr2_vgpr3
	ds_write_b128 v11, v[4:7]
	s_and_saveexec_b32 s1, vcc_lo
	s_cbranch_execz .LBB159_30
; %bb.27:
	v_mul_f64 v[0:1], s[38:39], v[6:7]
	v_mul_f64 v[2:3], s[36:37], v[6:7]
	v_cmp_neq_f64_e64 s2, s[28:29], 0
	v_cmp_neq_f64_e64 s3, s[30:31], 0
	v_mad_u64_u32 v[8:9], null, s24, v10, 0
	v_fma_f64 v[0:1], s[36:37], v[4:5], -v[0:1]
	v_fma_f64 v[2:3], s[38:39], v[4:5], v[2:3]
	v_ashrrev_i32_e32 v4, 31, v10
	v_mul_lo_u32 v5, s25, v10
	s_or_b32 s2, s2, s3
	s_andn2_b32 vcc_lo, exec_lo, s2
	v_mul_lo_u32 v4, s24, v4
	v_add3_u32 v9, v9, v4, v5
	s_cbranch_vccnz .LBB159_29
; %bb.28:
	v_lshlrev_b64 v[4:5], 4, v[8:9]
	v_add_co_u32 v4, vcc_lo, s26, v4
	v_add_co_ci_u32_e64 v5, null, s27, v5, vcc_lo
	global_load_dwordx4 v[4:7], v[4:5], off
	s_waitcnt vmcnt(0)
	v_mul_f64 v[10:11], s[30:31], v[6:7]
	v_mul_f64 v[6:7], s[28:29], v[6:7]
	v_fma_f64 v[10:11], s[28:29], v[4:5], -v[10:11]
	v_fma_f64 v[4:5], s[30:31], v[4:5], v[6:7]
	v_add_f64 v[0:1], v[0:1], v[10:11]
	v_add_f64 v[2:3], v[2:3], v[4:5]
.LBB159_29:
	s_or_b32 s2, s33, exec_lo
.LBB159_30:
	s_or_b32 exec_lo, exec_lo, s1
	s_andn2_b32 s1, s33, exec_lo
	s_and_b32 s2, s2, exec_lo
	s_or_b32 s33, s1, s2
.LBB159_31:
	s_or_b32 exec_lo, exec_lo, s0
.LBB159_32:
	s_and_saveexec_b32 s0, s33
	s_cbranch_execz .LBB159_34
; %bb.33:
	v_lshlrev_b64 v[4:5], 4, v[8:9]
	v_add_co_u32 v4, vcc_lo, s26, v4
	v_add_co_ci_u32_e64 v5, null, s27, v5, vcc_lo
	global_store_dwordx4 v[4:5], v[0:3], off
.LBB159_34:
	s_endpgm
	.section	.rodata,"a",@progbits
	.p2align	6, 0x0
	.amdhsa_kernel _ZL20rocblas_gemvn_kernelILi64ELi16El19rocblas_complex_numIdES1_S1_EviiT3_lPKT2_lT1_lS5_lS6_lS2_lPT4_lS6_li
		.amdhsa_group_segment_fixed_size 16384
		.amdhsa_private_segment_fixed_size 0
		.amdhsa_kernarg_size 416
		.amdhsa_user_sgpr_count 6
		.amdhsa_user_sgpr_private_segment_buffer 1
		.amdhsa_user_sgpr_dispatch_ptr 0
		.amdhsa_user_sgpr_queue_ptr 0
		.amdhsa_user_sgpr_kernarg_segment_ptr 1
		.amdhsa_user_sgpr_dispatch_id 0
		.amdhsa_user_sgpr_flat_scratch_init 0
		.amdhsa_user_sgpr_private_segment_size 0
		.amdhsa_wavefront_size32 1
		.amdhsa_uses_dynamic_stack 0
		.amdhsa_system_sgpr_private_segment_wavefront_offset 0
		.amdhsa_system_sgpr_workgroup_id_x 1
		.amdhsa_system_sgpr_workgroup_id_y 0
		.amdhsa_system_sgpr_workgroup_id_z 1
		.amdhsa_system_sgpr_workgroup_info 0
		.amdhsa_system_vgpr_workitem_id 1
		.amdhsa_next_free_vgpr 21
		.amdhsa_next_free_sgpr 43
		.amdhsa_reserve_vcc 1
		.amdhsa_reserve_flat_scratch 0
		.amdhsa_float_round_mode_32 0
		.amdhsa_float_round_mode_16_64 0
		.amdhsa_float_denorm_mode_32 3
		.amdhsa_float_denorm_mode_16_64 3
		.amdhsa_dx10_clamp 1
		.amdhsa_ieee_mode 1
		.amdhsa_fp16_overflow 0
		.amdhsa_workgroup_processor_mode 1
		.amdhsa_memory_ordered 1
		.amdhsa_forward_progress 1
		.amdhsa_shared_vgpr_count 0
		.amdhsa_exception_fp_ieee_invalid_op 0
		.amdhsa_exception_fp_denorm_src 0
		.amdhsa_exception_fp_ieee_div_zero 0
		.amdhsa_exception_fp_ieee_overflow 0
		.amdhsa_exception_fp_ieee_underflow 0
		.amdhsa_exception_fp_ieee_inexact 0
		.amdhsa_exception_int_div_zero 0
	.end_amdhsa_kernel
	.section	.text._ZL20rocblas_gemvn_kernelILi64ELi16El19rocblas_complex_numIdES1_S1_EviiT3_lPKT2_lT1_lS5_lS6_lS2_lPT4_lS6_li,"axG",@progbits,_ZL20rocblas_gemvn_kernelILi64ELi16El19rocblas_complex_numIdES1_S1_EviiT3_lPKT2_lT1_lS5_lS6_lS2_lPT4_lS6_li,comdat
.Lfunc_end159:
	.size	_ZL20rocblas_gemvn_kernelILi64ELi16El19rocblas_complex_numIdES1_S1_EviiT3_lPKT2_lT1_lS5_lS6_lS2_lPT4_lS6_li, .Lfunc_end159-_ZL20rocblas_gemvn_kernelILi64ELi16El19rocblas_complex_numIdES1_S1_EviiT3_lPKT2_lT1_lS5_lS6_lS2_lPT4_lS6_li
                                        ; -- End function
	.set _ZL20rocblas_gemvn_kernelILi64ELi16El19rocblas_complex_numIdES1_S1_EviiT3_lPKT2_lT1_lS5_lS6_lS2_lPT4_lS6_li.num_vgpr, 21
	.set _ZL20rocblas_gemvn_kernelILi64ELi16El19rocblas_complex_numIdES1_S1_EviiT3_lPKT2_lT1_lS5_lS6_lS2_lPT4_lS6_li.num_agpr, 0
	.set _ZL20rocblas_gemvn_kernelILi64ELi16El19rocblas_complex_numIdES1_S1_EviiT3_lPKT2_lT1_lS5_lS6_lS2_lPT4_lS6_li.numbered_sgpr, 43
	.set _ZL20rocblas_gemvn_kernelILi64ELi16El19rocblas_complex_numIdES1_S1_EviiT3_lPKT2_lT1_lS5_lS6_lS2_lPT4_lS6_li.num_named_barrier, 0
	.set _ZL20rocblas_gemvn_kernelILi64ELi16El19rocblas_complex_numIdES1_S1_EviiT3_lPKT2_lT1_lS5_lS6_lS2_lPT4_lS6_li.private_seg_size, 0
	.set _ZL20rocblas_gemvn_kernelILi64ELi16El19rocblas_complex_numIdES1_S1_EviiT3_lPKT2_lT1_lS5_lS6_lS2_lPT4_lS6_li.uses_vcc, 1
	.set _ZL20rocblas_gemvn_kernelILi64ELi16El19rocblas_complex_numIdES1_S1_EviiT3_lPKT2_lT1_lS5_lS6_lS2_lPT4_lS6_li.uses_flat_scratch, 0
	.set _ZL20rocblas_gemvn_kernelILi64ELi16El19rocblas_complex_numIdES1_S1_EviiT3_lPKT2_lT1_lS5_lS6_lS2_lPT4_lS6_li.has_dyn_sized_stack, 0
	.set _ZL20rocblas_gemvn_kernelILi64ELi16El19rocblas_complex_numIdES1_S1_EviiT3_lPKT2_lT1_lS5_lS6_lS2_lPT4_lS6_li.has_recursion, 0
	.set _ZL20rocblas_gemvn_kernelILi64ELi16El19rocblas_complex_numIdES1_S1_EviiT3_lPKT2_lT1_lS5_lS6_lS2_lPT4_lS6_li.has_indirect_call, 0
	.section	.AMDGPU.csdata,"",@progbits
; Kernel info:
; codeLenInByte = 2024
; TotalNumSgprs: 45
; NumVgprs: 21
; ScratchSize: 0
; MemoryBound: 0
; FloatMode: 240
; IeeeMode: 1
; LDSByteSize: 16384 bytes/workgroup (compile time only)
; SGPRBlocks: 0
; VGPRBlocks: 2
; NumSGPRsForWavesPerEU: 45
; NumVGPRsForWavesPerEU: 21
; Occupancy: 16
; WaveLimiterHint : 1
; COMPUTE_PGM_RSRC2:SCRATCH_EN: 0
; COMPUTE_PGM_RSRC2:USER_SGPR: 6
; COMPUTE_PGM_RSRC2:TRAP_HANDLER: 0
; COMPUTE_PGM_RSRC2:TGID_X_EN: 1
; COMPUTE_PGM_RSRC2:TGID_Y_EN: 0
; COMPUTE_PGM_RSRC2:TGID_Z_EN: 1
; COMPUTE_PGM_RSRC2:TIDIG_COMP_CNT: 1
	.section	.text._ZL22rocblas_gemvtsm_kernelILb0ELi256E19rocblas_complex_numIdEPKS1_S1_EviiT2_lPKT1_lilS7_lilS4_lPT3_lil,"axG",@progbits,_ZL22rocblas_gemvtsm_kernelILb0ELi256E19rocblas_complex_numIdEPKS1_S1_EviiT2_lPKT1_lilS7_lilS4_lPT3_lil,comdat
	.globl	_ZL22rocblas_gemvtsm_kernelILb0ELi256E19rocblas_complex_numIdEPKS1_S1_EviiT2_lPKT1_lilS7_lilS4_lPT3_lil ; -- Begin function _ZL22rocblas_gemvtsm_kernelILb0ELi256E19rocblas_complex_numIdEPKS1_S1_EviiT2_lPKT1_lilS7_lilS4_lPT3_lil
	.p2align	8
	.type	_ZL22rocblas_gemvtsm_kernelILb0ELi256E19rocblas_complex_numIdEPKS1_S1_EviiT2_lPKT1_lilS7_lilS4_lPT3_lil,@function
_ZL22rocblas_gemvtsm_kernelILb0ELi256E19rocblas_complex_numIdEPKS1_S1_EviiT2_lPKT1_lilS7_lilS4_lPT3_lil: ; @_ZL22rocblas_gemvtsm_kernelILb0ELi256E19rocblas_complex_numIdEPKS1_S1_EviiT2_lPKT1_lilS7_lilS4_lPT3_lil
; %bb.0:
	s_clause 0x1
	s_load_dwordx8 s[8:15], s[4:5], 0x8
	s_load_dwordx8 s[16:23], s[4:5], 0x50
	s_waitcnt lgkmcnt(0)
	s_mul_i32 s1, s11, s6
	s_mul_hi_u32 s2, s10, s6
	s_mul_i32 s0, s10, s6
	s_add_i32 s1, s2, s1
	s_lshl_b64 s[0:1], s[0:1], 4
	s_add_u32 s0, s8, s0
	s_addc_u32 s1, s9, s1
	s_load_dwordx4 s[8:11], s[0:1], 0x0
	s_mul_i32 s0, s21, s6
	s_mul_hi_u32 s1, s20, s6
	s_add_i32 s1, s1, s0
	s_mul_i32 s0, s20, s6
	s_lshl_b64 s[0:1], s[0:1], 4
	s_add_u32 s0, s18, s0
	s_addc_u32 s1, s19, s1
	s_mov_b32 s18, -1
	s_load_dwordx4 s[0:3], s[0:1], 0x0
	s_waitcnt lgkmcnt(0)
	v_cmp_neq_f64_e64 s7, s[8:9], 0
	v_cmp_neq_f64_e64 s21, s[10:11], 0
	s_or_b32 s7, s7, s21
	s_and_b32 vcc_lo, exec_lo, s7
	s_cbranch_vccnz .LBB160_2
; %bb.1:
	v_cmp_neq_f64_e64 s18, s[0:1], 1.0
	v_cmp_neq_f64_e64 s19, s[2:3], 0
	s_or_b32 s18, s18, s19
.LBB160_2:
	s_andn2_b32 vcc_lo, exec_lo, s18
	s_cbranch_vccnz .LBB160_36
; %bb.3:
	s_clause 0x3
	s_load_dwordx2 s[24:25], s[4:5], 0x80
	s_load_dwordx2 s[28:29], s[4:5], 0x70
	s_load_dword s18, s[4:5], 0x78
	s_load_dwordx2 s[20:21], s[4:5], 0x0
	s_xor_b32 s7, s7, -1
	s_andn2_b32 vcc_lo, exec_lo, s7
	s_waitcnt lgkmcnt(0)
	s_mul_i32 s7, s25, s6
	s_mul_hi_u32 s19, s24, s6
	s_mul_i32 s30, s24, s6
	s_add_i32 s31, s19, s7
	s_mov_b32 s7, -1
	s_cbranch_vccnz .LBB160_18
; %bb.4:
	v_cmp_neq_f64_e64 s7, s[0:1], 0
	v_cmp_neq_f64_e64 s19, s[2:3], 0
	s_or_b32 s19, s7, s19
	s_cmp_gt_i32 s21, 0
	s_cselect_b32 s7, -1, 0
	s_and_b32 vcc_lo, exec_lo, s19
	s_mov_b32 s19, -1
	s_cbranch_vccnz .LBB160_11
; %bb.5:
	s_andn2_b32 vcc_lo, exec_lo, s7
	s_cbranch_vccnz .LBB160_10
; %bb.6:
	v_mad_i64_i32 v[1:2], null, s18, v0, 0
	s_lshl_b64 s[26:27], s[28:29], 4
	s_ashr_i32 s19, s18, 31
	s_lshl_b64 s[24:25], s[30:31], 4
	s_add_u32 s26, s22, s26
	s_addc_u32 s27, s23, s27
	s_add_u32 s24, s26, s24
	v_lshlrev_b64 v[1:2], 4, v[1:2]
	s_addc_u32 s25, s27, s25
	v_add_co_u32 v1, vcc_lo, s24, v1
	v_add_co_ci_u32_e64 v2, null, s25, v2, vcc_lo
	s_lshl_b64 s[24:25], s[18:19], 12
	v_add_co_u32 v5, vcc_lo, v1, 8
	v_add_co_ci_u32_e64 v6, null, 0, v2, vcc_lo
	v_mov_b32_e32 v1, 0
	s_mov_b32 s19, 0
	s_branch .LBB160_8
	.p2align	6
.LBB160_7:                              ;   in Loop: Header=BB160_8 Depth=1
	s_or_b32 exec_lo, exec_lo, s26
	v_add_co_u32 v5, vcc_lo, v5, s24
	v_add_co_ci_u32_e64 v6, null, s25, v6, vcc_lo
	s_addk_i32 s19, 0x100
	s_cmp_ge_i32 s19, s21
	s_cbranch_scc1 .LBB160_10
.LBB160_8:                              ; =>This Inner Loop Header: Depth=1
	v_add_nc_u32_e32 v2, s19, v0
	s_mov_b32 s26, exec_lo
	v_cmpx_gt_i32_e64 s21, v2
	s_cbranch_execz .LBB160_7
; %bb.9:                                ;   in Loop: Header=BB160_8 Depth=1
	v_mov_b32_e32 v2, v1
	v_mov_b32_e32 v3, v1
	;; [unrolled: 1-line block ×3, first 2 shown]
	global_store_dwordx4 v[5:6], v[1:4], off offset:-8
	s_branch .LBB160_7
.LBB160_10:
	s_mov_b32 s19, 0
.LBB160_11:
	s_andn2_b32 vcc_lo, exec_lo, s19
	s_cbranch_vccnz .LBB160_17
; %bb.12:
	s_andn2_b32 vcc_lo, exec_lo, s7
	s_cbranch_vccnz .LBB160_17
; %bb.13:
	v_mad_i64_i32 v[1:2], null, s18, v0, 0
	s_lshl_b64 s[26:27], s[28:29], 4
	s_ashr_i32 s19, s18, 31
	s_lshl_b64 s[24:25], s[30:31], 4
	s_add_u32 s7, s22, s26
	s_addc_u32 s26, s23, s27
	s_add_u32 s7, s7, s24
	v_lshlrev_b64 v[1:2], 4, v[1:2]
	s_addc_u32 s24, s26, s25
	v_add_co_u32 v1, vcc_lo, s7, v1
	v_add_co_ci_u32_e64 v2, null, s24, v2, vcc_lo
	s_lshl_b64 s[24:25], s[18:19], 12
	v_add_co_u32 v1, vcc_lo, v1, 8
	v_add_co_ci_u32_e64 v2, null, 0, v2, vcc_lo
	s_mov_b32 s7, 0
	s_inst_prefetch 0x1
	s_branch .LBB160_15
	.p2align	6
.LBB160_14:                             ;   in Loop: Header=BB160_15 Depth=1
	s_or_b32 exec_lo, exec_lo, s19
	v_add_co_u32 v1, vcc_lo, v1, s24
	v_add_co_ci_u32_e64 v2, null, s25, v2, vcc_lo
	s_addk_i32 s7, 0x100
	s_cmp_ge_i32 s7, s21
	s_cbranch_scc1 .LBB160_17
.LBB160_15:                             ; =>This Inner Loop Header: Depth=1
	v_add_nc_u32_e32 v3, s7, v0
	s_mov_b32 s19, exec_lo
	v_cmpx_gt_i32_e64 s21, v3
	s_cbranch_execz .LBB160_14
; %bb.16:                               ;   in Loop: Header=BB160_15 Depth=1
	global_load_dwordx4 v[3:6], v[1:2], off offset:-8
	s_waitcnt vmcnt(0)
	v_mul_f64 v[7:8], s[2:3], v[5:6]
	v_mul_f64 v[9:10], s[0:1], v[5:6]
	v_fma_f64 v[5:6], s[0:1], v[3:4], -v[7:8]
	v_fma_f64 v[7:8], s[2:3], v[3:4], v[9:10]
	global_store_dwordx4 v[1:2], v[5:8], off offset:-8
	s_branch .LBB160_14
.LBB160_17:
	s_inst_prefetch 0x2
	s_mov_b32 s7, 0
.LBB160_18:
	s_andn2_b32 vcc_lo, exec_lo, s7
	s_cbranch_vccnz .LBB160_36
; %bb.19:
	s_clause 0x1
	s_load_dwordx4 s[24:27], s[4:5], 0x30
	s_load_dwordx2 s[34:35], s[4:5], 0x40
	s_mov_b32 s7, exec_lo
	v_cmpx_gt_i32_e64 s20, v0
	s_cbranch_execz .LBB160_21
; %bb.20:
	s_load_dword s19, s[4:5], 0x48
	s_mul_i32 s17, s17, s6
	s_mul_hi_u32 s33, s16, s6
	s_mul_i32 s16, s16, s6
	s_add_i32 s17, s33, s17
	s_lshl_b64 s[16:17], s[16:17], 4
	s_waitcnt lgkmcnt(0)
	v_mad_i64_i32 v[1:2], null, s19, v0, 0
	s_add_u32 s19, s26, s16
	s_addc_u32 s26, s27, s17
	s_lshl_b64 s[16:17], s[34:35], 4
	s_add_u32 s16, s19, s16
	s_addc_u32 s17, s26, s17
	v_lshlrev_b64 v[1:2], 4, v[1:2]
	v_add_co_u32 v1, vcc_lo, s16, v1
	v_add_co_ci_u32_e64 v2, null, s17, v2, vcc_lo
	global_load_dwordx4 v[1:4], v[1:2], off
	s_waitcnt vmcnt(0)
	v_mul_f64 v[5:6], s[10:11], v[3:4]
	v_mul_f64 v[7:8], s[8:9], v[3:4]
	v_fma_f64 v[3:4], s[8:9], v[1:2], -v[5:6]
	v_fma_f64 v[5:6], s[10:11], v[1:2], v[7:8]
	v_lshlrev_b32_e32 v1, 4, v0
	ds_write_b128 v1, v[3:6]
.LBB160_21:
	s_or_b32 exec_lo, exec_lo, s7
	s_cmp_lt_i32 s21, 1
	s_waitcnt lgkmcnt(0)
	s_waitcnt_vscnt null, 0x0
	s_barrier
	buffer_gl0_inv
	s_cbranch_scc1 .LBB160_36
; %bb.22:
	v_cmp_neq_f64_e64 s7, s[0:1], 0
	v_cmp_neq_f64_e64 s11, s[2:3], 0
	s_load_dword s26, s[4:5], 0x28
	s_lshl_b64 s[4:5], s[30:31], 4
	s_mul_i32 s25, s25, s6
	s_add_u32 s8, s22, s4
	s_addc_u32 s9, s23, s5
	s_lshl_b64 s[4:5], s[28:29], 4
	s_mul_hi_u32 s30, s24, s6
	s_add_u32 s8, s8, s4
	s_addc_u32 s9, s9, s5
	s_ashr_i32 s10, s18, 31
	s_mul_i32 s6, s24, s6
	s_waitcnt lgkmcnt(0)
	s_ashr_i32 s27, s26, 31
	s_or_b32 s11, s7, s11
	s_cmp_gt_i32 s20, 0
	v_mad_i64_i32 v[1:2], null, s26, v0, 0
	s_cselect_b32 s16, -1, 0
	s_and_b32 s17, s20, 7
	s_cmp_gt_u32 s20, 7
	s_cselect_b32 s19, -1, 0
	s_and_b32 s20, s20, 0x7ffffff8
	s_cmp_lg_u32 s17, 0
	v_lshlrev_b64 v[1:2], 4, v[1:2]
	s_cselect_b32 s22, -1, 0
	s_add_i32 s7, s30, s25
	s_lshl_b64 s[4:5], s[14:15], 4
	s_lshl_b64 s[6:7], s[6:7], 4
	s_add_u32 s4, s12, s4
	s_addc_u32 s5, s13, s5
	s_add_u32 s4, s4, s6
	s_addc_u32 s5, s5, s7
	v_add_co_u32 v11, vcc_lo, s4, v1
	v_add_co_ci_u32_e64 v12, null, s5, v2, vcc_lo
	s_mov_b32 s5, 0
	v_add_co_u32 v5, vcc_lo, 0x78, v11
	v_add_co_ci_u32_e64 v6, null, 0, v12, vcc_lo
	s_lshl_b64 s[6:7], s[26:27], 12
	s_mov_b32 s12, 0
	s_branch .LBB160_25
.LBB160_23:                             ;   in Loop: Header=BB160_25 Depth=1
	v_add_co_u32 v7, vcc_lo, s8, v7
	v_add_co_ci_u32_e64 v8, null, s9, v8, vcc_lo
	global_store_dwordx4 v[7:8], v[1:4], off
.LBB160_24:                             ;   in Loop: Header=BB160_25 Depth=1
	s_or_b32 exec_lo, exec_lo, s13
	v_add_co_u32 v5, vcc_lo, v5, s6
	v_add_co_ci_u32_e64 v6, null, s7, v6, vcc_lo
	v_add_co_u32 v11, vcc_lo, v11, s6
	v_add_co_ci_u32_e64 v12, null, s7, v12, vcc_lo
	s_addk_i32 s12, 0x100
	s_cmp_ge_i32 s12, s21
	s_cbranch_scc1 .LBB160_36
.LBB160_25:                             ; =>This Loop Header: Depth=1
                                        ;     Child Loop BB160_31 Depth 2
                                        ;     Child Loop BB160_35 Depth 2
	v_add_nc_u32_e32 v1, s12, v0
	s_mov_b32 s13, exec_lo
	v_cmpx_gt_i32_e64 s21, v1
	s_cbranch_execz .LBB160_24
; %bb.26:                               ;   in Loop: Header=BB160_25 Depth=1
	v_mad_u64_u32 v[3:4], null, v1, s18, 0
	s_andn2_b32 vcc_lo, exec_lo, s11
	v_mov_b32_e32 v2, v4
	v_mad_u64_u32 v[1:2], null, v1, s10, v[2:3]
	v_mov_b32_e32 v4, v1
	v_mov_b32_e32 v1, 0
	;; [unrolled: 1-line block ×3, first 2 shown]
	v_lshlrev_b64 v[7:8], 4, v[3:4]
	v_mov_b32_e32 v3, 0
	v_mov_b32_e32 v4, 0
	s_cbranch_vccnz .LBB160_28
; %bb.27:                               ;   in Loop: Header=BB160_25 Depth=1
	v_add_co_u32 v1, vcc_lo, s8, v7
	v_add_co_ci_u32_e64 v2, null, s9, v8, vcc_lo
	global_load_dwordx4 v[13:16], v[1:2], off
	s_waitcnt vmcnt(0)
	v_mul_f64 v[1:2], s[2:3], v[15:16]
	v_mul_f64 v[3:4], s[0:1], v[15:16]
	v_fma_f64 v[1:2], s[0:1], v[13:14], -v[1:2]
	v_fma_f64 v[3:4], s[2:3], v[13:14], v[3:4]
.LBB160_28:                             ;   in Loop: Header=BB160_25 Depth=1
	s_andn2_b32 vcc_lo, exec_lo, s16
	s_cbranch_vccnz .LBB160_23
; %bb.29:                               ;   in Loop: Header=BB160_25 Depth=1
	s_andn2_b32 vcc_lo, exec_lo, s19
	s_mov_b32 s4, 0
	s_cbranch_vccnz .LBB160_33
; %bb.30:                               ;   in Loop: Header=BB160_25 Depth=1
	v_mov_b32_e32 v10, v6
	v_mov_b32_e32 v9, v5
	s_mov_b32 s14, 0
.LBB160_31:                             ;   Parent Loop BB160_25 Depth=1
                                        ; =>  This Inner Loop Header: Depth=2
	s_clause 0x7
	global_load_dwordx4 v[13:16], v[9:10], off offset:-120
	global_load_dwordx4 v[17:20], v[9:10], off offset:-104
	;; [unrolled: 1-line block ×8, first 2 shown]
	v_mov_b32_e32 v61, s4
	v_add_co_u32 v9, vcc_lo, 0x80, v9
	v_add_co_ci_u32_e64 v10, null, 0, v10, vcc_lo
	ds_read_b128 v[45:48], v61
	ds_read_b128 v[49:52], v61 offset:16
	s_add_i32 s14, s14, 8
	s_addk_i32 s4, 0x80
	s_cmp_eq_u32 s20, s14
	s_waitcnt vmcnt(7) lgkmcnt(1)
	v_mul_f64 v[53:54], v[15:16], v[47:48]
	v_mul_f64 v[47:48], v[13:14], v[47:48]
	s_waitcnt vmcnt(6) lgkmcnt(0)
	v_mul_f64 v[55:56], v[19:20], v[51:52]
	v_mul_f64 v[51:52], v[17:18], v[51:52]
	v_fma_f64 v[53:54], v[13:14], v[45:46], -v[53:54]
	v_fma_f64 v[57:58], v[15:16], v[45:46], v[47:48]
	ds_read_b128 v[13:16], v61 offset:32
	ds_read_b128 v[45:48], v61 offset:48
	v_fma_f64 v[17:18], v[17:18], v[49:50], -v[55:56]
	v_fma_f64 v[19:20], v[19:20], v[49:50], v[51:52]
	s_waitcnt vmcnt(5) lgkmcnt(1)
	v_mul_f64 v[59:60], v[23:24], v[15:16]
	v_mul_f64 v[15:16], v[21:22], v[15:16]
	v_add_f64 v[1:2], v[1:2], v[53:54]
	v_add_f64 v[3:4], v[3:4], v[57:58]
	s_waitcnt vmcnt(4) lgkmcnt(0)
	v_mul_f64 v[49:50], v[27:28], v[47:48]
	v_mul_f64 v[47:48], v[25:26], v[47:48]
	v_fma_f64 v[21:22], v[21:22], v[13:14], -v[59:60]
	v_fma_f64 v[23:24], v[23:24], v[13:14], v[15:16]
	v_add_f64 v[17:18], v[1:2], v[17:18]
	v_add_f64 v[19:20], v[3:4], v[19:20]
	ds_read_b128 v[1:4], v61 offset:64
	ds_read_b128 v[13:16], v61 offset:80
	v_fma_f64 v[25:26], v[25:26], v[45:46], -v[49:50]
	v_fma_f64 v[27:28], v[27:28], v[45:46], v[47:48]
	s_waitcnt vmcnt(3) lgkmcnt(1)
	v_mul_f64 v[51:52], v[31:32], v[3:4]
	v_mul_f64 v[3:4], v[29:30], v[3:4]
	v_add_f64 v[17:18], v[17:18], v[21:22]
	v_add_f64 v[19:20], v[19:20], v[23:24]
	s_waitcnt vmcnt(2) lgkmcnt(0)
	v_mul_f64 v[21:22], v[35:36], v[15:16]
	v_mul_f64 v[23:24], v[33:34], v[15:16]
	v_fma_f64 v[29:30], v[29:30], v[1:2], -v[51:52]
	v_fma_f64 v[31:32], v[31:32], v[1:2], v[3:4]
	v_add_f64 v[25:26], v[17:18], v[25:26]
	v_add_f64 v[19:20], v[19:20], v[27:28]
	;; [unrolled: 16-line block ×3, first 2 shown]
	v_fma_f64 v[19:20], v[41:42], v[15:16], -v[25:26]
	v_fma_f64 v[15:16], v[43:44], v[15:16], v[17:18]
	v_add_f64 v[3:4], v[3:4], v[27:28]
	v_add_f64 v[13:14], v[13:14], v[1:2]
	;; [unrolled: 1-line block ×4, first 2 shown]
	s_cbranch_scc0 .LBB160_31
; %bb.32:                               ;   in Loop: Header=BB160_25 Depth=1
	s_mov_b32 s4, s20
.LBB160_33:                             ;   in Loop: Header=BB160_25 Depth=1
	s_andn2_b32 vcc_lo, exec_lo, s22
	s_cbranch_vccnz .LBB160_23
; %bb.34:                               ;   in Loop: Header=BB160_25 Depth=1
	s_lshl_b64 s[14:15], s[4:5], 4
	s_lshl_b32 s4, s4, 4
	v_add_co_u32 v9, vcc_lo, v11, s14
	v_add_co_ci_u32_e64 v10, null, s15, v12, vcc_lo
	s_mov_b32 s14, s17
	.p2align	6
.LBB160_35:                             ;   Parent Loop BB160_25 Depth=1
                                        ; =>  This Inner Loop Header: Depth=2
	global_load_dwordx4 v[13:16], v[9:10], off
	v_mov_b32_e32 v17, s4
	v_add_co_u32 v9, vcc_lo, v9, 16
	v_add_co_ci_u32_e64 v10, null, 0, v10, vcc_lo
	ds_read_b128 v[17:20], v17
	s_add_i32 s14, s14, -1
	s_add_i32 s4, s4, 16
	s_cmp_lg_u32 s14, 0
	s_waitcnt vmcnt(0) lgkmcnt(0)
	v_mul_f64 v[21:22], v[15:16], v[19:20]
	v_mul_f64 v[19:20], v[13:14], v[19:20]
	v_fma_f64 v[13:14], v[13:14], v[17:18], -v[21:22]
	v_fma_f64 v[15:16], v[15:16], v[17:18], v[19:20]
	v_add_f64 v[1:2], v[1:2], v[13:14]
	v_add_f64 v[3:4], v[3:4], v[15:16]
	s_cbranch_scc1 .LBB160_35
	s_branch .LBB160_23
.LBB160_36:
	s_endpgm
	.section	.rodata,"a",@progbits
	.p2align	6, 0x0
	.amdhsa_kernel _ZL22rocblas_gemvtsm_kernelILb0ELi256E19rocblas_complex_numIdEPKS1_S1_EviiT2_lPKT1_lilS7_lilS4_lPT3_lil
		.amdhsa_group_segment_fixed_size 1024
		.amdhsa_private_segment_fixed_size 0
		.amdhsa_kernarg_size 136
		.amdhsa_user_sgpr_count 6
		.amdhsa_user_sgpr_private_segment_buffer 1
		.amdhsa_user_sgpr_dispatch_ptr 0
		.amdhsa_user_sgpr_queue_ptr 0
		.amdhsa_user_sgpr_kernarg_segment_ptr 1
		.amdhsa_user_sgpr_dispatch_id 0
		.amdhsa_user_sgpr_flat_scratch_init 0
		.amdhsa_user_sgpr_private_segment_size 0
		.amdhsa_wavefront_size32 1
		.amdhsa_uses_dynamic_stack 0
		.amdhsa_system_sgpr_private_segment_wavefront_offset 0
		.amdhsa_system_sgpr_workgroup_id_x 1
		.amdhsa_system_sgpr_workgroup_id_y 0
		.amdhsa_system_sgpr_workgroup_id_z 0
		.amdhsa_system_sgpr_workgroup_info 0
		.amdhsa_system_vgpr_workitem_id 0
		.amdhsa_next_free_vgpr 62
		.amdhsa_next_free_sgpr 36
		.amdhsa_reserve_vcc 1
		.amdhsa_reserve_flat_scratch 0
		.amdhsa_float_round_mode_32 0
		.amdhsa_float_round_mode_16_64 0
		.amdhsa_float_denorm_mode_32 3
		.amdhsa_float_denorm_mode_16_64 3
		.amdhsa_dx10_clamp 1
		.amdhsa_ieee_mode 1
		.amdhsa_fp16_overflow 0
		.amdhsa_workgroup_processor_mode 1
		.amdhsa_memory_ordered 1
		.amdhsa_forward_progress 1
		.amdhsa_shared_vgpr_count 0
		.amdhsa_exception_fp_ieee_invalid_op 0
		.amdhsa_exception_fp_denorm_src 0
		.amdhsa_exception_fp_ieee_div_zero 0
		.amdhsa_exception_fp_ieee_overflow 0
		.amdhsa_exception_fp_ieee_underflow 0
		.amdhsa_exception_fp_ieee_inexact 0
		.amdhsa_exception_int_div_zero 0
	.end_amdhsa_kernel
	.section	.text._ZL22rocblas_gemvtsm_kernelILb0ELi256E19rocblas_complex_numIdEPKS1_S1_EviiT2_lPKT1_lilS7_lilS4_lPT3_lil,"axG",@progbits,_ZL22rocblas_gemvtsm_kernelILb0ELi256E19rocblas_complex_numIdEPKS1_S1_EviiT2_lPKT1_lilS7_lilS4_lPT3_lil,comdat
.Lfunc_end160:
	.size	_ZL22rocblas_gemvtsm_kernelILb0ELi256E19rocblas_complex_numIdEPKS1_S1_EviiT2_lPKT1_lilS7_lilS4_lPT3_lil, .Lfunc_end160-_ZL22rocblas_gemvtsm_kernelILb0ELi256E19rocblas_complex_numIdEPKS1_S1_EviiT2_lPKT1_lilS7_lilS4_lPT3_lil
                                        ; -- End function
	.set _ZL22rocblas_gemvtsm_kernelILb0ELi256E19rocblas_complex_numIdEPKS1_S1_EviiT2_lPKT1_lilS7_lilS4_lPT3_lil.num_vgpr, 62
	.set _ZL22rocblas_gemvtsm_kernelILb0ELi256E19rocblas_complex_numIdEPKS1_S1_EviiT2_lPKT1_lilS7_lilS4_lPT3_lil.num_agpr, 0
	.set _ZL22rocblas_gemvtsm_kernelILb0ELi256E19rocblas_complex_numIdEPKS1_S1_EviiT2_lPKT1_lilS7_lilS4_lPT3_lil.numbered_sgpr, 36
	.set _ZL22rocblas_gemvtsm_kernelILb0ELi256E19rocblas_complex_numIdEPKS1_S1_EviiT2_lPKT1_lilS7_lilS4_lPT3_lil.num_named_barrier, 0
	.set _ZL22rocblas_gemvtsm_kernelILb0ELi256E19rocblas_complex_numIdEPKS1_S1_EviiT2_lPKT1_lilS7_lilS4_lPT3_lil.private_seg_size, 0
	.set _ZL22rocblas_gemvtsm_kernelILb0ELi256E19rocblas_complex_numIdEPKS1_S1_EviiT2_lPKT1_lilS7_lilS4_lPT3_lil.uses_vcc, 1
	.set _ZL22rocblas_gemvtsm_kernelILb0ELi256E19rocblas_complex_numIdEPKS1_S1_EviiT2_lPKT1_lilS7_lilS4_lPT3_lil.uses_flat_scratch, 0
	.set _ZL22rocblas_gemvtsm_kernelILb0ELi256E19rocblas_complex_numIdEPKS1_S1_EviiT2_lPKT1_lilS7_lilS4_lPT3_lil.has_dyn_sized_stack, 0
	.set _ZL22rocblas_gemvtsm_kernelILb0ELi256E19rocblas_complex_numIdEPKS1_S1_EviiT2_lPKT1_lilS7_lilS4_lPT3_lil.has_recursion, 0
	.set _ZL22rocblas_gemvtsm_kernelILb0ELi256E19rocblas_complex_numIdEPKS1_S1_EviiT2_lPKT1_lilS7_lilS4_lPT3_lil.has_indirect_call, 0
	.section	.AMDGPU.csdata,"",@progbits
; Kernel info:
; codeLenInByte = 2096
; TotalNumSgprs: 38
; NumVgprs: 62
; ScratchSize: 0
; MemoryBound: 0
; FloatMode: 240
; IeeeMode: 1
; LDSByteSize: 1024 bytes/workgroup (compile time only)
; SGPRBlocks: 0
; VGPRBlocks: 7
; NumSGPRsForWavesPerEU: 38
; NumVGPRsForWavesPerEU: 62
; Occupancy: 16
; WaveLimiterHint : 1
; COMPUTE_PGM_RSRC2:SCRATCH_EN: 0
; COMPUTE_PGM_RSRC2:USER_SGPR: 6
; COMPUTE_PGM_RSRC2:TRAP_HANDLER: 0
; COMPUTE_PGM_RSRC2:TGID_X_EN: 1
; COMPUTE_PGM_RSRC2:TGID_Y_EN: 0
; COMPUTE_PGM_RSRC2:TGID_Z_EN: 0
; COMPUTE_PGM_RSRC2:TIDIG_COMP_CNT: 0
	.section	.text._ZL22rocblas_gemvtsm_kernelILb0ELi256E19rocblas_complex_numIdES1_S1_EviiT2_lPKT1_lilS5_lilS2_lPT3_lil,"axG",@progbits,_ZL22rocblas_gemvtsm_kernelILb0ELi256E19rocblas_complex_numIdES1_S1_EviiT2_lPKT1_lilS5_lilS2_lPT3_lil,comdat
	.globl	_ZL22rocblas_gemvtsm_kernelILb0ELi256E19rocblas_complex_numIdES1_S1_EviiT2_lPKT1_lilS5_lilS2_lPT3_lil ; -- Begin function _ZL22rocblas_gemvtsm_kernelILb0ELi256E19rocblas_complex_numIdES1_S1_EviiT2_lPKT1_lilS5_lilS2_lPT3_lil
	.p2align	8
	.type	_ZL22rocblas_gemvtsm_kernelILb0ELi256E19rocblas_complex_numIdES1_S1_EviiT2_lPKT1_lilS5_lilS2_lPT3_lil,@function
_ZL22rocblas_gemvtsm_kernelILb0ELi256E19rocblas_complex_numIdES1_S1_EviiT2_lPKT1_lilS5_lilS2_lPT3_lil: ; @_ZL22rocblas_gemvtsm_kernelILb0ELi256E19rocblas_complex_numIdES1_S1_EviiT2_lPKT1_lilS5_lilS2_lPT3_lil
; %bb.0:
	s_clause 0x2
	s_load_dwordx4 s[12:15], s[4:5], 0x8
	s_load_dwordx4 s[0:3], s[4:5], 0x58
	s_load_dwordx2 s[20:21], s[4:5], 0x68
	s_waitcnt lgkmcnt(0)
	v_cmp_neq_f64_e64 s7, s[12:13], 0
	v_cmp_neq_f64_e64 s8, s[14:15], 0
	s_or_b32 s7, s7, s8
	s_mov_b32 s8, -1
	s_and_b32 vcc_lo, exec_lo, s7
	s_cbranch_vccnz .LBB161_2
; %bb.1:
	v_cmp_neq_f64_e64 s8, s[2:3], 1.0
	v_cmp_neq_f64_e64 s9, s[20:21], 0
	s_or_b32 s8, s8, s9
.LBB161_2:
	s_andn2_b32 vcc_lo, exec_lo, s8
	s_cbranch_vccnz .LBB161_36
; %bb.3:
	s_clause 0x3
	s_load_dwordx2 s[16:17], s[4:5], 0x90
	s_load_dword s22, s[4:5], 0x88
	s_load_dwordx2 s[24:25], s[4:5], 0x0
	s_load_dwordx4 s[8:11], s[4:5], 0x78
	s_xor_b32 s7, s7, -1
	s_andn2_b32 vcc_lo, exec_lo, s7
	s_waitcnt lgkmcnt(0)
	s_mul_i32 s7, s17, s6
	s_mul_hi_u32 s17, s16, s6
	s_mul_i32 s26, s16, s6
	s_add_i32 s27, s17, s7
	s_mov_b32 s7, -1
	s_cbranch_vccnz .LBB161_18
; %bb.4:
	v_cmp_neq_f64_e64 s7, s[2:3], 0
	v_cmp_neq_f64_e64 s16, s[20:21], 0
	s_or_b32 s16, s7, s16
	s_cmp_gt_i32 s25, 0
	s_cselect_b32 s7, -1, 0
	s_and_b32 vcc_lo, exec_lo, s16
	s_mov_b32 s16, -1
	s_cbranch_vccnz .LBB161_11
; %bb.5:
	s_andn2_b32 vcc_lo, exec_lo, s7
	s_cbranch_vccnz .LBB161_10
; %bb.6:
	v_mad_i64_i32 v[1:2], null, s22, v0, 0
	s_lshl_b64 s[18:19], s[10:11], 4
	s_ashr_i32 s23, s22, 31
	s_lshl_b64 s[16:17], s[26:27], 4
	s_add_u32 s18, s8, s18
	s_addc_u32 s19, s9, s19
	s_add_u32 s16, s18, s16
	v_lshlrev_b64 v[1:2], 4, v[1:2]
	s_addc_u32 s17, s19, s17
	s_mov_b32 s18, 0
	v_add_co_u32 v1, vcc_lo, s16, v1
	v_add_co_ci_u32_e64 v2, null, s17, v2, vcc_lo
	s_lshl_b64 s[16:17], s[22:23], 12
	v_add_co_u32 v5, vcc_lo, v1, 8
	v_add_co_ci_u32_e64 v6, null, 0, v2, vcc_lo
	v_mov_b32_e32 v1, 0
	s_branch .LBB161_8
	.p2align	6
.LBB161_7:                              ;   in Loop: Header=BB161_8 Depth=1
	s_or_b32 exec_lo, exec_lo, s19
	v_add_co_u32 v5, vcc_lo, v5, s16
	v_add_co_ci_u32_e64 v6, null, s17, v6, vcc_lo
	s_addk_i32 s18, 0x100
	s_cmp_ge_i32 s18, s25
	s_cbranch_scc1 .LBB161_10
.LBB161_8:                              ; =>This Inner Loop Header: Depth=1
	v_add_nc_u32_e32 v2, s18, v0
	s_mov_b32 s19, exec_lo
	v_cmpx_gt_i32_e64 s25, v2
	s_cbranch_execz .LBB161_7
; %bb.9:                                ;   in Loop: Header=BB161_8 Depth=1
	v_mov_b32_e32 v2, v1
	v_mov_b32_e32 v3, v1
	;; [unrolled: 1-line block ×3, first 2 shown]
	global_store_dwordx4 v[5:6], v[1:4], off offset:-8
	s_branch .LBB161_7
.LBB161_10:
	s_mov_b32 s16, 0
.LBB161_11:
	s_andn2_b32 vcc_lo, exec_lo, s16
	s_cbranch_vccnz .LBB161_17
; %bb.12:
	s_andn2_b32 vcc_lo, exec_lo, s7
	s_cbranch_vccnz .LBB161_17
; %bb.13:
	v_mad_i64_i32 v[1:2], null, s22, v0, 0
	s_lshl_b64 s[18:19], s[10:11], 4
	s_ashr_i32 s23, s22, 31
	s_lshl_b64 s[16:17], s[26:27], 4
	s_add_u32 s7, s8, s18
	s_addc_u32 s18, s9, s19
	s_add_u32 s7, s7, s16
	v_lshlrev_b64 v[1:2], 4, v[1:2]
	s_addc_u32 s16, s18, s17
	v_add_co_u32 v1, vcc_lo, s7, v1
	v_add_co_ci_u32_e64 v2, null, s16, v2, vcc_lo
	s_lshl_b64 s[16:17], s[22:23], 12
	v_add_co_u32 v1, vcc_lo, v1, 8
	v_add_co_ci_u32_e64 v2, null, 0, v2, vcc_lo
	s_mov_b32 s7, 0
	s_inst_prefetch 0x1
	s_branch .LBB161_15
	.p2align	6
.LBB161_14:                             ;   in Loop: Header=BB161_15 Depth=1
	s_or_b32 exec_lo, exec_lo, s18
	v_add_co_u32 v1, vcc_lo, v1, s16
	v_add_co_ci_u32_e64 v2, null, s17, v2, vcc_lo
	s_addk_i32 s7, 0x100
	s_cmp_ge_i32 s7, s25
	s_cbranch_scc1 .LBB161_17
.LBB161_15:                             ; =>This Inner Loop Header: Depth=1
	v_add_nc_u32_e32 v3, s7, v0
	s_mov_b32 s18, exec_lo
	v_cmpx_gt_i32_e64 s25, v3
	s_cbranch_execz .LBB161_14
; %bb.16:                               ;   in Loop: Header=BB161_15 Depth=1
	global_load_dwordx4 v[3:6], v[1:2], off offset:-8
	s_waitcnt vmcnt(0)
	v_mul_f64 v[7:8], s[20:21], v[5:6]
	v_mul_f64 v[9:10], s[2:3], v[5:6]
	v_fma_f64 v[5:6], s[2:3], v[3:4], -v[7:8]
	v_fma_f64 v[7:8], s[20:21], v[3:4], v[9:10]
	global_store_dwordx4 v[1:2], v[5:8], off offset:-8
	s_branch .LBB161_14
.LBB161_17:
	s_inst_prefetch 0x2
	s_mov_b32 s7, 0
.LBB161_18:
	s_andn2_b32 vcc_lo, exec_lo, s7
	s_cbranch_vccnz .LBB161_36
; %bb.19:
	s_clause 0x1
	s_load_dwordx4 s[16:19], s[4:5], 0x38
	s_load_dwordx2 s[28:29], s[4:5], 0x48
	s_mov_b32 s7, exec_lo
	v_cmpx_gt_i32_e64 s24, v0
	s_cbranch_execz .LBB161_21
; %bb.20:
	s_load_dword s23, s[4:5], 0x50
	s_mul_i32 s1, s1, s6
	s_mul_hi_u32 s30, s0, s6
	s_mul_i32 s0, s0, s6
	s_add_i32 s1, s30, s1
	s_lshl_b64 s[0:1], s[0:1], 4
	s_waitcnt lgkmcnt(0)
	s_add_u32 s18, s18, s0
	s_addc_u32 s19, s19, s1
	s_lshl_b64 s[0:1], s[28:29], 4
	s_add_u32 s0, s18, s0
	s_addc_u32 s1, s19, s1
	v_mad_i64_i32 v[1:2], null, s23, v0, 0
	v_lshlrev_b64 v[1:2], 4, v[1:2]
	v_add_co_u32 v1, vcc_lo, s0, v1
	v_add_co_ci_u32_e64 v2, null, s1, v2, vcc_lo
	global_load_dwordx4 v[1:4], v[1:2], off
	s_waitcnt vmcnt(0)
	v_mul_f64 v[5:6], s[14:15], v[3:4]
	v_mul_f64 v[7:8], s[12:13], v[3:4]
	v_fma_f64 v[3:4], s[12:13], v[1:2], -v[5:6]
	v_fma_f64 v[5:6], s[14:15], v[1:2], v[7:8]
	v_lshlrev_b32_e32 v1, 4, v0
	ds_write_b128 v1, v[3:6]
.LBB161_21:
	s_or_b32 exec_lo, exec_lo, s7
	s_cmp_lt_i32 s25, 1
	s_waitcnt lgkmcnt(0)
	s_waitcnt_vscnt null, 0x0
	s_barrier
	buffer_gl0_inv
	s_cbranch_scc1 .LBB161_36
; %bb.22:
	v_cmp_neq_f64_e64 s18, s[2:3], 0
	v_cmp_neq_f64_e64 s19, s[20:21], 0
	s_clause 0x1
	s_load_dword s28, s[4:5], 0x30
	s_load_dwordx4 s[12:15], s[4:5], 0x20
	s_lshl_b64 s[0:1], s[26:27], 4
	s_mul_i32 s5, s17, s6
	s_add_u32 s7, s8, s0
	s_addc_u32 s8, s9, s1
	s_lshl_b64 s[0:1], s[10:11], 4
	s_mul_hi_u32 s23, s16, s6
	s_mul_i32 s4, s16, s6
	s_add_u32 s6, s7, s0
	s_addc_u32 s7, s8, s1
	s_ashr_i32 s8, s22, 31
	s_waitcnt lgkmcnt(0)
	s_ashr_i32 s29, s28, 31
	v_mad_i64_i32 v[1:2], null, s28, v0, 0
	s_or_b32 s9, s18, s19
	s_cmp_gt_i32 s24, 0
	s_cselect_b32 s10, -1, 0
	s_and_b32 s11, s24, 7
	s_cmp_gt_u32 s24, 7
	v_lshlrev_b64 v[1:2], 4, v[1:2]
	s_cselect_b32 s16, -1, 0
	s_and_b32 s17, s24, 0x7ffffff8
	s_cmp_lg_u32 s11, 0
	s_cselect_b32 s18, -1, 0
	s_add_i32 s5, s23, s5
	s_lshl_b64 s[0:1], s[14:15], 4
	s_lshl_b64 s[4:5], s[4:5], 4
	s_add_u32 s0, s12, s0
	s_addc_u32 s1, s13, s1
	s_add_u32 s0, s0, s4
	s_addc_u32 s1, s1, s5
	v_add_co_u32 v11, vcc_lo, s0, v1
	v_add_co_ci_u32_e64 v12, null, s1, v2, vcc_lo
	s_mov_b32 s1, 0
	v_add_co_u32 v5, vcc_lo, 0x78, v11
	v_add_co_ci_u32_e64 v6, null, 0, v12, vcc_lo
	s_lshl_b64 s[4:5], s[28:29], 12
	s_mov_b32 s12, 0
	s_branch .LBB161_25
.LBB161_23:                             ;   in Loop: Header=BB161_25 Depth=1
	v_add_co_u32 v7, vcc_lo, s6, v7
	v_add_co_ci_u32_e64 v8, null, s7, v8, vcc_lo
	global_store_dwordx4 v[7:8], v[1:4], off
.LBB161_24:                             ;   in Loop: Header=BB161_25 Depth=1
	s_or_b32 exec_lo, exec_lo, s13
	v_add_co_u32 v5, vcc_lo, v5, s4
	v_add_co_ci_u32_e64 v6, null, s5, v6, vcc_lo
	v_add_co_u32 v11, vcc_lo, v11, s4
	v_add_co_ci_u32_e64 v12, null, s5, v12, vcc_lo
	s_addk_i32 s12, 0x100
	s_cmp_ge_i32 s12, s25
	s_cbranch_scc1 .LBB161_36
.LBB161_25:                             ; =>This Loop Header: Depth=1
                                        ;     Child Loop BB161_31 Depth 2
                                        ;     Child Loop BB161_35 Depth 2
	v_add_nc_u32_e32 v1, s12, v0
	s_mov_b32 s13, exec_lo
	v_cmpx_gt_i32_e64 s25, v1
	s_cbranch_execz .LBB161_24
; %bb.26:                               ;   in Loop: Header=BB161_25 Depth=1
	v_mad_u64_u32 v[3:4], null, v1, s22, 0
	s_andn2_b32 vcc_lo, exec_lo, s9
	v_mov_b32_e32 v2, v4
	v_mad_u64_u32 v[1:2], null, v1, s8, v[2:3]
	v_mov_b32_e32 v4, v1
	v_mov_b32_e32 v1, 0
	;; [unrolled: 1-line block ×3, first 2 shown]
	v_lshlrev_b64 v[7:8], 4, v[3:4]
	v_mov_b32_e32 v3, 0
	v_mov_b32_e32 v4, 0
	s_cbranch_vccnz .LBB161_28
; %bb.27:                               ;   in Loop: Header=BB161_25 Depth=1
	v_add_co_u32 v1, vcc_lo, s6, v7
	v_add_co_ci_u32_e64 v2, null, s7, v8, vcc_lo
	global_load_dwordx4 v[13:16], v[1:2], off
	s_waitcnt vmcnt(0)
	v_mul_f64 v[1:2], s[20:21], v[15:16]
	v_mul_f64 v[3:4], s[2:3], v[15:16]
	v_fma_f64 v[1:2], s[2:3], v[13:14], -v[1:2]
	v_fma_f64 v[3:4], s[20:21], v[13:14], v[3:4]
.LBB161_28:                             ;   in Loop: Header=BB161_25 Depth=1
	s_andn2_b32 vcc_lo, exec_lo, s10
	s_cbranch_vccnz .LBB161_23
; %bb.29:                               ;   in Loop: Header=BB161_25 Depth=1
	s_andn2_b32 vcc_lo, exec_lo, s16
	s_mov_b32 s0, 0
	s_cbranch_vccnz .LBB161_33
; %bb.30:                               ;   in Loop: Header=BB161_25 Depth=1
	v_mov_b32_e32 v10, v6
	v_mov_b32_e32 v9, v5
	s_mov_b32 s14, 0
.LBB161_31:                             ;   Parent Loop BB161_25 Depth=1
                                        ; =>  This Inner Loop Header: Depth=2
	s_clause 0x7
	global_load_dwordx4 v[13:16], v[9:10], off offset:-120
	global_load_dwordx4 v[17:20], v[9:10], off offset:-104
	;; [unrolled: 1-line block ×8, first 2 shown]
	v_mov_b32_e32 v61, s0
	v_add_co_u32 v9, vcc_lo, 0x80, v9
	v_add_co_ci_u32_e64 v10, null, 0, v10, vcc_lo
	ds_read_b128 v[45:48], v61
	ds_read_b128 v[49:52], v61 offset:16
	s_add_i32 s14, s14, 8
	s_addk_i32 s0, 0x80
	s_cmp_eq_u32 s17, s14
	s_waitcnt vmcnt(7) lgkmcnt(1)
	v_mul_f64 v[53:54], v[15:16], v[47:48]
	v_mul_f64 v[47:48], v[13:14], v[47:48]
	s_waitcnt vmcnt(6) lgkmcnt(0)
	v_mul_f64 v[55:56], v[19:20], v[51:52]
	v_mul_f64 v[51:52], v[17:18], v[51:52]
	v_fma_f64 v[53:54], v[13:14], v[45:46], -v[53:54]
	v_fma_f64 v[57:58], v[15:16], v[45:46], v[47:48]
	ds_read_b128 v[13:16], v61 offset:32
	ds_read_b128 v[45:48], v61 offset:48
	v_fma_f64 v[17:18], v[17:18], v[49:50], -v[55:56]
	v_fma_f64 v[19:20], v[19:20], v[49:50], v[51:52]
	s_waitcnt vmcnt(5) lgkmcnt(1)
	v_mul_f64 v[59:60], v[23:24], v[15:16]
	v_mul_f64 v[15:16], v[21:22], v[15:16]
	v_add_f64 v[1:2], v[1:2], v[53:54]
	v_add_f64 v[3:4], v[3:4], v[57:58]
	s_waitcnt vmcnt(4) lgkmcnt(0)
	v_mul_f64 v[49:50], v[27:28], v[47:48]
	v_mul_f64 v[47:48], v[25:26], v[47:48]
	v_fma_f64 v[21:22], v[21:22], v[13:14], -v[59:60]
	v_fma_f64 v[23:24], v[23:24], v[13:14], v[15:16]
	v_add_f64 v[17:18], v[1:2], v[17:18]
	v_add_f64 v[19:20], v[3:4], v[19:20]
	ds_read_b128 v[1:4], v61 offset:64
	ds_read_b128 v[13:16], v61 offset:80
	v_fma_f64 v[25:26], v[25:26], v[45:46], -v[49:50]
	v_fma_f64 v[27:28], v[27:28], v[45:46], v[47:48]
	s_waitcnt vmcnt(3) lgkmcnt(1)
	v_mul_f64 v[51:52], v[31:32], v[3:4]
	v_mul_f64 v[3:4], v[29:30], v[3:4]
	v_add_f64 v[17:18], v[17:18], v[21:22]
	v_add_f64 v[19:20], v[19:20], v[23:24]
	s_waitcnt vmcnt(2) lgkmcnt(0)
	v_mul_f64 v[21:22], v[35:36], v[15:16]
	v_mul_f64 v[23:24], v[33:34], v[15:16]
	v_fma_f64 v[29:30], v[29:30], v[1:2], -v[51:52]
	v_fma_f64 v[31:32], v[31:32], v[1:2], v[3:4]
	v_add_f64 v[25:26], v[17:18], v[25:26]
	v_add_f64 v[19:20], v[19:20], v[27:28]
	ds_read_b128 v[1:4], v61 offset:96
	ds_read_b128 v[15:18], v61 offset:112
	v_fma_f64 v[21:22], v[33:34], v[13:14], -v[21:22]
	v_fma_f64 v[13:14], v[35:36], v[13:14], v[23:24]
	s_waitcnt vmcnt(1) lgkmcnt(1)
	v_mul_f64 v[27:28], v[39:40], v[3:4]
	v_mul_f64 v[3:4], v[37:38], v[3:4]
	v_add_f64 v[23:24], v[25:26], v[29:30]
	v_add_f64 v[19:20], v[19:20], v[31:32]
	s_waitcnt vmcnt(0) lgkmcnt(0)
	v_mul_f64 v[25:26], v[43:44], v[17:18]
	v_mul_f64 v[17:18], v[41:42], v[17:18]
	v_fma_f64 v[27:28], v[37:38], v[1:2], -v[27:28]
	v_fma_f64 v[1:2], v[39:40], v[1:2], v[3:4]
	v_add_f64 v[3:4], v[23:24], v[21:22]
	v_add_f64 v[13:14], v[19:20], v[13:14]
	v_fma_f64 v[19:20], v[41:42], v[15:16], -v[25:26]
	v_fma_f64 v[15:16], v[43:44], v[15:16], v[17:18]
	v_add_f64 v[3:4], v[3:4], v[27:28]
	v_add_f64 v[13:14], v[13:14], v[1:2]
	;; [unrolled: 1-line block ×4, first 2 shown]
	s_cbranch_scc0 .LBB161_31
; %bb.32:                               ;   in Loop: Header=BB161_25 Depth=1
	s_mov_b32 s0, s17
.LBB161_33:                             ;   in Loop: Header=BB161_25 Depth=1
	s_andn2_b32 vcc_lo, exec_lo, s18
	s_cbranch_vccnz .LBB161_23
; %bb.34:                               ;   in Loop: Header=BB161_25 Depth=1
	s_lshl_b64 s[14:15], s[0:1], 4
	s_lshl_b32 s0, s0, 4
	v_add_co_u32 v9, vcc_lo, v11, s14
	v_add_co_ci_u32_e64 v10, null, s15, v12, vcc_lo
	s_mov_b32 s14, s11
	.p2align	6
.LBB161_35:                             ;   Parent Loop BB161_25 Depth=1
                                        ; =>  This Inner Loop Header: Depth=2
	global_load_dwordx4 v[13:16], v[9:10], off
	v_mov_b32_e32 v17, s0
	v_add_co_u32 v9, vcc_lo, v9, 16
	v_add_co_ci_u32_e64 v10, null, 0, v10, vcc_lo
	ds_read_b128 v[17:20], v17
	s_add_i32 s14, s14, -1
	s_add_i32 s0, s0, 16
	s_cmp_lg_u32 s14, 0
	s_waitcnt vmcnt(0) lgkmcnt(0)
	v_mul_f64 v[21:22], v[15:16], v[19:20]
	v_mul_f64 v[19:20], v[13:14], v[19:20]
	v_fma_f64 v[13:14], v[13:14], v[17:18], -v[21:22]
	v_fma_f64 v[15:16], v[15:16], v[17:18], v[19:20]
	v_add_f64 v[1:2], v[1:2], v[13:14]
	v_add_f64 v[3:4], v[3:4], v[15:16]
	s_cbranch_scc1 .LBB161_35
	s_branch .LBB161_23
.LBB161_36:
	s_endpgm
	.section	.rodata,"a",@progbits
	.p2align	6, 0x0
	.amdhsa_kernel _ZL22rocblas_gemvtsm_kernelILb0ELi256E19rocblas_complex_numIdES1_S1_EviiT2_lPKT1_lilS5_lilS2_lPT3_lil
		.amdhsa_group_segment_fixed_size 1024
		.amdhsa_private_segment_fixed_size 0
		.amdhsa_kernarg_size 152
		.amdhsa_user_sgpr_count 6
		.amdhsa_user_sgpr_private_segment_buffer 1
		.amdhsa_user_sgpr_dispatch_ptr 0
		.amdhsa_user_sgpr_queue_ptr 0
		.amdhsa_user_sgpr_kernarg_segment_ptr 1
		.amdhsa_user_sgpr_dispatch_id 0
		.amdhsa_user_sgpr_flat_scratch_init 0
		.amdhsa_user_sgpr_private_segment_size 0
		.amdhsa_wavefront_size32 1
		.amdhsa_uses_dynamic_stack 0
		.amdhsa_system_sgpr_private_segment_wavefront_offset 0
		.amdhsa_system_sgpr_workgroup_id_x 1
		.amdhsa_system_sgpr_workgroup_id_y 0
		.amdhsa_system_sgpr_workgroup_id_z 0
		.amdhsa_system_sgpr_workgroup_info 0
		.amdhsa_system_vgpr_workitem_id 0
		.amdhsa_next_free_vgpr 62
		.amdhsa_next_free_sgpr 31
		.amdhsa_reserve_vcc 1
		.amdhsa_reserve_flat_scratch 0
		.amdhsa_float_round_mode_32 0
		.amdhsa_float_round_mode_16_64 0
		.amdhsa_float_denorm_mode_32 3
		.amdhsa_float_denorm_mode_16_64 3
		.amdhsa_dx10_clamp 1
		.amdhsa_ieee_mode 1
		.amdhsa_fp16_overflow 0
		.amdhsa_workgroup_processor_mode 1
		.amdhsa_memory_ordered 1
		.amdhsa_forward_progress 1
		.amdhsa_shared_vgpr_count 0
		.amdhsa_exception_fp_ieee_invalid_op 0
		.amdhsa_exception_fp_denorm_src 0
		.amdhsa_exception_fp_ieee_div_zero 0
		.amdhsa_exception_fp_ieee_overflow 0
		.amdhsa_exception_fp_ieee_underflow 0
		.amdhsa_exception_fp_ieee_inexact 0
		.amdhsa_exception_int_div_zero 0
	.end_amdhsa_kernel
	.section	.text._ZL22rocblas_gemvtsm_kernelILb0ELi256E19rocblas_complex_numIdES1_S1_EviiT2_lPKT1_lilS5_lilS2_lPT3_lil,"axG",@progbits,_ZL22rocblas_gemvtsm_kernelILb0ELi256E19rocblas_complex_numIdES1_S1_EviiT2_lPKT1_lilS5_lilS2_lPT3_lil,comdat
.Lfunc_end161:
	.size	_ZL22rocblas_gemvtsm_kernelILb0ELi256E19rocblas_complex_numIdES1_S1_EviiT2_lPKT1_lilS5_lilS2_lPT3_lil, .Lfunc_end161-_ZL22rocblas_gemvtsm_kernelILb0ELi256E19rocblas_complex_numIdES1_S1_EviiT2_lPKT1_lilS5_lilS2_lPT3_lil
                                        ; -- End function
	.set _ZL22rocblas_gemvtsm_kernelILb0ELi256E19rocblas_complex_numIdES1_S1_EviiT2_lPKT1_lilS5_lilS2_lPT3_lil.num_vgpr, 62
	.set _ZL22rocblas_gemvtsm_kernelILb0ELi256E19rocblas_complex_numIdES1_S1_EviiT2_lPKT1_lilS5_lilS2_lPT3_lil.num_agpr, 0
	.set _ZL22rocblas_gemvtsm_kernelILb0ELi256E19rocblas_complex_numIdES1_S1_EviiT2_lPKT1_lilS5_lilS2_lPT3_lil.numbered_sgpr, 31
	.set _ZL22rocblas_gemvtsm_kernelILb0ELi256E19rocblas_complex_numIdES1_S1_EviiT2_lPKT1_lilS5_lilS2_lPT3_lil.num_named_barrier, 0
	.set _ZL22rocblas_gemvtsm_kernelILb0ELi256E19rocblas_complex_numIdES1_S1_EviiT2_lPKT1_lilS5_lilS2_lPT3_lil.private_seg_size, 0
	.set _ZL22rocblas_gemvtsm_kernelILb0ELi256E19rocblas_complex_numIdES1_S1_EviiT2_lPKT1_lilS5_lilS2_lPT3_lil.uses_vcc, 1
	.set _ZL22rocblas_gemvtsm_kernelILb0ELi256E19rocblas_complex_numIdES1_S1_EviiT2_lPKT1_lilS5_lilS2_lPT3_lil.uses_flat_scratch, 0
	.set _ZL22rocblas_gemvtsm_kernelILb0ELi256E19rocblas_complex_numIdES1_S1_EviiT2_lPKT1_lilS5_lilS2_lPT3_lil.has_dyn_sized_stack, 0
	.set _ZL22rocblas_gemvtsm_kernelILb0ELi256E19rocblas_complex_numIdES1_S1_EviiT2_lPKT1_lilS5_lilS2_lPT3_lil.has_recursion, 0
	.set _ZL22rocblas_gemvtsm_kernelILb0ELi256E19rocblas_complex_numIdES1_S1_EviiT2_lPKT1_lilS5_lilS2_lPT3_lil.has_indirect_call, 0
	.section	.AMDGPU.csdata,"",@progbits
; Kernel info:
; codeLenInByte = 2096
; TotalNumSgprs: 33
; NumVgprs: 62
; ScratchSize: 0
; MemoryBound: 0
; FloatMode: 240
; IeeeMode: 1
; LDSByteSize: 1024 bytes/workgroup (compile time only)
; SGPRBlocks: 0
; VGPRBlocks: 7
; NumSGPRsForWavesPerEU: 33
; NumVGPRsForWavesPerEU: 62
; Occupancy: 16
; WaveLimiterHint : 1
; COMPUTE_PGM_RSRC2:SCRATCH_EN: 0
; COMPUTE_PGM_RSRC2:USER_SGPR: 6
; COMPUTE_PGM_RSRC2:TRAP_HANDLER: 0
; COMPUTE_PGM_RSRC2:TGID_X_EN: 1
; COMPUTE_PGM_RSRC2:TGID_Y_EN: 0
; COMPUTE_PGM_RSRC2:TGID_Z_EN: 0
; COMPUTE_PGM_RSRC2:TIDIG_COMP_CNT: 0
	.section	.text._ZL23rocblas_gemvt_sn_kernelILb0ELi256ELi4Ei19rocblas_complex_numIdEPKS1_S1_EviiT4_lPKT3_lilS7_lilPT5_i,"axG",@progbits,_ZL23rocblas_gemvt_sn_kernelILb0ELi256ELi4Ei19rocblas_complex_numIdEPKS1_S1_EviiT4_lPKT3_lilS7_lilPT5_i,comdat
	.globl	_ZL23rocblas_gemvt_sn_kernelILb0ELi256ELi4Ei19rocblas_complex_numIdEPKS1_S1_EviiT4_lPKT3_lilS7_lilPT5_i ; -- Begin function _ZL23rocblas_gemvt_sn_kernelILb0ELi256ELi4Ei19rocblas_complex_numIdEPKS1_S1_EviiT4_lPKT3_lilS7_lilPT5_i
	.p2align	8
	.type	_ZL23rocblas_gemvt_sn_kernelILb0ELi256ELi4Ei19rocblas_complex_numIdEPKS1_S1_EviiT4_lPKT3_lilS7_lilPT5_i,@function
_ZL23rocblas_gemvt_sn_kernelILb0ELi256ELi4Ei19rocblas_complex_numIdEPKS1_S1_EviiT4_lPKT3_lilS7_lilPT5_i: ; @_ZL23rocblas_gemvt_sn_kernelILb0ELi256ELi4Ei19rocblas_complex_numIdEPKS1_S1_EviiT4_lPKT3_lilS7_lilPT5_i
; %bb.0:
	s_add_u32 s0, s0, s8
	s_load_dwordx8 s[8:15], s[4:5], 0x8
	s_addc_u32 s1, s1, 0
	s_load_dwordx4 s[20:23], s[4:5], 0x50
	s_mov_b32 s27, 0
	s_waitcnt lgkmcnt(0)
	s_mul_i32 s11, s11, s7
	s_mul_hi_u32 s16, s10, s7
	s_mul_i32 s10, s10, s7
	s_add_i32 s11, s16, s11
	s_lshl_b64 s[10:11], s[10:11], 4
	s_add_u32 s8, s8, s10
	s_addc_u32 s9, s9, s11
	s_load_dwordx4 s[16:19], s[8:9], 0x0
	s_clause 0x1
	s_load_dwordx2 s[24:25], s[4:5], 0x0
	s_load_dword s26, s[4:5], 0x68
	s_waitcnt lgkmcnt(0)
	v_cmp_neq_f64_e64 s8, s[16:17], 0
	v_cmp_neq_f64_e64 s9, s[18:19], 0
	s_ashr_i32 s30, s25, 31
	s_mul_hi_u32 s10, s25, s7
	s_mul_i32 s28, s30, s7
	s_mul_i32 s11, s25, s7
	s_add_i32 s10, s10, s28
	s_mul_hi_u32 s29, s11, s26
	s_mul_i32 s10, s10, s26
	s_mul_i32 s28, s11, s26
	s_add_i32 s29, s29, s10
	s_or_b32 s8, s8, s9
	s_mov_b32 s9, -1
	s_and_b32 vcc_lo, exec_lo, s8
	v_cmp_eq_u32_e64 s8, 0, v0
	s_cbranch_vccnz .LBB162_5
; %bb.1:
	s_cmp_gt_i32 s25, 0
	s_cselect_b32 s9, -1, 0
	s_and_b32 s8, s8, s9
	s_and_saveexec_b32 s31, s8
	s_cbranch_execz .LBB162_4
; %bb.2:
	s_mov_b32 s8, s7
	s_mov_b32 s7, 0
	v_mov_b32_e32 v1, 0
	s_lshl_b64 s[10:11], s[28:29], 4
	s_lshl_b64 s[34:35], s[6:7], 4
	s_mov_b32 s7, s8
	s_add_u32 s8, s10, s34
	s_addc_u32 s9, s11, s35
	s_add_u32 s8, s22, s8
	v_mov_b32_e32 v2, v1
	v_mov_b32_e32 v3, v1
	;; [unrolled: 1-line block ×3, first 2 shown]
	s_addc_u32 s9, s23, s9
	s_add_u32 s8, s8, 8
	s_addc_u32 s9, s9, 0
	s_lshl_b64 s[10:11], s[26:27], 4
	s_mov_b32 s27, s25
.LBB162_3:                              ; =>This Inner Loop Header: Depth=1
	s_add_i32 s27, s27, -1
	global_store_dwordx4 v1, v[1:4], s[8:9] offset:-8
	s_add_u32 s8, s8, s10
	s_addc_u32 s9, s9, s11
	s_cmp_eq_u32 s27, 0
	s_cbranch_scc0 .LBB162_3
.LBB162_4:
	s_or_b32 exec_lo, exec_lo, s31
	s_mov_b32 s9, 0
.LBB162_5:
	s_andn2_b32 vcc_lo, exec_lo, s9
	s_cbranch_vccnz .LBB162_77
; %bb.6:
	s_clause 0x3
	s_load_dwordx4 s[8:11], s[4:5], 0x30
	s_load_dwordx2 s[34:35], s[4:5], 0x40
	s_load_dword s27, s[4:5], 0x28
	s_load_dword s33, s[4:5], 0x48
	s_mul_i32 s5, s21, s7
	s_mul_hi_u32 s21, s20, s7
	s_mul_i32 s4, s20, s7
	s_add_i32 s5, s21, s5
	v_and_b32_e32 v22, 31, v0
	s_lshl_b64 s[20:21], s[4:5], 4
	v_cmp_gt_u32_e64 s4, 32, v0
	v_mbcnt_lo_u32_b32 v41, -1, 0
	v_lshrrev_b32_e32 v42, 1, v0
	v_mov_b32_e32 v36, 16
	v_mov_b32_e32 v37, 32
	;; [unrolled: 1-line block ×3, first 2 shown]
	s_waitcnt lgkmcnt(0)
	s_add_u32 s5, s10, s20
	s_addc_u32 s20, s11, s21
	s_lshl_b64 s[10:11], s[34:35], 4
	s_mul_i32 s9, s9, s7
	s_add_u32 s38, s5, s10
	s_addc_u32 s39, s20, s11
	s_lshl_b64 s[20:21], s[28:29], 4
	s_mul_hi_u32 s31, s8, s7
	s_add_u32 s11, s22, s20
	s_mul_i32 s8, s8, s7
	s_addc_u32 s42, s23, s21
	s_add_i32 s9, s31, s9
	v_cmp_gt_u32_e64 s5, 8, v0
	s_lshl_b64 s[20:21], s[8:9], 4
	s_add_u32 s7, s12, s20
	s_addc_u32 s8, s13, s21
	s_lshl_b64 s[14:15], s[14:15], 4
	s_add_u32 s7, s7, s14
	s_addc_u32 s8, s8, s15
	s_lshl_b32 s9, s6, 10
	s_lshr_b32 s10, s30, 30
	v_lshl_or_b32 v1, v0, 2, s9
	s_ashr_i32 s9, s24, 31
	s_add_i32 s10, s25, s10
	s_lshr_b32 s9, s9, 30
	s_and_b32 s43, s10, -4
	v_ashrrev_i32_e32 v2, 31, v1
	s_add_i32 s9, s24, s9
	v_mul_lo_u32 v21, s33, v1
	s_and_b32 s9, s9, -4
	v_add_nc_u32_e32 v43, 4, v1
	v_lshlrev_b64 v[23:24], 4, v[1:2]
	s_sub_i32 s40, s24, s9
	s_cmp_lt_i32 s43, 1
	v_add_nc_u32_e32 v44, s40, v1
	v_add_co_u32 v38, vcc_lo, s7, v23
	v_add_co_ci_u32_e64 v39, null, s8, v24, vcc_lo
	s_cbranch_scc1 .LBB162_54
; %bb.7:
	v_cmp_gt_u32_e32 vcc_lo, 24, v41
	v_mul_lo_u32 v25, s33, v1
	s_cmp_gt_i32 s40, 0
	v_cmp_ge_i32_e64 s7, s24, v43
	s_cselect_b32 s44, -1, 0
	v_cndmask_b32_e64 v2, 0, 8, vcc_lo
	v_cmp_gt_u32_e32 vcc_lo, 28, v41
	s_lshl_b32 s45, s27, 2
	s_lshl_b32 s46, s27, 1
	v_ashrrev_i32_e32 v26, 31, v25
	v_add_lshl_u32 v46, v2, v41, 2
	v_cndmask_b32_e64 v3, 0, 4, vcc_lo
	v_cmp_gt_u32_e32 vcc_lo, 30, v41
	s_add_u32 s22, s20, s14
	v_lshlrev_b64 v[5:6], 4, v[25:26]
	s_addc_u32 s28, s21, s15
	v_add_lshl_u32 v47, v3, v41, 2
	v_cndmask_b32_e64 v1, 0, 2, vcc_lo
	v_cmp_ne_u32_e32 vcc_lo, 31, v41
	s_add_u32 s22, s12, s22
	s_addc_u32 s28, s13, s28
	v_cmp_ge_i32_e64 s8, s24, v44
	v_add_lshl_u32 v48, v1, v41, 2
	v_add_nc_u32_e32 v1, s33, v25
	v_add_co_ci_u32_e64 v4, null, 0, v41, vcc_lo
	v_add_co_u32 v26, vcc_lo, s38, v5
	v_add_nc_u32_e32 v3, s33, v1
	v_ashrrev_i32_e32 v2, 31, v1
	v_lshlrev_b32_e32 v49, 2, v4
	v_add_co_ci_u32_e64 v27, null, s39, v6, vcc_lo
	v_add_nc_u32_e32 v7, s33, v3
	v_lshlrev_b64 v[1:2], 4, v[1:2]
	v_ashrrev_i32_e32 v4, 31, v3
	v_lshl_or_b32 v45, v41, 2, 64
	v_cmp_eq_u32_e64 s9, 0, v22
	v_ashrrev_i32_e32 v8, 31, v7
	v_lshlrev_b32_e32 v50, 4, v22
	v_lshlrev_b64 v[3:4], 4, v[3:4]
	v_add_co_u32 v28, vcc_lo, s38, v1
	v_add_co_ci_u32_e64 v29, null, s39, v2, vcc_lo
	v_lshlrev_b64 v[1:2], 4, v[7:8]
	v_add_co_u32 v30, vcc_lo, s38, v3
	v_add_co_ci_u32_e64 v31, null, s39, v4, vcc_lo
	v_and_b32_e32 v51, 0x70, v42
	v_add_co_u32 v32, vcc_lo, s38, v1
	v_add_co_ci_u32_e64 v33, null, s39, v2, vcc_lo
	v_add_co_u32 v1, vcc_lo, s22, v23
	v_add_co_ci_u32_e64 v2, null, s28, v24, vcc_lo
	v_cmp_eq_u32_e64 s10, 0, v0
	v_add_co_u32 v52, vcc_lo, v1, 8
	v_add_co_ci_u32_e64 v53, null, 0, v2, vcc_lo
	v_mov_b32_e32 v1, 0
	s_mov_b32 s23, 0
	s_mul_i32 s47, s27, 3
	s_mov_b32 s28, s23
	s_mov_b32 s48, s27
	;; [unrolled: 1-line block ×3, first 2 shown]
	s_branch .LBB162_9
.LBB162_8:                              ;   in Loop: Header=BB162_9 Depth=1
	s_or_b32 exec_lo, exec_lo, s29
	s_add_i32 s41, s41, 4
	s_add_i32 s48, s48, s45
	;; [unrolled: 1-line block ×5, first 2 shown]
	s_cmp_ge_i32 s41, s43
	s_cbranch_scc1 .LBB162_55
.LBB162_9:                              ; =>This Loop Header: Depth=1
                                        ;     Child Loop BB162_40 Depth 2
                                        ;     Child Loop BB162_42 Depth 2
                                        ; implicit-def: $vgpr17_vgpr18
                                        ; implicit-def: $vgpr19_vgpr20
                                        ; implicit-def: $vgpr13_vgpr14
                                        ; implicit-def: $vgpr15_vgpr16
                                        ; implicit-def: $vgpr9_vgpr10
                                        ; implicit-def: $vgpr11_vgpr12
                                        ; implicit-def: $vgpr7_vgpr8
                                        ; implicit-def: $vgpr5_vgpr6
	s_and_saveexec_b32 s22, s7
	s_xor_b32 s22, exec_lo, s22
	s_cbranch_execnz .LBB162_36
; %bb.10:                               ;   in Loop: Header=BB162_9 Depth=1
	s_andn2_saveexec_b32 s22, s22
	s_cbranch_execnz .LBB162_37
.LBB162_11:                             ;   in Loop: Header=BB162_9 Depth=1
	s_or_b32 exec_lo, exec_lo, s22
	s_and_saveexec_b32 s22, s4
	s_cbranch_execz .LBB162_13
.LBB162_12:                             ;   in Loop: Header=BB162_9 Depth=1
	v_mov_b32_e32 v2, v1
	v_mov_b32_e32 v3, v1
	v_mov_b32_e32 v4, v1
	ds_write_b128 v50, v[1:4]
.LBB162_13:                             ;   in Loop: Header=BB162_9 Depth=1
	s_or_b32 exec_lo, exec_lo, s22
	ds_bpermute_b32 v2, v45, v7
	ds_bpermute_b32 v3, v45, v8
	;; [unrolled: 1-line block ×4, first 2 shown]
	s_waitcnt lgkmcnt(0)
	s_waitcnt_vscnt null, 0x0
	s_barrier
	buffer_gl0_inv
	v_add_f64 v[2:3], v[7:8], v[2:3]
	v_add_f64 v[4:5], v[5:6], v[34:35]
	ds_bpermute_b32 v6, v46, v2
	ds_bpermute_b32 v7, v46, v3
	ds_bpermute_b32 v34, v46, v4
	ds_bpermute_b32 v35, v46, v5
	s_waitcnt lgkmcnt(2)
	v_add_f64 v[2:3], v[2:3], v[6:7]
	s_waitcnt lgkmcnt(0)
	v_add_f64 v[4:5], v[4:5], v[34:35]
	ds_bpermute_b32 v6, v47, v2
	ds_bpermute_b32 v7, v47, v3
	ds_bpermute_b32 v34, v47, v4
	ds_bpermute_b32 v35, v47, v5
	s_waitcnt lgkmcnt(2)
	v_add_f64 v[2:3], v[2:3], v[6:7]
	s_waitcnt lgkmcnt(0)
	;; [unrolled: 8-line block ×3, first 2 shown]
	v_add_f64 v[6:7], v[4:5], v[34:35]
	ds_bpermute_b32 v4, v49, v2
	ds_bpermute_b32 v5, v49, v3
	;; [unrolled: 1-line block ×4, first 2 shown]
	s_and_saveexec_b32 s22, s9
	s_cbranch_execz .LBB162_15
; %bb.14:                               ;   in Loop: Header=BB162_9 Depth=1
	s_waitcnt lgkmcnt(0)
	v_add_f64 v[6:7], v[6:7], v[34:35]
	v_add_f64 v[4:5], v[2:3], v[4:5]
	ds_write_b128 v51, v[4:7]
.LBB162_15:                             ;   in Loop: Header=BB162_9 Depth=1
	s_or_b32 exec_lo, exec_lo, s22
	v_mov_b32_e32 v7, 0
	s_waitcnt lgkmcnt(2)
	v_mov_b32_e32 v5, 0
	v_mov_b32_e32 v8, 0
	;; [unrolled: 1-line block ×3, first 2 shown]
	s_waitcnt lgkmcnt(0)
	s_barrier
	buffer_gl0_inv
	s_and_saveexec_b32 s22, s5
	s_cbranch_execnz .LBB162_43
; %bb.16:                               ;   in Loop: Header=BB162_9 Depth=1
	s_or_b32 exec_lo, exec_lo, s22
	s_and_saveexec_b32 s22, s4
	s_cbranch_execnz .LBB162_44
.LBB162_17:                             ;   in Loop: Header=BB162_9 Depth=1
	s_or_b32 exec_lo, exec_lo, s22
	s_and_saveexec_b32 s22, s4
	s_cbranch_execz .LBB162_19
.LBB162_18:                             ;   in Loop: Header=BB162_9 Depth=1
	v_mov_b32_e32 v2, v1
	v_mov_b32_e32 v3, v1
	;; [unrolled: 1-line block ×3, first 2 shown]
	ds_write_b128 v50, v[1:4]
.LBB162_19:                             ;   in Loop: Header=BB162_9 Depth=1
	s_or_b32 exec_lo, exec_lo, s22
	ds_bpermute_b32 v2, v45, v9
	ds_bpermute_b32 v3, v45, v10
	;; [unrolled: 1-line block ×4, first 2 shown]
	s_waitcnt lgkmcnt(0)
	s_barrier
	buffer_gl0_inv
	v_add_f64 v[2:3], v[9:10], v[2:3]
	v_add_f64 v[9:10], v[11:12], v[34:35]
	ds_bpermute_b32 v11, v46, v2
	ds_bpermute_b32 v12, v46, v3
	ds_bpermute_b32 v34, v46, v9
	ds_bpermute_b32 v35, v46, v10
	s_waitcnt lgkmcnt(2)
	v_add_f64 v[2:3], v[2:3], v[11:12]
	s_waitcnt lgkmcnt(0)
	v_add_f64 v[9:10], v[9:10], v[34:35]
	ds_bpermute_b32 v11, v47, v2
	ds_bpermute_b32 v12, v47, v3
	ds_bpermute_b32 v34, v47, v9
	ds_bpermute_b32 v35, v47, v10
	s_waitcnt lgkmcnt(2)
	v_add_f64 v[2:3], v[2:3], v[11:12]
	s_waitcnt lgkmcnt(0)
	v_add_f64 v[9:10], v[9:10], v[34:35]
	ds_bpermute_b32 v11, v48, v2
	ds_bpermute_b32 v12, v48, v3
	ds_bpermute_b32 v34, v48, v9
	ds_bpermute_b32 v35, v48, v10
	s_waitcnt lgkmcnt(2)
	v_add_f64 v[2:3], v[2:3], v[11:12]
	s_waitcnt lgkmcnt(0)
	v_add_f64 v[11:12], v[9:10], v[34:35]
	ds_bpermute_b32 v9, v49, v2
	ds_bpermute_b32 v10, v49, v3
	;; [unrolled: 1-line block ×4, first 2 shown]
	s_and_saveexec_b32 s22, s9
	s_cbranch_execz .LBB162_21
; %bb.20:                               ;   in Loop: Header=BB162_9 Depth=1
	s_waitcnt lgkmcnt(0)
	v_add_f64 v[11:12], v[11:12], v[34:35]
	v_add_f64 v[9:10], v[2:3], v[9:10]
	ds_write_b128 v51, v[9:12]
.LBB162_21:                             ;   in Loop: Header=BB162_9 Depth=1
	s_or_b32 exec_lo, exec_lo, s22
	v_mov_b32_e32 v11, 0
	s_waitcnt lgkmcnt(2)
	v_mov_b32_e32 v9, 0
	v_mov_b32_e32 v12, 0
	;; [unrolled: 1-line block ×3, first 2 shown]
	s_waitcnt lgkmcnt(0)
	s_barrier
	buffer_gl0_inv
	s_and_saveexec_b32 s22, s5
	s_cbranch_execnz .LBB162_45
; %bb.22:                               ;   in Loop: Header=BB162_9 Depth=1
	s_or_b32 exec_lo, exec_lo, s22
	s_and_saveexec_b32 s22, s4
	s_cbranch_execnz .LBB162_46
.LBB162_23:                             ;   in Loop: Header=BB162_9 Depth=1
	s_or_b32 exec_lo, exec_lo, s22
	s_and_saveexec_b32 s22, s4
	s_cbranch_execz .LBB162_25
.LBB162_24:                             ;   in Loop: Header=BB162_9 Depth=1
	v_mov_b32_e32 v2, v1
	v_mov_b32_e32 v3, v1
	;; [unrolled: 1-line block ×3, first 2 shown]
	ds_write_b128 v50, v[1:4]
.LBB162_25:                             ;   in Loop: Header=BB162_9 Depth=1
	s_or_b32 exec_lo, exec_lo, s22
	ds_bpermute_b32 v2, v45, v13
	ds_bpermute_b32 v3, v45, v14
	;; [unrolled: 1-line block ×4, first 2 shown]
	s_waitcnt lgkmcnt(0)
	s_barrier
	buffer_gl0_inv
	v_add_f64 v[2:3], v[13:14], v[2:3]
	v_add_f64 v[13:14], v[15:16], v[34:35]
	ds_bpermute_b32 v15, v46, v2
	ds_bpermute_b32 v16, v46, v3
	ds_bpermute_b32 v34, v46, v13
	ds_bpermute_b32 v35, v46, v14
	s_waitcnt lgkmcnt(2)
	v_add_f64 v[2:3], v[2:3], v[15:16]
	s_waitcnt lgkmcnt(0)
	v_add_f64 v[13:14], v[13:14], v[34:35]
	ds_bpermute_b32 v15, v47, v2
	ds_bpermute_b32 v16, v47, v3
	ds_bpermute_b32 v34, v47, v13
	ds_bpermute_b32 v35, v47, v14
	s_waitcnt lgkmcnt(2)
	v_add_f64 v[2:3], v[2:3], v[15:16]
	s_waitcnt lgkmcnt(0)
	;; [unrolled: 8-line block ×3, first 2 shown]
	v_add_f64 v[15:16], v[13:14], v[34:35]
	ds_bpermute_b32 v13, v49, v2
	ds_bpermute_b32 v14, v49, v3
	;; [unrolled: 1-line block ×4, first 2 shown]
	s_and_saveexec_b32 s22, s9
	s_cbranch_execz .LBB162_27
; %bb.26:                               ;   in Loop: Header=BB162_9 Depth=1
	s_waitcnt lgkmcnt(0)
	v_add_f64 v[15:16], v[15:16], v[34:35]
	v_add_f64 v[13:14], v[2:3], v[13:14]
	ds_write_b128 v51, v[13:16]
.LBB162_27:                             ;   in Loop: Header=BB162_9 Depth=1
	s_or_b32 exec_lo, exec_lo, s22
	v_mov_b32_e32 v15, 0
	s_waitcnt lgkmcnt(2)
	v_mov_b32_e32 v13, 0
	v_mov_b32_e32 v16, 0
	;; [unrolled: 1-line block ×3, first 2 shown]
	s_waitcnt lgkmcnt(0)
	s_barrier
	buffer_gl0_inv
	s_and_saveexec_b32 s22, s5
	s_cbranch_execnz .LBB162_47
; %bb.28:                               ;   in Loop: Header=BB162_9 Depth=1
	s_or_b32 exec_lo, exec_lo, s22
	s_and_saveexec_b32 s22, s4
	s_cbranch_execnz .LBB162_48
.LBB162_29:                             ;   in Loop: Header=BB162_9 Depth=1
	s_or_b32 exec_lo, exec_lo, s22
	s_and_saveexec_b32 s22, s4
	s_cbranch_execz .LBB162_31
.LBB162_30:                             ;   in Loop: Header=BB162_9 Depth=1
	v_mov_b32_e32 v2, v1
	v_mov_b32_e32 v3, v1
	;; [unrolled: 1-line block ×3, first 2 shown]
	ds_write_b128 v50, v[1:4]
.LBB162_31:                             ;   in Loop: Header=BB162_9 Depth=1
	s_or_b32 exec_lo, exec_lo, s22
	ds_bpermute_b32 v2, v45, v17
	ds_bpermute_b32 v3, v45, v18
	;; [unrolled: 1-line block ×4, first 2 shown]
	s_waitcnt lgkmcnt(0)
	s_barrier
	buffer_gl0_inv
	v_add_f64 v[2:3], v[17:18], v[2:3]
	v_add_f64 v[17:18], v[19:20], v[34:35]
	ds_bpermute_b32 v19, v46, v2
	ds_bpermute_b32 v20, v46, v3
	ds_bpermute_b32 v34, v46, v17
	ds_bpermute_b32 v35, v46, v18
	s_waitcnt lgkmcnt(2)
	v_add_f64 v[2:3], v[2:3], v[19:20]
	s_waitcnt lgkmcnt(0)
	v_add_f64 v[17:18], v[17:18], v[34:35]
	ds_bpermute_b32 v19, v47, v2
	ds_bpermute_b32 v20, v47, v3
	ds_bpermute_b32 v34, v47, v17
	ds_bpermute_b32 v35, v47, v18
	s_waitcnt lgkmcnt(2)
	v_add_f64 v[2:3], v[2:3], v[19:20]
	s_waitcnt lgkmcnt(0)
	;; [unrolled: 8-line block ×3, first 2 shown]
	v_add_f64 v[19:20], v[17:18], v[34:35]
	ds_bpermute_b32 v17, v49, v2
	ds_bpermute_b32 v18, v49, v3
	;; [unrolled: 1-line block ×4, first 2 shown]
	s_and_saveexec_b32 s22, s9
	s_cbranch_execz .LBB162_33
; %bb.32:                               ;   in Loop: Header=BB162_9 Depth=1
	s_waitcnt lgkmcnt(0)
	v_add_f64 v[19:20], v[19:20], v[34:35]
	v_add_f64 v[17:18], v[2:3], v[17:18]
	ds_write_b128 v51, v[17:20]
.LBB162_33:                             ;   in Loop: Header=BB162_9 Depth=1
	s_or_b32 exec_lo, exec_lo, s22
	v_mov_b32_e32 v19, 0
	s_waitcnt lgkmcnt(2)
	v_mov_b32_e32 v17, 0
	v_mov_b32_e32 v20, 0
	v_mov_b32_e32 v18, 0
	s_waitcnt lgkmcnt(0)
	s_barrier
	buffer_gl0_inv
	s_and_saveexec_b32 s22, s5
	s_cbranch_execnz .LBB162_49
; %bb.34:                               ;   in Loop: Header=BB162_9 Depth=1
	s_or_b32 exec_lo, exec_lo, s22
	s_and_saveexec_b32 s22, s4
	s_cbranch_execnz .LBB162_50
.LBB162_35:                             ;   in Loop: Header=BB162_9 Depth=1
	s_or_b32 exec_lo, exec_lo, s22
	s_and_saveexec_b32 s29, s10
	s_cbranch_execz .LBB162_8
	s_branch .LBB162_51
.LBB162_36:                             ;   in Loop: Header=BB162_9 Depth=1
	s_clause 0x2
	global_load_dwordx4 v[2:5], v[28:29], off
	global_load_dwordx4 v[6:9], v[30:31], off
	;; [unrolled: 1-line block ×3, first 2 shown]
	s_mul_i32 s30, s41, s27
	global_load_dwordx4 v[54:57], v[26:27], off
	s_ashr_i32 s31, s30, 31
	s_add_i32 s34, s30, s27
	s_lshl_b64 s[30:31], s[30:31], 4
	s_ashr_i32 s35, s34, 31
	s_add_i32 s36, s34, s27
	s_lshl_b64 s[34:35], s[34:35], 4
	s_waitcnt lgkmcnt(0)
	v_add_co_u32 v18, vcc_lo, v38, s30
	v_add_co_ci_u32_e64 v19, null, s31, v39, vcc_lo
	v_add_co_u32 v34, vcc_lo, v38, s34
	v_add_co_ci_u32_e64 v35, null, s35, v39, vcc_lo
	global_load_dwordx4 v[14:17], v[18:19], off
	s_ashr_i32 s37, s36, 31
	s_add_i32 s30, s36, s27
	global_load_dwordx4 v[58:61], v[34:35], off
	s_lshl_b64 s[36:37], s[36:37], 4
	s_ashr_i32 s31, s30, 31
	v_add_co_u32 v98, vcc_lo, v38, s36
	s_lshl_b64 s[30:31], s[30:31], 4
	v_add_co_ci_u32_e64 v99, null, s37, v39, vcc_lo
	v_add_co_u32 v102, vcc_lo, v38, s30
	v_add_co_ci_u32_e64 v103, null, s31, v39, vcc_lo
	s_clause 0x2
	global_load_dwordx4 v[62:65], v[18:19], off offset:16
	global_load_dwordx4 v[66:69], v[98:99], off
	global_load_dwordx4 v[70:73], v[102:103], off
	s_waitcnt vmcnt(8)
	buffer_store_dword v5, v36, s[0:3], 0 offen offset:12
	buffer_store_dword v4, v36, s[0:3], 0 offen offset:8
	buffer_store_dword v3, v36, s[0:3], 0 offen offset:4
	buffer_store_dword v2, v36, s[0:3], 0 offen
	s_waitcnt vmcnt(7)
	buffer_store_dword v9, v37, s[0:3], 0 offen offset:12
	buffer_store_dword v8, v37, s[0:3], 0 offen offset:8
	;; [unrolled: 1-line block ×3, first 2 shown]
	buffer_store_dword v6, v37, s[0:3], 0 offen
	s_clause 0x6
	buffer_load_dword v106, off, s[0:3], 0 offset:16
	buffer_load_dword v109, off, s[0:3], 0 offset:28
	;; [unrolled: 1-line block ×7, first 2 shown]
	s_clause 0x2
	global_load_dwordx4 v[2:5], v[34:35], off offset:16
	global_load_dwordx4 v[6:9], v[98:99], off offset:16
	;; [unrolled: 1-line block ×3, first 2 shown]
	buffer_load_dword v112, off, s[0:3], 0 offset:40
	s_clause 0x4
	global_load_dwordx4 v[78:81], v[18:19], off offset:32
	global_load_dwordx4 v[82:85], v[34:35], off offset:32
	;; [unrolled: 1-line block ×5, first 2 shown]
	s_waitcnt vmcnt(22)
	buffer_store_dword v13, v40, s[0:3], 0 offen offset:12
	buffer_store_dword v12, v40, s[0:3], 0 offen offset:8
	;; [unrolled: 1-line block ×3, first 2 shown]
	s_clause 0x1
	buffer_load_dword v19, off, s[0:3], 0 offset:60
	buffer_load_dword v18, off, s[0:3], 0 offset:56
	buffer_store_dword v10, v40, s[0:3], 0 offen
	s_clause 0x1
	buffer_load_dword v114, off, s[0:3], 0 offset:48
	buffer_load_dword v115, off, s[0:3], 0 offset:52
	s_clause 0x2
	global_load_dwordx4 v[10:13], v[34:35], off offset:48
	global_load_dwordx4 v[98:101], v[98:99], off offset:48
	;; [unrolled: 1-line block ×3, first 2 shown]
	s_waitcnt vmcnt(28)
	buffer_store_dword v57, off, s[0:3], 0 offset:12
	buffer_store_dword v56, off, s[0:3], 0 offset:8
	;; [unrolled: 1-line block ×3, first 2 shown]
	buffer_store_dword v54, off, s[0:3], 0
	s_waitcnt vmcnt(27)
	v_mul_f64 v[34:35], v[56:57], v[16:17]
	v_mul_f64 v[16:17], v[54:55], v[16:17]
	s_waitcnt vmcnt(26)
	v_mul_f64 v[116:117], v[56:57], v[60:61]
	v_mul_f64 v[60:61], v[54:55], v[60:61]
	;; [unrolled: 3-line block ×3, first 2 shown]
	s_waitcnt vmcnt(23)
	v_mul_f64 v[120:121], v[56:57], v[72:73]
	v_fma_f64 v[34:35], v[54:55], v[14:15], -v[34:35]
	v_fma_f64 v[14:15], v[56:57], v[14:15], v[16:17]
	v_mul_f64 v[16:17], v[54:55], v[72:73]
	v_fma_f64 v[72:73], v[54:55], v[58:59], -v[116:117]
	v_fma_f64 v[58:59], v[56:57], v[58:59], v[60:61]
	v_fma_f64 v[116:117], v[54:55], v[66:67], -v[118:119]
	v_fma_f64 v[66:67], v[56:57], v[66:67], v[68:69]
	v_fma_f64 v[118:119], v[54:55], v[70:71], -v[120:121]
	v_add_f64 v[34:35], v[34:35], 0
	v_add_f64 v[14:15], v[14:15], 0
	v_fma_f64 v[16:17], v[56:57], v[70:71], v[16:17]
	v_add_f64 v[72:73], v[72:73], 0
	v_add_f64 v[58:59], v[58:59], 0
	;; [unrolled: 1-line block ×4, first 2 shown]
	s_waitcnt vmcnt(17)
	v_mul_f64 v[60:61], v[108:109], v[64:65]
	s_waitcnt vmcnt(16)
	v_mul_f64 v[64:65], v[106:107], v[64:65]
	;; [unrolled: 2-line block ×3, first 2 shown]
	v_mul_f64 v[4:5], v[106:107], v[4:5]
	s_waitcnt vmcnt(14)
	v_mul_f64 v[70:71], v[108:109], v[8:9]
	v_mul_f64 v[8:9], v[106:107], v[8:9]
	s_waitcnt vmcnt(13)
	v_mul_f64 v[120:121], v[108:109], v[76:77]
	v_fma_f64 v[60:61], v[106:107], v[62:63], -v[60:61]
	v_fma_f64 v[62:63], v[108:109], v[62:63], v[64:65]
	v_mul_f64 v[64:65], v[106:107], v[76:77]
	s_waitcnt vmcnt(11)
	v_mul_f64 v[76:77], v[112:113], v[80:81]
	v_fma_f64 v[68:69], v[106:107], v[2:3], -v[68:69]
	v_fma_f64 v[2:3], v[108:109], v[2:3], v[4:5]
	;; [unrolled: 5-line block ×3, first 2 shown]
	v_mul_f64 v[8:9], v[110:111], v[84:85]
	s_waitcnt vmcnt(9)
	v_mul_f64 v[84:85], v[112:113], v[88:89]
	v_fma_f64 v[106:107], v[106:107], v[74:75], -v[120:121]
	v_mul_f64 v[88:89], v[110:111], v[88:89]
	v_add_f64 v[34:35], v[34:35], v[60:61]
	v_add_f64 v[14:15], v[14:15], v[62:63]
	v_fma_f64 v[64:65], v[108:109], v[74:75], v[64:65]
	s_waitcnt vmcnt(8)
	v_mul_f64 v[74:75], v[112:113], v[92:93]
	v_mul_f64 v[92:93], v[110:111], v[92:93]
	v_add_f64 v[108:109], v[116:117], 0
	v_add_f64 v[116:117], v[118:119], 0
	s_waitcnt vmcnt(5)
	v_mul_f64 v[118:119], v[18:19], v[96:97]
	v_fma_f64 v[76:77], v[110:111], v[78:79], -v[76:77]
	v_fma_f64 v[4:5], v[112:113], v[78:79], v[4:5]
	s_waitcnt vmcnt(3)
	v_mul_f64 v[78:79], v[114:115], v[96:97]
	s_waitcnt vmcnt(2)
	v_mul_f64 v[96:97], v[18:19], v[12:13]
	v_fma_f64 v[80:81], v[110:111], v[82:83], -v[80:81]
	v_fma_f64 v[8:9], v[112:113], v[82:83], v[8:9]
	v_mul_f64 v[12:13], v[114:115], v[12:13]
	s_waitcnt vmcnt(1)
	v_mul_f64 v[82:83], v[18:19], v[100:101]
	v_fma_f64 v[84:85], v[110:111], v[86:87], -v[84:85]
	v_fma_f64 v[86:87], v[112:113], v[86:87], v[88:89]
	v_mul_f64 v[88:89], v[114:115], v[100:101]
	s_waitcnt vmcnt(0)
	v_mul_f64 v[100:101], v[18:19], v[104:105]
	v_mul_f64 v[104:105], v[114:115], v[104:105]
	v_add_f64 v[60:61], v[72:73], v[68:69]
	v_add_f64 v[2:3], v[58:59], v[2:3]
	;; [unrolled: 1-line block ×4, first 2 shown]
	v_fma_f64 v[74:75], v[110:111], v[90:91], -v[74:75]
	v_fma_f64 v[90:91], v[112:113], v[90:91], v[92:93]
	v_add_f64 v[58:59], v[108:109], v[70:71]
	v_add_f64 v[62:63], v[116:117], v[106:107]
	v_fma_f64 v[64:65], v[114:115], v[94:95], -v[118:119]
	v_add_f64 v[34:35], v[34:35], v[76:77]
	v_add_f64 v[4:5], v[14:15], v[4:5]
	v_fma_f64 v[66:67], v[18:19], v[94:95], v[78:79]
	v_fma_f64 v[68:69], v[114:115], v[10:11], -v[96:97]
	v_fma_f64 v[11:12], v[18:19], v[10:11], v[12:13]
	v_fma_f64 v[70:71], v[114:115], v[98:99], -v[82:83]
	;; [unrolled: 2-line block ×3, first 2 shown]
	v_fma_f64 v[19:20], v[18:19], v[102:103], v[104:105]
	v_add_f64 v[13:14], v[60:61], v[80:81]
	v_add_f64 v[2:3], v[2:3], v[8:9]
	;; [unrolled: 1-line block ×14, first 2 shown]
	s_andn2_saveexec_b32 s22, s22
	s_cbranch_execz .LBB162_11
.LBB162_37:                             ;   in Loop: Header=BB162_9 Depth=1
	s_waitcnt lgkmcnt(0)
	v_mov_b32_e32 v17, 0
	v_mov_b32_e32 v19, 0
	;; [unrolled: 1-line block ×16, first 2 shown]
	s_and_saveexec_b32 s49, s8
	s_cbranch_execz .LBB162_53
; %bb.38:                               ;   in Loop: Header=BB162_9 Depth=1
	s_andn2_b32 vcc_lo, exec_lo, s44
	s_cbranch_vccnz .LBB162_52
; %bb.39:                               ;   in Loop: Header=BB162_9 Depth=1
	v_mov_b32_e32 v2, v25
	s_mov_b32 s29, 0
	s_mov_b32 s30, s40
	.p2align	6
.LBB162_40:                             ;   Parent Loop BB162_9 Depth=1
                                        ; =>  This Inner Loop Header: Depth=2
	v_ashrrev_i32_e32 v3, 31, v2
	v_mov_b32_e32 v7, s29
	s_add_i32 s30, s30, -1
	s_add_i32 s29, s29, 16
	s_cmp_eq_u32 s30, 0
	v_lshlrev_b64 v[3:4], 4, v[2:3]
	v_add_nc_u32_e32 v2, s33, v2
	v_add_co_u32 v3, vcc_lo, s38, v3
	v_add_co_ci_u32_e64 v4, null, s39, v4, vcc_lo
	global_load_dwordx4 v[3:6], v[3:4], off
	s_waitcnt vmcnt(0)
	buffer_store_dword v6, v7, s[0:3], 0 offen offset:12
	buffer_store_dword v5, v7, s[0:3], 0 offen offset:8
	;; [unrolled: 1-line block ×3, first 2 shown]
	buffer_store_dword v3, v7, s[0:3], 0 offen
	s_cbranch_scc0 .LBB162_40
; %bb.41:                               ;   in Loop: Header=BB162_9 Depth=1
	s_ashr_i32 s29, s28, 31
	v_mov_b32_e32 v5, 0
	s_lshl_b64 s[30:31], s[28:29], 4
	v_mov_b32_e32 v7, 0
	v_add_co_u32 v2, vcc_lo, v52, s30
	v_mov_b32_e32 v11, 0
	v_mov_b32_e32 v9, 0
	;; [unrolled: 1-line block ×6, first 2 shown]
	v_add_co_ci_u32_e64 v3, null, s31, v53, vcc_lo
	v_mov_b32_e32 v6, 0
	v_mov_b32_e32 v8, 0
	;; [unrolled: 1-line block ×8, first 2 shown]
	s_mov_b32 s29, 0
	s_mov_b32 s30, s47
	s_mov_b32 s34, s46
	s_mov_b32 s36, s48
	s_mov_b32 s50, s40
.LBB162_42:                             ;   Parent Loop BB162_9 Depth=1
                                        ; =>  This Inner Loop Header: Depth=2
	s_ashr_i32 s37, s36, 31
	s_ashr_i32 s35, s34, 31
	s_lshl_b64 s[52:53], s[36:37], 4
	s_ashr_i32 s31, s30, 31
	s_lshl_b64 s[54:55], s[34:35], 4
	v_add_co_u32 v34, vcc_lo, v38, s52
	s_lshl_b64 s[56:57], s[30:31], 4
	v_add_co_ci_u32_e64 v35, null, s53, v39, vcc_lo
	v_add_co_u32 v62, vcc_lo, v38, s54
	v_mov_b32_e32 v4, s29
	v_add_co_ci_u32_e64 v63, null, s55, v39, vcc_lo
	v_add_co_u32 v66, vcc_lo, v38, s56
	v_add_co_ci_u32_e64 v67, null, s57, v39, vcc_lo
	global_load_dwordx4 v[54:57], v[2:3], off offset:-8
	s_clause 0x3
	buffer_load_dword v70, v4, s[0:3], 0 offen
	buffer_load_dword v72, v4, s[0:3], 0 offen offset:8
	buffer_load_dword v73, v4, s[0:3], 0 offen offset:12
	;; [unrolled: 1-line block ×3, first 2 shown]
	s_clause 0x2
	global_load_dwordx4 v[58:61], v[34:35], off
	global_load_dwordx4 v[62:65], v[62:63], off
	;; [unrolled: 1-line block ×3, first 2 shown]
	v_add_co_u32 v2, vcc_lo, v2, 16
	v_add_co_ci_u32_e64 v3, null, 0, v3, vcc_lo
	s_add_i32 s50, s50, -1
	s_add_i32 s29, s29, 16
	s_add_i32 s36, s36, 1
	;; [unrolled: 1-line block ×4, first 2 shown]
	s_cmp_lg_u32 s50, 0
	s_waitcnt vmcnt(4)
	v_mul_f64 v[34:35], v[72:73], v[56:57]
	s_waitcnt vmcnt(3)
	v_mul_f64 v[56:57], v[70:71], v[56:57]
	;; [unrolled: 2-line block ×3, first 2 shown]
	v_mul_f64 v[60:61], v[70:71], v[60:61]
	s_waitcnt vmcnt(1)
	v_mul_f64 v[76:77], v[72:73], v[64:65]
	v_mul_f64 v[64:65], v[70:71], v[64:65]
	s_waitcnt vmcnt(0)
	v_mul_f64 v[78:79], v[72:73], v[68:69]
	v_mul_f64 v[68:69], v[70:71], v[68:69]
	v_fma_f64 v[34:35], v[70:71], v[54:55], -v[34:35]
	v_fma_f64 v[54:55], v[72:73], v[54:55], v[56:57]
	v_fma_f64 v[56:57], v[70:71], v[58:59], -v[74:75]
	v_fma_f64 v[58:59], v[72:73], v[58:59], v[60:61]
	;; [unrolled: 2-line block ×4, first 2 shown]
	v_add_f64 v[7:8], v[7:8], v[34:35]
	v_add_f64 v[5:6], v[5:6], v[54:55]
	v_add_f64 v[9:10], v[9:10], v[56:57]
	v_add_f64 v[11:12], v[11:12], v[58:59]
	v_add_f64 v[13:14], v[13:14], v[60:61]
	v_add_f64 v[15:16], v[15:16], v[62:63]
	v_add_f64 v[17:18], v[17:18], v[64:65]
	v_add_f64 v[19:20], v[19:20], v[66:67]
	s_cbranch_scc1 .LBB162_42
	s_branch .LBB162_53
.LBB162_43:                             ;   in Loop: Header=BB162_9 Depth=1
	ds_read_b128 v[5:8], v50
	s_or_b32 exec_lo, exec_lo, s22
	s_and_saveexec_b32 s22, s4
	s_cbranch_execz .LBB162_17
.LBB162_44:                             ;   in Loop: Header=BB162_9 Depth=1
	s_waitcnt lgkmcnt(0)
	ds_bpermute_b32 v2, v47, v5
	ds_bpermute_b32 v3, v47, v6
	ds_bpermute_b32 v34, v47, v7
	ds_bpermute_b32 v35, v47, v8
	s_waitcnt lgkmcnt(2)
	v_add_f64 v[2:3], v[5:6], v[2:3]
	s_waitcnt lgkmcnt(0)
	v_add_f64 v[4:5], v[7:8], v[34:35]
	ds_bpermute_b32 v6, v48, v2
	ds_bpermute_b32 v7, v48, v3
	ds_bpermute_b32 v34, v48, v4
	ds_bpermute_b32 v35, v48, v5
	s_waitcnt lgkmcnt(2)
	v_add_f64 v[2:3], v[2:3], v[6:7]
	s_waitcnt lgkmcnt(0)
	v_add_f64 v[7:8], v[4:5], v[34:35]
	;; [unrolled: 8-line block ×3, first 2 shown]
	s_or_b32 exec_lo, exec_lo, s22
	s_and_saveexec_b32 s22, s4
	s_cbranch_execnz .LBB162_18
	s_branch .LBB162_19
.LBB162_45:                             ;   in Loop: Header=BB162_9 Depth=1
	ds_read_b128 v[9:12], v50
	s_or_b32 exec_lo, exec_lo, s22
	s_and_saveexec_b32 s22, s4
	s_cbranch_execz .LBB162_23
.LBB162_46:                             ;   in Loop: Header=BB162_9 Depth=1
	s_waitcnt lgkmcnt(0)
	ds_bpermute_b32 v2, v47, v9
	ds_bpermute_b32 v3, v47, v10
	ds_bpermute_b32 v34, v47, v11
	ds_bpermute_b32 v35, v47, v12
	s_waitcnt lgkmcnt(2)
	v_add_f64 v[2:3], v[9:10], v[2:3]
	s_waitcnt lgkmcnt(0)
	v_add_f64 v[9:10], v[11:12], v[34:35]
	ds_bpermute_b32 v11, v48, v2
	ds_bpermute_b32 v12, v48, v3
	ds_bpermute_b32 v34, v48, v9
	ds_bpermute_b32 v35, v48, v10
	s_waitcnt lgkmcnt(2)
	v_add_f64 v[2:3], v[2:3], v[11:12]
	s_waitcnt lgkmcnt(0)
	v_add_f64 v[11:12], v[9:10], v[34:35]
	ds_bpermute_b32 v9, v49, v2
	ds_bpermute_b32 v10, v49, v3
	ds_bpermute_b32 v34, v49, v11
	ds_bpermute_b32 v35, v49, v12
	s_waitcnt lgkmcnt(2)
	v_add_f64 v[9:10], v[2:3], v[9:10]
	s_waitcnt lgkmcnt(0)
	v_add_f64 v[11:12], v[11:12], v[34:35]
	s_or_b32 exec_lo, exec_lo, s22
	s_and_saveexec_b32 s22, s4
	s_cbranch_execnz .LBB162_24
	s_branch .LBB162_25
.LBB162_47:                             ;   in Loop: Header=BB162_9 Depth=1
	ds_read_b128 v[13:16], v50
	s_or_b32 exec_lo, exec_lo, s22
	s_and_saveexec_b32 s22, s4
	s_cbranch_execz .LBB162_29
.LBB162_48:                             ;   in Loop: Header=BB162_9 Depth=1
	s_waitcnt lgkmcnt(0)
	ds_bpermute_b32 v2, v47, v13
	ds_bpermute_b32 v3, v47, v14
	ds_bpermute_b32 v34, v47, v15
	ds_bpermute_b32 v35, v47, v16
	s_waitcnt lgkmcnt(2)
	v_add_f64 v[2:3], v[13:14], v[2:3]
	s_waitcnt lgkmcnt(0)
	v_add_f64 v[13:14], v[15:16], v[34:35]
	ds_bpermute_b32 v15, v48, v2
	ds_bpermute_b32 v16, v48, v3
	ds_bpermute_b32 v34, v48, v13
	ds_bpermute_b32 v35, v48, v14
	s_waitcnt lgkmcnt(2)
	v_add_f64 v[2:3], v[2:3], v[15:16]
	s_waitcnt lgkmcnt(0)
	v_add_f64 v[15:16], v[13:14], v[34:35]
	;; [unrolled: 8-line block ×3, first 2 shown]
	s_or_b32 exec_lo, exec_lo, s22
	s_and_saveexec_b32 s22, s4
	s_cbranch_execnz .LBB162_30
	s_branch .LBB162_31
.LBB162_49:                             ;   in Loop: Header=BB162_9 Depth=1
	ds_read_b128 v[17:20], v50
	s_or_b32 exec_lo, exec_lo, s22
	s_and_saveexec_b32 s22, s4
	s_cbranch_execz .LBB162_35
.LBB162_50:                             ;   in Loop: Header=BB162_9 Depth=1
	s_waitcnt lgkmcnt(0)
	ds_bpermute_b32 v2, v47, v17
	ds_bpermute_b32 v3, v47, v18
	ds_bpermute_b32 v34, v47, v19
	ds_bpermute_b32 v35, v47, v20
	s_waitcnt lgkmcnt(2)
	v_add_f64 v[2:3], v[17:18], v[2:3]
	s_waitcnt lgkmcnt(0)
	v_add_f64 v[17:18], v[19:20], v[34:35]
	ds_bpermute_b32 v19, v48, v2
	ds_bpermute_b32 v20, v48, v3
	ds_bpermute_b32 v34, v48, v17
	ds_bpermute_b32 v35, v48, v18
	s_waitcnt lgkmcnt(2)
	v_add_f64 v[2:3], v[2:3], v[19:20]
	s_waitcnt lgkmcnt(0)
	v_add_f64 v[19:20], v[17:18], v[34:35]
	;; [unrolled: 8-line block ×3, first 2 shown]
	s_or_b32 exec_lo, exec_lo, s22
	s_and_saveexec_b32 s29, s10
	s_cbranch_execz .LBB162_8
.LBB162_51:                             ;   in Loop: Header=BB162_9 Depth=1
	v_mul_f64 v[2:3], s[18:19], v[7:8]
	v_mul_f64 v[7:8], s[16:17], v[7:8]
	;; [unrolled: 1-line block ×6, first 2 shown]
	s_waitcnt lgkmcnt(0)
	v_mul_f64 v[56:57], s[18:19], v[19:20]
	v_mul_f64 v[19:20], s[16:17], v[19:20]
	s_mul_i32 s22, s41, s26
	s_add_i32 s22, s22, s6
	s_lshl_b64 s[30:31], s[22:23], 4
	s_add_u32 s30, s11, s30
	s_addc_u32 s31, s42, s31
	s_add_i32 s22, s22, s26
	s_lshl_b64 s[34:35], s[22:23], 4
	s_add_u32 s34, s11, s34
	s_addc_u32 s35, s42, s35
	v_fma_f64 v[2:3], s[16:17], v[5:6], -v[2:3]
	v_fma_f64 v[4:5], s[18:19], v[5:6], v[7:8]
	v_fma_f64 v[6:7], s[16:17], v[9:10], -v[34:35]
	v_fma_f64 v[8:9], s[18:19], v[9:10], v[11:12]
	;; [unrolled: 2-line block ×4, first 2 shown]
	s_add_i32 s22, s22, s26
	s_lshl_b64 s[36:37], s[22:23], 4
	s_add_u32 s36, s11, s36
	s_addc_u32 s37, s42, s37
	s_add_i32 s22, s22, s26
	s_lshl_b64 s[50:51], s[22:23], 4
	s_add_u32 s50, s11, s50
	s_addc_u32 s51, s42, s51
	global_store_dwordx4 v1, v[2:5], s[30:31]
	global_store_dwordx4 v1, v[6:9], s[34:35]
	;; [unrolled: 1-line block ×4, first 2 shown]
	s_branch .LBB162_8
.LBB162_52:                             ;   in Loop: Header=BB162_9 Depth=1
	v_mov_b32_e32 v17, 0
	v_mov_b32_e32 v19, 0
	;; [unrolled: 1-line block ×16, first 2 shown]
.LBB162_53:                             ;   in Loop: Header=BB162_9 Depth=1
	s_or_b32 exec_lo, exec_lo, s49
	s_or_b32 exec_lo, exec_lo, s22
	s_and_saveexec_b32 s22, s4
	s_cbranch_execnz .LBB162_12
	s_branch .LBB162_13
.LBB162_54:
	s_mov_b32 s41, 0
.LBB162_55:
	s_cmp_ge_i32 s41, s25
	s_cbranch_scc1 .LBB162_77
; %bb.56:
	v_cmp_gt_u32_e64 s5, 24, v41
	s_waitcnt lgkmcnt(0)
	v_lshlrev_b32_e32 v17, 4, v22
	v_cmp_gt_u32_e64 s4, 32, v0
	v_cmp_gt_u32_e64 s8, 8, v0
	v_cmp_eq_u32_e64 s9, 0, v0
	v_cndmask_b32_e64 v1, 0, 8, s5
	v_cmp_gt_u32_e64 s5, 28, v41
	s_cmp_gt_i32 s40, 0
	s_mov_b32 s7, 0
	v_cmp_ge_i32_e32 vcc_lo, s24, v43
	v_add_lshl_u32 v19, v1, v41, 2
	v_cndmask_b32_e64 v2, 0, 4, s5
	v_cmp_gt_u32_e64 s5, 30, v41
	v_add_nc_u32_e32 v1, s33, v21
	v_cmp_ge_i32_e64 s10, s24, v44
	s_cselect_b32 s24, -1, 0
	v_add_lshl_u32 v20, v2, v41, 2
	v_cndmask_b32_e64 v3, 0, 2, s5
	v_cmp_ne_u32_e64 s5, 31, v41
	v_ashrrev_i32_e32 v2, 31, v1
	v_add_nc_u32_e32 v0, s33, v1
	s_lshl_b64 s[22:23], s[6:7], 4
	v_add_lshl_u32 v25, v3, v41, 2
	v_add_co_ci_u32_e64 v4, null, 0, v41, s5
	v_cmp_eq_u32_e64 s5, 0, v22
	v_ashrrev_i32_e32 v22, 31, v21
	v_lshlrev_b64 v[7:8], 4, v[1:2]
	v_lshlrev_b32_e32 v26, 2, v4
	v_ashrrev_i32_e32 v1, 31, v0
	s_add_u32 s7, s11, s22
	v_lshlrev_b64 v[3:4], 4, v[21:22]
	s_addc_u32 s22, s42, s23
	s_and_b32 s23, s24, s10
	v_lshlrev_b64 v[1:2], 4, v[0:1]
	v_lshl_or_b32 v18, v41, 2, 64
	v_and_b32_e32 v27, 0x70, v42
	v_add_co_u32 v5, s6, s38, v3
	v_add_nc_u32_e32 v3, s33, v0
	v_add_co_ci_u32_e64 v6, null, s39, v4, s6
	v_add_co_u32 v7, s6, s38, v7
	v_ashrrev_i32_e32 v4, 31, v3
	v_add_co_ci_u32_e64 v8, null, s39, v8, s6
	v_add_co_u32 v9, s6, s38, v1
	v_add_co_ci_u32_e64 v10, null, s39, v2, s6
	s_add_u32 s6, s20, s14
	v_lshlrev_b64 v[0:1], 4, v[3:4]
	s_addc_u32 s10, s21, s15
	s_add_u32 s6, s12, s6
	s_addc_u32 s10, s13, s10
	v_add_co_u32 v2, s6, s6, v23
	v_add_co_ci_u32_e64 v3, null, s10, v24, s6
	v_add_co_u32 v11, s6, s38, v0
	v_add_co_ci_u32_e64 v12, null, s39, v1, s6
	v_add_co_u32 v22, s6, v2, 8
	v_add_co_ci_u32_e64 v23, null, 0, v3, s6
	v_mov_b32_e32 v0, 0
	s_mul_i32 s10, s41, s27
	s_branch .LBB162_58
.LBB162_57:                             ;   in Loop: Header=BB162_58 Depth=1
	s_or_b32 exec_lo, exec_lo, s6
	s_add_i32 s41, s41, 1
	s_add_i32 s10, s10, s27
	s_cmp_lt_i32 s41, s25
	s_cbranch_scc0 .LBB162_77
.LBB162_58:                             ; =>This Loop Header: Depth=1
                                        ;     Child Loop BB162_70 Depth 2
                                        ;     Child Loop BB162_72 Depth 2
                                        ; implicit-def: $vgpr13_vgpr14
                                        ; implicit-def: $vgpr15_vgpr16
	s_and_saveexec_b32 s6, vcc_lo
	s_xor_b32 s11, exec_lo, s6
	s_cbranch_execnz .LBB162_67
; %bb.59:                               ;   in Loop: Header=BB162_58 Depth=1
	s_andn2_saveexec_b32 s12, s11
	s_cbranch_execnz .LBB162_68
.LBB162_60:                             ;   in Loop: Header=BB162_58 Depth=1
	s_or_b32 exec_lo, exec_lo, s12
	s_and_saveexec_b32 s6, s4
	s_cbranch_execz .LBB162_62
.LBB162_61:                             ;   in Loop: Header=BB162_58 Depth=1
	s_waitcnt lgkmcnt(0)
	v_mov_b32_e32 v1, v0
	v_mov_b32_e32 v2, v0
	v_mov_b32_e32 v3, v0
	ds_write_b128 v17, v[0:3]
.LBB162_62:                             ;   in Loop: Header=BB162_58 Depth=1
	s_or_b32 exec_lo, exec_lo, s6
	s_waitcnt lgkmcnt(0)
	ds_bpermute_b32 v1, v18, v13
	ds_bpermute_b32 v2, v18, v14
	;; [unrolled: 1-line block ×4, first 2 shown]
	s_waitcnt lgkmcnt(0)
	s_waitcnt_vscnt null, 0x0
	s_barrier
	buffer_gl0_inv
	v_add_f64 v[1:2], v[13:14], v[1:2]
	v_add_f64 v[3:4], v[15:16], v[3:4]
	ds_bpermute_b32 v13, v19, v1
	ds_bpermute_b32 v14, v19, v2
	ds_bpermute_b32 v15, v19, v3
	ds_bpermute_b32 v16, v19, v4
	s_waitcnt lgkmcnt(2)
	v_add_f64 v[1:2], v[1:2], v[13:14]
	s_waitcnt lgkmcnt(0)
	v_add_f64 v[3:4], v[3:4], v[15:16]
	ds_bpermute_b32 v13, v20, v1
	ds_bpermute_b32 v14, v20, v2
	ds_bpermute_b32 v15, v20, v3
	ds_bpermute_b32 v16, v20, v4
	s_waitcnt lgkmcnt(2)
	v_add_f64 v[1:2], v[1:2], v[13:14]
	s_waitcnt lgkmcnt(0)
	;; [unrolled: 8-line block ×3, first 2 shown]
	v_add_f64 v[13:14], v[3:4], v[15:16]
	ds_bpermute_b32 v3, v26, v1
	ds_bpermute_b32 v4, v26, v2
	;; [unrolled: 1-line block ×4, first 2 shown]
	s_and_saveexec_b32 s6, s5
	s_cbranch_execz .LBB162_64
; %bb.63:                               ;   in Loop: Header=BB162_58 Depth=1
	s_waitcnt lgkmcnt(0)
	v_add_f64 v[15:16], v[13:14], v[15:16]
	v_add_f64 v[13:14], v[1:2], v[3:4]
	ds_write_b128 v27, v[13:16]
.LBB162_64:                             ;   in Loop: Header=BB162_58 Depth=1
	s_or_b32 exec_lo, exec_lo, s6
	s_waitcnt lgkmcnt(2)
	v_mov_b32_e32 v3, 0
	v_mov_b32_e32 v1, 0
	;; [unrolled: 1-line block ×4, first 2 shown]
	s_waitcnt lgkmcnt(0)
	s_barrier
	buffer_gl0_inv
	s_and_saveexec_b32 s6, s8
	s_cbranch_execnz .LBB162_74
; %bb.65:                               ;   in Loop: Header=BB162_58 Depth=1
	s_or_b32 exec_lo, exec_lo, s6
	s_and_saveexec_b32 s6, s4
	s_cbranch_execnz .LBB162_75
.LBB162_66:                             ;   in Loop: Header=BB162_58 Depth=1
	s_or_b32 exec_lo, exec_lo, s6
	s_and_saveexec_b32 s6, s9
	s_cbranch_execz .LBB162_57
	s_branch .LBB162_76
.LBB162_67:                             ;   in Loop: Header=BB162_58 Depth=1
	s_waitcnt lgkmcnt(0)
	s_clause 0x2
	global_load_dwordx4 v[1:4], v[7:8], off
	global_load_dwordx4 v[13:16], v[9:10], off
	;; [unrolled: 1-line block ×3, first 2 shown]
	s_mul_i32 s12, s41, s27
	s_ashr_i32 s13, s12, 31
	s_lshl_b64 s[12:13], s[12:13], 4
	v_add_co_u32 v49, s6, v38, s12
	v_add_co_ci_u32_e64 v50, null, s13, v39, s6
	global_load_dwordx4 v[32:35], v[5:6], off
	s_clause 0x1
	global_load_dwordx4 v[41:44], v[49:50], off
	global_load_dwordx4 v[45:48], v[49:50], off offset:16
	s_waitcnt vmcnt(5)
	buffer_store_dword v4, v36, s[0:3], 0 offen offset:12
	buffer_store_dword v3, v36, s[0:3], 0 offen offset:8
	s_waitcnt vmcnt(4)
	buffer_store_dword v16, v37, s[0:3], 0 offen offset:12
	buffer_store_dword v15, v37, s[0:3], 0 offen offset:8
	;; [unrolled: 1-line block ×3, first 2 shown]
	buffer_store_dword v13, v37, s[0:3], 0 offen
	s_clause 0x4
	buffer_load_dword v52, off, s[0:3], 0 offset:28
	buffer_load_dword v53, off, s[0:3], 0 offset:32
	;; [unrolled: 1-line block ×5, first 2 shown]
	buffer_store_dword v2, v36, s[0:3], 0 offen offset:4
	buffer_store_dword v1, v36, s[0:3], 0 offen
	global_load_dwordx4 v[1:4], v[49:50], off offset:32
	s_clause 0x2
	buffer_load_dword v56, off, s[0:3], 0 offset:44
	buffer_load_dword v57, off, s[0:3], 0 offset:16
	;; [unrolled: 1-line block ×3, first 2 shown]
	global_load_dwordx4 v[13:16], v[49:50], off offset:48
	s_waitcnt vmcnt(13)
	buffer_store_dword v31, v40, s[0:3], 0 offen offset:12
	buffer_store_dword v30, v40, s[0:3], 0 offen offset:8
	s_clause 0x1
	buffer_load_dword v31, off, s[0:3], 0 offset:60
	buffer_load_dword v30, off, s[0:3], 0 offset:56
	buffer_store_dword v29, v40, s[0:3], 0 offen offset:4
	buffer_store_dword v28, v40, s[0:3], 0 offen
	s_clause 0x1
	buffer_load_dword v28, off, s[0:3], 0 offset:48
	buffer_load_dword v29, off, s[0:3], 0 offset:52
	s_waitcnt vmcnt(16)
	buffer_store_dword v35, off, s[0:3], 0 offset:12
	buffer_store_dword v34, off, s[0:3], 0 offset:8
	;; [unrolled: 1-line block ×3, first 2 shown]
	buffer_store_dword v32, off, s[0:3], 0
	s_waitcnt vmcnt(15)
	v_mul_f64 v[49:50], v[43:44], v[34:35]
	v_mul_f64 v[59:60], v[41:42], v[34:35]
	v_fma_f64 v[41:42], v[41:42], v[32:33], -v[49:50]
	v_fma_f64 v[43:44], v[43:44], v[32:33], v[59:60]
	v_add_f64 v[41:42], v[41:42], 0
	v_add_f64 v[43:44], v[43:44], 0
	s_waitcnt vmcnt(9)
	v_mul_f64 v[49:50], v[47:48], v[51:52]
	v_mul_f64 v[51:52], v[45:46], v[51:52]
	s_waitcnt vmcnt(7)
	v_mul_f64 v[59:60], v[3:4], v[55:56]
	v_mul_f64 v[55:56], v[1:2], v[55:56]
	s_waitcnt vmcnt(5)
	v_fma_f64 v[45:46], v[45:46], v[57:58], -v[49:50]
	v_fma_f64 v[47:48], v[47:48], v[57:58], v[51:52]
	s_waitcnt vmcnt(2)
	v_mul_f64 v[49:50], v[15:16], v[30:31]
	v_mul_f64 v[30:31], v[13:14], v[30:31]
	v_fma_f64 v[1:2], v[1:2], v[53:54], -v[59:60]
	v_fma_f64 v[3:4], v[3:4], v[53:54], v[55:56]
	v_add_f64 v[41:42], v[41:42], v[45:46]
	v_add_f64 v[43:44], v[43:44], v[47:48]
	s_waitcnt vmcnt(0)
	v_fma_f64 v[13:14], v[13:14], v[28:29], -v[49:50]
	v_fma_f64 v[15:16], v[15:16], v[28:29], v[30:31]
	v_add_f64 v[1:2], v[41:42], v[1:2]
	v_add_f64 v[3:4], v[43:44], v[3:4]
	;; [unrolled: 1-line block ×4, first 2 shown]
	s_andn2_saveexec_b32 s12, s11
	s_cbranch_execz .LBB162_60
.LBB162_68:                             ;   in Loop: Header=BB162_58 Depth=1
	v_mov_b32_e32 v13, 0
	v_mov_b32_e32 v15, 0
	;; [unrolled: 1-line block ×4, first 2 shown]
	s_and_saveexec_b32 s13, s23
	s_cbranch_execz .LBB162_73
; %bb.69:                               ;   in Loop: Header=BB162_58 Depth=1
	s_waitcnt lgkmcnt(0)
	v_mov_b32_e32 v1, v21
	s_mov_b32 s11, 0
	s_mov_b32 s14, s40
	.p2align	6
.LBB162_70:                             ;   Parent Loop BB162_58 Depth=1
                                        ; =>  This Inner Loop Header: Depth=2
	v_ashrrev_i32_e32 v2, 31, v1
	s_add_i32 s14, s14, -1
	v_lshlrev_b64 v[2:3], 4, v[1:2]
	v_add_nc_u32_e32 v1, s33, v1
	v_add_co_u32 v2, s6, s38, v2
	v_add_co_ci_u32_e64 v3, null, s39, v3, s6
	global_load_dwordx4 v[13:16], v[2:3], off
	v_mov_b32_e32 v2, s11
	s_add_i32 s11, s11, 16
	s_cmp_eq_u32 s14, 0
	s_waitcnt vmcnt(0)
	buffer_store_dword v16, v2, s[0:3], 0 offen offset:12
	buffer_store_dword v15, v2, s[0:3], 0 offen offset:8
	;; [unrolled: 1-line block ×3, first 2 shown]
	buffer_store_dword v13, v2, s[0:3], 0 offen
	s_cbranch_scc0 .LBB162_70
; %bb.71:                               ;   in Loop: Header=BB162_58 Depth=1
	s_ashr_i32 s11, s10, 31
	v_mov_b32_e32 v13, 0
	s_lshl_b64 s[14:15], s[10:11], 4
	v_mov_b32_e32 v15, 0
	v_add_co_u32 v1, s6, v22, s14
	v_mov_b32_e32 v14, 0
	v_mov_b32_e32 v16, 0
	v_add_co_ci_u32_e64 v2, null, s15, v23, s6
	s_mov_b32 s11, 0
	s_mov_b32 s14, s40
	.p2align	6
.LBB162_72:                             ;   Parent Loop BB162_58 Depth=1
                                        ; =>  This Inner Loop Header: Depth=2
	v_mov_b32_e32 v24, s11
	global_load_dwordx4 v[28:31], v[1:2], off offset:-8
	v_add_co_u32 v1, s6, v1, 16
	v_add_co_ci_u32_e64 v2, null, 0, v2, s6
	s_clause 0x3
	buffer_load_dword v3, v24, s[0:3], 0 offen offset:8
	buffer_load_dword v4, v24, s[0:3], 0 offen offset:12
	buffer_load_dword v32, v24, s[0:3], 0 offen
	buffer_load_dword v33, v24, s[0:3], 0 offen offset:4
	s_add_i32 s14, s14, -1
	s_add_i32 s11, s11, 16
	s_cmp_lg_u32 s14, 0
	s_waitcnt vmcnt(2)
	v_mul_f64 v[34:35], v[30:31], v[3:4]
	v_mul_f64 v[3:4], v[28:29], v[3:4]
	s_waitcnt vmcnt(0)
	v_fma_f64 v[28:29], v[28:29], v[32:33], -v[34:35]
	v_fma_f64 v[3:4], v[30:31], v[32:33], v[3:4]
	v_add_f64 v[13:14], v[13:14], v[28:29]
	v_add_f64 v[15:16], v[15:16], v[3:4]
	s_cbranch_scc1 .LBB162_72
.LBB162_73:                             ;   in Loop: Header=BB162_58 Depth=1
	s_or_b32 exec_lo, exec_lo, s13
	s_or_b32 exec_lo, exec_lo, s12
	s_and_saveexec_b32 s6, s4
	s_cbranch_execnz .LBB162_61
	s_branch .LBB162_62
.LBB162_74:                             ;   in Loop: Header=BB162_58 Depth=1
	ds_read_b128 v[1:4], v17
	s_or_b32 exec_lo, exec_lo, s6
	s_and_saveexec_b32 s6, s4
	s_cbranch_execz .LBB162_66
.LBB162_75:                             ;   in Loop: Header=BB162_58 Depth=1
	s_waitcnt lgkmcnt(0)
	ds_bpermute_b32 v13, v20, v1
	ds_bpermute_b32 v14, v20, v2
	ds_bpermute_b32 v15, v20, v3
	ds_bpermute_b32 v16, v20, v4
	s_waitcnt lgkmcnt(2)
	v_add_f64 v[1:2], v[1:2], v[13:14]
	s_waitcnt lgkmcnt(0)
	v_add_f64 v[3:4], v[3:4], v[15:16]
	ds_bpermute_b32 v13, v25, v1
	ds_bpermute_b32 v14, v25, v2
	ds_bpermute_b32 v15, v25, v3
	ds_bpermute_b32 v16, v25, v4
	s_waitcnt lgkmcnt(2)
	v_add_f64 v[1:2], v[1:2], v[13:14]
	s_waitcnt lgkmcnt(0)
	v_add_f64 v[3:4], v[3:4], v[15:16]
	ds_bpermute_b32 v13, v26, v1
	ds_bpermute_b32 v14, v26, v2
	ds_bpermute_b32 v15, v26, v3
	ds_bpermute_b32 v16, v26, v4
	s_waitcnt lgkmcnt(2)
	v_add_f64 v[1:2], v[1:2], v[13:14]
	s_waitcnt lgkmcnt(0)
	v_add_f64 v[3:4], v[3:4], v[15:16]
	s_or_b32 exec_lo, exec_lo, s6
	s_and_saveexec_b32 s6, s9
	s_cbranch_execz .LBB162_57
.LBB162_76:                             ;   in Loop: Header=BB162_58 Depth=1
	s_waitcnt lgkmcnt(0)
	v_mul_f64 v[13:14], s[18:19], v[3:4]
	v_mul_f64 v[3:4], s[16:17], v[3:4]
	s_mul_hi_u32 s13, s41, s26
	s_mul_i32 s12, s41, s26
	s_lshl_b64 s[12:13], s[12:13], 4
	s_add_u32 s12, s7, s12
	s_addc_u32 s13, s22, s13
	v_fma_f64 v[13:14], s[16:17], v[1:2], -v[13:14]
	v_fma_f64 v[15:16], s[18:19], v[1:2], v[3:4]
	global_store_dwordx4 v0, v[13:16], s[12:13]
	s_branch .LBB162_57
.LBB162_77:
	s_endpgm
	.section	.rodata,"a",@progbits
	.p2align	6, 0x0
	.amdhsa_kernel _ZL23rocblas_gemvt_sn_kernelILb0ELi256ELi4Ei19rocblas_complex_numIdEPKS1_S1_EviiT4_lPKT3_lilS7_lilPT5_i
		.amdhsa_group_segment_fixed_size 512
		.amdhsa_private_segment_fixed_size 80
		.amdhsa_kernarg_size 360
		.amdhsa_user_sgpr_count 6
		.amdhsa_user_sgpr_private_segment_buffer 1
		.amdhsa_user_sgpr_dispatch_ptr 0
		.amdhsa_user_sgpr_queue_ptr 0
		.amdhsa_user_sgpr_kernarg_segment_ptr 1
		.amdhsa_user_sgpr_dispatch_id 0
		.amdhsa_user_sgpr_flat_scratch_init 0
		.amdhsa_user_sgpr_private_segment_size 0
		.amdhsa_wavefront_size32 1
		.amdhsa_uses_dynamic_stack 0
		.amdhsa_system_sgpr_private_segment_wavefront_offset 1
		.amdhsa_system_sgpr_workgroup_id_x 1
		.amdhsa_system_sgpr_workgroup_id_y 0
		.amdhsa_system_sgpr_workgroup_id_z 1
		.amdhsa_system_sgpr_workgroup_info 0
		.amdhsa_system_vgpr_workitem_id 0
		.amdhsa_next_free_vgpr 122
		.amdhsa_next_free_sgpr 58
		.amdhsa_reserve_vcc 1
		.amdhsa_reserve_flat_scratch 0
		.amdhsa_float_round_mode_32 0
		.amdhsa_float_round_mode_16_64 0
		.amdhsa_float_denorm_mode_32 3
		.amdhsa_float_denorm_mode_16_64 3
		.amdhsa_dx10_clamp 1
		.amdhsa_ieee_mode 1
		.amdhsa_fp16_overflow 0
		.amdhsa_workgroup_processor_mode 1
		.amdhsa_memory_ordered 1
		.amdhsa_forward_progress 1
		.amdhsa_shared_vgpr_count 0
		.amdhsa_exception_fp_ieee_invalid_op 0
		.amdhsa_exception_fp_denorm_src 0
		.amdhsa_exception_fp_ieee_div_zero 0
		.amdhsa_exception_fp_ieee_overflow 0
		.amdhsa_exception_fp_ieee_underflow 0
		.amdhsa_exception_fp_ieee_inexact 0
		.amdhsa_exception_int_div_zero 0
	.end_amdhsa_kernel
	.section	.text._ZL23rocblas_gemvt_sn_kernelILb0ELi256ELi4Ei19rocblas_complex_numIdEPKS1_S1_EviiT4_lPKT3_lilS7_lilPT5_i,"axG",@progbits,_ZL23rocblas_gemvt_sn_kernelILb0ELi256ELi4Ei19rocblas_complex_numIdEPKS1_S1_EviiT4_lPKT3_lilS7_lilPT5_i,comdat
.Lfunc_end162:
	.size	_ZL23rocblas_gemvt_sn_kernelILb0ELi256ELi4Ei19rocblas_complex_numIdEPKS1_S1_EviiT4_lPKT3_lilS7_lilPT5_i, .Lfunc_end162-_ZL23rocblas_gemvt_sn_kernelILb0ELi256ELi4Ei19rocblas_complex_numIdEPKS1_S1_EviiT4_lPKT3_lilS7_lilPT5_i
                                        ; -- End function
	.set _ZL23rocblas_gemvt_sn_kernelILb0ELi256ELi4Ei19rocblas_complex_numIdEPKS1_S1_EviiT4_lPKT3_lilS7_lilPT5_i.num_vgpr, 122
	.set _ZL23rocblas_gemvt_sn_kernelILb0ELi256ELi4Ei19rocblas_complex_numIdEPKS1_S1_EviiT4_lPKT3_lilS7_lilPT5_i.num_agpr, 0
	.set _ZL23rocblas_gemvt_sn_kernelILb0ELi256ELi4Ei19rocblas_complex_numIdEPKS1_S1_EviiT4_lPKT3_lilS7_lilPT5_i.numbered_sgpr, 58
	.set _ZL23rocblas_gemvt_sn_kernelILb0ELi256ELi4Ei19rocblas_complex_numIdEPKS1_S1_EviiT4_lPKT3_lilS7_lilPT5_i.num_named_barrier, 0
	.set _ZL23rocblas_gemvt_sn_kernelILb0ELi256ELi4Ei19rocblas_complex_numIdEPKS1_S1_EviiT4_lPKT3_lilS7_lilPT5_i.private_seg_size, 80
	.set _ZL23rocblas_gemvt_sn_kernelILb0ELi256ELi4Ei19rocblas_complex_numIdEPKS1_S1_EviiT4_lPKT3_lilS7_lilPT5_i.uses_vcc, 1
	.set _ZL23rocblas_gemvt_sn_kernelILb0ELi256ELi4Ei19rocblas_complex_numIdEPKS1_S1_EviiT4_lPKT3_lilS7_lilPT5_i.uses_flat_scratch, 0
	.set _ZL23rocblas_gemvt_sn_kernelILb0ELi256ELi4Ei19rocblas_complex_numIdEPKS1_S1_EviiT4_lPKT3_lilS7_lilPT5_i.has_dyn_sized_stack, 0
	.set _ZL23rocblas_gemvt_sn_kernelILb0ELi256ELi4Ei19rocblas_complex_numIdEPKS1_S1_EviiT4_lPKT3_lilS7_lilPT5_i.has_recursion, 0
	.set _ZL23rocblas_gemvt_sn_kernelILb0ELi256ELi4Ei19rocblas_complex_numIdEPKS1_S1_EviiT4_lPKT3_lilS7_lilPT5_i.has_indirect_call, 0
	.section	.AMDGPU.csdata,"",@progbits
; Kernel info:
; codeLenInByte = 7984
; TotalNumSgprs: 60
; NumVgprs: 122
; ScratchSize: 80
; MemoryBound: 0
; FloatMode: 240
; IeeeMode: 1
; LDSByteSize: 512 bytes/workgroup (compile time only)
; SGPRBlocks: 0
; VGPRBlocks: 15
; NumSGPRsForWavesPerEU: 60
; NumVGPRsForWavesPerEU: 122
; Occupancy: 8
; WaveLimiterHint : 1
; COMPUTE_PGM_RSRC2:SCRATCH_EN: 1
; COMPUTE_PGM_RSRC2:USER_SGPR: 6
; COMPUTE_PGM_RSRC2:TRAP_HANDLER: 0
; COMPUTE_PGM_RSRC2:TGID_X_EN: 1
; COMPUTE_PGM_RSRC2:TGID_Y_EN: 0
; COMPUTE_PGM_RSRC2:TGID_Z_EN: 1
; COMPUTE_PGM_RSRC2:TIDIG_COMP_CNT: 0
	.section	.text._ZL23rocblas_gemvt_sn_kernelILb0ELi256ELi4El19rocblas_complex_numIdEPKS1_S1_EviiT4_lPKT3_lilS7_lilPT5_i,"axG",@progbits,_ZL23rocblas_gemvt_sn_kernelILb0ELi256ELi4El19rocblas_complex_numIdEPKS1_S1_EviiT4_lPKT3_lilS7_lilPT5_i,comdat
	.globl	_ZL23rocblas_gemvt_sn_kernelILb0ELi256ELi4El19rocblas_complex_numIdEPKS1_S1_EviiT4_lPKT3_lilS7_lilPT5_i ; -- Begin function _ZL23rocblas_gemvt_sn_kernelILb0ELi256ELi4El19rocblas_complex_numIdEPKS1_S1_EviiT4_lPKT3_lilS7_lilPT5_i
	.p2align	8
	.type	_ZL23rocblas_gemvt_sn_kernelILb0ELi256ELi4El19rocblas_complex_numIdEPKS1_S1_EviiT4_lPKT3_lilS7_lilPT5_i,@function
_ZL23rocblas_gemvt_sn_kernelILb0ELi256ELi4El19rocblas_complex_numIdEPKS1_S1_EviiT4_lPKT3_lilS7_lilPT5_i: ; @_ZL23rocblas_gemvt_sn_kernelILb0ELi256ELi4El19rocblas_complex_numIdEPKS1_S1_EviiT4_lPKT3_lilS7_lilPT5_i
; %bb.0:
	s_add_u32 s0, s0, s8
	s_load_dwordx8 s[8:15], s[4:5], 0x8
	s_addc_u32 s1, s1, 0
	s_load_dwordx4 s[24:27], s[4:5], 0x50
	s_mov_b32 s31, 0
	s_waitcnt lgkmcnt(0)
	s_mul_i32 s11, s11, s7
	s_mul_hi_u32 s16, s10, s7
	s_mul_i32 s10, s10, s7
	s_add_i32 s11, s16, s11
	s_lshl_b64 s[10:11], s[10:11], 4
	s_add_u32 s8, s8, s10
	s_addc_u32 s9, s9, s11
	s_load_dwordx4 s[16:19], s[8:9], 0x0
	s_clause 0x1
	s_load_dwordx2 s[28:29], s[4:5], 0x0
	s_load_dword s30, s[4:5], 0x68
	s_waitcnt lgkmcnt(0)
	v_cmp_neq_f64_e64 s8, s[16:17], 0
	v_cmp_neq_f64_e64 s9, s[18:19], 0
	s_ashr_i32 s40, s29, 31
	s_mul_hi_u32 s10, s29, s7
	s_mul_i32 s20, s40, s7
	s_mul_i32 s11, s29, s7
	s_add_i32 s20, s10, s20
	s_mul_hi_u32 s21, s11, s30
	s_mul_i32 s20, s20, s30
	s_mul_i32 s10, s11, s30
	s_add_i32 s11, s21, s20
	s_or_b32 s8, s8, s9
	s_mov_b32 s9, -1
	s_and_b32 vcc_lo, exec_lo, s8
	v_cmp_eq_u32_e64 s8, 0, v0
	s_cbranch_vccnz .LBB163_5
; %bb.1:
	s_cmp_gt_i32 s29, 0
	s_cselect_b32 s9, -1, 0
	s_and_b32 s8, s8, s9
	s_and_saveexec_b32 s22, s8
	s_cbranch_execz .LBB163_4
; %bb.2:
	s_mov_b32 s8, s7
	s_mov_b32 s7, 0
	v_mov_b32_e32 v1, 0
	s_lshl_b64 s[20:21], s[10:11], 4
	s_lshl_b64 s[34:35], s[6:7], 4
	s_mov_b32 s7, s8
	s_add_u32 s8, s20, s34
	s_addc_u32 s9, s21, s35
	s_add_u32 s8, s26, s8
	v_mov_b32_e32 v2, v1
	v_mov_b32_e32 v3, v1
	;; [unrolled: 1-line block ×3, first 2 shown]
	s_addc_u32 s9, s27, s9
	s_add_u32 s8, s8, 8
	s_addc_u32 s9, s9, 0
	s_lshl_b64 s[20:21], s[30:31], 4
	s_mov_b32 s23, s29
.LBB163_3:                              ; =>This Inner Loop Header: Depth=1
	s_add_i32 s23, s23, -1
	global_store_dwordx4 v1, v[1:4], s[8:9] offset:-8
	s_add_u32 s8, s8, s20
	s_addc_u32 s9, s9, s21
	s_cmp_eq_u32 s23, 0
	s_cbranch_scc0 .LBB163_3
.LBB163_4:
	s_or_b32 exec_lo, exec_lo, s22
	s_mov_b32 s9, 0
.LBB163_5:
	s_andn2_b32 vcc_lo, exec_lo, s9
	s_cbranch_vccnz .LBB163_77
; %bb.6:
	s_clause 0x3
	s_load_dword s34, s[4:5], 0x28
	s_load_dword s36, s[4:5], 0x48
	s_load_dwordx4 s[20:23], s[4:5], 0x30
	s_load_dwordx2 s[8:9], s[4:5], 0x40
	s_mul_i32 s4, s25, s7
	s_mul_hi_u32 s5, s24, s7
	s_mul_i32 s24, s24, s7
	s_add_i32 s25, s5, s4
	v_and_b32_e32 v43, 31, v0
	s_lshl_b64 s[24:25], s[24:25], 4
	v_cmp_gt_u32_e64 s4, 32, v0
	v_mbcnt_lo_u32_b32 v47, -1, 0
	v_lshrrev_b32_e32 v46, 1, v0
	v_mov_b32_e32 v40, 16
	v_mov_b32_e32 v41, 32
	;; [unrolled: 1-line block ×3, first 2 shown]
	s_waitcnt lgkmcnt(0)
	s_ashr_i32 s35, s34, 31
	s_ashr_i32 s37, s36, 31
	s_mul_i32 s5, s21, s7
	s_add_u32 s21, s22, s24
	s_addc_u32 s31, s23, s25
	s_lshl_b64 s[38:39], s[8:9], 4
	s_mul_hi_u32 s41, s20, s7
	s_add_u32 s33, s21, s38
	s_addc_u32 s44, s31, s39
	s_lshl_b64 s[8:9], s[10:11], 4
	s_mul_i32 s10, s20, s7
	s_add_u32 s45, s26, s8
	s_addc_u32 s46, s27, s9
	s_add_i32 s11, s41, s5
	v_cmp_gt_u32_e64 s5, 8, v0
	s_lshl_b64 s[20:21], s[10:11], 4
	s_add_u32 s7, s12, s20
	s_addc_u32 s8, s13, s21
	s_lshl_b64 s[14:15], s[14:15], 4
	s_add_u32 s7, s7, s14
	s_addc_u32 s8, s8, s15
	s_lshl_b32 s9, s6, 10
	s_ashr_i32 s10, s28, 31
	v_lshl_or_b32 v25, v0, 2, s9
	s_lshr_b32 s9, s40, 30
	s_lshr_b32 s10, s10, 30
	s_add_i32 s9, s29, s9
	s_add_i32 s10, s28, s10
	v_ashrrev_i32_e32 v26, 31, v25
	s_and_b32 s47, s9, -4
	s_and_b32 s9, s10, -4
	v_add_nc_u32_e32 v49, 4, v25
	s_sub_i32 s31, s28, s9
	v_lshlrev_b64 v[23:24], 4, v[25:26]
	v_or_b32_e32 v48, 1, v25
	v_or_b32_e32 v45, 2, v25
	v_add_nc_u32_e32 v50, s31, v25
	v_or_b32_e32 v44, 3, v25
	s_cmp_lt_i32 s47, 1
	v_add_co_u32 v21, vcc_lo, s7, v23
	v_add_co_ci_u32_e64 v22, null, s8, v24, vcc_lo
	s_cbranch_scc1 .LBB163_54
; %bb.7:
	v_cmp_gt_u32_e32 vcc_lo, 24, v47
	v_mad_i64_i32 v[5:6], null, s36, v45, 0
	v_mad_i64_i32 v[7:8], null, s36, v44, 0
	v_cndmask_b32_e64 v1, 0, 8, vcc_lo
	v_cmp_gt_u32_e32 vcc_lo, 28, v47
	s_cmp_gt_i32 s31, 0
	s_mov_b32 s7, 0
	v_lshlrev_b64 v[5:6], 4, v[5:6]
	v_add_lshl_u32 v52, v1, v47, 2
	v_cndmask_b32_e64 v2, 0, 4, vcc_lo
	v_cmp_gt_u32_e32 vcc_lo, 30, v47
	s_cselect_b32 s48, -1, 0
	s_lshl_b64 s[26:27], s[6:7], 4
	v_mov_b32_e32 v37, v22
	v_add_lshl_u32 v53, v2, v47, 2
	v_cndmask_b32_e64 v3, 0, 2, vcc_lo
	v_cmp_ne_u32_e32 vcc_lo, 31, v47
	v_mad_i64_i32 v[1:2], null, s36, v25, 0
	s_add_u32 s49, s45, s26
	v_add_lshl_u32 v54, v3, v47, 2
	v_add_co_ci_u32_e64 v4, null, 0, v47, vcc_lo
	s_addc_u32 s50, s46, s27
	s_add_u32 s26, s22, s38
	v_lshlrev_b64 v[1:2], 4, v[1:2]
	v_lshlrev_b32_e32 v55, 2, v4
	v_mad_i64_i32 v[3:4], null, s36, v48, 0
	s_addc_u32 s27, s23, s39
	s_add_u32 s26, s26, s24
	v_add_co_u32 v26, vcc_lo, s33, v1
	v_add_co_ci_u32_e64 v27, null, s44, v2, vcc_lo
	v_lshlrev_b64 v[3:4], 4, v[3:4]
	s_addc_u32 s27, s27, s25
	v_cmp_ge_i32_e64 s8, s28, v49
	v_cmp_ge_i32_e64 s9, s28, v50
	v_lshl_or_b32 v51, v47, 2, 64
	v_cmp_eq_u32_e64 s10, 0, v43
	v_add_co_u32 v28, vcc_lo, s33, v3
	v_add_co_ci_u32_e64 v29, null, s44, v4, vcc_lo
	v_lshlrev_b64 v[3:4], 4, v[7:8]
	v_add_co_u32 v30, vcc_lo, s33, v5
	v_add_co_ci_u32_e64 v31, null, s44, v6, vcc_lo
	v_lshlrev_b32_e32 v56, 4, v43
	v_add_co_u32 v32, vcc_lo, s33, v3
	v_add_co_ci_u32_e64 v33, null, s44, v4, vcc_lo
	v_add_co_u32 v34, vcc_lo, s26, v1
	v_and_b32_e32 v57, 0x70, v46
	v_cmp_eq_u32_e64 s11, 0, v0
	v_add_co_ci_u32_e64 v35, null, s27, v2, vcc_lo
	v_mov_b32_e32 v1, 0
	v_mov_b32_e32 v36, v21
	s_lshl_b64 s[26:27], s[36:37], 4
	s_lshl_b64 s[40:41], s[34:35], 6
	;; [unrolled: 1-line block ×3, first 2 shown]
	s_branch .LBB163_9
.LBB163_8:                              ;   in Loop: Header=BB163_9 Depth=1
	s_or_b32 exec_lo, exec_lo, s51
	v_add_co_u32 v36, vcc_lo, v36, s40
	v_add_co_ci_u32_e64 v37, null, s41, v37, vcc_lo
	s_add_i32 s7, s7, 4
	s_cmp_ge_i32 s7, s47
	s_cbranch_scc1 .LBB163_55
.LBB163_9:                              ; =>This Loop Header: Depth=1
                                        ;     Child Loop BB163_40 Depth 2
                                        ;     Child Loop BB163_42 Depth 2
                                        ; implicit-def: $vgpr17_vgpr18
                                        ; implicit-def: $vgpr19_vgpr20
                                        ; implicit-def: $vgpr13_vgpr14
                                        ; implicit-def: $vgpr15_vgpr16
                                        ; implicit-def: $vgpr9_vgpr10
                                        ; implicit-def: $vgpr11_vgpr12
                                        ; implicit-def: $vgpr7_vgpr8
                                        ; implicit-def: $vgpr5_vgpr6
	s_and_saveexec_b32 s51, s8
	s_xor_b32 s51, exec_lo, s51
	s_cbranch_execnz .LBB163_36
; %bb.10:                               ;   in Loop: Header=BB163_9 Depth=1
	s_andn2_saveexec_b32 s51, s51
	s_cbranch_execnz .LBB163_37
.LBB163_11:                             ;   in Loop: Header=BB163_9 Depth=1
	s_or_b32 exec_lo, exec_lo, s51
	s_and_saveexec_b32 s51, s4
	s_cbranch_execz .LBB163_13
.LBB163_12:                             ;   in Loop: Header=BB163_9 Depth=1
	v_mov_b32_e32 v2, v1
	v_mov_b32_e32 v3, v1
	;; [unrolled: 1-line block ×3, first 2 shown]
	ds_write_b128 v56, v[1:4]
.LBB163_13:                             ;   in Loop: Header=BB163_9 Depth=1
	s_or_b32 exec_lo, exec_lo, s51
	ds_bpermute_b32 v2, v51, v7
	ds_bpermute_b32 v3, v51, v8
	;; [unrolled: 1-line block ×4, first 2 shown]
	s_waitcnt lgkmcnt(0)
	s_waitcnt_vscnt null, 0x0
	s_barrier
	buffer_gl0_inv
	v_add_f64 v[2:3], v[7:8], v[2:3]
	v_add_f64 v[4:5], v[5:6], v[38:39]
	ds_bpermute_b32 v6, v52, v2
	ds_bpermute_b32 v7, v52, v3
	ds_bpermute_b32 v38, v52, v4
	ds_bpermute_b32 v39, v52, v5
	s_waitcnt lgkmcnt(2)
	v_add_f64 v[2:3], v[2:3], v[6:7]
	s_waitcnt lgkmcnt(0)
	v_add_f64 v[4:5], v[4:5], v[38:39]
	ds_bpermute_b32 v6, v53, v2
	ds_bpermute_b32 v7, v53, v3
	ds_bpermute_b32 v38, v53, v4
	ds_bpermute_b32 v39, v53, v5
	s_waitcnt lgkmcnt(2)
	v_add_f64 v[2:3], v[2:3], v[6:7]
	s_waitcnt lgkmcnt(0)
	;; [unrolled: 8-line block ×3, first 2 shown]
	v_add_f64 v[6:7], v[4:5], v[38:39]
	ds_bpermute_b32 v4, v55, v2
	ds_bpermute_b32 v5, v55, v3
	;; [unrolled: 1-line block ×4, first 2 shown]
	s_and_saveexec_b32 s51, s10
	s_cbranch_execz .LBB163_15
; %bb.14:                               ;   in Loop: Header=BB163_9 Depth=1
	s_waitcnt lgkmcnt(0)
	v_add_f64 v[6:7], v[6:7], v[38:39]
	v_add_f64 v[4:5], v[2:3], v[4:5]
	ds_write_b128 v57, v[4:7]
.LBB163_15:                             ;   in Loop: Header=BB163_9 Depth=1
	s_or_b32 exec_lo, exec_lo, s51
	v_mov_b32_e32 v7, 0
	s_waitcnt lgkmcnt(2)
	v_mov_b32_e32 v5, 0
	v_mov_b32_e32 v8, 0
	;; [unrolled: 1-line block ×3, first 2 shown]
	s_waitcnt lgkmcnt(0)
	s_barrier
	buffer_gl0_inv
	s_and_saveexec_b32 s51, s5
	s_cbranch_execnz .LBB163_43
; %bb.16:                               ;   in Loop: Header=BB163_9 Depth=1
	s_or_b32 exec_lo, exec_lo, s51
	s_and_saveexec_b32 s51, s4
	s_cbranch_execnz .LBB163_44
.LBB163_17:                             ;   in Loop: Header=BB163_9 Depth=1
	s_or_b32 exec_lo, exec_lo, s51
	s_and_saveexec_b32 s51, s4
	s_cbranch_execz .LBB163_19
.LBB163_18:                             ;   in Loop: Header=BB163_9 Depth=1
	v_mov_b32_e32 v2, v1
	v_mov_b32_e32 v3, v1
	;; [unrolled: 1-line block ×3, first 2 shown]
	ds_write_b128 v56, v[1:4]
.LBB163_19:                             ;   in Loop: Header=BB163_9 Depth=1
	s_or_b32 exec_lo, exec_lo, s51
	ds_bpermute_b32 v2, v51, v9
	ds_bpermute_b32 v3, v51, v10
	;; [unrolled: 1-line block ×4, first 2 shown]
	s_waitcnt lgkmcnt(0)
	s_barrier
	buffer_gl0_inv
	v_add_f64 v[2:3], v[9:10], v[2:3]
	v_add_f64 v[9:10], v[11:12], v[38:39]
	ds_bpermute_b32 v11, v52, v2
	ds_bpermute_b32 v12, v52, v3
	ds_bpermute_b32 v38, v52, v9
	ds_bpermute_b32 v39, v52, v10
	s_waitcnt lgkmcnt(2)
	v_add_f64 v[2:3], v[2:3], v[11:12]
	s_waitcnt lgkmcnt(0)
	v_add_f64 v[9:10], v[9:10], v[38:39]
	ds_bpermute_b32 v11, v53, v2
	ds_bpermute_b32 v12, v53, v3
	ds_bpermute_b32 v38, v53, v9
	ds_bpermute_b32 v39, v53, v10
	s_waitcnt lgkmcnt(2)
	v_add_f64 v[2:3], v[2:3], v[11:12]
	s_waitcnt lgkmcnt(0)
	;; [unrolled: 8-line block ×3, first 2 shown]
	v_add_f64 v[11:12], v[9:10], v[38:39]
	ds_bpermute_b32 v9, v55, v2
	ds_bpermute_b32 v10, v55, v3
	;; [unrolled: 1-line block ×4, first 2 shown]
	s_and_saveexec_b32 s51, s10
	s_cbranch_execz .LBB163_21
; %bb.20:                               ;   in Loop: Header=BB163_9 Depth=1
	s_waitcnt lgkmcnt(0)
	v_add_f64 v[11:12], v[11:12], v[38:39]
	v_add_f64 v[9:10], v[2:3], v[9:10]
	ds_write_b128 v57, v[9:12]
.LBB163_21:                             ;   in Loop: Header=BB163_9 Depth=1
	s_or_b32 exec_lo, exec_lo, s51
	v_mov_b32_e32 v11, 0
	s_waitcnt lgkmcnt(2)
	v_mov_b32_e32 v9, 0
	v_mov_b32_e32 v12, 0
	;; [unrolled: 1-line block ×3, first 2 shown]
	s_waitcnt lgkmcnt(0)
	s_barrier
	buffer_gl0_inv
	s_and_saveexec_b32 s51, s5
	s_cbranch_execnz .LBB163_45
; %bb.22:                               ;   in Loop: Header=BB163_9 Depth=1
	s_or_b32 exec_lo, exec_lo, s51
	s_and_saveexec_b32 s51, s4
	s_cbranch_execnz .LBB163_46
.LBB163_23:                             ;   in Loop: Header=BB163_9 Depth=1
	s_or_b32 exec_lo, exec_lo, s51
	s_and_saveexec_b32 s51, s4
	s_cbranch_execz .LBB163_25
.LBB163_24:                             ;   in Loop: Header=BB163_9 Depth=1
	v_mov_b32_e32 v2, v1
	v_mov_b32_e32 v3, v1
	;; [unrolled: 1-line block ×3, first 2 shown]
	ds_write_b128 v56, v[1:4]
.LBB163_25:                             ;   in Loop: Header=BB163_9 Depth=1
	s_or_b32 exec_lo, exec_lo, s51
	ds_bpermute_b32 v2, v51, v13
	ds_bpermute_b32 v3, v51, v14
	;; [unrolled: 1-line block ×4, first 2 shown]
	s_waitcnt lgkmcnt(0)
	s_barrier
	buffer_gl0_inv
	v_add_f64 v[2:3], v[13:14], v[2:3]
	v_add_f64 v[13:14], v[15:16], v[38:39]
	ds_bpermute_b32 v15, v52, v2
	ds_bpermute_b32 v16, v52, v3
	ds_bpermute_b32 v38, v52, v13
	ds_bpermute_b32 v39, v52, v14
	s_waitcnt lgkmcnt(2)
	v_add_f64 v[2:3], v[2:3], v[15:16]
	s_waitcnt lgkmcnt(0)
	v_add_f64 v[13:14], v[13:14], v[38:39]
	ds_bpermute_b32 v15, v53, v2
	ds_bpermute_b32 v16, v53, v3
	ds_bpermute_b32 v38, v53, v13
	ds_bpermute_b32 v39, v53, v14
	s_waitcnt lgkmcnt(2)
	v_add_f64 v[2:3], v[2:3], v[15:16]
	s_waitcnt lgkmcnt(0)
	;; [unrolled: 8-line block ×3, first 2 shown]
	v_add_f64 v[15:16], v[13:14], v[38:39]
	ds_bpermute_b32 v13, v55, v2
	ds_bpermute_b32 v14, v55, v3
	;; [unrolled: 1-line block ×4, first 2 shown]
	s_and_saveexec_b32 s51, s10
	s_cbranch_execz .LBB163_27
; %bb.26:                               ;   in Loop: Header=BB163_9 Depth=1
	s_waitcnt lgkmcnt(0)
	v_add_f64 v[15:16], v[15:16], v[38:39]
	v_add_f64 v[13:14], v[2:3], v[13:14]
	ds_write_b128 v57, v[13:16]
.LBB163_27:                             ;   in Loop: Header=BB163_9 Depth=1
	s_or_b32 exec_lo, exec_lo, s51
	v_mov_b32_e32 v15, 0
	s_waitcnt lgkmcnt(2)
	v_mov_b32_e32 v13, 0
	v_mov_b32_e32 v16, 0
	;; [unrolled: 1-line block ×3, first 2 shown]
	s_waitcnt lgkmcnt(0)
	s_barrier
	buffer_gl0_inv
	s_and_saveexec_b32 s51, s5
	s_cbranch_execnz .LBB163_47
; %bb.28:                               ;   in Loop: Header=BB163_9 Depth=1
	s_or_b32 exec_lo, exec_lo, s51
	s_and_saveexec_b32 s51, s4
	s_cbranch_execnz .LBB163_48
.LBB163_29:                             ;   in Loop: Header=BB163_9 Depth=1
	s_or_b32 exec_lo, exec_lo, s51
	s_and_saveexec_b32 s51, s4
	s_cbranch_execz .LBB163_31
.LBB163_30:                             ;   in Loop: Header=BB163_9 Depth=1
	v_mov_b32_e32 v2, v1
	v_mov_b32_e32 v3, v1
	;; [unrolled: 1-line block ×3, first 2 shown]
	ds_write_b128 v56, v[1:4]
.LBB163_31:                             ;   in Loop: Header=BB163_9 Depth=1
	s_or_b32 exec_lo, exec_lo, s51
	ds_bpermute_b32 v2, v51, v17
	ds_bpermute_b32 v3, v51, v18
	;; [unrolled: 1-line block ×4, first 2 shown]
	s_waitcnt lgkmcnt(0)
	s_barrier
	buffer_gl0_inv
	v_add_f64 v[2:3], v[17:18], v[2:3]
	v_add_f64 v[17:18], v[19:20], v[38:39]
	ds_bpermute_b32 v19, v52, v2
	ds_bpermute_b32 v20, v52, v3
	ds_bpermute_b32 v38, v52, v17
	ds_bpermute_b32 v39, v52, v18
	s_waitcnt lgkmcnt(2)
	v_add_f64 v[2:3], v[2:3], v[19:20]
	s_waitcnt lgkmcnt(0)
	v_add_f64 v[17:18], v[17:18], v[38:39]
	ds_bpermute_b32 v19, v53, v2
	ds_bpermute_b32 v20, v53, v3
	ds_bpermute_b32 v38, v53, v17
	ds_bpermute_b32 v39, v53, v18
	s_waitcnt lgkmcnt(2)
	v_add_f64 v[2:3], v[2:3], v[19:20]
	s_waitcnt lgkmcnt(0)
	;; [unrolled: 8-line block ×3, first 2 shown]
	v_add_f64 v[19:20], v[17:18], v[38:39]
	ds_bpermute_b32 v17, v55, v2
	ds_bpermute_b32 v18, v55, v3
	;; [unrolled: 1-line block ×4, first 2 shown]
	s_and_saveexec_b32 s51, s10
	s_cbranch_execz .LBB163_33
; %bb.32:                               ;   in Loop: Header=BB163_9 Depth=1
	s_waitcnt lgkmcnt(0)
	v_add_f64 v[19:20], v[19:20], v[38:39]
	v_add_f64 v[17:18], v[2:3], v[17:18]
	ds_write_b128 v57, v[17:20]
.LBB163_33:                             ;   in Loop: Header=BB163_9 Depth=1
	s_or_b32 exec_lo, exec_lo, s51
	v_mov_b32_e32 v19, 0
	s_waitcnt lgkmcnt(2)
	v_mov_b32_e32 v17, 0
	v_mov_b32_e32 v20, 0
	;; [unrolled: 1-line block ×3, first 2 shown]
	s_waitcnt lgkmcnt(0)
	s_barrier
	buffer_gl0_inv
	s_and_saveexec_b32 s51, s5
	s_cbranch_execnz .LBB163_49
; %bb.34:                               ;   in Loop: Header=BB163_9 Depth=1
	s_or_b32 exec_lo, exec_lo, s51
	s_and_saveexec_b32 s51, s4
	s_cbranch_execnz .LBB163_50
.LBB163_35:                             ;   in Loop: Header=BB163_9 Depth=1
	s_or_b32 exec_lo, exec_lo, s51
	s_and_saveexec_b32 s51, s11
	s_cbranch_execz .LBB163_8
	s_branch .LBB163_51
.LBB163_36:                             ;   in Loop: Header=BB163_9 Depth=1
	s_clause 0x2
	global_load_dwordx4 v[2:5], v[28:29], off
	global_load_dwordx4 v[6:9], v[30:31], off
	;; [unrolled: 1-line block ×3, first 2 shown]
	s_mul_i32 s53, s7, s35
	s_mul_hi_u32 s54, s7, s34
	s_or_b32 s55, s7, 1
	s_mul_i32 s52, s7, s34
	s_add_i32 s53, s54, s53
	s_mul_i32 s59, s55, s35
	s_mul_hi_u32 s60, s55, s34
	s_mul_i32 s54, s55, s34
	s_lshl_b64 s[52:53], s[52:53], 4
	s_add_i32 s55, s60, s59
	s_waitcnt lgkmcnt(0)
	v_add_co_u32 v18, vcc_lo, v21, s52
	s_lshl_b64 s[54:55], s[54:55], 4
	v_add_co_ci_u32_e64 v19, null, s53, v22, vcc_lo
	v_add_co_u32 v38, vcc_lo, v21, s54
	v_add_co_ci_u32_e64 v39, null, s55, v22, vcc_lo
	global_load_dwordx4 v[58:61], v[26:27], off
	global_load_dwordx4 v[14:17], v[18:19], off
	s_or_b32 s56, s7, 2
	global_load_dwordx4 v[62:65], v[38:39], off
	s_or_b32 s57, s7, 3
	s_mul_i32 s61, s56, s35
	s_mul_hi_u32 s62, s56, s34
	s_mul_i32 s56, s56, s34
	s_mul_i32 s63, s57, s35
	s_mul_hi_u32 s64, s57, s34
	s_mul_i32 s58, s57, s34
	s_add_i32 s57, s62, s61
	s_add_i32 s59, s64, s63
	s_lshl_b64 s[52:53], s[56:57], 4
	s_lshl_b64 s[54:55], s[58:59], 4
	v_add_co_u32 v102, vcc_lo, v21, s52
	v_add_co_ci_u32_e64 v103, null, s53, v22, vcc_lo
	v_add_co_u32 v106, vcc_lo, v21, s54
	v_add_co_ci_u32_e64 v107, null, s55, v22, vcc_lo
	s_clause 0x2
	global_load_dwordx4 v[66:69], v[18:19], off offset:16
	global_load_dwordx4 v[70:73], v[102:103], off
	global_load_dwordx4 v[74:77], v[106:107], off
	s_waitcnt vmcnt(8)
	buffer_store_dword v5, v40, s[0:3], 0 offen offset:12
	buffer_store_dword v4, v40, s[0:3], 0 offen offset:8
	;; [unrolled: 1-line block ×3, first 2 shown]
	buffer_store_dword v2, v40, s[0:3], 0 offen
	s_waitcnt vmcnt(7)
	buffer_store_dword v9, v41, s[0:3], 0 offen offset:12
	buffer_store_dword v8, v41, s[0:3], 0 offen offset:8
	;; [unrolled: 1-line block ×3, first 2 shown]
	buffer_store_dword v6, v41, s[0:3], 0 offen
	s_clause 0x6
	buffer_load_dword v110, off, s[0:3], 0 offset:16
	buffer_load_dword v113, off, s[0:3], 0 offset:28
	;; [unrolled: 1-line block ×7, first 2 shown]
	s_clause 0x2
	global_load_dwordx4 v[2:5], v[38:39], off offset:16
	global_load_dwordx4 v[6:9], v[102:103], off offset:16
	;; [unrolled: 1-line block ×3, first 2 shown]
	buffer_load_dword v116, off, s[0:3], 0 offset:40
	s_clause 0x4
	global_load_dwordx4 v[82:85], v[18:19], off offset:32
	global_load_dwordx4 v[86:89], v[38:39], off offset:32
	;; [unrolled: 1-line block ×5, first 2 shown]
	s_waitcnt vmcnt(22)
	buffer_store_dword v13, v42, s[0:3], 0 offen offset:12
	buffer_store_dword v12, v42, s[0:3], 0 offen offset:8
	;; [unrolled: 1-line block ×3, first 2 shown]
	s_clause 0x1
	buffer_load_dword v19, off, s[0:3], 0 offset:60
	buffer_load_dword v18, off, s[0:3], 0 offset:56
	buffer_store_dword v10, v42, s[0:3], 0 offen
	s_clause 0x1
	buffer_load_dword v118, off, s[0:3], 0 offset:48
	buffer_load_dword v119, off, s[0:3], 0 offset:52
	s_clause 0x2
	global_load_dwordx4 v[10:13], v[38:39], off offset:48
	global_load_dwordx4 v[102:105], v[102:103], off offset:48
	;; [unrolled: 1-line block ×3, first 2 shown]
	s_waitcnt vmcnt(28)
	buffer_store_dword v61, off, s[0:3], 0 offset:12
	buffer_store_dword v60, off, s[0:3], 0 offset:8
	;; [unrolled: 1-line block ×3, first 2 shown]
	buffer_store_dword v58, off, s[0:3], 0
	s_waitcnt vmcnt(27)
	v_mul_f64 v[38:39], v[60:61], v[16:17]
	v_mul_f64 v[16:17], v[58:59], v[16:17]
	s_waitcnt vmcnt(26)
	v_mul_f64 v[120:121], v[60:61], v[64:65]
	v_mul_f64 v[64:65], v[58:59], v[64:65]
	;; [unrolled: 3-line block ×3, first 2 shown]
	s_waitcnt vmcnt(23)
	v_mul_f64 v[124:125], v[60:61], v[76:77]
	v_fma_f64 v[38:39], v[58:59], v[14:15], -v[38:39]
	v_fma_f64 v[14:15], v[60:61], v[14:15], v[16:17]
	v_mul_f64 v[16:17], v[58:59], v[76:77]
	v_fma_f64 v[76:77], v[58:59], v[62:63], -v[120:121]
	v_fma_f64 v[62:63], v[60:61], v[62:63], v[64:65]
	v_fma_f64 v[120:121], v[58:59], v[70:71], -v[122:123]
	v_fma_f64 v[70:71], v[60:61], v[70:71], v[72:73]
	v_fma_f64 v[122:123], v[58:59], v[74:75], -v[124:125]
	v_add_f64 v[38:39], v[38:39], 0
	v_add_f64 v[14:15], v[14:15], 0
	v_fma_f64 v[16:17], v[60:61], v[74:75], v[16:17]
	v_add_f64 v[76:77], v[76:77], 0
	v_add_f64 v[62:63], v[62:63], 0
	;; [unrolled: 1-line block ×4, first 2 shown]
	s_waitcnt vmcnt(17)
	v_mul_f64 v[64:65], v[112:113], v[68:69]
	s_waitcnt vmcnt(16)
	v_mul_f64 v[68:69], v[110:111], v[68:69]
	s_waitcnt vmcnt(15)
	v_mul_f64 v[72:73], v[112:113], v[4:5]
	v_mul_f64 v[4:5], v[110:111], v[4:5]
	s_waitcnt vmcnt(14)
	v_mul_f64 v[74:75], v[112:113], v[8:9]
	v_mul_f64 v[8:9], v[110:111], v[8:9]
	s_waitcnt vmcnt(13)
	v_mul_f64 v[124:125], v[112:113], v[80:81]
	v_fma_f64 v[64:65], v[110:111], v[66:67], -v[64:65]
	v_fma_f64 v[66:67], v[112:113], v[66:67], v[68:69]
	v_mul_f64 v[68:69], v[110:111], v[80:81]
	s_waitcnt vmcnt(11)
	v_mul_f64 v[80:81], v[116:117], v[84:85]
	v_fma_f64 v[72:73], v[110:111], v[2:3], -v[72:73]
	v_fma_f64 v[2:3], v[112:113], v[2:3], v[4:5]
	;; [unrolled: 5-line block ×3, first 2 shown]
	v_mul_f64 v[8:9], v[114:115], v[88:89]
	s_waitcnt vmcnt(9)
	v_mul_f64 v[88:89], v[116:117], v[92:93]
	v_fma_f64 v[110:111], v[110:111], v[78:79], -v[124:125]
	v_mul_f64 v[92:93], v[114:115], v[92:93]
	v_add_f64 v[38:39], v[38:39], v[64:65]
	v_add_f64 v[14:15], v[14:15], v[66:67]
	v_fma_f64 v[68:69], v[112:113], v[78:79], v[68:69]
	s_waitcnt vmcnt(8)
	v_mul_f64 v[78:79], v[116:117], v[96:97]
	v_mul_f64 v[96:97], v[114:115], v[96:97]
	v_add_f64 v[112:113], v[120:121], 0
	v_add_f64 v[120:121], v[122:123], 0
	s_waitcnt vmcnt(5)
	v_mul_f64 v[122:123], v[18:19], v[100:101]
	v_fma_f64 v[80:81], v[114:115], v[82:83], -v[80:81]
	v_fma_f64 v[4:5], v[116:117], v[82:83], v[4:5]
	s_waitcnt vmcnt(3)
	v_mul_f64 v[82:83], v[118:119], v[100:101]
	s_waitcnt vmcnt(2)
	v_mul_f64 v[100:101], v[18:19], v[12:13]
	v_fma_f64 v[84:85], v[114:115], v[86:87], -v[84:85]
	v_fma_f64 v[8:9], v[116:117], v[86:87], v[8:9]
	v_mul_f64 v[12:13], v[118:119], v[12:13]
	s_waitcnt vmcnt(1)
	v_mul_f64 v[86:87], v[18:19], v[104:105]
	v_fma_f64 v[88:89], v[114:115], v[90:91], -v[88:89]
	v_fma_f64 v[90:91], v[116:117], v[90:91], v[92:93]
	v_mul_f64 v[92:93], v[118:119], v[104:105]
	s_waitcnt vmcnt(0)
	v_mul_f64 v[104:105], v[18:19], v[108:109]
	v_mul_f64 v[108:109], v[118:119], v[108:109]
	v_add_f64 v[64:65], v[76:77], v[72:73]
	v_add_f64 v[2:3], v[62:63], v[2:3]
	;; [unrolled: 1-line block ×4, first 2 shown]
	v_fma_f64 v[78:79], v[114:115], v[94:95], -v[78:79]
	v_fma_f64 v[94:95], v[116:117], v[94:95], v[96:97]
	v_add_f64 v[62:63], v[112:113], v[74:75]
	v_add_f64 v[66:67], v[120:121], v[110:111]
	v_fma_f64 v[68:69], v[118:119], v[98:99], -v[122:123]
	v_add_f64 v[38:39], v[38:39], v[80:81]
	v_add_f64 v[4:5], v[14:15], v[4:5]
	v_fma_f64 v[70:71], v[18:19], v[98:99], v[82:83]
	v_fma_f64 v[72:73], v[118:119], v[10:11], -v[100:101]
	v_fma_f64 v[11:12], v[18:19], v[10:11], v[12:13]
	v_fma_f64 v[74:75], v[118:119], v[102:103], -v[86:87]
	;; [unrolled: 2-line block ×3, first 2 shown]
	v_fma_f64 v[19:20], v[18:19], v[106:107], v[108:109]
	v_add_f64 v[13:14], v[64:65], v[84:85]
	v_add_f64 v[2:3], v[2:3], v[8:9]
	;; [unrolled: 1-line block ×14, first 2 shown]
	s_andn2_saveexec_b32 s51, s51
	s_cbranch_execz .LBB163_11
.LBB163_37:                             ;   in Loop: Header=BB163_9 Depth=1
	s_waitcnt lgkmcnt(0)
	v_mov_b32_e32 v17, 0
	v_mov_b32_e32 v19, 0
	;; [unrolled: 1-line block ×16, first 2 shown]
	s_and_saveexec_b32 s52, s9
	s_cbranch_execz .LBB163_53
; %bb.38:                               ;   in Loop: Header=BB163_9 Depth=1
	s_andn2_b32 vcc_lo, exec_lo, s48
	s_cbranch_vccnz .LBB163_52
; %bb.39:                               ;   in Loop: Header=BB163_9 Depth=1
	v_mov_b32_e32 v2, v34
	v_mov_b32_e32 v3, v35
	s_mov_b32 s53, 0
	s_mov_b32 s54, s31
	.p2align	6
.LBB163_40:                             ;   Parent Loop BB163_9 Depth=1
                                        ; =>  This Inner Loop Header: Depth=2
	global_load_dwordx4 v[4:7], v[2:3], off
	v_add_co_u32 v2, vcc_lo, v2, s26
	v_mov_b32_e32 v8, s53
	v_add_co_ci_u32_e64 v3, null, s27, v3, vcc_lo
	s_add_i32 s54, s54, -1
	s_add_i32 s53, s53, 16
	s_cmp_eq_u32 s54, 0
	s_waitcnt vmcnt(0)
	buffer_store_dword v7, v8, s[0:3], 0 offen offset:12
	buffer_store_dword v6, v8, s[0:3], 0 offen offset:8
	;; [unrolled: 1-line block ×3, first 2 shown]
	buffer_store_dword v4, v8, s[0:3], 0 offen
	s_cbranch_scc0 .LBB163_40
; %bb.41:                               ;   in Loop: Header=BB163_9 Depth=1
	v_mov_b32_e32 v5, 0
	v_mov_b32_e32 v7, 0
	;; [unrolled: 1-line block ×18, first 2 shown]
	s_mov_b32 s53, 0
	s_mov_b32 s54, s31
.LBB163_42:                             ;   Parent Loop BB163_9 Depth=1
                                        ; =>  This Inner Loop Header: Depth=2
	v_add_co_u32 v38, vcc_lo, v2, s42
	v_add_co_ci_u32_e64 v39, null, s43, v3, vcc_lo
	v_mov_b32_e32 v4, s53
	v_add_co_u32 v66, vcc_lo, v38, s42
	v_add_co_ci_u32_e64 v67, null, s43, v39, vcc_lo
	global_load_dwordx4 v[58:61], v[2:3], off
	v_add_co_u32 v70, vcc_lo, v66, s42
	v_add_co_ci_u32_e64 v71, null, s43, v67, vcc_lo
	s_clause 0x3
	buffer_load_dword v74, v4, s[0:3], 0 offen
	buffer_load_dword v75, v4, s[0:3], 0 offen offset:4
	buffer_load_dword v76, v4, s[0:3], 0 offen offset:8
	;; [unrolled: 1-line block ×3, first 2 shown]
	s_clause 0x2
	global_load_dwordx4 v[62:65], v[38:39], off
	global_load_dwordx4 v[66:69], v[66:67], off
	;; [unrolled: 1-line block ×3, first 2 shown]
	v_add_co_u32 v2, vcc_lo, v2, 16
	v_add_co_ci_u32_e64 v3, null, 0, v3, vcc_lo
	s_add_i32 s54, s54, -1
	s_add_i32 s53, s53, 16
	s_cmp_lg_u32 s54, 0
	s_waitcnt vmcnt(3)
	v_mul_f64 v[38:39], v[76:77], v[60:61]
	v_mul_f64 v[60:61], v[74:75], v[60:61]
	s_waitcnt vmcnt(2)
	v_mul_f64 v[78:79], v[76:77], v[64:65]
	v_mul_f64 v[64:65], v[74:75], v[64:65]
	;; [unrolled: 3-line block ×4, first 2 shown]
	v_fma_f64 v[38:39], v[74:75], v[58:59], -v[38:39]
	v_fma_f64 v[58:59], v[76:77], v[58:59], v[60:61]
	v_fma_f64 v[60:61], v[74:75], v[62:63], -v[78:79]
	v_fma_f64 v[62:63], v[76:77], v[62:63], v[64:65]
	;; [unrolled: 2-line block ×4, first 2 shown]
	v_add_f64 v[7:8], v[7:8], v[38:39]
	v_add_f64 v[5:6], v[5:6], v[58:59]
	;; [unrolled: 1-line block ×8, first 2 shown]
	s_cbranch_scc1 .LBB163_42
	s_branch .LBB163_53
.LBB163_43:                             ;   in Loop: Header=BB163_9 Depth=1
	ds_read_b128 v[5:8], v56
	s_or_b32 exec_lo, exec_lo, s51
	s_and_saveexec_b32 s51, s4
	s_cbranch_execz .LBB163_17
.LBB163_44:                             ;   in Loop: Header=BB163_9 Depth=1
	s_waitcnt lgkmcnt(0)
	ds_bpermute_b32 v2, v53, v5
	ds_bpermute_b32 v3, v53, v6
	ds_bpermute_b32 v38, v53, v7
	ds_bpermute_b32 v39, v53, v8
	s_waitcnt lgkmcnt(2)
	v_add_f64 v[2:3], v[5:6], v[2:3]
	s_waitcnt lgkmcnt(0)
	v_add_f64 v[4:5], v[7:8], v[38:39]
	ds_bpermute_b32 v6, v54, v2
	ds_bpermute_b32 v7, v54, v3
	ds_bpermute_b32 v38, v54, v4
	ds_bpermute_b32 v39, v54, v5
	s_waitcnt lgkmcnt(2)
	v_add_f64 v[2:3], v[2:3], v[6:7]
	s_waitcnt lgkmcnt(0)
	v_add_f64 v[7:8], v[4:5], v[38:39]
	;; [unrolled: 8-line block ×3, first 2 shown]
	s_or_b32 exec_lo, exec_lo, s51
	s_and_saveexec_b32 s51, s4
	s_cbranch_execnz .LBB163_18
	s_branch .LBB163_19
.LBB163_45:                             ;   in Loop: Header=BB163_9 Depth=1
	ds_read_b128 v[9:12], v56
	s_or_b32 exec_lo, exec_lo, s51
	s_and_saveexec_b32 s51, s4
	s_cbranch_execz .LBB163_23
.LBB163_46:                             ;   in Loop: Header=BB163_9 Depth=1
	s_waitcnt lgkmcnt(0)
	ds_bpermute_b32 v2, v53, v9
	ds_bpermute_b32 v3, v53, v10
	ds_bpermute_b32 v38, v53, v11
	ds_bpermute_b32 v39, v53, v12
	s_waitcnt lgkmcnt(2)
	v_add_f64 v[2:3], v[9:10], v[2:3]
	s_waitcnt lgkmcnt(0)
	v_add_f64 v[9:10], v[11:12], v[38:39]
	ds_bpermute_b32 v11, v54, v2
	ds_bpermute_b32 v12, v54, v3
	ds_bpermute_b32 v38, v54, v9
	ds_bpermute_b32 v39, v54, v10
	s_waitcnt lgkmcnt(2)
	v_add_f64 v[2:3], v[2:3], v[11:12]
	s_waitcnt lgkmcnt(0)
	v_add_f64 v[11:12], v[9:10], v[38:39]
	ds_bpermute_b32 v9, v55, v2
	ds_bpermute_b32 v10, v55, v3
	ds_bpermute_b32 v38, v55, v11
	ds_bpermute_b32 v39, v55, v12
	s_waitcnt lgkmcnt(2)
	v_add_f64 v[9:10], v[2:3], v[9:10]
	s_waitcnt lgkmcnt(0)
	v_add_f64 v[11:12], v[11:12], v[38:39]
	s_or_b32 exec_lo, exec_lo, s51
	s_and_saveexec_b32 s51, s4
	s_cbranch_execnz .LBB163_24
	s_branch .LBB163_25
.LBB163_47:                             ;   in Loop: Header=BB163_9 Depth=1
	ds_read_b128 v[13:16], v56
	s_or_b32 exec_lo, exec_lo, s51
	s_and_saveexec_b32 s51, s4
	s_cbranch_execz .LBB163_29
.LBB163_48:                             ;   in Loop: Header=BB163_9 Depth=1
	s_waitcnt lgkmcnt(0)
	ds_bpermute_b32 v2, v53, v13
	ds_bpermute_b32 v3, v53, v14
	ds_bpermute_b32 v38, v53, v15
	ds_bpermute_b32 v39, v53, v16
	s_waitcnt lgkmcnt(2)
	v_add_f64 v[2:3], v[13:14], v[2:3]
	s_waitcnt lgkmcnt(0)
	v_add_f64 v[13:14], v[15:16], v[38:39]
	ds_bpermute_b32 v15, v54, v2
	ds_bpermute_b32 v16, v54, v3
	ds_bpermute_b32 v38, v54, v13
	ds_bpermute_b32 v39, v54, v14
	s_waitcnt lgkmcnt(2)
	v_add_f64 v[2:3], v[2:3], v[15:16]
	s_waitcnt lgkmcnt(0)
	v_add_f64 v[15:16], v[13:14], v[38:39]
	;; [unrolled: 8-line block ×3, first 2 shown]
	s_or_b32 exec_lo, exec_lo, s51
	s_and_saveexec_b32 s51, s4
	s_cbranch_execnz .LBB163_30
	s_branch .LBB163_31
.LBB163_49:                             ;   in Loop: Header=BB163_9 Depth=1
	ds_read_b128 v[17:20], v56
	s_or_b32 exec_lo, exec_lo, s51
	s_and_saveexec_b32 s51, s4
	s_cbranch_execz .LBB163_35
.LBB163_50:                             ;   in Loop: Header=BB163_9 Depth=1
	s_waitcnt lgkmcnt(0)
	ds_bpermute_b32 v2, v53, v17
	ds_bpermute_b32 v3, v53, v18
	ds_bpermute_b32 v38, v53, v19
	ds_bpermute_b32 v39, v53, v20
	s_waitcnt lgkmcnt(2)
	v_add_f64 v[2:3], v[17:18], v[2:3]
	s_waitcnt lgkmcnt(0)
	v_add_f64 v[17:18], v[19:20], v[38:39]
	ds_bpermute_b32 v19, v54, v2
	ds_bpermute_b32 v20, v54, v3
	ds_bpermute_b32 v38, v54, v17
	ds_bpermute_b32 v39, v54, v18
	s_waitcnt lgkmcnt(2)
	v_add_f64 v[2:3], v[2:3], v[19:20]
	s_waitcnt lgkmcnt(0)
	v_add_f64 v[19:20], v[17:18], v[38:39]
	;; [unrolled: 8-line block ×3, first 2 shown]
	s_or_b32 exec_lo, exec_lo, s51
	s_and_saveexec_b32 s51, s11
	s_cbranch_execz .LBB163_8
.LBB163_51:                             ;   in Loop: Header=BB163_9 Depth=1
	v_mul_f64 v[2:3], s[18:19], v[7:8]
	v_mul_f64 v[7:8], s[16:17], v[7:8]
	;; [unrolled: 1-line block ×6, first 2 shown]
	s_waitcnt lgkmcnt(0)
	v_mul_f64 v[60:61], s[18:19], v[19:20]
	v_mul_f64 v[19:20], s[16:17], v[19:20]
	s_mul_hi_u32 s53, s7, s30
	s_mul_i32 s52, s7, s30
	s_lshl_b64 s[52:53], s[52:53], 4
	s_add_u32 s52, s49, s52
	s_addc_u32 s53, s50, s53
	s_or_b32 s54, s7, 1
	s_mul_hi_u32 s55, s54, s30
	s_mul_i32 s54, s54, s30
	s_lshl_b64 s[54:55], s[54:55], 4
	s_add_u32 s54, s49, s54
	v_fma_f64 v[2:3], s[16:17], v[5:6], -v[2:3]
	v_fma_f64 v[4:5], s[18:19], v[5:6], v[7:8]
	v_fma_f64 v[6:7], s[16:17], v[9:10], -v[38:39]
	v_fma_f64 v[8:9], s[18:19], v[9:10], v[11:12]
	;; [unrolled: 2-line block ×4, first 2 shown]
	s_addc_u32 s55, s50, s55
	s_or_b32 s56, s7, 2
	s_mul_hi_u32 s57, s56, s30
	s_mul_i32 s56, s56, s30
	s_lshl_b64 s[56:57], s[56:57], 4
	s_add_u32 s56, s49, s56
	s_addc_u32 s57, s50, s57
	s_or_b32 s58, s7, 3
	s_mul_hi_u32 s59, s58, s30
	s_mul_i32 s58, s58, s30
	s_lshl_b64 s[58:59], s[58:59], 4
	s_add_u32 s58, s49, s58
	s_addc_u32 s59, s50, s59
	global_store_dwordx4 v1, v[2:5], s[52:53]
	global_store_dwordx4 v1, v[6:9], s[54:55]
	;; [unrolled: 1-line block ×4, first 2 shown]
	s_branch .LBB163_8
.LBB163_52:                             ;   in Loop: Header=BB163_9 Depth=1
	v_mov_b32_e32 v17, 0
	v_mov_b32_e32 v19, 0
	;; [unrolled: 1-line block ×16, first 2 shown]
.LBB163_53:                             ;   in Loop: Header=BB163_9 Depth=1
	s_or_b32 exec_lo, exec_lo, s52
	s_or_b32 exec_lo, exec_lo, s51
	s_and_saveexec_b32 s51, s4
	s_cbranch_execnz .LBB163_12
	s_branch .LBB163_13
.LBB163_54:
	s_mov_b32 s7, 0
.LBB163_55:
	s_cmp_ge_i32 s7, s29
	s_cbranch_scc1 .LBB163_77
; %bb.56:
	v_cmp_gt_u32_e64 s5, 24, v47
	v_mad_i64_i32 v[7:8], null, s36, v45, 0
	v_cmp_gt_u32_e64 s4, 32, v0
	v_cmp_gt_u32_e64 s8, 8, v0
	v_cndmask_b32_e64 v1, 0, 8, s5
	v_cmp_gt_u32_e64 s5, 28, v47
	s_mov_b32 s10, s6
	v_cmp_eq_u32_e64 s6, 0, v0
	s_cmp_gt_i32 s31, 0
	v_add_lshl_u32 v28, v1, v47, 2
	v_cndmask_b32_e64 v2, 0, 4, s5
	v_cmp_gt_u32_e64 s5, 30, v47
	s_mov_b32 s11, 0
	v_mad_i64_i32 v[11:12], null, s36, v44, 0
	v_add_lshl_u32 v29, v2, v47, 2
	v_cndmask_b32_e64 v3, 0, 2, s5
	v_cmp_ne_u32_e64 s5, 31, v47
	v_mad_i64_i32 v[1:2], null, s36, v25, 0
	v_cmp_ge_i32_e32 vcc_lo, s28, v49
	v_add_lshl_u32 v30, v3, v47, 2
	v_add_co_ci_u32_e64 v4, null, 0, v47, s5
	v_cmp_ge_i32_e64 s9, s28, v50
	s_cselect_b32 s28, -1, 0
	v_lshlrev_b64 v[0:1], 4, v[1:2]
	v_lshlrev_b32_e32 v31, 2, v4
	v_mad_i64_i32 v[3:4], null, s36, v48, 0
	s_lshl_b64 s[10:11], s[10:11], 4
	v_lshlrev_b64 v[9:10], 4, v[7:8]
	s_add_u32 s26, s45, s10
	v_add_co_u32 v5, s10, s33, v0
	v_add_co_ci_u32_e64 v6, null, s44, v1, s10
	v_lshlrev_b64 v[2:3], 4, v[3:4]
	s_addc_u32 s27, s46, s11
	s_and_b32 s28, s28, s9
	s_add_u32 s9, s22, s38
	s_mul_hi_u32 s11, s34, s7
	v_lshlrev_b32_e32 v26, 4, v43
	v_add_co_u32 v7, s10, s33, v2
	v_add_co_ci_u32_e64 v8, null, s44, v3, s10
	v_add_co_u32 v9, s10, s33, v9
	v_lshlrev_b64 v[2:3], 4, v[11:12]
	v_add_co_ci_u32_e64 v10, null, s44, v10, s10
	s_addc_u32 s10, s23, s39
	s_add_u32 s24, s9, s24
	s_mul_i32 s9, s35, s7
	s_addc_u32 s25, s10, s25
	s_add_i32 s11, s11, s9
	s_mul_i32 s10, s34, s7
	v_add_co_u32 v11, s9, s33, v2
	s_lshl_b64 s[22:23], s[10:11], 4
	s_lshl_b64 s[10:11], s[36:37], 4
	v_add_co_ci_u32_e64 v12, null, s44, v3, s9
	s_add_u32 s9, s20, s22
	s_addc_u32 s20, s21, s23
	s_add_u32 s9, s9, s14
	s_addc_u32 s14, s20, s15
	;; [unrolled: 2-line block ×3, first 2 shown]
	v_add_co_u32 v2, s9, s9, v23
	v_add_co_ci_u32_e64 v3, null, s12, v24, s9
	v_add_co_u32 v13, s9, s24, v0
	v_add_co_ci_u32_e64 v14, null, s25, v1, s9
	v_add_co_u32 v15, s9, v2, 8
	v_lshl_or_b32 v27, v47, 2, 64
	v_cmp_eq_u32_e64 s5, 0, v43
	v_and_b32_e32 v25, 0x70, v46
	v_add_co_ci_u32_e64 v16, null, 0, v3, s9
	v_mov_b32_e32 v0, 0
	s_lshl_b64 s[12:13], s[34:35], 4
	s_branch .LBB163_58
.LBB163_57:                             ;   in Loop: Header=BB163_58 Depth=1
	s_or_b32 exec_lo, exec_lo, s9
	v_add_co_u32 v15, s9, v15, s12
	v_add_co_ci_u32_e64 v16, null, s13, v16, s9
	s_add_i32 s7, s7, 1
	s_cmp_lt_i32 s7, s29
	s_cbranch_scc0 .LBB163_77
.LBB163_58:                             ; =>This Loop Header: Depth=1
                                        ;     Child Loop BB163_70 Depth 2
                                        ;     Child Loop BB163_72 Depth 2
                                        ; implicit-def: $vgpr17_vgpr18
                                        ; implicit-def: $vgpr19_vgpr20
	s_and_saveexec_b32 s9, vcc_lo
	s_xor_b32 s14, exec_lo, s9
	s_cbranch_execnz .LBB163_67
; %bb.59:                               ;   in Loop: Header=BB163_58 Depth=1
	s_andn2_saveexec_b32 s14, s14
	s_cbranch_execnz .LBB163_68
.LBB163_60:                             ;   in Loop: Header=BB163_58 Depth=1
	s_or_b32 exec_lo, exec_lo, s14
	s_and_saveexec_b32 s9, s4
	s_cbranch_execz .LBB163_62
.LBB163_61:                             ;   in Loop: Header=BB163_58 Depth=1
	s_waitcnt lgkmcnt(0)
	v_mov_b32_e32 v1, v0
	v_mov_b32_e32 v2, v0
	;; [unrolled: 1-line block ×3, first 2 shown]
	ds_write_b128 v26, v[0:3]
.LBB163_62:                             ;   in Loop: Header=BB163_58 Depth=1
	s_or_b32 exec_lo, exec_lo, s9
	s_waitcnt lgkmcnt(0)
	ds_bpermute_b32 v1, v27, v17
	ds_bpermute_b32 v2, v27, v18
	;; [unrolled: 1-line block ×4, first 2 shown]
	s_waitcnt lgkmcnt(0)
	s_waitcnt_vscnt null, 0x0
	s_barrier
	buffer_gl0_inv
	v_add_f64 v[1:2], v[17:18], v[1:2]
	v_add_f64 v[3:4], v[19:20], v[3:4]
	ds_bpermute_b32 v17, v28, v1
	ds_bpermute_b32 v18, v28, v2
	ds_bpermute_b32 v19, v28, v3
	ds_bpermute_b32 v20, v28, v4
	s_waitcnt lgkmcnt(2)
	v_add_f64 v[1:2], v[1:2], v[17:18]
	s_waitcnt lgkmcnt(0)
	v_add_f64 v[3:4], v[3:4], v[19:20]
	ds_bpermute_b32 v17, v29, v1
	ds_bpermute_b32 v18, v29, v2
	ds_bpermute_b32 v19, v29, v3
	ds_bpermute_b32 v20, v29, v4
	s_waitcnt lgkmcnt(2)
	v_add_f64 v[1:2], v[1:2], v[17:18]
	s_waitcnt lgkmcnt(0)
	;; [unrolled: 8-line block ×3, first 2 shown]
	v_add_f64 v[17:18], v[3:4], v[19:20]
	ds_bpermute_b32 v3, v31, v1
	ds_bpermute_b32 v4, v31, v2
	;; [unrolled: 1-line block ×4, first 2 shown]
	s_and_saveexec_b32 s9, s5
	s_cbranch_execz .LBB163_64
; %bb.63:                               ;   in Loop: Header=BB163_58 Depth=1
	s_waitcnt lgkmcnt(0)
	v_add_f64 v[19:20], v[17:18], v[19:20]
	v_add_f64 v[17:18], v[1:2], v[3:4]
	ds_write_b128 v25, v[17:20]
.LBB163_64:                             ;   in Loop: Header=BB163_58 Depth=1
	s_or_b32 exec_lo, exec_lo, s9
	s_waitcnt lgkmcnt(2)
	v_mov_b32_e32 v3, 0
	v_mov_b32_e32 v1, 0
	;; [unrolled: 1-line block ×4, first 2 shown]
	s_waitcnt lgkmcnt(0)
	s_barrier
	buffer_gl0_inv
	s_and_saveexec_b32 s9, s8
	s_cbranch_execnz .LBB163_74
; %bb.65:                               ;   in Loop: Header=BB163_58 Depth=1
	s_or_b32 exec_lo, exec_lo, s9
	s_and_saveexec_b32 s9, s4
	s_cbranch_execnz .LBB163_75
.LBB163_66:                             ;   in Loop: Header=BB163_58 Depth=1
	s_or_b32 exec_lo, exec_lo, s9
	s_and_saveexec_b32 s9, s6
	s_cbranch_execz .LBB163_57
	s_branch .LBB163_76
.LBB163_67:                             ;   in Loop: Header=BB163_58 Depth=1
	s_waitcnt lgkmcnt(0)
	global_load_dwordx4 v[1:4], v[7:8], off
	s_waitcnt lgkmcnt(0)
	s_clause 0x1
	global_load_dwordx4 v[17:20], v[9:10], off
	global_load_dwordx4 v[32:35], v[11:12], off
	s_mul_i32 s9, s7, s35
	s_mul_hi_u32 s15, s7, s34
	s_mul_i32 s20, s7, s34
	s_add_i32 s21, s15, s9
	s_lshl_b64 s[20:21], s[20:21], 4
	v_add_co_u32 v23, s9, v21, s20
	v_add_co_ci_u32_e64 v24, null, s21, v22, s9
	global_load_dwordx4 v[36:39], v[5:6], off
	s_clause 0x1
	global_load_dwordx4 v[43:46], v[23:24], off
	global_load_dwordx4 v[47:50], v[23:24], off offset:16
	s_waitcnt vmcnt(5)
	buffer_store_dword v4, v40, s[0:3], 0 offen offset:12
	buffer_store_dword v3, v40, s[0:3], 0 offen offset:8
	s_waitcnt vmcnt(4)
	buffer_store_dword v20, v41, s[0:3], 0 offen offset:12
	buffer_store_dword v19, v41, s[0:3], 0 offen offset:8
	;; [unrolled: 1-line block ×3, first 2 shown]
	buffer_store_dword v17, v41, s[0:3], 0 offen
	s_clause 0x4
	buffer_load_dword v52, off, s[0:3], 0 offset:28
	buffer_load_dword v53, off, s[0:3], 0 offset:32
	;; [unrolled: 1-line block ×5, first 2 shown]
	buffer_store_dword v2, v40, s[0:3], 0 offen offset:4
	buffer_store_dword v1, v40, s[0:3], 0 offen
	global_load_dwordx4 v[1:4], v[23:24], off offset:32
	s_clause 0x2
	buffer_load_dword v56, off, s[0:3], 0 offset:44
	buffer_load_dword v57, off, s[0:3], 0 offset:16
	;; [unrolled: 1-line block ×3, first 2 shown]
	global_load_dwordx4 v[17:20], v[23:24], off offset:48
	s_waitcnt vmcnt(13)
	buffer_store_dword v35, v42, s[0:3], 0 offen offset:12
	buffer_store_dword v34, v42, s[0:3], 0 offen offset:8
	s_clause 0x1
	buffer_load_dword v24, off, s[0:3], 0 offset:60
	buffer_load_dword v23, off, s[0:3], 0 offset:56
	buffer_store_dword v33, v42, s[0:3], 0 offen offset:4
	buffer_store_dword v32, v42, s[0:3], 0 offen
	s_clause 0x1
	buffer_load_dword v32, off, s[0:3], 0 offset:48
	buffer_load_dword v33, off, s[0:3], 0 offset:52
	s_waitcnt vmcnt(16)
	buffer_store_dword v39, off, s[0:3], 0 offset:12
	buffer_store_dword v38, off, s[0:3], 0 offset:8
	;; [unrolled: 1-line block ×3, first 2 shown]
	buffer_store_dword v36, off, s[0:3], 0
	s_waitcnt vmcnt(15)
	v_mul_f64 v[34:35], v[45:46], v[38:39]
	v_mul_f64 v[59:60], v[43:44], v[38:39]
	v_fma_f64 v[34:35], v[43:44], v[36:37], -v[34:35]
	v_fma_f64 v[43:44], v[45:46], v[36:37], v[59:60]
	v_add_f64 v[34:35], v[34:35], 0
	v_add_f64 v[43:44], v[43:44], 0
	s_waitcnt vmcnt(9)
	v_mul_f64 v[45:46], v[49:50], v[51:52]
	v_mul_f64 v[51:52], v[47:48], v[51:52]
	s_waitcnt vmcnt(7)
	v_mul_f64 v[59:60], v[3:4], v[55:56]
	v_mul_f64 v[55:56], v[1:2], v[55:56]
	s_waitcnt vmcnt(5)
	v_fma_f64 v[45:46], v[47:48], v[57:58], -v[45:46]
	v_fma_f64 v[47:48], v[49:50], v[57:58], v[51:52]
	s_waitcnt vmcnt(2)
	v_mul_f64 v[49:50], v[19:20], v[23:24]
	v_mul_f64 v[23:24], v[17:18], v[23:24]
	v_fma_f64 v[1:2], v[1:2], v[53:54], -v[59:60]
	v_fma_f64 v[3:4], v[3:4], v[53:54], v[55:56]
	v_add_f64 v[34:35], v[34:35], v[45:46]
	v_add_f64 v[43:44], v[43:44], v[47:48]
	s_waitcnt vmcnt(0)
	v_fma_f64 v[17:18], v[17:18], v[32:33], -v[49:50]
	v_fma_f64 v[19:20], v[19:20], v[32:33], v[23:24]
	v_add_f64 v[1:2], v[34:35], v[1:2]
	v_add_f64 v[3:4], v[43:44], v[3:4]
	;; [unrolled: 1-line block ×4, first 2 shown]
	s_andn2_saveexec_b32 s14, s14
	s_cbranch_execz .LBB163_60
.LBB163_68:                             ;   in Loop: Header=BB163_58 Depth=1
	s_waitcnt lgkmcnt(0)
	v_mov_b32_e32 v17, 0
	v_mov_b32_e32 v19, 0
	;; [unrolled: 1-line block ×4, first 2 shown]
	s_and_saveexec_b32 s15, s28
	s_cbranch_execz .LBB163_73
; %bb.69:                               ;   in Loop: Header=BB163_58 Depth=1
	v_mov_b32_e32 v1, v13
	v_mov_b32_e32 v2, v14
	s_mov_b32 s20, 0
	s_mov_b32 s21, s31
	.p2align	6
.LBB163_70:                             ;   Parent Loop BB163_58 Depth=1
                                        ; =>  This Inner Loop Header: Depth=2
	global_load_dwordx4 v[17:20], v[1:2], off
	v_add_co_u32 v1, s9, v1, s10
	v_mov_b32_e32 v3, s20
	v_add_co_ci_u32_e64 v2, null, s11, v2, s9
	s_add_i32 s21, s21, -1
	s_add_i32 s20, s20, 16
	s_cmp_eq_u32 s21, 0
	s_waitcnt vmcnt(0)
	buffer_store_dword v20, v3, s[0:3], 0 offen offset:12
	buffer_store_dword v19, v3, s[0:3], 0 offen offset:8
	;; [unrolled: 1-line block ×3, first 2 shown]
	buffer_store_dword v17, v3, s[0:3], 0 offen
	s_cbranch_scc0 .LBB163_70
; %bb.71:                               ;   in Loop: Header=BB163_58 Depth=1
	v_mov_b32_e32 v17, 0
	v_mov_b32_e32 v19, 0
	;; [unrolled: 1-line block ×6, first 2 shown]
	s_mov_b32 s20, 0
	s_mov_b32 s21, s31
	.p2align	6
.LBB163_72:                             ;   Parent Loop BB163_58 Depth=1
                                        ; =>  This Inner Loop Header: Depth=2
	v_mov_b32_e32 v24, s20
	global_load_dwordx4 v[32:35], v[1:2], off offset:-8
	v_add_co_u32 v1, s9, v1, 16
	v_add_co_ci_u32_e64 v2, null, 0, v2, s9
	s_clause 0x3
	buffer_load_dword v3, v24, s[0:3], 0 offen offset:8
	buffer_load_dword v4, v24, s[0:3], 0 offen offset:12
	buffer_load_dword v23, v24, s[0:3], 0 offen
	buffer_load_dword v24, v24, s[0:3], 0 offen offset:4
	s_add_i32 s21, s21, -1
	s_add_i32 s20, s20, 16
	s_cmp_lg_u32 s21, 0
	s_waitcnt vmcnt(2)
	v_mul_f64 v[36:37], v[34:35], v[3:4]
	v_mul_f64 v[3:4], v[32:33], v[3:4]
	s_waitcnt vmcnt(0)
	v_fma_f64 v[32:33], v[32:33], v[23:24], -v[36:37]
	v_fma_f64 v[3:4], v[34:35], v[23:24], v[3:4]
	v_add_f64 v[17:18], v[17:18], v[32:33]
	v_add_f64 v[19:20], v[19:20], v[3:4]
	s_cbranch_scc1 .LBB163_72
.LBB163_73:                             ;   in Loop: Header=BB163_58 Depth=1
	s_or_b32 exec_lo, exec_lo, s15
	s_or_b32 exec_lo, exec_lo, s14
	s_and_saveexec_b32 s9, s4
	s_cbranch_execnz .LBB163_61
	s_branch .LBB163_62
.LBB163_74:                             ;   in Loop: Header=BB163_58 Depth=1
	ds_read_b128 v[1:4], v26
	s_or_b32 exec_lo, exec_lo, s9
	s_and_saveexec_b32 s9, s4
	s_cbranch_execz .LBB163_66
.LBB163_75:                             ;   in Loop: Header=BB163_58 Depth=1
	s_waitcnt lgkmcnt(0)
	ds_bpermute_b32 v17, v29, v1
	ds_bpermute_b32 v18, v29, v2
	ds_bpermute_b32 v19, v29, v3
	ds_bpermute_b32 v20, v29, v4
	s_waitcnt lgkmcnt(2)
	v_add_f64 v[1:2], v[1:2], v[17:18]
	s_waitcnt lgkmcnt(0)
	v_add_f64 v[3:4], v[3:4], v[19:20]
	ds_bpermute_b32 v17, v30, v1
	ds_bpermute_b32 v18, v30, v2
	ds_bpermute_b32 v19, v30, v3
	ds_bpermute_b32 v20, v30, v4
	s_waitcnt lgkmcnt(2)
	v_add_f64 v[1:2], v[1:2], v[17:18]
	s_waitcnt lgkmcnt(0)
	v_add_f64 v[3:4], v[3:4], v[19:20]
	;; [unrolled: 8-line block ×3, first 2 shown]
	s_or_b32 exec_lo, exec_lo, s9
	s_and_saveexec_b32 s9, s6
	s_cbranch_execz .LBB163_57
.LBB163_76:                             ;   in Loop: Header=BB163_58 Depth=1
	s_waitcnt lgkmcnt(0)
	v_mul_f64 v[17:18], s[18:19], v[3:4]
	v_mul_f64 v[3:4], s[16:17], v[3:4]
	s_mul_hi_u32 s15, s7, s30
	s_mul_i32 s14, s7, s30
	s_lshl_b64 s[14:15], s[14:15], 4
	s_add_u32 s14, s26, s14
	s_addc_u32 s15, s27, s15
	v_fma_f64 v[17:18], s[16:17], v[1:2], -v[17:18]
	v_fma_f64 v[19:20], s[18:19], v[1:2], v[3:4]
	global_store_dwordx4 v0, v[17:20], s[14:15]
	s_branch .LBB163_57
.LBB163_77:
	s_endpgm
	.section	.rodata,"a",@progbits
	.p2align	6, 0x0
	.amdhsa_kernel _ZL23rocblas_gemvt_sn_kernelILb0ELi256ELi4El19rocblas_complex_numIdEPKS1_S1_EviiT4_lPKT3_lilS7_lilPT5_i
		.amdhsa_group_segment_fixed_size 512
		.amdhsa_private_segment_fixed_size 80
		.amdhsa_kernarg_size 360
		.amdhsa_user_sgpr_count 6
		.amdhsa_user_sgpr_private_segment_buffer 1
		.amdhsa_user_sgpr_dispatch_ptr 0
		.amdhsa_user_sgpr_queue_ptr 0
		.amdhsa_user_sgpr_kernarg_segment_ptr 1
		.amdhsa_user_sgpr_dispatch_id 0
		.amdhsa_user_sgpr_flat_scratch_init 0
		.amdhsa_user_sgpr_private_segment_size 0
		.amdhsa_wavefront_size32 1
		.amdhsa_uses_dynamic_stack 0
		.amdhsa_system_sgpr_private_segment_wavefront_offset 1
		.amdhsa_system_sgpr_workgroup_id_x 1
		.amdhsa_system_sgpr_workgroup_id_y 0
		.amdhsa_system_sgpr_workgroup_id_z 1
		.amdhsa_system_sgpr_workgroup_info 0
		.amdhsa_system_vgpr_workitem_id 0
		.amdhsa_next_free_vgpr 126
		.amdhsa_next_free_sgpr 65
		.amdhsa_reserve_vcc 1
		.amdhsa_reserve_flat_scratch 0
		.amdhsa_float_round_mode_32 0
		.amdhsa_float_round_mode_16_64 0
		.amdhsa_float_denorm_mode_32 3
		.amdhsa_float_denorm_mode_16_64 3
		.amdhsa_dx10_clamp 1
		.amdhsa_ieee_mode 1
		.amdhsa_fp16_overflow 0
		.amdhsa_workgroup_processor_mode 1
		.amdhsa_memory_ordered 1
		.amdhsa_forward_progress 1
		.amdhsa_shared_vgpr_count 0
		.amdhsa_exception_fp_ieee_invalid_op 0
		.amdhsa_exception_fp_denorm_src 0
		.amdhsa_exception_fp_ieee_div_zero 0
		.amdhsa_exception_fp_ieee_overflow 0
		.amdhsa_exception_fp_ieee_underflow 0
		.amdhsa_exception_fp_ieee_inexact 0
		.amdhsa_exception_int_div_zero 0
	.end_amdhsa_kernel
	.section	.text._ZL23rocblas_gemvt_sn_kernelILb0ELi256ELi4El19rocblas_complex_numIdEPKS1_S1_EviiT4_lPKT3_lilS7_lilPT5_i,"axG",@progbits,_ZL23rocblas_gemvt_sn_kernelILb0ELi256ELi4El19rocblas_complex_numIdEPKS1_S1_EviiT4_lPKT3_lilS7_lilPT5_i,comdat
.Lfunc_end163:
	.size	_ZL23rocblas_gemvt_sn_kernelILb0ELi256ELi4El19rocblas_complex_numIdEPKS1_S1_EviiT4_lPKT3_lilS7_lilPT5_i, .Lfunc_end163-_ZL23rocblas_gemvt_sn_kernelILb0ELi256ELi4El19rocblas_complex_numIdEPKS1_S1_EviiT4_lPKT3_lilS7_lilPT5_i
                                        ; -- End function
	.set _ZL23rocblas_gemvt_sn_kernelILb0ELi256ELi4El19rocblas_complex_numIdEPKS1_S1_EviiT4_lPKT3_lilS7_lilPT5_i.num_vgpr, 126
	.set _ZL23rocblas_gemvt_sn_kernelILb0ELi256ELi4El19rocblas_complex_numIdEPKS1_S1_EviiT4_lPKT3_lilS7_lilPT5_i.num_agpr, 0
	.set _ZL23rocblas_gemvt_sn_kernelILb0ELi256ELi4El19rocblas_complex_numIdEPKS1_S1_EviiT4_lPKT3_lilS7_lilPT5_i.numbered_sgpr, 65
	.set _ZL23rocblas_gemvt_sn_kernelILb0ELi256ELi4El19rocblas_complex_numIdEPKS1_S1_EviiT4_lPKT3_lilS7_lilPT5_i.num_named_barrier, 0
	.set _ZL23rocblas_gemvt_sn_kernelILb0ELi256ELi4El19rocblas_complex_numIdEPKS1_S1_EviiT4_lPKT3_lilS7_lilPT5_i.private_seg_size, 80
	.set _ZL23rocblas_gemvt_sn_kernelILb0ELi256ELi4El19rocblas_complex_numIdEPKS1_S1_EviiT4_lPKT3_lilS7_lilPT5_i.uses_vcc, 1
	.set _ZL23rocblas_gemvt_sn_kernelILb0ELi256ELi4El19rocblas_complex_numIdEPKS1_S1_EviiT4_lPKT3_lilS7_lilPT5_i.uses_flat_scratch, 0
	.set _ZL23rocblas_gemvt_sn_kernelILb0ELi256ELi4El19rocblas_complex_numIdEPKS1_S1_EviiT4_lPKT3_lilS7_lilPT5_i.has_dyn_sized_stack, 0
	.set _ZL23rocblas_gemvt_sn_kernelILb0ELi256ELi4El19rocblas_complex_numIdEPKS1_S1_EviiT4_lPKT3_lilS7_lilPT5_i.has_recursion, 0
	.set _ZL23rocblas_gemvt_sn_kernelILb0ELi256ELi4El19rocblas_complex_numIdEPKS1_S1_EviiT4_lPKT3_lilS7_lilPT5_i.has_indirect_call, 0
	.section	.AMDGPU.csdata,"",@progbits
; Kernel info:
; codeLenInByte = 8048
; TotalNumSgprs: 67
; NumVgprs: 126
; ScratchSize: 80
; MemoryBound: 0
; FloatMode: 240
; IeeeMode: 1
; LDSByteSize: 512 bytes/workgroup (compile time only)
; SGPRBlocks: 0
; VGPRBlocks: 15
; NumSGPRsForWavesPerEU: 67
; NumVGPRsForWavesPerEU: 126
; Occupancy: 8
; WaveLimiterHint : 1
; COMPUTE_PGM_RSRC2:SCRATCH_EN: 1
; COMPUTE_PGM_RSRC2:USER_SGPR: 6
; COMPUTE_PGM_RSRC2:TRAP_HANDLER: 0
; COMPUTE_PGM_RSRC2:TGID_X_EN: 1
; COMPUTE_PGM_RSRC2:TGID_Y_EN: 0
; COMPUTE_PGM_RSRC2:TGID_Z_EN: 1
; COMPUTE_PGM_RSRC2:TIDIG_COMP_CNT: 0
	.section	.text._ZL23rocblas_gemvt_sn_reduceILi256ELi8E19rocblas_complex_numIdEPKS1_S1_EviT2_lPT3_lilPT1_i,"axG",@progbits,_ZL23rocblas_gemvt_sn_reduceILi256ELi8E19rocblas_complex_numIdEPKS1_S1_EviT2_lPT3_lilPT1_i,comdat
	.globl	_ZL23rocblas_gemvt_sn_reduceILi256ELi8E19rocblas_complex_numIdEPKS1_S1_EviT2_lPT3_lilPT1_i ; -- Begin function _ZL23rocblas_gemvt_sn_reduceILi256ELi8E19rocblas_complex_numIdEPKS1_S1_EviT2_lPT3_lilPT1_i
	.p2align	8
	.type	_ZL23rocblas_gemvt_sn_reduceILi256ELi8E19rocblas_complex_numIdEPKS1_S1_EviT2_lPT3_lilPT1_i,@function
_ZL23rocblas_gemvt_sn_reduceILi256ELi8E19rocblas_complex_numIdEPKS1_S1_EviT2_lPT3_lilPT1_i: ; @_ZL23rocblas_gemvt_sn_reduceILi256ELi8E19rocblas_complex_numIdEPKS1_S1_EviT2_lPT3_lilPT1_i
; %bb.0:
	s_clause 0x2
	s_load_dwordx8 s[12:19], s[4:5], 0x8
	s_load_dword s6, s[4:5], 0x0
	s_load_dword s9, s[4:5], 0x4c
	v_mov_b32_e32 v1, 0
	v_mov_b32_e32 v3, 0
	v_lshlrev_b32_e32 v7, 3, v0
	v_mov_b32_e32 v2, 0
	v_mov_b32_e32 v4, 0
	s_mov_b32 s21, 0
	s_waitcnt lgkmcnt(0)
	s_mul_i32 s0, s15, s8
	s_mul_hi_u32 s1, s14, s8
	s_ashr_i32 s10, s6, 31
	s_add_i32 s1, s1, s0
	s_mul_i32 s0, s14, s8
	s_mul_i32 s9, s9, s8
	s_lshl_b64 s[0:1], s[0:1], 4
	s_add_u32 s0, s12, s0
	s_addc_u32 s1, s13, s1
	s_load_dwordx2 s[2:3], s[4:5], 0x38
	s_load_dwordx4 s[12:15], s[0:1], 0x0
	s_add_u32 s0, s4, 0x48
	s_addc_u32 s1, s5, 0
	s_add_i32 s20, s9, s7
	s_lshr_b32 s9, s10, 29
	s_mul_i32 s11, s20, s10
	s_add_i32 s9, s6, s9
	s_mul_hi_u32 s10, s20, s6
	s_and_b32 s9, s9, -8
	s_add_i32 s11, s10, s11
	s_mul_i32 s10, s20, s6
	s_mov_b32 s20, exec_lo
	v_cmpx_gt_i32_e64 s9, v7
	s_cbranch_execz .LBB164_4
; %bb.1:
	s_load_dword s0, s[0:1], 0xc
	v_lshlrev_b32_e32 v3, 7, v0
	s_lshl_b64 s[22:23], s[10:11], 4
	v_mov_b32_e32 v1, 0
	v_mov_b32_e32 v2, 0
	s_waitcnt lgkmcnt(0)
	s_and_b32 s0, s0, 0xffff
	s_lshl_b32 s1, s0, 3
	s_add_u32 s22, s2, s22
	s_addc_u32 s23, s3, s23
	v_add_co_u32 v5, s22, s22, v3
	v_add_co_ci_u32_e64 v6, null, s23, 0, s22
	v_mov_b32_e32 v3, 0
	v_add_co_u32 v5, vcc_lo, 0x78, v5
	v_mov_b32_e32 v4, 0
	v_add_co_ci_u32_e64 v6, null, 0, v6, vcc_lo
	s_lshl_b32 s22, s0, 7
.LBB164_2:                              ; =>This Inner Loop Header: Depth=1
	s_clause 0x7
	global_load_dwordx4 v[8:11], v[5:6], off offset:-120
	global_load_dwordx4 v[12:15], v[5:6], off offset:-104
	;; [unrolled: 1-line block ×8, first 2 shown]
	v_add_nc_u32_e32 v7, s1, v7
	v_add_co_u32 v5, s0, v5, s22
	v_add_co_ci_u32_e64 v6, null, 0, v6, s0
	v_cmp_le_i32_e32 vcc_lo, s9, v7
	s_or_b32 s21, vcc_lo, s21
	s_waitcnt vmcnt(7)
	v_add_f64 v[3:4], v[3:4], v[8:9]
	v_add_f64 v[1:2], v[1:2], v[10:11]
	s_waitcnt vmcnt(6)
	v_add_f64 v[3:4], v[3:4], v[12:13]
	v_add_f64 v[1:2], v[1:2], v[14:15]
	s_waitcnt vmcnt(5)
	v_add_f64 v[3:4], v[3:4], v[16:17]
	v_add_f64 v[1:2], v[1:2], v[18:19]
	s_waitcnt vmcnt(4)
	v_add_f64 v[3:4], v[3:4], v[20:21]
	v_add_f64 v[1:2], v[1:2], v[22:23]
	s_waitcnt vmcnt(3)
	v_add_f64 v[3:4], v[3:4], v[24:25]
	v_add_f64 v[1:2], v[1:2], v[26:27]
	s_waitcnt vmcnt(2)
	v_add_f64 v[3:4], v[3:4], v[28:29]
	v_add_f64 v[1:2], v[1:2], v[30:31]
	s_waitcnt vmcnt(1)
	v_add_f64 v[3:4], v[3:4], v[32:33]
	v_add_f64 v[1:2], v[1:2], v[34:35]
	s_waitcnt vmcnt(0)
	v_add_f64 v[3:4], v[3:4], v[36:37]
	v_add_f64 v[1:2], v[1:2], v[38:39]
	s_andn2_b32 exec_lo, exec_lo, s21
	s_cbranch_execnz .LBB164_2
; %bb.3:
	s_or_b32 exec_lo, exec_lo, s21
.LBB164_4:
	s_or_b32 exec_lo, exec_lo, s20
	s_sub_i32 s0, s6, s9
	v_cmp_gt_u32_e32 vcc_lo, s0, v0
	s_and_saveexec_b32 s0, vcc_lo
	s_cbranch_execz .LBB164_6
; %bb.5:
	v_xad_u32 v5, v0, -1, s6
	v_mov_b32_e32 v6, 0
	s_lshl_b64 s[10:11], s[10:11], 4
	s_waitcnt lgkmcnt(0)
	s_add_u32 s1, s2, s10
	s_addc_u32 s2, s3, s11
	v_lshlrev_b64 v[5:6], 4, v[5:6]
	v_add_co_u32 v5, vcc_lo, s1, v5
	v_add_co_ci_u32_e64 v6, null, s2, v6, vcc_lo
	global_load_dwordx4 v[5:8], v[5:6], off
	s_waitcnt vmcnt(0)
	v_add_f64 v[3:4], v[3:4], v[5:6]
	v_add_f64 v[1:2], v[1:2], v[7:8]
.LBB164_6:
	s_or_b32 exec_lo, exec_lo, s0
	v_and_b32_e32 v13, 31, v0
	v_cmp_gt_u32_e32 vcc_lo, 32, v0
	v_lshlrev_b32_e32 v9, 4, v13
	s_and_saveexec_b32 s0, vcc_lo
	s_cbranch_execz .LBB164_8
; %bb.7:
	v_mov_b32_e32 v5, 0
	v_mov_b32_e32 v6, v5
	;; [unrolled: 1-line block ×4, first 2 shown]
	ds_write_b128 v9, v[5:8]
.LBB164_8:
	s_or_b32 exec_lo, exec_lo, s0
	v_mbcnt_lo_u32_b32 v12, -1, 0
	s_mov_b32 s1, exec_lo
	s_waitcnt lgkmcnt(0)
	s_barrier
	buffer_gl0_inv
	v_lshl_or_b32 v8, v12, 2, 64
	v_cmp_gt_u32_e64 s0, 24, v12
	ds_bpermute_b32 v5, v8, v3
	ds_bpermute_b32 v6, v8, v4
	;; [unrolled: 1-line block ×4, first 2 shown]
	s_waitcnt lgkmcnt(2)
	v_add_f64 v[3:4], v[3:4], v[5:6]
	v_cndmask_b32_e64 v5, 0, 8, s0
	s_waitcnt lgkmcnt(0)
	v_add_f64 v[1:2], v[1:2], v[7:8]
	v_cmp_gt_u32_e64 s0, 28, v12
	v_add_lshl_u32 v8, v5, v12, 2
	ds_bpermute_b32 v5, v8, v3
	ds_bpermute_b32 v6, v8, v4
	;; [unrolled: 1-line block ×4, first 2 shown]
	s_waitcnt lgkmcnt(2)
	v_add_f64 v[3:4], v[3:4], v[5:6]
	v_cndmask_b32_e64 v5, 0, 4, s0
	s_waitcnt lgkmcnt(0)
	v_add_f64 v[1:2], v[1:2], v[7:8]
	v_cmp_gt_u32_e64 s0, 30, v12
	v_add_lshl_u32 v10, v5, v12, 2
	ds_bpermute_b32 v5, v10, v3
	ds_bpermute_b32 v6, v10, v4
	;; [unrolled: 1-line block ×4, first 2 shown]
	s_waitcnt lgkmcnt(2)
	v_add_f64 v[3:4], v[3:4], v[5:6]
	s_waitcnt lgkmcnt(0)
	v_add_f64 v[5:6], v[1:2], v[7:8]
	v_cndmask_b32_e64 v1, 0, 2, s0
	v_cmp_ne_u32_e64 s0, 31, v12
	v_add_lshl_u32 v11, v1, v12, 2
	ds_bpermute_b32 v1, v11, v3
	ds_bpermute_b32 v2, v11, v4
	;; [unrolled: 1-line block ×4, first 2 shown]
	s_waitcnt lgkmcnt(2)
	v_add_f64 v[1:2], v[3:4], v[1:2]
	s_waitcnt lgkmcnt(0)
	v_add_f64 v[3:4], v[5:6], v[7:8]
	v_add_co_ci_u32_e64 v5, null, 0, v12, s0
	v_lshlrev_b32_e32 v12, 2, v5
	ds_bpermute_b32 v5, v12, v1
	ds_bpermute_b32 v6, v12, v2
	;; [unrolled: 1-line block ×4, first 2 shown]
	v_cmpx_eq_u32_e32 0, v13
	s_cbranch_execz .LBB164_10
; %bb.9:
	s_waitcnt lgkmcnt(0)
	v_add_f64 v[3:4], v[3:4], v[7:8]
	v_add_f64 v[1:2], v[1:2], v[5:6]
	v_lshrrev_b32_e32 v5, 1, v0
	v_and_b32_e32 v5, 0x70, v5
	ds_write_b128 v5, v[1:4]
.LBB164_10:
	s_or_b32 exec_lo, exec_lo, s1
	v_mov_b32_e32 v3, 0
	v_mov_b32_e32 v1, 0
	;; [unrolled: 1-line block ×4, first 2 shown]
	s_mov_b32 s1, exec_lo
	s_waitcnt lgkmcnt(0)
	s_barrier
	buffer_gl0_inv
	v_cmpx_gt_u32_e32 8, v0
; %bb.11:
	ds_read_b128 v[1:4], v9
; %bb.12:
	s_or_b32 exec_lo, exec_lo, s1
	s_and_saveexec_b32 s0, vcc_lo
	s_cbranch_execz .LBB164_14
; %bb.13:
	s_waitcnt lgkmcnt(0)
	ds_bpermute_b32 v5, v10, v1
	ds_bpermute_b32 v6, v10, v2
	ds_bpermute_b32 v7, v10, v3
	ds_bpermute_b32 v8, v10, v4
	s_waitcnt lgkmcnt(2)
	v_add_f64 v[1:2], v[1:2], v[5:6]
	s_waitcnt lgkmcnt(0)
	v_add_f64 v[3:4], v[3:4], v[7:8]
	ds_bpermute_b32 v5, v11, v1
	ds_bpermute_b32 v6, v11, v2
	ds_bpermute_b32 v7, v11, v3
	ds_bpermute_b32 v8, v11, v4
	s_waitcnt lgkmcnt(2)
	v_add_f64 v[1:2], v[1:2], v[5:6]
	s_waitcnt lgkmcnt(0)
	v_add_f64 v[3:4], v[3:4], v[7:8]
	;; [unrolled: 8-line block ×3, first 2 shown]
.LBB164_14:
	s_or_b32 exec_lo, exec_lo, s0
	s_mov_b32 s0, exec_lo
	v_cmpx_eq_u32_e32 0, v0
	s_cbranch_execz .LBB164_18
; %bb.15:
	s_clause 0x1
	s_load_dwordx2 s[0:1], s[4:5], 0x30
	s_load_dword s4, s[4:5], 0x28
	v_cmp_neq_f64_e64 s5, s[12:13], 0
	v_cmp_neq_f64_e64 s6, s[14:15], 0
	s_waitcnt lgkmcnt(0)
	s_mul_i32 s1, s1, s8
	s_mul_hi_u32 s2, s0, s8
	s_mul_i32 s0, s0, s8
	s_add_i32 s1, s2, s1
	s_ashr_i32 s8, s4, 31
	s_lshl_b64 s[0:1], s[0:1], 4
	s_mul_i32 s8, s8, s7
	s_add_u32 s2, s16, s0
	s_addc_u32 s3, s17, s1
	s_lshl_b64 s[0:1], s[18:19], 4
	s_add_u32 s2, s2, s0
	s_addc_u32 s3, s3, s1
	s_or_b32 s0, s5, s6
	s_mul_hi_u32 s1, s4, s7
	s_andn2_b32 vcc_lo, exec_lo, s0
	s_add_i32 s1, s1, s8
	s_mul_i32 s0, s4, s7
	s_cbranch_vccnz .LBB164_17
; %bb.16:
	s_lshl_b64 s[4:5], s[0:1], 4
	s_add_u32 s4, s2, s4
	s_addc_u32 s5, s3, s5
	s_load_dwordx4 s[4:7], s[4:5], 0x0
	s_waitcnt lgkmcnt(0)
	v_mul_f64 v[5:6], s[14:15], s[6:7]
	v_mul_f64 v[7:8], s[12:13], s[6:7]
	v_fma_f64 v[5:6], s[12:13], s[4:5], -v[5:6]
	v_fma_f64 v[7:8], s[14:15], s[4:5], v[7:8]
	v_add_f64 v[1:2], v[1:2], v[5:6]
	v_add_f64 v[3:4], v[3:4], v[7:8]
.LBB164_17:
	s_lshl_b64 s[0:1], s[0:1], 4
	v_mov_b32_e32 v0, 0
	s_add_u32 s0, s2, s0
	s_addc_u32 s1, s3, s1
	global_store_dwordx4 v0, v[1:4], s[0:1]
.LBB164_18:
	s_endpgm
	.section	.rodata,"a",@progbits
	.p2align	6, 0x0
	.amdhsa_kernel _ZL23rocblas_gemvt_sn_reduceILi256ELi8E19rocblas_complex_numIdEPKS1_S1_EviT2_lPT3_lilPT1_i
		.amdhsa_group_segment_fixed_size 512
		.amdhsa_private_segment_fixed_size 0
		.amdhsa_kernarg_size 328
		.amdhsa_user_sgpr_count 6
		.amdhsa_user_sgpr_private_segment_buffer 1
		.amdhsa_user_sgpr_dispatch_ptr 0
		.amdhsa_user_sgpr_queue_ptr 0
		.amdhsa_user_sgpr_kernarg_segment_ptr 1
		.amdhsa_user_sgpr_dispatch_id 0
		.amdhsa_user_sgpr_flat_scratch_init 0
		.amdhsa_user_sgpr_private_segment_size 0
		.amdhsa_wavefront_size32 1
		.amdhsa_uses_dynamic_stack 0
		.amdhsa_system_sgpr_private_segment_wavefront_offset 0
		.amdhsa_system_sgpr_workgroup_id_x 1
		.amdhsa_system_sgpr_workgroup_id_y 1
		.amdhsa_system_sgpr_workgroup_id_z 1
		.amdhsa_system_sgpr_workgroup_info 0
		.amdhsa_system_vgpr_workitem_id 0
		.amdhsa_next_free_vgpr 40
		.amdhsa_next_free_sgpr 24
		.amdhsa_reserve_vcc 1
		.amdhsa_reserve_flat_scratch 0
		.amdhsa_float_round_mode_32 0
		.amdhsa_float_round_mode_16_64 0
		.amdhsa_float_denorm_mode_32 3
		.amdhsa_float_denorm_mode_16_64 3
		.amdhsa_dx10_clamp 1
		.amdhsa_ieee_mode 1
		.amdhsa_fp16_overflow 0
		.amdhsa_workgroup_processor_mode 1
		.amdhsa_memory_ordered 1
		.amdhsa_forward_progress 1
		.amdhsa_shared_vgpr_count 0
		.amdhsa_exception_fp_ieee_invalid_op 0
		.amdhsa_exception_fp_denorm_src 0
		.amdhsa_exception_fp_ieee_div_zero 0
		.amdhsa_exception_fp_ieee_overflow 0
		.amdhsa_exception_fp_ieee_underflow 0
		.amdhsa_exception_fp_ieee_inexact 0
		.amdhsa_exception_int_div_zero 0
	.end_amdhsa_kernel
	.section	.text._ZL23rocblas_gemvt_sn_reduceILi256ELi8E19rocblas_complex_numIdEPKS1_S1_EviT2_lPT3_lilPT1_i,"axG",@progbits,_ZL23rocblas_gemvt_sn_reduceILi256ELi8E19rocblas_complex_numIdEPKS1_S1_EviT2_lPT3_lilPT1_i,comdat
.Lfunc_end164:
	.size	_ZL23rocblas_gemvt_sn_reduceILi256ELi8E19rocblas_complex_numIdEPKS1_S1_EviT2_lPT3_lilPT1_i, .Lfunc_end164-_ZL23rocblas_gemvt_sn_reduceILi256ELi8E19rocblas_complex_numIdEPKS1_S1_EviT2_lPT3_lilPT1_i
                                        ; -- End function
	.set _ZL23rocblas_gemvt_sn_reduceILi256ELi8E19rocblas_complex_numIdEPKS1_S1_EviT2_lPT3_lilPT1_i.num_vgpr, 40
	.set _ZL23rocblas_gemvt_sn_reduceILi256ELi8E19rocblas_complex_numIdEPKS1_S1_EviT2_lPT3_lilPT1_i.num_agpr, 0
	.set _ZL23rocblas_gemvt_sn_reduceILi256ELi8E19rocblas_complex_numIdEPKS1_S1_EviT2_lPT3_lilPT1_i.numbered_sgpr, 24
	.set _ZL23rocblas_gemvt_sn_reduceILi256ELi8E19rocblas_complex_numIdEPKS1_S1_EviT2_lPT3_lilPT1_i.num_named_barrier, 0
	.set _ZL23rocblas_gemvt_sn_reduceILi256ELi8E19rocblas_complex_numIdEPKS1_S1_EviT2_lPT3_lilPT1_i.private_seg_size, 0
	.set _ZL23rocblas_gemvt_sn_reduceILi256ELi8E19rocblas_complex_numIdEPKS1_S1_EviT2_lPT3_lilPT1_i.uses_vcc, 1
	.set _ZL23rocblas_gemvt_sn_reduceILi256ELi8E19rocblas_complex_numIdEPKS1_S1_EviT2_lPT3_lilPT1_i.uses_flat_scratch, 0
	.set _ZL23rocblas_gemvt_sn_reduceILi256ELi8E19rocblas_complex_numIdEPKS1_S1_EviT2_lPT3_lilPT1_i.has_dyn_sized_stack, 0
	.set _ZL23rocblas_gemvt_sn_reduceILi256ELi8E19rocblas_complex_numIdEPKS1_S1_EviT2_lPT3_lilPT1_i.has_recursion, 0
	.set _ZL23rocblas_gemvt_sn_reduceILi256ELi8E19rocblas_complex_numIdEPKS1_S1_EviT2_lPT3_lilPT1_i.has_indirect_call, 0
	.section	.AMDGPU.csdata,"",@progbits
; Kernel info:
; codeLenInByte = 1580
; TotalNumSgprs: 26
; NumVgprs: 40
; ScratchSize: 0
; MemoryBound: 1
; FloatMode: 240
; IeeeMode: 1
; LDSByteSize: 512 bytes/workgroup (compile time only)
; SGPRBlocks: 0
; VGPRBlocks: 4
; NumSGPRsForWavesPerEU: 26
; NumVGPRsForWavesPerEU: 40
; Occupancy: 16
; WaveLimiterHint : 0
; COMPUTE_PGM_RSRC2:SCRATCH_EN: 0
; COMPUTE_PGM_RSRC2:USER_SGPR: 6
; COMPUTE_PGM_RSRC2:TRAP_HANDLER: 0
; COMPUTE_PGM_RSRC2:TGID_X_EN: 1
; COMPUTE_PGM_RSRC2:TGID_Y_EN: 1
; COMPUTE_PGM_RSRC2:TGID_Z_EN: 1
; COMPUTE_PGM_RSRC2:TIDIG_COMP_CNT: 0
	.section	.text._ZL23rocblas_gemvt_sn_kernelILb0ELi256ELi4Ei19rocblas_complex_numIdES1_S1_EviiT4_lPKT3_lilS5_lilPT5_i,"axG",@progbits,_ZL23rocblas_gemvt_sn_kernelILb0ELi256ELi4Ei19rocblas_complex_numIdES1_S1_EviiT4_lPKT3_lilS5_lilPT5_i,comdat
	.globl	_ZL23rocblas_gemvt_sn_kernelILb0ELi256ELi4Ei19rocblas_complex_numIdES1_S1_EviiT4_lPKT3_lilS5_lilPT5_i ; -- Begin function _ZL23rocblas_gemvt_sn_kernelILb0ELi256ELi4Ei19rocblas_complex_numIdES1_S1_EviiT4_lPKT3_lilS5_lilPT5_i
	.p2align	8
	.type	_ZL23rocblas_gemvt_sn_kernelILb0ELi256ELi4Ei19rocblas_complex_numIdES1_S1_EviiT4_lPKT3_lilS5_lilPT5_i,@function
_ZL23rocblas_gemvt_sn_kernelILb0ELi256ELi4Ei19rocblas_complex_numIdES1_S1_EviiT4_lPKT3_lilS5_lilPT5_i: ; @_ZL23rocblas_gemvt_sn_kernelILb0ELi256ELi4Ei19rocblas_complex_numIdES1_S1_EviiT4_lPKT3_lilS5_lilPT5_i
; %bb.0:
	s_clause 0x2
	s_load_dwordx4 s[12:15], s[4:5], 0x8
	s_load_dwordx2 s[24:25], s[4:5], 0x0
	s_load_dword s26, s[4:5], 0x70
	s_add_u32 s0, s0, s8
	s_load_dwordx4 s[20:23], s[4:5], 0x58
	s_addc_u32 s1, s1, 0
	s_mov_b32 s27, 0
	s_waitcnt lgkmcnt(0)
	v_cmp_neq_f64_e64 s8, s[12:13], 0
	v_cmp_neq_f64_e64 s9, s[14:15], 0
	s_ashr_i32 s30, s25, 31
	s_mul_hi_u32 s10, s25, s7
	s_mul_i32 s16, s30, s7
	s_mul_i32 s11, s25, s7
	s_add_i32 s10, s10, s16
	s_mul_hi_u32 s17, s11, s26
	s_mul_i32 s10, s10, s26
	s_mul_i32 s28, s11, s26
	s_add_i32 s29, s17, s10
	s_or_b32 s8, s8, s9
	s_mov_b32 s9, -1
	s_and_b32 vcc_lo, exec_lo, s8
	v_cmp_eq_u32_e64 s8, 0, v0
	s_cbranch_vccnz .LBB165_5
; %bb.1:
	s_cmp_gt_i32 s25, 0
	s_cselect_b32 s9, -1, 0
	s_and_b32 s8, s8, s9
	s_and_saveexec_b32 s16, s8
	s_cbranch_execz .LBB165_4
; %bb.2:
	s_mov_b32 s8, s7
	s_mov_b32 s7, 0
	v_mov_b32_e32 v1, 0
	s_lshl_b64 s[10:11], s[28:29], 4
	s_lshl_b64 s[18:19], s[6:7], 4
	s_mov_b32 s7, s8
	s_add_u32 s8, s10, s18
	s_addc_u32 s9, s11, s19
	s_add_u32 s8, s22, s8
	v_mov_b32_e32 v2, v1
	v_mov_b32_e32 v3, v1
	;; [unrolled: 1-line block ×3, first 2 shown]
	s_addc_u32 s9, s23, s9
	s_add_u32 s8, s8, 8
	s_addc_u32 s9, s9, 0
	s_lshl_b64 s[10:11], s[26:27], 4
	s_mov_b32 s17, s25
.LBB165_3:                              ; =>This Inner Loop Header: Depth=1
	s_add_i32 s17, s17, -1
	global_store_dwordx4 v1, v[1:4], s[8:9] offset:-8
	s_add_u32 s8, s8, s10
	s_addc_u32 s9, s9, s11
	s_cmp_eq_u32 s17, 0
	s_cbranch_scc0 .LBB165_3
.LBB165_4:
	s_or_b32 exec_lo, exec_lo, s16
	s_mov_b32 s9, 0
.LBB165_5:
	s_andn2_b32 vcc_lo, exec_lo, s9
	s_cbranch_vccnz .LBB165_77
; %bb.6:
	s_clause 0x4
	s_load_dwordx4 s[8:11], s[4:5], 0x38
	s_load_dwordx2 s[34:35], s[4:5], 0x48
	s_load_dwordx4 s[16:19], s[4:5], 0x20
	s_load_dword s27, s[4:5], 0x30
	s_load_dword s33, s[4:5], 0x50
	s_mul_i32 s5, s21, s7
	s_mul_hi_u32 s21, s20, s7
	s_mul_i32 s4, s20, s7
	s_add_i32 s5, s21, s5
	v_and_b32_e32 v22, 31, v0
	s_lshl_b64 s[20:21], s[4:5], 4
	v_cmp_gt_u32_e64 s4, 32, v0
	v_mbcnt_lo_u32_b32 v41, -1, 0
	v_lshrrev_b32_e32 v42, 1, v0
	v_mov_b32_e32 v36, 16
	v_mov_b32_e32 v37, 32
	;; [unrolled: 1-line block ×3, first 2 shown]
	s_waitcnt lgkmcnt(0)
	s_add_u32 s5, s10, s20
	s_addc_u32 s20, s11, s21
	s_lshl_b64 s[10:11], s[34:35], 4
	s_mul_i32 s9, s9, s7
	s_add_u32 s38, s5, s10
	s_addc_u32 s39, s20, s11
	s_lshl_b64 s[20:21], s[28:29], 4
	s_mul_hi_u32 s31, s8, s7
	s_add_u32 s11, s22, s20
	s_mul_i32 s8, s8, s7
	s_addc_u32 s42, s23, s21
	s_add_i32 s9, s31, s9
	v_cmp_gt_u32_e64 s5, 8, v0
	s_lshl_b64 s[20:21], s[8:9], 4
	s_add_u32 s7, s16, s20
	s_addc_u32 s8, s17, s21
	s_lshl_b64 s[18:19], s[18:19], 4
	s_add_u32 s7, s7, s18
	s_addc_u32 s8, s8, s19
	s_lshl_b32 s9, s6, 10
	s_lshr_b32 s10, s30, 30
	v_lshl_or_b32 v1, v0, 2, s9
	s_ashr_i32 s9, s24, 31
	s_add_i32 s10, s25, s10
	s_lshr_b32 s9, s9, 30
	s_and_b32 s43, s10, -4
	v_ashrrev_i32_e32 v2, 31, v1
	s_add_i32 s9, s24, s9
	v_mul_lo_u32 v21, s33, v1
	s_and_b32 s9, s9, -4
	v_add_nc_u32_e32 v43, 4, v1
	v_lshlrev_b64 v[23:24], 4, v[1:2]
	s_sub_i32 s40, s24, s9
	s_cmp_lt_i32 s43, 1
	v_add_nc_u32_e32 v44, s40, v1
	v_add_co_u32 v38, vcc_lo, s7, v23
	v_add_co_ci_u32_e64 v39, null, s8, v24, vcc_lo
	s_cbranch_scc1 .LBB165_54
; %bb.7:
	v_cmp_gt_u32_e32 vcc_lo, 24, v41
	v_mul_lo_u32 v25, s33, v1
	s_cmp_gt_i32 s40, 0
	v_cmp_ge_i32_e64 s7, s24, v43
	s_cselect_b32 s44, -1, 0
	v_cndmask_b32_e64 v2, 0, 8, vcc_lo
	v_cmp_gt_u32_e32 vcc_lo, 28, v41
	s_lshl_b32 s45, s27, 2
	s_lshl_b32 s46, s27, 1
	v_ashrrev_i32_e32 v26, 31, v25
	v_add_lshl_u32 v46, v2, v41, 2
	v_cndmask_b32_e64 v3, 0, 4, vcc_lo
	v_cmp_gt_u32_e32 vcc_lo, 30, v41
	s_add_u32 s22, s20, s18
	v_lshlrev_b64 v[5:6], 4, v[25:26]
	s_addc_u32 s28, s21, s19
	v_add_lshl_u32 v47, v3, v41, 2
	v_cndmask_b32_e64 v1, 0, 2, vcc_lo
	v_cmp_ne_u32_e32 vcc_lo, 31, v41
	s_add_u32 s22, s16, s22
	s_addc_u32 s28, s17, s28
	v_cmp_ge_i32_e64 s8, s24, v44
	v_add_lshl_u32 v48, v1, v41, 2
	v_add_nc_u32_e32 v1, s33, v25
	v_add_co_ci_u32_e64 v4, null, 0, v41, vcc_lo
	v_add_co_u32 v26, vcc_lo, s38, v5
	v_add_nc_u32_e32 v3, s33, v1
	v_ashrrev_i32_e32 v2, 31, v1
	v_lshlrev_b32_e32 v49, 2, v4
	v_add_co_ci_u32_e64 v27, null, s39, v6, vcc_lo
	v_add_nc_u32_e32 v7, s33, v3
	v_lshlrev_b64 v[1:2], 4, v[1:2]
	v_ashrrev_i32_e32 v4, 31, v3
	v_lshl_or_b32 v45, v41, 2, 64
	v_cmp_eq_u32_e64 s9, 0, v22
	v_ashrrev_i32_e32 v8, 31, v7
	v_lshlrev_b32_e32 v50, 4, v22
	v_lshlrev_b64 v[3:4], 4, v[3:4]
	v_add_co_u32 v28, vcc_lo, s38, v1
	v_add_co_ci_u32_e64 v29, null, s39, v2, vcc_lo
	v_lshlrev_b64 v[1:2], 4, v[7:8]
	v_add_co_u32 v30, vcc_lo, s38, v3
	v_add_co_ci_u32_e64 v31, null, s39, v4, vcc_lo
	v_and_b32_e32 v51, 0x70, v42
	v_add_co_u32 v32, vcc_lo, s38, v1
	v_add_co_ci_u32_e64 v33, null, s39, v2, vcc_lo
	v_add_co_u32 v1, vcc_lo, s22, v23
	v_add_co_ci_u32_e64 v2, null, s28, v24, vcc_lo
	v_cmp_eq_u32_e64 s10, 0, v0
	v_add_co_u32 v52, vcc_lo, v1, 8
	v_add_co_ci_u32_e64 v53, null, 0, v2, vcc_lo
	v_mov_b32_e32 v1, 0
	s_mov_b32 s23, 0
	s_mul_i32 s47, s27, 3
	s_mov_b32 s28, s23
	s_mov_b32 s48, s27
	;; [unrolled: 1-line block ×3, first 2 shown]
	s_branch .LBB165_9
.LBB165_8:                              ;   in Loop: Header=BB165_9 Depth=1
	s_or_b32 exec_lo, exec_lo, s29
	s_add_i32 s41, s41, 4
	s_add_i32 s48, s48, s45
	;; [unrolled: 1-line block ×5, first 2 shown]
	s_cmp_ge_i32 s41, s43
	s_cbranch_scc1 .LBB165_55
.LBB165_9:                              ; =>This Loop Header: Depth=1
                                        ;     Child Loop BB165_40 Depth 2
                                        ;     Child Loop BB165_42 Depth 2
                                        ; implicit-def: $vgpr17_vgpr18
                                        ; implicit-def: $vgpr19_vgpr20
                                        ; implicit-def: $vgpr13_vgpr14
                                        ; implicit-def: $vgpr15_vgpr16
                                        ; implicit-def: $vgpr9_vgpr10
                                        ; implicit-def: $vgpr11_vgpr12
                                        ; implicit-def: $vgpr7_vgpr8
                                        ; implicit-def: $vgpr5_vgpr6
	s_and_saveexec_b32 s22, s7
	s_xor_b32 s22, exec_lo, s22
	s_cbranch_execnz .LBB165_36
; %bb.10:                               ;   in Loop: Header=BB165_9 Depth=1
	s_andn2_saveexec_b32 s22, s22
	s_cbranch_execnz .LBB165_37
.LBB165_11:                             ;   in Loop: Header=BB165_9 Depth=1
	s_or_b32 exec_lo, exec_lo, s22
	s_and_saveexec_b32 s22, s4
	s_cbranch_execz .LBB165_13
.LBB165_12:                             ;   in Loop: Header=BB165_9 Depth=1
	v_mov_b32_e32 v2, v1
	v_mov_b32_e32 v3, v1
	;; [unrolled: 1-line block ×3, first 2 shown]
	ds_write_b128 v50, v[1:4]
.LBB165_13:                             ;   in Loop: Header=BB165_9 Depth=1
	s_or_b32 exec_lo, exec_lo, s22
	ds_bpermute_b32 v2, v45, v7
	ds_bpermute_b32 v3, v45, v8
	;; [unrolled: 1-line block ×4, first 2 shown]
	s_waitcnt lgkmcnt(0)
	s_waitcnt_vscnt null, 0x0
	s_barrier
	buffer_gl0_inv
	v_add_f64 v[2:3], v[7:8], v[2:3]
	v_add_f64 v[4:5], v[5:6], v[34:35]
	ds_bpermute_b32 v6, v46, v2
	ds_bpermute_b32 v7, v46, v3
	ds_bpermute_b32 v34, v46, v4
	ds_bpermute_b32 v35, v46, v5
	s_waitcnt lgkmcnt(2)
	v_add_f64 v[2:3], v[2:3], v[6:7]
	s_waitcnt lgkmcnt(0)
	v_add_f64 v[4:5], v[4:5], v[34:35]
	ds_bpermute_b32 v6, v47, v2
	ds_bpermute_b32 v7, v47, v3
	ds_bpermute_b32 v34, v47, v4
	ds_bpermute_b32 v35, v47, v5
	s_waitcnt lgkmcnt(2)
	v_add_f64 v[2:3], v[2:3], v[6:7]
	s_waitcnt lgkmcnt(0)
	;; [unrolled: 8-line block ×3, first 2 shown]
	v_add_f64 v[6:7], v[4:5], v[34:35]
	ds_bpermute_b32 v4, v49, v2
	ds_bpermute_b32 v5, v49, v3
	;; [unrolled: 1-line block ×4, first 2 shown]
	s_and_saveexec_b32 s22, s9
	s_cbranch_execz .LBB165_15
; %bb.14:                               ;   in Loop: Header=BB165_9 Depth=1
	s_waitcnt lgkmcnt(0)
	v_add_f64 v[6:7], v[6:7], v[34:35]
	v_add_f64 v[4:5], v[2:3], v[4:5]
	ds_write_b128 v51, v[4:7]
.LBB165_15:                             ;   in Loop: Header=BB165_9 Depth=1
	s_or_b32 exec_lo, exec_lo, s22
	v_mov_b32_e32 v7, 0
	s_waitcnt lgkmcnt(2)
	v_mov_b32_e32 v5, 0
	v_mov_b32_e32 v8, 0
	;; [unrolled: 1-line block ×3, first 2 shown]
	s_waitcnt lgkmcnt(0)
	s_barrier
	buffer_gl0_inv
	s_and_saveexec_b32 s22, s5
	s_cbranch_execnz .LBB165_43
; %bb.16:                               ;   in Loop: Header=BB165_9 Depth=1
	s_or_b32 exec_lo, exec_lo, s22
	s_and_saveexec_b32 s22, s4
	s_cbranch_execnz .LBB165_44
.LBB165_17:                             ;   in Loop: Header=BB165_9 Depth=1
	s_or_b32 exec_lo, exec_lo, s22
	s_and_saveexec_b32 s22, s4
	s_cbranch_execz .LBB165_19
.LBB165_18:                             ;   in Loop: Header=BB165_9 Depth=1
	v_mov_b32_e32 v2, v1
	v_mov_b32_e32 v3, v1
	;; [unrolled: 1-line block ×3, first 2 shown]
	ds_write_b128 v50, v[1:4]
.LBB165_19:                             ;   in Loop: Header=BB165_9 Depth=1
	s_or_b32 exec_lo, exec_lo, s22
	ds_bpermute_b32 v2, v45, v9
	ds_bpermute_b32 v3, v45, v10
	;; [unrolled: 1-line block ×4, first 2 shown]
	s_waitcnt lgkmcnt(0)
	s_barrier
	buffer_gl0_inv
	v_add_f64 v[2:3], v[9:10], v[2:3]
	v_add_f64 v[9:10], v[11:12], v[34:35]
	ds_bpermute_b32 v11, v46, v2
	ds_bpermute_b32 v12, v46, v3
	ds_bpermute_b32 v34, v46, v9
	ds_bpermute_b32 v35, v46, v10
	s_waitcnt lgkmcnt(2)
	v_add_f64 v[2:3], v[2:3], v[11:12]
	s_waitcnt lgkmcnt(0)
	v_add_f64 v[9:10], v[9:10], v[34:35]
	ds_bpermute_b32 v11, v47, v2
	ds_bpermute_b32 v12, v47, v3
	ds_bpermute_b32 v34, v47, v9
	ds_bpermute_b32 v35, v47, v10
	s_waitcnt lgkmcnt(2)
	v_add_f64 v[2:3], v[2:3], v[11:12]
	s_waitcnt lgkmcnt(0)
	;; [unrolled: 8-line block ×3, first 2 shown]
	v_add_f64 v[11:12], v[9:10], v[34:35]
	ds_bpermute_b32 v9, v49, v2
	ds_bpermute_b32 v10, v49, v3
	;; [unrolled: 1-line block ×4, first 2 shown]
	s_and_saveexec_b32 s22, s9
	s_cbranch_execz .LBB165_21
; %bb.20:                               ;   in Loop: Header=BB165_9 Depth=1
	s_waitcnt lgkmcnt(0)
	v_add_f64 v[11:12], v[11:12], v[34:35]
	v_add_f64 v[9:10], v[2:3], v[9:10]
	ds_write_b128 v51, v[9:12]
.LBB165_21:                             ;   in Loop: Header=BB165_9 Depth=1
	s_or_b32 exec_lo, exec_lo, s22
	v_mov_b32_e32 v11, 0
	s_waitcnt lgkmcnt(2)
	v_mov_b32_e32 v9, 0
	v_mov_b32_e32 v12, 0
	;; [unrolled: 1-line block ×3, first 2 shown]
	s_waitcnt lgkmcnt(0)
	s_barrier
	buffer_gl0_inv
	s_and_saveexec_b32 s22, s5
	s_cbranch_execnz .LBB165_45
; %bb.22:                               ;   in Loop: Header=BB165_9 Depth=1
	s_or_b32 exec_lo, exec_lo, s22
	s_and_saveexec_b32 s22, s4
	s_cbranch_execnz .LBB165_46
.LBB165_23:                             ;   in Loop: Header=BB165_9 Depth=1
	s_or_b32 exec_lo, exec_lo, s22
	s_and_saveexec_b32 s22, s4
	s_cbranch_execz .LBB165_25
.LBB165_24:                             ;   in Loop: Header=BB165_9 Depth=1
	v_mov_b32_e32 v2, v1
	v_mov_b32_e32 v3, v1
	;; [unrolled: 1-line block ×3, first 2 shown]
	ds_write_b128 v50, v[1:4]
.LBB165_25:                             ;   in Loop: Header=BB165_9 Depth=1
	s_or_b32 exec_lo, exec_lo, s22
	ds_bpermute_b32 v2, v45, v13
	ds_bpermute_b32 v3, v45, v14
	;; [unrolled: 1-line block ×4, first 2 shown]
	s_waitcnt lgkmcnt(0)
	s_barrier
	buffer_gl0_inv
	v_add_f64 v[2:3], v[13:14], v[2:3]
	v_add_f64 v[13:14], v[15:16], v[34:35]
	ds_bpermute_b32 v15, v46, v2
	ds_bpermute_b32 v16, v46, v3
	ds_bpermute_b32 v34, v46, v13
	ds_bpermute_b32 v35, v46, v14
	s_waitcnt lgkmcnt(2)
	v_add_f64 v[2:3], v[2:3], v[15:16]
	s_waitcnt lgkmcnt(0)
	v_add_f64 v[13:14], v[13:14], v[34:35]
	ds_bpermute_b32 v15, v47, v2
	ds_bpermute_b32 v16, v47, v3
	ds_bpermute_b32 v34, v47, v13
	ds_bpermute_b32 v35, v47, v14
	s_waitcnt lgkmcnt(2)
	v_add_f64 v[2:3], v[2:3], v[15:16]
	s_waitcnt lgkmcnt(0)
	;; [unrolled: 8-line block ×3, first 2 shown]
	v_add_f64 v[15:16], v[13:14], v[34:35]
	ds_bpermute_b32 v13, v49, v2
	ds_bpermute_b32 v14, v49, v3
	;; [unrolled: 1-line block ×4, first 2 shown]
	s_and_saveexec_b32 s22, s9
	s_cbranch_execz .LBB165_27
; %bb.26:                               ;   in Loop: Header=BB165_9 Depth=1
	s_waitcnt lgkmcnt(0)
	v_add_f64 v[15:16], v[15:16], v[34:35]
	v_add_f64 v[13:14], v[2:3], v[13:14]
	ds_write_b128 v51, v[13:16]
.LBB165_27:                             ;   in Loop: Header=BB165_9 Depth=1
	s_or_b32 exec_lo, exec_lo, s22
	v_mov_b32_e32 v15, 0
	s_waitcnt lgkmcnt(2)
	v_mov_b32_e32 v13, 0
	v_mov_b32_e32 v16, 0
	;; [unrolled: 1-line block ×3, first 2 shown]
	s_waitcnt lgkmcnt(0)
	s_barrier
	buffer_gl0_inv
	s_and_saveexec_b32 s22, s5
	s_cbranch_execnz .LBB165_47
; %bb.28:                               ;   in Loop: Header=BB165_9 Depth=1
	s_or_b32 exec_lo, exec_lo, s22
	s_and_saveexec_b32 s22, s4
	s_cbranch_execnz .LBB165_48
.LBB165_29:                             ;   in Loop: Header=BB165_9 Depth=1
	s_or_b32 exec_lo, exec_lo, s22
	s_and_saveexec_b32 s22, s4
	s_cbranch_execz .LBB165_31
.LBB165_30:                             ;   in Loop: Header=BB165_9 Depth=1
	v_mov_b32_e32 v2, v1
	v_mov_b32_e32 v3, v1
	;; [unrolled: 1-line block ×3, first 2 shown]
	ds_write_b128 v50, v[1:4]
.LBB165_31:                             ;   in Loop: Header=BB165_9 Depth=1
	s_or_b32 exec_lo, exec_lo, s22
	ds_bpermute_b32 v2, v45, v17
	ds_bpermute_b32 v3, v45, v18
	;; [unrolled: 1-line block ×4, first 2 shown]
	s_waitcnt lgkmcnt(0)
	s_barrier
	buffer_gl0_inv
	v_add_f64 v[2:3], v[17:18], v[2:3]
	v_add_f64 v[17:18], v[19:20], v[34:35]
	ds_bpermute_b32 v19, v46, v2
	ds_bpermute_b32 v20, v46, v3
	ds_bpermute_b32 v34, v46, v17
	ds_bpermute_b32 v35, v46, v18
	s_waitcnt lgkmcnt(2)
	v_add_f64 v[2:3], v[2:3], v[19:20]
	s_waitcnt lgkmcnt(0)
	v_add_f64 v[17:18], v[17:18], v[34:35]
	ds_bpermute_b32 v19, v47, v2
	ds_bpermute_b32 v20, v47, v3
	ds_bpermute_b32 v34, v47, v17
	ds_bpermute_b32 v35, v47, v18
	s_waitcnt lgkmcnt(2)
	v_add_f64 v[2:3], v[2:3], v[19:20]
	s_waitcnt lgkmcnt(0)
	;; [unrolled: 8-line block ×3, first 2 shown]
	v_add_f64 v[19:20], v[17:18], v[34:35]
	ds_bpermute_b32 v17, v49, v2
	ds_bpermute_b32 v18, v49, v3
	;; [unrolled: 1-line block ×4, first 2 shown]
	s_and_saveexec_b32 s22, s9
	s_cbranch_execz .LBB165_33
; %bb.32:                               ;   in Loop: Header=BB165_9 Depth=1
	s_waitcnt lgkmcnt(0)
	v_add_f64 v[19:20], v[19:20], v[34:35]
	v_add_f64 v[17:18], v[2:3], v[17:18]
	ds_write_b128 v51, v[17:20]
.LBB165_33:                             ;   in Loop: Header=BB165_9 Depth=1
	s_or_b32 exec_lo, exec_lo, s22
	v_mov_b32_e32 v19, 0
	s_waitcnt lgkmcnt(2)
	v_mov_b32_e32 v17, 0
	v_mov_b32_e32 v20, 0
	;; [unrolled: 1-line block ×3, first 2 shown]
	s_waitcnt lgkmcnt(0)
	s_barrier
	buffer_gl0_inv
	s_and_saveexec_b32 s22, s5
	s_cbranch_execnz .LBB165_49
; %bb.34:                               ;   in Loop: Header=BB165_9 Depth=1
	s_or_b32 exec_lo, exec_lo, s22
	s_and_saveexec_b32 s22, s4
	s_cbranch_execnz .LBB165_50
.LBB165_35:                             ;   in Loop: Header=BB165_9 Depth=1
	s_or_b32 exec_lo, exec_lo, s22
	s_and_saveexec_b32 s29, s10
	s_cbranch_execz .LBB165_8
	s_branch .LBB165_51
.LBB165_36:                             ;   in Loop: Header=BB165_9 Depth=1
	s_clause 0x2
	global_load_dwordx4 v[2:5], v[28:29], off
	global_load_dwordx4 v[6:9], v[30:31], off
	;; [unrolled: 1-line block ×3, first 2 shown]
	s_mul_i32 s30, s41, s27
	global_load_dwordx4 v[54:57], v[26:27], off
	s_ashr_i32 s31, s30, 31
	s_add_i32 s34, s30, s27
	s_lshl_b64 s[30:31], s[30:31], 4
	s_ashr_i32 s35, s34, 31
	s_add_i32 s36, s34, s27
	s_lshl_b64 s[34:35], s[34:35], 4
	s_waitcnt lgkmcnt(0)
	v_add_co_u32 v18, vcc_lo, v38, s30
	v_add_co_ci_u32_e64 v19, null, s31, v39, vcc_lo
	v_add_co_u32 v34, vcc_lo, v38, s34
	v_add_co_ci_u32_e64 v35, null, s35, v39, vcc_lo
	global_load_dwordx4 v[14:17], v[18:19], off
	s_ashr_i32 s37, s36, 31
	s_add_i32 s30, s36, s27
	global_load_dwordx4 v[58:61], v[34:35], off
	s_lshl_b64 s[36:37], s[36:37], 4
	s_ashr_i32 s31, s30, 31
	v_add_co_u32 v98, vcc_lo, v38, s36
	s_lshl_b64 s[30:31], s[30:31], 4
	v_add_co_ci_u32_e64 v99, null, s37, v39, vcc_lo
	v_add_co_u32 v102, vcc_lo, v38, s30
	v_add_co_ci_u32_e64 v103, null, s31, v39, vcc_lo
	s_clause 0x2
	global_load_dwordx4 v[62:65], v[18:19], off offset:16
	global_load_dwordx4 v[66:69], v[98:99], off
	global_load_dwordx4 v[70:73], v[102:103], off
	s_waitcnt vmcnt(8)
	buffer_store_dword v5, v36, s[0:3], 0 offen offset:12
	buffer_store_dword v4, v36, s[0:3], 0 offen offset:8
	;; [unrolled: 1-line block ×3, first 2 shown]
	buffer_store_dword v2, v36, s[0:3], 0 offen
	s_waitcnt vmcnt(7)
	buffer_store_dword v9, v37, s[0:3], 0 offen offset:12
	buffer_store_dword v8, v37, s[0:3], 0 offen offset:8
	;; [unrolled: 1-line block ×3, first 2 shown]
	buffer_store_dword v6, v37, s[0:3], 0 offen
	s_clause 0x6
	buffer_load_dword v106, off, s[0:3], 0 offset:16
	buffer_load_dword v109, off, s[0:3], 0 offset:28
	;; [unrolled: 1-line block ×7, first 2 shown]
	s_clause 0x2
	global_load_dwordx4 v[2:5], v[34:35], off offset:16
	global_load_dwordx4 v[6:9], v[98:99], off offset:16
	;; [unrolled: 1-line block ×3, first 2 shown]
	buffer_load_dword v112, off, s[0:3], 0 offset:40
	s_clause 0x4
	global_load_dwordx4 v[78:81], v[18:19], off offset:32
	global_load_dwordx4 v[82:85], v[34:35], off offset:32
	;; [unrolled: 1-line block ×5, first 2 shown]
	s_waitcnt vmcnt(22)
	buffer_store_dword v13, v40, s[0:3], 0 offen offset:12
	buffer_store_dword v12, v40, s[0:3], 0 offen offset:8
	;; [unrolled: 1-line block ×3, first 2 shown]
	s_clause 0x1
	buffer_load_dword v19, off, s[0:3], 0 offset:60
	buffer_load_dword v18, off, s[0:3], 0 offset:56
	buffer_store_dword v10, v40, s[0:3], 0 offen
	s_clause 0x1
	buffer_load_dword v114, off, s[0:3], 0 offset:48
	buffer_load_dword v115, off, s[0:3], 0 offset:52
	s_clause 0x2
	global_load_dwordx4 v[10:13], v[34:35], off offset:48
	global_load_dwordx4 v[98:101], v[98:99], off offset:48
	;; [unrolled: 1-line block ×3, first 2 shown]
	s_waitcnt vmcnt(28)
	buffer_store_dword v57, off, s[0:3], 0 offset:12
	buffer_store_dword v56, off, s[0:3], 0 offset:8
	;; [unrolled: 1-line block ×3, first 2 shown]
	buffer_store_dword v54, off, s[0:3], 0
	s_waitcnt vmcnt(27)
	v_mul_f64 v[34:35], v[56:57], v[16:17]
	v_mul_f64 v[16:17], v[54:55], v[16:17]
	s_waitcnt vmcnt(26)
	v_mul_f64 v[116:117], v[56:57], v[60:61]
	v_mul_f64 v[60:61], v[54:55], v[60:61]
	;; [unrolled: 3-line block ×3, first 2 shown]
	s_waitcnt vmcnt(23)
	v_mul_f64 v[120:121], v[56:57], v[72:73]
	v_fma_f64 v[34:35], v[54:55], v[14:15], -v[34:35]
	v_fma_f64 v[14:15], v[56:57], v[14:15], v[16:17]
	v_mul_f64 v[16:17], v[54:55], v[72:73]
	v_fma_f64 v[72:73], v[54:55], v[58:59], -v[116:117]
	v_fma_f64 v[58:59], v[56:57], v[58:59], v[60:61]
	v_fma_f64 v[116:117], v[54:55], v[66:67], -v[118:119]
	v_fma_f64 v[66:67], v[56:57], v[66:67], v[68:69]
	v_fma_f64 v[118:119], v[54:55], v[70:71], -v[120:121]
	v_add_f64 v[34:35], v[34:35], 0
	v_add_f64 v[14:15], v[14:15], 0
	v_fma_f64 v[16:17], v[56:57], v[70:71], v[16:17]
	v_add_f64 v[72:73], v[72:73], 0
	v_add_f64 v[58:59], v[58:59], 0
	;; [unrolled: 1-line block ×4, first 2 shown]
	s_waitcnt vmcnt(17)
	v_mul_f64 v[60:61], v[108:109], v[64:65]
	s_waitcnt vmcnt(16)
	v_mul_f64 v[64:65], v[106:107], v[64:65]
	;; [unrolled: 2-line block ×3, first 2 shown]
	v_mul_f64 v[4:5], v[106:107], v[4:5]
	s_waitcnt vmcnt(14)
	v_mul_f64 v[70:71], v[108:109], v[8:9]
	v_mul_f64 v[8:9], v[106:107], v[8:9]
	s_waitcnt vmcnt(13)
	v_mul_f64 v[120:121], v[108:109], v[76:77]
	v_fma_f64 v[60:61], v[106:107], v[62:63], -v[60:61]
	v_fma_f64 v[62:63], v[108:109], v[62:63], v[64:65]
	v_mul_f64 v[64:65], v[106:107], v[76:77]
	s_waitcnt vmcnt(11)
	v_mul_f64 v[76:77], v[112:113], v[80:81]
	v_fma_f64 v[68:69], v[106:107], v[2:3], -v[68:69]
	v_fma_f64 v[2:3], v[108:109], v[2:3], v[4:5]
	;; [unrolled: 5-line block ×3, first 2 shown]
	v_mul_f64 v[8:9], v[110:111], v[84:85]
	s_waitcnt vmcnt(9)
	v_mul_f64 v[84:85], v[112:113], v[88:89]
	v_fma_f64 v[106:107], v[106:107], v[74:75], -v[120:121]
	v_mul_f64 v[88:89], v[110:111], v[88:89]
	v_add_f64 v[34:35], v[34:35], v[60:61]
	v_add_f64 v[14:15], v[14:15], v[62:63]
	v_fma_f64 v[64:65], v[108:109], v[74:75], v[64:65]
	s_waitcnt vmcnt(8)
	v_mul_f64 v[74:75], v[112:113], v[92:93]
	v_mul_f64 v[92:93], v[110:111], v[92:93]
	v_add_f64 v[108:109], v[116:117], 0
	v_add_f64 v[116:117], v[118:119], 0
	s_waitcnt vmcnt(5)
	v_mul_f64 v[118:119], v[18:19], v[96:97]
	v_fma_f64 v[76:77], v[110:111], v[78:79], -v[76:77]
	v_fma_f64 v[4:5], v[112:113], v[78:79], v[4:5]
	s_waitcnt vmcnt(3)
	v_mul_f64 v[78:79], v[114:115], v[96:97]
	s_waitcnt vmcnt(2)
	v_mul_f64 v[96:97], v[18:19], v[12:13]
	v_fma_f64 v[80:81], v[110:111], v[82:83], -v[80:81]
	v_fma_f64 v[8:9], v[112:113], v[82:83], v[8:9]
	v_mul_f64 v[12:13], v[114:115], v[12:13]
	s_waitcnt vmcnt(1)
	v_mul_f64 v[82:83], v[18:19], v[100:101]
	v_fma_f64 v[84:85], v[110:111], v[86:87], -v[84:85]
	v_fma_f64 v[86:87], v[112:113], v[86:87], v[88:89]
	v_mul_f64 v[88:89], v[114:115], v[100:101]
	s_waitcnt vmcnt(0)
	v_mul_f64 v[100:101], v[18:19], v[104:105]
	v_mul_f64 v[104:105], v[114:115], v[104:105]
	v_add_f64 v[60:61], v[72:73], v[68:69]
	v_add_f64 v[2:3], v[58:59], v[2:3]
	;; [unrolled: 1-line block ×4, first 2 shown]
	v_fma_f64 v[74:75], v[110:111], v[90:91], -v[74:75]
	v_fma_f64 v[90:91], v[112:113], v[90:91], v[92:93]
	v_add_f64 v[58:59], v[108:109], v[70:71]
	v_add_f64 v[62:63], v[116:117], v[106:107]
	v_fma_f64 v[64:65], v[114:115], v[94:95], -v[118:119]
	v_add_f64 v[34:35], v[34:35], v[76:77]
	v_add_f64 v[4:5], v[14:15], v[4:5]
	v_fma_f64 v[66:67], v[18:19], v[94:95], v[78:79]
	v_fma_f64 v[68:69], v[114:115], v[10:11], -v[96:97]
	v_fma_f64 v[11:12], v[18:19], v[10:11], v[12:13]
	v_fma_f64 v[70:71], v[114:115], v[98:99], -v[82:83]
	;; [unrolled: 2-line block ×3, first 2 shown]
	v_fma_f64 v[19:20], v[18:19], v[102:103], v[104:105]
	v_add_f64 v[13:14], v[60:61], v[80:81]
	v_add_f64 v[2:3], v[2:3], v[8:9]
	;; [unrolled: 1-line block ×14, first 2 shown]
	s_andn2_saveexec_b32 s22, s22
	s_cbranch_execz .LBB165_11
.LBB165_37:                             ;   in Loop: Header=BB165_9 Depth=1
	s_waitcnt lgkmcnt(0)
	v_mov_b32_e32 v17, 0
	v_mov_b32_e32 v19, 0
	;; [unrolled: 1-line block ×16, first 2 shown]
	s_and_saveexec_b32 s49, s8
	s_cbranch_execz .LBB165_53
; %bb.38:                               ;   in Loop: Header=BB165_9 Depth=1
	s_andn2_b32 vcc_lo, exec_lo, s44
	s_cbranch_vccnz .LBB165_52
; %bb.39:                               ;   in Loop: Header=BB165_9 Depth=1
	v_mov_b32_e32 v2, v25
	s_mov_b32 s29, 0
	s_mov_b32 s30, s40
	.p2align	6
.LBB165_40:                             ;   Parent Loop BB165_9 Depth=1
                                        ; =>  This Inner Loop Header: Depth=2
	v_ashrrev_i32_e32 v3, 31, v2
	v_mov_b32_e32 v7, s29
	s_add_i32 s30, s30, -1
	s_add_i32 s29, s29, 16
	s_cmp_eq_u32 s30, 0
	v_lshlrev_b64 v[3:4], 4, v[2:3]
	v_add_nc_u32_e32 v2, s33, v2
	v_add_co_u32 v3, vcc_lo, s38, v3
	v_add_co_ci_u32_e64 v4, null, s39, v4, vcc_lo
	global_load_dwordx4 v[3:6], v[3:4], off
	s_waitcnt vmcnt(0)
	buffer_store_dword v6, v7, s[0:3], 0 offen offset:12
	buffer_store_dword v5, v7, s[0:3], 0 offen offset:8
	;; [unrolled: 1-line block ×3, first 2 shown]
	buffer_store_dword v3, v7, s[0:3], 0 offen
	s_cbranch_scc0 .LBB165_40
; %bb.41:                               ;   in Loop: Header=BB165_9 Depth=1
	s_ashr_i32 s29, s28, 31
	v_mov_b32_e32 v5, 0
	s_lshl_b64 s[30:31], s[28:29], 4
	v_mov_b32_e32 v7, 0
	v_add_co_u32 v2, vcc_lo, v52, s30
	v_mov_b32_e32 v11, 0
	v_mov_b32_e32 v9, 0
	;; [unrolled: 1-line block ×6, first 2 shown]
	v_add_co_ci_u32_e64 v3, null, s31, v53, vcc_lo
	v_mov_b32_e32 v6, 0
	v_mov_b32_e32 v8, 0
	;; [unrolled: 1-line block ×8, first 2 shown]
	s_mov_b32 s29, 0
	s_mov_b32 s30, s47
	;; [unrolled: 1-line block ×5, first 2 shown]
.LBB165_42:                             ;   Parent Loop BB165_9 Depth=1
                                        ; =>  This Inner Loop Header: Depth=2
	s_ashr_i32 s37, s36, 31
	s_ashr_i32 s35, s34, 31
	s_lshl_b64 s[52:53], s[36:37], 4
	s_ashr_i32 s31, s30, 31
	s_lshl_b64 s[54:55], s[34:35], 4
	v_add_co_u32 v34, vcc_lo, v38, s52
	s_lshl_b64 s[56:57], s[30:31], 4
	v_add_co_ci_u32_e64 v35, null, s53, v39, vcc_lo
	v_add_co_u32 v62, vcc_lo, v38, s54
	v_mov_b32_e32 v4, s29
	v_add_co_ci_u32_e64 v63, null, s55, v39, vcc_lo
	v_add_co_u32 v66, vcc_lo, v38, s56
	v_add_co_ci_u32_e64 v67, null, s57, v39, vcc_lo
	global_load_dwordx4 v[54:57], v[2:3], off offset:-8
	s_clause 0x3
	buffer_load_dword v70, v4, s[0:3], 0 offen
	buffer_load_dword v72, v4, s[0:3], 0 offen offset:8
	buffer_load_dword v73, v4, s[0:3], 0 offen offset:12
	;; [unrolled: 1-line block ×3, first 2 shown]
	s_clause 0x2
	global_load_dwordx4 v[58:61], v[34:35], off
	global_load_dwordx4 v[62:65], v[62:63], off
	;; [unrolled: 1-line block ×3, first 2 shown]
	v_add_co_u32 v2, vcc_lo, v2, 16
	v_add_co_ci_u32_e64 v3, null, 0, v3, vcc_lo
	s_add_i32 s50, s50, -1
	s_add_i32 s29, s29, 16
	s_add_i32 s36, s36, 1
	;; [unrolled: 1-line block ×4, first 2 shown]
	s_cmp_lg_u32 s50, 0
	s_waitcnt vmcnt(4)
	v_mul_f64 v[34:35], v[72:73], v[56:57]
	s_waitcnt vmcnt(3)
	v_mul_f64 v[56:57], v[70:71], v[56:57]
	;; [unrolled: 2-line block ×3, first 2 shown]
	v_mul_f64 v[60:61], v[70:71], v[60:61]
	s_waitcnt vmcnt(1)
	v_mul_f64 v[76:77], v[72:73], v[64:65]
	v_mul_f64 v[64:65], v[70:71], v[64:65]
	s_waitcnt vmcnt(0)
	v_mul_f64 v[78:79], v[72:73], v[68:69]
	v_mul_f64 v[68:69], v[70:71], v[68:69]
	v_fma_f64 v[34:35], v[70:71], v[54:55], -v[34:35]
	v_fma_f64 v[54:55], v[72:73], v[54:55], v[56:57]
	v_fma_f64 v[56:57], v[70:71], v[58:59], -v[74:75]
	v_fma_f64 v[58:59], v[72:73], v[58:59], v[60:61]
	v_fma_f64 v[60:61], v[70:71], v[62:63], -v[76:77]
	v_fma_f64 v[62:63], v[72:73], v[62:63], v[64:65]
	v_fma_f64 v[64:65], v[70:71], v[66:67], -v[78:79]
	v_fma_f64 v[66:67], v[72:73], v[66:67], v[68:69]
	v_add_f64 v[7:8], v[7:8], v[34:35]
	v_add_f64 v[5:6], v[5:6], v[54:55]
	;; [unrolled: 1-line block ×8, first 2 shown]
	s_cbranch_scc1 .LBB165_42
	s_branch .LBB165_53
.LBB165_43:                             ;   in Loop: Header=BB165_9 Depth=1
	ds_read_b128 v[5:8], v50
	s_or_b32 exec_lo, exec_lo, s22
	s_and_saveexec_b32 s22, s4
	s_cbranch_execz .LBB165_17
.LBB165_44:                             ;   in Loop: Header=BB165_9 Depth=1
	s_waitcnt lgkmcnt(0)
	ds_bpermute_b32 v2, v47, v5
	ds_bpermute_b32 v3, v47, v6
	ds_bpermute_b32 v34, v47, v7
	ds_bpermute_b32 v35, v47, v8
	s_waitcnt lgkmcnt(2)
	v_add_f64 v[2:3], v[5:6], v[2:3]
	s_waitcnt lgkmcnt(0)
	v_add_f64 v[4:5], v[7:8], v[34:35]
	ds_bpermute_b32 v6, v48, v2
	ds_bpermute_b32 v7, v48, v3
	ds_bpermute_b32 v34, v48, v4
	ds_bpermute_b32 v35, v48, v5
	s_waitcnt lgkmcnt(2)
	v_add_f64 v[2:3], v[2:3], v[6:7]
	s_waitcnt lgkmcnt(0)
	v_add_f64 v[7:8], v[4:5], v[34:35]
	;; [unrolled: 8-line block ×3, first 2 shown]
	s_or_b32 exec_lo, exec_lo, s22
	s_and_saveexec_b32 s22, s4
	s_cbranch_execnz .LBB165_18
	s_branch .LBB165_19
.LBB165_45:                             ;   in Loop: Header=BB165_9 Depth=1
	ds_read_b128 v[9:12], v50
	s_or_b32 exec_lo, exec_lo, s22
	s_and_saveexec_b32 s22, s4
	s_cbranch_execz .LBB165_23
.LBB165_46:                             ;   in Loop: Header=BB165_9 Depth=1
	s_waitcnt lgkmcnt(0)
	ds_bpermute_b32 v2, v47, v9
	ds_bpermute_b32 v3, v47, v10
	ds_bpermute_b32 v34, v47, v11
	ds_bpermute_b32 v35, v47, v12
	s_waitcnt lgkmcnt(2)
	v_add_f64 v[2:3], v[9:10], v[2:3]
	s_waitcnt lgkmcnt(0)
	v_add_f64 v[9:10], v[11:12], v[34:35]
	ds_bpermute_b32 v11, v48, v2
	ds_bpermute_b32 v12, v48, v3
	ds_bpermute_b32 v34, v48, v9
	ds_bpermute_b32 v35, v48, v10
	s_waitcnt lgkmcnt(2)
	v_add_f64 v[2:3], v[2:3], v[11:12]
	s_waitcnt lgkmcnt(0)
	v_add_f64 v[11:12], v[9:10], v[34:35]
	;; [unrolled: 8-line block ×3, first 2 shown]
	s_or_b32 exec_lo, exec_lo, s22
	s_and_saveexec_b32 s22, s4
	s_cbranch_execnz .LBB165_24
	s_branch .LBB165_25
.LBB165_47:                             ;   in Loop: Header=BB165_9 Depth=1
	ds_read_b128 v[13:16], v50
	s_or_b32 exec_lo, exec_lo, s22
	s_and_saveexec_b32 s22, s4
	s_cbranch_execz .LBB165_29
.LBB165_48:                             ;   in Loop: Header=BB165_9 Depth=1
	s_waitcnt lgkmcnt(0)
	ds_bpermute_b32 v2, v47, v13
	ds_bpermute_b32 v3, v47, v14
	ds_bpermute_b32 v34, v47, v15
	ds_bpermute_b32 v35, v47, v16
	s_waitcnt lgkmcnt(2)
	v_add_f64 v[2:3], v[13:14], v[2:3]
	s_waitcnt lgkmcnt(0)
	v_add_f64 v[13:14], v[15:16], v[34:35]
	ds_bpermute_b32 v15, v48, v2
	ds_bpermute_b32 v16, v48, v3
	ds_bpermute_b32 v34, v48, v13
	ds_bpermute_b32 v35, v48, v14
	s_waitcnt lgkmcnt(2)
	v_add_f64 v[2:3], v[2:3], v[15:16]
	s_waitcnt lgkmcnt(0)
	v_add_f64 v[15:16], v[13:14], v[34:35]
	ds_bpermute_b32 v13, v49, v2
	ds_bpermute_b32 v14, v49, v3
	ds_bpermute_b32 v34, v49, v15
	ds_bpermute_b32 v35, v49, v16
	s_waitcnt lgkmcnt(2)
	v_add_f64 v[13:14], v[2:3], v[13:14]
	s_waitcnt lgkmcnt(0)
	v_add_f64 v[15:16], v[15:16], v[34:35]
	s_or_b32 exec_lo, exec_lo, s22
	s_and_saveexec_b32 s22, s4
	s_cbranch_execnz .LBB165_30
	s_branch .LBB165_31
.LBB165_49:                             ;   in Loop: Header=BB165_9 Depth=1
	ds_read_b128 v[17:20], v50
	s_or_b32 exec_lo, exec_lo, s22
	s_and_saveexec_b32 s22, s4
	s_cbranch_execz .LBB165_35
.LBB165_50:                             ;   in Loop: Header=BB165_9 Depth=1
	s_waitcnt lgkmcnt(0)
	ds_bpermute_b32 v2, v47, v17
	ds_bpermute_b32 v3, v47, v18
	ds_bpermute_b32 v34, v47, v19
	ds_bpermute_b32 v35, v47, v20
	s_waitcnt lgkmcnt(2)
	v_add_f64 v[2:3], v[17:18], v[2:3]
	s_waitcnt lgkmcnt(0)
	v_add_f64 v[17:18], v[19:20], v[34:35]
	ds_bpermute_b32 v19, v48, v2
	ds_bpermute_b32 v20, v48, v3
	ds_bpermute_b32 v34, v48, v17
	ds_bpermute_b32 v35, v48, v18
	s_waitcnt lgkmcnt(2)
	v_add_f64 v[2:3], v[2:3], v[19:20]
	s_waitcnt lgkmcnt(0)
	v_add_f64 v[19:20], v[17:18], v[34:35]
	;; [unrolled: 8-line block ×3, first 2 shown]
	s_or_b32 exec_lo, exec_lo, s22
	s_and_saveexec_b32 s29, s10
	s_cbranch_execz .LBB165_8
.LBB165_51:                             ;   in Loop: Header=BB165_9 Depth=1
	v_mul_f64 v[2:3], s[14:15], v[7:8]
	v_mul_f64 v[7:8], s[12:13], v[7:8]
	;; [unrolled: 1-line block ×6, first 2 shown]
	s_waitcnt lgkmcnt(0)
	v_mul_f64 v[56:57], s[14:15], v[19:20]
	v_mul_f64 v[19:20], s[12:13], v[19:20]
	s_mul_i32 s22, s41, s26
	s_add_i32 s22, s22, s6
	s_lshl_b64 s[30:31], s[22:23], 4
	s_add_u32 s30, s11, s30
	s_addc_u32 s31, s42, s31
	s_add_i32 s22, s22, s26
	s_lshl_b64 s[34:35], s[22:23], 4
	s_add_u32 s34, s11, s34
	s_addc_u32 s35, s42, s35
	v_fma_f64 v[2:3], s[12:13], v[5:6], -v[2:3]
	v_fma_f64 v[4:5], s[14:15], v[5:6], v[7:8]
	v_fma_f64 v[6:7], s[12:13], v[9:10], -v[34:35]
	v_fma_f64 v[8:9], s[14:15], v[9:10], v[11:12]
	;; [unrolled: 2-line block ×4, first 2 shown]
	s_add_i32 s22, s22, s26
	s_lshl_b64 s[36:37], s[22:23], 4
	s_add_u32 s36, s11, s36
	s_addc_u32 s37, s42, s37
	s_add_i32 s22, s22, s26
	s_lshl_b64 s[50:51], s[22:23], 4
	s_add_u32 s50, s11, s50
	s_addc_u32 s51, s42, s51
	global_store_dwordx4 v1, v[2:5], s[30:31]
	global_store_dwordx4 v1, v[6:9], s[34:35]
	;; [unrolled: 1-line block ×4, first 2 shown]
	s_branch .LBB165_8
.LBB165_52:                             ;   in Loop: Header=BB165_9 Depth=1
	v_mov_b32_e32 v17, 0
	v_mov_b32_e32 v19, 0
	;; [unrolled: 1-line block ×16, first 2 shown]
.LBB165_53:                             ;   in Loop: Header=BB165_9 Depth=1
	s_or_b32 exec_lo, exec_lo, s49
	s_or_b32 exec_lo, exec_lo, s22
	s_and_saveexec_b32 s22, s4
	s_cbranch_execnz .LBB165_12
	s_branch .LBB165_13
.LBB165_54:
	s_mov_b32 s41, 0
.LBB165_55:
	s_cmp_ge_i32 s41, s25
	s_cbranch_scc1 .LBB165_77
; %bb.56:
	v_cmp_gt_u32_e64 s5, 24, v41
	s_waitcnt lgkmcnt(0)
	v_lshlrev_b32_e32 v17, 4, v22
	v_cmp_gt_u32_e64 s4, 32, v0
	v_cmp_gt_u32_e64 s8, 8, v0
	v_cmp_eq_u32_e64 s9, 0, v0
	v_cndmask_b32_e64 v1, 0, 8, s5
	v_cmp_gt_u32_e64 s5, 28, v41
	s_cmp_gt_i32 s40, 0
	s_mov_b32 s7, 0
	v_cmp_ge_i32_e32 vcc_lo, s24, v43
	v_add_lshl_u32 v19, v1, v41, 2
	v_cndmask_b32_e64 v2, 0, 4, s5
	v_cmp_gt_u32_e64 s5, 30, v41
	v_add_nc_u32_e32 v1, s33, v21
	v_cmp_ge_i32_e64 s10, s24, v44
	s_cselect_b32 s24, -1, 0
	v_add_lshl_u32 v20, v2, v41, 2
	v_cndmask_b32_e64 v3, 0, 2, s5
	v_cmp_ne_u32_e64 s5, 31, v41
	v_ashrrev_i32_e32 v2, 31, v1
	v_add_nc_u32_e32 v0, s33, v1
	s_lshl_b64 s[22:23], s[6:7], 4
	v_add_lshl_u32 v25, v3, v41, 2
	v_add_co_ci_u32_e64 v4, null, 0, v41, s5
	v_cmp_eq_u32_e64 s5, 0, v22
	v_ashrrev_i32_e32 v22, 31, v21
	v_lshlrev_b64 v[7:8], 4, v[1:2]
	v_lshlrev_b32_e32 v26, 2, v4
	v_ashrrev_i32_e32 v1, 31, v0
	s_add_u32 s7, s11, s22
	v_lshlrev_b64 v[3:4], 4, v[21:22]
	s_addc_u32 s22, s42, s23
	s_and_b32 s23, s24, s10
	v_lshlrev_b64 v[1:2], 4, v[0:1]
	v_lshl_or_b32 v18, v41, 2, 64
	v_and_b32_e32 v27, 0x70, v42
	v_add_co_u32 v5, s6, s38, v3
	v_add_nc_u32_e32 v3, s33, v0
	v_add_co_ci_u32_e64 v6, null, s39, v4, s6
	v_add_co_u32 v7, s6, s38, v7
	v_ashrrev_i32_e32 v4, 31, v3
	v_add_co_ci_u32_e64 v8, null, s39, v8, s6
	v_add_co_u32 v9, s6, s38, v1
	v_add_co_ci_u32_e64 v10, null, s39, v2, s6
	s_add_u32 s6, s20, s18
	v_lshlrev_b64 v[0:1], 4, v[3:4]
	s_addc_u32 s10, s21, s19
	s_add_u32 s6, s16, s6
	s_addc_u32 s10, s17, s10
	v_add_co_u32 v2, s6, s6, v23
	v_add_co_ci_u32_e64 v3, null, s10, v24, s6
	v_add_co_u32 v11, s6, s38, v0
	v_add_co_ci_u32_e64 v12, null, s39, v1, s6
	;; [unrolled: 2-line block ×3, first 2 shown]
	v_mov_b32_e32 v0, 0
	s_mul_i32 s10, s41, s27
	s_branch .LBB165_58
.LBB165_57:                             ;   in Loop: Header=BB165_58 Depth=1
	s_or_b32 exec_lo, exec_lo, s6
	s_add_i32 s41, s41, 1
	s_add_i32 s10, s10, s27
	s_cmp_lt_i32 s41, s25
	s_cbranch_scc0 .LBB165_77
.LBB165_58:                             ; =>This Loop Header: Depth=1
                                        ;     Child Loop BB165_70 Depth 2
                                        ;     Child Loop BB165_72 Depth 2
                                        ; implicit-def: $vgpr13_vgpr14
                                        ; implicit-def: $vgpr15_vgpr16
	s_and_saveexec_b32 s6, vcc_lo
	s_xor_b32 s11, exec_lo, s6
	s_cbranch_execnz .LBB165_67
; %bb.59:                               ;   in Loop: Header=BB165_58 Depth=1
	s_andn2_saveexec_b32 s16, s11
	s_cbranch_execnz .LBB165_68
.LBB165_60:                             ;   in Loop: Header=BB165_58 Depth=1
	s_or_b32 exec_lo, exec_lo, s16
	s_and_saveexec_b32 s6, s4
	s_cbranch_execz .LBB165_62
.LBB165_61:                             ;   in Loop: Header=BB165_58 Depth=1
	s_waitcnt lgkmcnt(0)
	v_mov_b32_e32 v1, v0
	v_mov_b32_e32 v2, v0
	;; [unrolled: 1-line block ×3, first 2 shown]
	ds_write_b128 v17, v[0:3]
.LBB165_62:                             ;   in Loop: Header=BB165_58 Depth=1
	s_or_b32 exec_lo, exec_lo, s6
	s_waitcnt lgkmcnt(0)
	ds_bpermute_b32 v1, v18, v13
	ds_bpermute_b32 v2, v18, v14
	;; [unrolled: 1-line block ×4, first 2 shown]
	s_waitcnt lgkmcnt(0)
	s_waitcnt_vscnt null, 0x0
	s_barrier
	buffer_gl0_inv
	v_add_f64 v[1:2], v[13:14], v[1:2]
	v_add_f64 v[3:4], v[15:16], v[3:4]
	ds_bpermute_b32 v13, v19, v1
	ds_bpermute_b32 v14, v19, v2
	ds_bpermute_b32 v15, v19, v3
	ds_bpermute_b32 v16, v19, v4
	s_waitcnt lgkmcnt(2)
	v_add_f64 v[1:2], v[1:2], v[13:14]
	s_waitcnt lgkmcnt(0)
	v_add_f64 v[3:4], v[3:4], v[15:16]
	ds_bpermute_b32 v13, v20, v1
	ds_bpermute_b32 v14, v20, v2
	ds_bpermute_b32 v15, v20, v3
	ds_bpermute_b32 v16, v20, v4
	s_waitcnt lgkmcnt(2)
	v_add_f64 v[1:2], v[1:2], v[13:14]
	s_waitcnt lgkmcnt(0)
	;; [unrolled: 8-line block ×3, first 2 shown]
	v_add_f64 v[13:14], v[3:4], v[15:16]
	ds_bpermute_b32 v3, v26, v1
	ds_bpermute_b32 v4, v26, v2
	;; [unrolled: 1-line block ×4, first 2 shown]
	s_and_saveexec_b32 s6, s5
	s_cbranch_execz .LBB165_64
; %bb.63:                               ;   in Loop: Header=BB165_58 Depth=1
	s_waitcnt lgkmcnt(0)
	v_add_f64 v[15:16], v[13:14], v[15:16]
	v_add_f64 v[13:14], v[1:2], v[3:4]
	ds_write_b128 v27, v[13:16]
.LBB165_64:                             ;   in Loop: Header=BB165_58 Depth=1
	s_or_b32 exec_lo, exec_lo, s6
	s_waitcnt lgkmcnt(2)
	v_mov_b32_e32 v3, 0
	v_mov_b32_e32 v1, 0
	;; [unrolled: 1-line block ×4, first 2 shown]
	s_waitcnt lgkmcnt(0)
	s_barrier
	buffer_gl0_inv
	s_and_saveexec_b32 s6, s8
	s_cbranch_execnz .LBB165_74
; %bb.65:                               ;   in Loop: Header=BB165_58 Depth=1
	s_or_b32 exec_lo, exec_lo, s6
	s_and_saveexec_b32 s6, s4
	s_cbranch_execnz .LBB165_75
.LBB165_66:                             ;   in Loop: Header=BB165_58 Depth=1
	s_or_b32 exec_lo, exec_lo, s6
	s_and_saveexec_b32 s6, s9
	s_cbranch_execz .LBB165_57
	s_branch .LBB165_76
.LBB165_67:                             ;   in Loop: Header=BB165_58 Depth=1
	s_waitcnt lgkmcnt(0)
	s_clause 0x2
	global_load_dwordx4 v[1:4], v[7:8], off
	global_load_dwordx4 v[13:16], v[9:10], off
	;; [unrolled: 1-line block ×3, first 2 shown]
	s_mul_i32 s16, s41, s27
	s_ashr_i32 s17, s16, 31
	s_lshl_b64 s[16:17], s[16:17], 4
	v_add_co_u32 v49, s6, v38, s16
	v_add_co_ci_u32_e64 v50, null, s17, v39, s6
	global_load_dwordx4 v[32:35], v[5:6], off
	s_clause 0x1
	global_load_dwordx4 v[41:44], v[49:50], off
	global_load_dwordx4 v[45:48], v[49:50], off offset:16
	s_waitcnt vmcnt(5)
	buffer_store_dword v4, v36, s[0:3], 0 offen offset:12
	buffer_store_dword v3, v36, s[0:3], 0 offen offset:8
	s_waitcnt vmcnt(4)
	buffer_store_dword v16, v37, s[0:3], 0 offen offset:12
	buffer_store_dword v15, v37, s[0:3], 0 offen offset:8
	;; [unrolled: 1-line block ×3, first 2 shown]
	buffer_store_dword v13, v37, s[0:3], 0 offen
	s_clause 0x4
	buffer_load_dword v52, off, s[0:3], 0 offset:28
	buffer_load_dword v53, off, s[0:3], 0 offset:32
	;; [unrolled: 1-line block ×5, first 2 shown]
	buffer_store_dword v2, v36, s[0:3], 0 offen offset:4
	buffer_store_dword v1, v36, s[0:3], 0 offen
	global_load_dwordx4 v[1:4], v[49:50], off offset:32
	s_clause 0x2
	buffer_load_dword v56, off, s[0:3], 0 offset:44
	buffer_load_dword v57, off, s[0:3], 0 offset:16
	;; [unrolled: 1-line block ×3, first 2 shown]
	global_load_dwordx4 v[13:16], v[49:50], off offset:48
	s_waitcnt vmcnt(13)
	buffer_store_dword v31, v40, s[0:3], 0 offen offset:12
	buffer_store_dword v30, v40, s[0:3], 0 offen offset:8
	s_clause 0x1
	buffer_load_dword v31, off, s[0:3], 0 offset:60
	buffer_load_dword v30, off, s[0:3], 0 offset:56
	buffer_store_dword v29, v40, s[0:3], 0 offen offset:4
	buffer_store_dword v28, v40, s[0:3], 0 offen
	s_clause 0x1
	buffer_load_dword v28, off, s[0:3], 0 offset:48
	buffer_load_dword v29, off, s[0:3], 0 offset:52
	s_waitcnt vmcnt(16)
	buffer_store_dword v35, off, s[0:3], 0 offset:12
	buffer_store_dword v34, off, s[0:3], 0 offset:8
	;; [unrolled: 1-line block ×3, first 2 shown]
	buffer_store_dword v32, off, s[0:3], 0
	s_waitcnt vmcnt(15)
	v_mul_f64 v[49:50], v[43:44], v[34:35]
	v_mul_f64 v[59:60], v[41:42], v[34:35]
	v_fma_f64 v[41:42], v[41:42], v[32:33], -v[49:50]
	v_fma_f64 v[43:44], v[43:44], v[32:33], v[59:60]
	v_add_f64 v[41:42], v[41:42], 0
	v_add_f64 v[43:44], v[43:44], 0
	s_waitcnt vmcnt(9)
	v_mul_f64 v[49:50], v[47:48], v[51:52]
	v_mul_f64 v[51:52], v[45:46], v[51:52]
	s_waitcnt vmcnt(7)
	v_mul_f64 v[59:60], v[3:4], v[55:56]
	v_mul_f64 v[55:56], v[1:2], v[55:56]
	s_waitcnt vmcnt(5)
	v_fma_f64 v[45:46], v[45:46], v[57:58], -v[49:50]
	v_fma_f64 v[47:48], v[47:48], v[57:58], v[51:52]
	s_waitcnt vmcnt(2)
	v_mul_f64 v[49:50], v[15:16], v[30:31]
	v_mul_f64 v[30:31], v[13:14], v[30:31]
	v_fma_f64 v[1:2], v[1:2], v[53:54], -v[59:60]
	v_fma_f64 v[3:4], v[3:4], v[53:54], v[55:56]
	v_add_f64 v[41:42], v[41:42], v[45:46]
	v_add_f64 v[43:44], v[43:44], v[47:48]
	s_waitcnt vmcnt(0)
	v_fma_f64 v[13:14], v[13:14], v[28:29], -v[49:50]
	v_fma_f64 v[15:16], v[15:16], v[28:29], v[30:31]
	v_add_f64 v[1:2], v[41:42], v[1:2]
	v_add_f64 v[3:4], v[43:44], v[3:4]
	;; [unrolled: 1-line block ×4, first 2 shown]
	s_andn2_saveexec_b32 s16, s11
	s_cbranch_execz .LBB165_60
.LBB165_68:                             ;   in Loop: Header=BB165_58 Depth=1
	v_mov_b32_e32 v13, 0
	v_mov_b32_e32 v15, 0
	;; [unrolled: 1-line block ×4, first 2 shown]
	s_and_saveexec_b32 s17, s23
	s_cbranch_execz .LBB165_73
; %bb.69:                               ;   in Loop: Header=BB165_58 Depth=1
	s_waitcnt lgkmcnt(0)
	v_mov_b32_e32 v1, v21
	s_mov_b32 s11, 0
	s_mov_b32 s18, s40
	.p2align	6
.LBB165_70:                             ;   Parent Loop BB165_58 Depth=1
                                        ; =>  This Inner Loop Header: Depth=2
	v_ashrrev_i32_e32 v2, 31, v1
	s_add_i32 s18, s18, -1
	v_lshlrev_b64 v[2:3], 4, v[1:2]
	v_add_nc_u32_e32 v1, s33, v1
	v_add_co_u32 v2, s6, s38, v2
	v_add_co_ci_u32_e64 v3, null, s39, v3, s6
	global_load_dwordx4 v[13:16], v[2:3], off
	v_mov_b32_e32 v2, s11
	s_add_i32 s11, s11, 16
	s_cmp_eq_u32 s18, 0
	s_waitcnt vmcnt(0)
	buffer_store_dword v16, v2, s[0:3], 0 offen offset:12
	buffer_store_dword v15, v2, s[0:3], 0 offen offset:8
	;; [unrolled: 1-line block ×3, first 2 shown]
	buffer_store_dword v13, v2, s[0:3], 0 offen
	s_cbranch_scc0 .LBB165_70
; %bb.71:                               ;   in Loop: Header=BB165_58 Depth=1
	s_ashr_i32 s11, s10, 31
	v_mov_b32_e32 v13, 0
	s_lshl_b64 s[18:19], s[10:11], 4
	v_mov_b32_e32 v15, 0
	v_add_co_u32 v1, s6, v22, s18
	v_mov_b32_e32 v14, 0
	v_mov_b32_e32 v16, 0
	v_add_co_ci_u32_e64 v2, null, s19, v23, s6
	s_mov_b32 s11, 0
	s_mov_b32 s18, s40
	.p2align	6
.LBB165_72:                             ;   Parent Loop BB165_58 Depth=1
                                        ; =>  This Inner Loop Header: Depth=2
	v_mov_b32_e32 v24, s11
	global_load_dwordx4 v[28:31], v[1:2], off offset:-8
	v_add_co_u32 v1, s6, v1, 16
	v_add_co_ci_u32_e64 v2, null, 0, v2, s6
	s_clause 0x3
	buffer_load_dword v3, v24, s[0:3], 0 offen offset:8
	buffer_load_dword v4, v24, s[0:3], 0 offen offset:12
	buffer_load_dword v32, v24, s[0:3], 0 offen
	buffer_load_dword v33, v24, s[0:3], 0 offen offset:4
	s_add_i32 s18, s18, -1
	s_add_i32 s11, s11, 16
	s_cmp_lg_u32 s18, 0
	s_waitcnt vmcnt(2)
	v_mul_f64 v[34:35], v[30:31], v[3:4]
	v_mul_f64 v[3:4], v[28:29], v[3:4]
	s_waitcnt vmcnt(0)
	v_fma_f64 v[28:29], v[28:29], v[32:33], -v[34:35]
	v_fma_f64 v[3:4], v[30:31], v[32:33], v[3:4]
	v_add_f64 v[13:14], v[13:14], v[28:29]
	v_add_f64 v[15:16], v[15:16], v[3:4]
	s_cbranch_scc1 .LBB165_72
.LBB165_73:                             ;   in Loop: Header=BB165_58 Depth=1
	s_or_b32 exec_lo, exec_lo, s17
	s_or_b32 exec_lo, exec_lo, s16
	s_and_saveexec_b32 s6, s4
	s_cbranch_execnz .LBB165_61
	s_branch .LBB165_62
.LBB165_74:                             ;   in Loop: Header=BB165_58 Depth=1
	ds_read_b128 v[1:4], v17
	s_or_b32 exec_lo, exec_lo, s6
	s_and_saveexec_b32 s6, s4
	s_cbranch_execz .LBB165_66
.LBB165_75:                             ;   in Loop: Header=BB165_58 Depth=1
	s_waitcnt lgkmcnt(0)
	ds_bpermute_b32 v13, v20, v1
	ds_bpermute_b32 v14, v20, v2
	ds_bpermute_b32 v15, v20, v3
	ds_bpermute_b32 v16, v20, v4
	s_waitcnt lgkmcnt(2)
	v_add_f64 v[1:2], v[1:2], v[13:14]
	s_waitcnt lgkmcnt(0)
	v_add_f64 v[3:4], v[3:4], v[15:16]
	ds_bpermute_b32 v13, v25, v1
	ds_bpermute_b32 v14, v25, v2
	ds_bpermute_b32 v15, v25, v3
	ds_bpermute_b32 v16, v25, v4
	s_waitcnt lgkmcnt(2)
	v_add_f64 v[1:2], v[1:2], v[13:14]
	s_waitcnt lgkmcnt(0)
	v_add_f64 v[3:4], v[3:4], v[15:16]
	;; [unrolled: 8-line block ×3, first 2 shown]
	s_or_b32 exec_lo, exec_lo, s6
	s_and_saveexec_b32 s6, s9
	s_cbranch_execz .LBB165_57
.LBB165_76:                             ;   in Loop: Header=BB165_58 Depth=1
	s_waitcnt lgkmcnt(0)
	v_mul_f64 v[13:14], s[14:15], v[3:4]
	v_mul_f64 v[3:4], s[12:13], v[3:4]
	s_mul_hi_u32 s17, s41, s26
	s_mul_i32 s16, s41, s26
	s_lshl_b64 s[16:17], s[16:17], 4
	s_add_u32 s16, s7, s16
	s_addc_u32 s17, s22, s17
	v_fma_f64 v[13:14], s[12:13], v[1:2], -v[13:14]
	v_fma_f64 v[15:16], s[14:15], v[1:2], v[3:4]
	global_store_dwordx4 v0, v[13:16], s[16:17]
	s_branch .LBB165_57
.LBB165_77:
	s_endpgm
	.section	.rodata,"a",@progbits
	.p2align	6, 0x0
	.amdhsa_kernel _ZL23rocblas_gemvt_sn_kernelILb0ELi256ELi4Ei19rocblas_complex_numIdES1_S1_EviiT4_lPKT3_lilS5_lilPT5_i
		.amdhsa_group_segment_fixed_size 512
		.amdhsa_private_segment_fixed_size 80
		.amdhsa_kernarg_size 368
		.amdhsa_user_sgpr_count 6
		.amdhsa_user_sgpr_private_segment_buffer 1
		.amdhsa_user_sgpr_dispatch_ptr 0
		.amdhsa_user_sgpr_queue_ptr 0
		.amdhsa_user_sgpr_kernarg_segment_ptr 1
		.amdhsa_user_sgpr_dispatch_id 0
		.amdhsa_user_sgpr_flat_scratch_init 0
		.amdhsa_user_sgpr_private_segment_size 0
		.amdhsa_wavefront_size32 1
		.amdhsa_uses_dynamic_stack 0
		.amdhsa_system_sgpr_private_segment_wavefront_offset 1
		.amdhsa_system_sgpr_workgroup_id_x 1
		.amdhsa_system_sgpr_workgroup_id_y 0
		.amdhsa_system_sgpr_workgroup_id_z 1
		.amdhsa_system_sgpr_workgroup_info 0
		.amdhsa_system_vgpr_workitem_id 0
		.amdhsa_next_free_vgpr 122
		.amdhsa_next_free_sgpr 58
		.amdhsa_reserve_vcc 1
		.amdhsa_reserve_flat_scratch 0
		.amdhsa_float_round_mode_32 0
		.amdhsa_float_round_mode_16_64 0
		.amdhsa_float_denorm_mode_32 3
		.amdhsa_float_denorm_mode_16_64 3
		.amdhsa_dx10_clamp 1
		.amdhsa_ieee_mode 1
		.amdhsa_fp16_overflow 0
		.amdhsa_workgroup_processor_mode 1
		.amdhsa_memory_ordered 1
		.amdhsa_forward_progress 1
		.amdhsa_shared_vgpr_count 0
		.amdhsa_exception_fp_ieee_invalid_op 0
		.amdhsa_exception_fp_denorm_src 0
		.amdhsa_exception_fp_ieee_div_zero 0
		.amdhsa_exception_fp_ieee_overflow 0
		.amdhsa_exception_fp_ieee_underflow 0
		.amdhsa_exception_fp_ieee_inexact 0
		.amdhsa_exception_int_div_zero 0
	.end_amdhsa_kernel
	.section	.text._ZL23rocblas_gemvt_sn_kernelILb0ELi256ELi4Ei19rocblas_complex_numIdES1_S1_EviiT4_lPKT3_lilS5_lilPT5_i,"axG",@progbits,_ZL23rocblas_gemvt_sn_kernelILb0ELi256ELi4Ei19rocblas_complex_numIdES1_S1_EviiT4_lPKT3_lilS5_lilPT5_i,comdat
.Lfunc_end165:
	.size	_ZL23rocblas_gemvt_sn_kernelILb0ELi256ELi4Ei19rocblas_complex_numIdES1_S1_EviiT4_lPKT3_lilS5_lilPT5_i, .Lfunc_end165-_ZL23rocblas_gemvt_sn_kernelILb0ELi256ELi4Ei19rocblas_complex_numIdES1_S1_EviiT4_lPKT3_lilS5_lilPT5_i
                                        ; -- End function
	.set _ZL23rocblas_gemvt_sn_kernelILb0ELi256ELi4Ei19rocblas_complex_numIdES1_S1_EviiT4_lPKT3_lilS5_lilPT5_i.num_vgpr, 122
	.set _ZL23rocblas_gemvt_sn_kernelILb0ELi256ELi4Ei19rocblas_complex_numIdES1_S1_EviiT4_lPKT3_lilS5_lilPT5_i.num_agpr, 0
	.set _ZL23rocblas_gemvt_sn_kernelILb0ELi256ELi4Ei19rocblas_complex_numIdES1_S1_EviiT4_lPKT3_lilS5_lilPT5_i.numbered_sgpr, 58
	.set _ZL23rocblas_gemvt_sn_kernelILb0ELi256ELi4Ei19rocblas_complex_numIdES1_S1_EviiT4_lPKT3_lilS5_lilPT5_i.num_named_barrier, 0
	.set _ZL23rocblas_gemvt_sn_kernelILb0ELi256ELi4Ei19rocblas_complex_numIdES1_S1_EviiT4_lPKT3_lilS5_lilPT5_i.private_seg_size, 80
	.set _ZL23rocblas_gemvt_sn_kernelILb0ELi256ELi4Ei19rocblas_complex_numIdES1_S1_EviiT4_lPKT3_lilS5_lilPT5_i.uses_vcc, 1
	.set _ZL23rocblas_gemvt_sn_kernelILb0ELi256ELi4Ei19rocblas_complex_numIdES1_S1_EviiT4_lPKT3_lilS5_lilPT5_i.uses_flat_scratch, 0
	.set _ZL23rocblas_gemvt_sn_kernelILb0ELi256ELi4Ei19rocblas_complex_numIdES1_S1_EviiT4_lPKT3_lilS5_lilPT5_i.has_dyn_sized_stack, 0
	.set _ZL23rocblas_gemvt_sn_kernelILb0ELi256ELi4Ei19rocblas_complex_numIdES1_S1_EviiT4_lPKT3_lilS5_lilPT5_i.has_recursion, 0
	.set _ZL23rocblas_gemvt_sn_kernelILb0ELi256ELi4Ei19rocblas_complex_numIdES1_S1_EviiT4_lPKT3_lilS5_lilPT5_i.has_indirect_call, 0
	.section	.AMDGPU.csdata,"",@progbits
; Kernel info:
; codeLenInByte = 7984
; TotalNumSgprs: 60
; NumVgprs: 122
; ScratchSize: 80
; MemoryBound: 0
; FloatMode: 240
; IeeeMode: 1
; LDSByteSize: 512 bytes/workgroup (compile time only)
; SGPRBlocks: 0
; VGPRBlocks: 15
; NumSGPRsForWavesPerEU: 60
; NumVGPRsForWavesPerEU: 122
; Occupancy: 8
; WaveLimiterHint : 1
; COMPUTE_PGM_RSRC2:SCRATCH_EN: 1
; COMPUTE_PGM_RSRC2:USER_SGPR: 6
; COMPUTE_PGM_RSRC2:TRAP_HANDLER: 0
; COMPUTE_PGM_RSRC2:TGID_X_EN: 1
; COMPUTE_PGM_RSRC2:TGID_Y_EN: 0
; COMPUTE_PGM_RSRC2:TGID_Z_EN: 1
; COMPUTE_PGM_RSRC2:TIDIG_COMP_CNT: 0
	.section	.text._ZL23rocblas_gemvt_sn_kernelILb0ELi256ELi4El19rocblas_complex_numIdES1_S1_EviiT4_lPKT3_lilS5_lilPT5_i,"axG",@progbits,_ZL23rocblas_gemvt_sn_kernelILb0ELi256ELi4El19rocblas_complex_numIdES1_S1_EviiT4_lPKT3_lilS5_lilPT5_i,comdat
	.globl	_ZL23rocblas_gemvt_sn_kernelILb0ELi256ELi4El19rocblas_complex_numIdES1_S1_EviiT4_lPKT3_lilS5_lilPT5_i ; -- Begin function _ZL23rocblas_gemvt_sn_kernelILb0ELi256ELi4El19rocblas_complex_numIdES1_S1_EviiT4_lPKT3_lilS5_lilPT5_i
	.p2align	8
	.type	_ZL23rocblas_gemvt_sn_kernelILb0ELi256ELi4El19rocblas_complex_numIdES1_S1_EviiT4_lPKT3_lilS5_lilPT5_i,@function
_ZL23rocblas_gemvt_sn_kernelILb0ELi256ELi4El19rocblas_complex_numIdES1_S1_EviiT4_lPKT3_lilS5_lilPT5_i: ; @_ZL23rocblas_gemvt_sn_kernelILb0ELi256ELi4El19rocblas_complex_numIdES1_S1_EviiT4_lPKT3_lilS5_lilPT5_i
; %bb.0:
	s_clause 0x2
	s_load_dwordx4 s[12:15], s[4:5], 0x8
	s_load_dwordx2 s[28:29], s[4:5], 0x0
	s_load_dword s30, s[4:5], 0x70
	s_add_u32 s0, s0, s8
	s_load_dwordx4 s[24:27], s[4:5], 0x58
	s_addc_u32 s1, s1, 0
	s_mov_b32 s31, 0
	s_waitcnt lgkmcnt(0)
	v_cmp_neq_f64_e64 s8, s[12:13], 0
	v_cmp_neq_f64_e64 s9, s[14:15], 0
	s_ashr_i32 s40, s29, 31
	s_mul_hi_u32 s10, s29, s7
	s_mul_i32 s16, s40, s7
	s_mul_i32 s11, s29, s7
	s_add_i32 s16, s10, s16
	s_mul_hi_u32 s17, s11, s30
	s_mul_i32 s16, s16, s30
	s_mul_i32 s10, s11, s30
	s_add_i32 s11, s17, s16
	s_or_b32 s8, s8, s9
	s_mov_b32 s9, -1
	s_and_b32 vcc_lo, exec_lo, s8
	v_cmp_eq_u32_e64 s8, 0, v0
	s_cbranch_vccnz .LBB166_5
; %bb.1:
	s_cmp_gt_i32 s29, 0
	s_cselect_b32 s9, -1, 0
	s_and_b32 s8, s8, s9
	s_and_saveexec_b32 s18, s8
	s_cbranch_execz .LBB166_4
; %bb.2:
	s_mov_b32 s8, s7
	s_mov_b32 s7, 0
	v_mov_b32_e32 v1, 0
	s_lshl_b64 s[16:17], s[10:11], 4
	s_lshl_b64 s[20:21], s[6:7], 4
	s_mov_b32 s7, s8
	s_add_u32 s8, s16, s20
	s_addc_u32 s9, s17, s21
	s_add_u32 s8, s26, s8
	v_mov_b32_e32 v2, v1
	v_mov_b32_e32 v3, v1
	;; [unrolled: 1-line block ×3, first 2 shown]
	s_addc_u32 s9, s27, s9
	s_add_u32 s8, s8, 8
	s_addc_u32 s9, s9, 0
	s_lshl_b64 s[16:17], s[30:31], 4
	s_mov_b32 s19, s29
.LBB166_3:                              ; =>This Inner Loop Header: Depth=1
	s_add_i32 s19, s19, -1
	global_store_dwordx4 v1, v[1:4], s[8:9] offset:-8
	s_add_u32 s8, s8, s16
	s_addc_u32 s9, s9, s17
	s_cmp_eq_u32 s19, 0
	s_cbranch_scc0 .LBB166_3
.LBB166_4:
	s_or_b32 exec_lo, exec_lo, s18
	s_mov_b32 s9, 0
.LBB166_5:
	s_andn2_b32 vcc_lo, exec_lo, s9
	s_cbranch_vccnz .LBB166_77
; %bb.6:
	s_clause 0x4
	s_load_dword s34, s[4:5], 0x30
	s_load_dword s36, s[4:5], 0x50
	s_load_dwordx4 s[20:23], s[4:5], 0x38
	s_load_dwordx2 s[8:9], s[4:5], 0x48
	s_load_dwordx4 s[16:19], s[4:5], 0x20
	s_mul_i32 s5, s25, s7
	s_mul_hi_u32 s25, s24, s7
	s_mul_i32 s4, s24, s7
	s_add_i32 s5, s25, s5
	v_and_b32_e32 v43, 31, v0
	s_lshl_b64 s[24:25], s[4:5], 4
	v_mbcnt_lo_u32_b32 v47, -1, 0
	v_lshrrev_b32_e32 v46, 1, v0
	v_mov_b32_e32 v40, 16
	v_mov_b32_e32 v41, 32
	;; [unrolled: 1-line block ×3, first 2 shown]
	s_waitcnt lgkmcnt(0)
	s_ashr_i32 s35, s34, 31
	s_ashr_i32 s37, s36, 31
	s_add_u32 s4, s22, s24
	s_addc_u32 s5, s23, s25
	s_lshl_b64 s[38:39], s[8:9], 4
	s_mul_i32 s21, s21, s7
	s_add_u32 s33, s4, s38
	s_addc_u32 s44, s5, s39
	s_lshl_b64 s[4:5], s[10:11], 4
	s_mul_hi_u32 s9, s20, s7
	s_add_u32 s45, s26, s4
	s_mul_i32 s8, s20, s7
	s_addc_u32 s46, s27, s5
	s_add_i32 s9, s9, s21
	v_cmp_gt_u32_e64 s4, 32, v0
	s_lshl_b64 s[20:21], s[8:9], 4
	v_cmp_gt_u32_e64 s5, 8, v0
	s_add_u32 s7, s16, s20
	s_addc_u32 s8, s17, s21
	s_lshl_b64 s[18:19], s[18:19], 4
	s_add_u32 s7, s7, s18
	s_addc_u32 s8, s8, s19
	s_lshl_b32 s9, s6, 10
	s_lshr_b32 s10, s40, 30
	v_lshl_or_b32 v25, v0, 2, s9
	s_ashr_i32 s9, s28, 31
	s_add_i32 s10, s29, s10
	s_lshr_b32 s9, s9, 30
	s_and_b32 s47, s10, -4
	v_ashrrev_i32_e32 v26, 31, v25
	s_add_i32 s9, s28, s9
	v_add_nc_u32_e32 v49, 4, v25
	s_and_b32 s9, s9, -4
	v_or_b32_e32 v48, 1, v25
	v_lshlrev_b64 v[23:24], 4, v[25:26]
	s_sub_i32 s31, s28, s9
	v_or_b32_e32 v45, 2, v25
	v_add_nc_u32_e32 v50, s31, v25
	v_or_b32_e32 v44, 3, v25
	s_cmp_lt_i32 s47, 1
	v_add_co_u32 v21, vcc_lo, s7, v23
	v_add_co_ci_u32_e64 v22, null, s8, v24, vcc_lo
	s_cbranch_scc1 .LBB166_54
; %bb.7:
	v_cmp_gt_u32_e32 vcc_lo, 24, v47
	v_mad_i64_i32 v[5:6], null, s36, v45, 0
	v_mad_i64_i32 v[7:8], null, s36, v44, 0
	v_cndmask_b32_e64 v1, 0, 8, vcc_lo
	v_cmp_gt_u32_e32 vcc_lo, 28, v47
	s_cmp_gt_i32 s31, 0
	s_mov_b32 s7, 0
	v_lshlrev_b64 v[5:6], 4, v[5:6]
	v_add_lshl_u32 v52, v1, v47, 2
	v_cndmask_b32_e64 v2, 0, 4, vcc_lo
	v_cmp_gt_u32_e32 vcc_lo, 30, v47
	s_cselect_b32 s48, -1, 0
	s_lshl_b64 s[26:27], s[6:7], 4
	v_mov_b32_e32 v37, v22
	v_add_lshl_u32 v53, v2, v47, 2
	v_cndmask_b32_e64 v3, 0, 2, vcc_lo
	v_cmp_ne_u32_e32 vcc_lo, 31, v47
	v_mad_i64_i32 v[1:2], null, s36, v25, 0
	s_add_u32 s49, s45, s26
	v_add_lshl_u32 v54, v3, v47, 2
	v_add_co_ci_u32_e64 v4, null, 0, v47, vcc_lo
	s_addc_u32 s50, s46, s27
	s_add_u32 s26, s22, s38
	v_lshlrev_b64 v[1:2], 4, v[1:2]
	v_lshlrev_b32_e32 v55, 2, v4
	v_mad_i64_i32 v[3:4], null, s36, v48, 0
	s_addc_u32 s27, s23, s39
	s_add_u32 s26, s26, s24
	v_add_co_u32 v26, vcc_lo, s33, v1
	v_add_co_ci_u32_e64 v27, null, s44, v2, vcc_lo
	v_lshlrev_b64 v[3:4], 4, v[3:4]
	s_addc_u32 s27, s27, s25
	v_cmp_ge_i32_e64 s8, s28, v49
	v_cmp_ge_i32_e64 s9, s28, v50
	v_lshl_or_b32 v51, v47, 2, 64
	v_cmp_eq_u32_e64 s10, 0, v43
	v_add_co_u32 v28, vcc_lo, s33, v3
	v_add_co_ci_u32_e64 v29, null, s44, v4, vcc_lo
	v_lshlrev_b64 v[3:4], 4, v[7:8]
	v_add_co_u32 v30, vcc_lo, s33, v5
	v_add_co_ci_u32_e64 v31, null, s44, v6, vcc_lo
	v_lshlrev_b32_e32 v56, 4, v43
	v_add_co_u32 v32, vcc_lo, s33, v3
	v_add_co_ci_u32_e64 v33, null, s44, v4, vcc_lo
	v_add_co_u32 v34, vcc_lo, s26, v1
	v_and_b32_e32 v57, 0x70, v46
	v_cmp_eq_u32_e64 s11, 0, v0
	v_add_co_ci_u32_e64 v35, null, s27, v2, vcc_lo
	v_mov_b32_e32 v1, 0
	v_mov_b32_e32 v36, v21
	s_lshl_b64 s[26:27], s[36:37], 4
	s_lshl_b64 s[40:41], s[34:35], 6
	;; [unrolled: 1-line block ×3, first 2 shown]
	s_branch .LBB166_9
.LBB166_8:                              ;   in Loop: Header=BB166_9 Depth=1
	s_or_b32 exec_lo, exec_lo, s51
	v_add_co_u32 v36, vcc_lo, v36, s40
	v_add_co_ci_u32_e64 v37, null, s41, v37, vcc_lo
	s_add_i32 s7, s7, 4
	s_cmp_ge_i32 s7, s47
	s_cbranch_scc1 .LBB166_55
.LBB166_9:                              ; =>This Loop Header: Depth=1
                                        ;     Child Loop BB166_40 Depth 2
                                        ;     Child Loop BB166_42 Depth 2
                                        ; implicit-def: $vgpr17_vgpr18
                                        ; implicit-def: $vgpr19_vgpr20
                                        ; implicit-def: $vgpr13_vgpr14
                                        ; implicit-def: $vgpr15_vgpr16
                                        ; implicit-def: $vgpr9_vgpr10
                                        ; implicit-def: $vgpr11_vgpr12
                                        ; implicit-def: $vgpr7_vgpr8
                                        ; implicit-def: $vgpr5_vgpr6
	s_and_saveexec_b32 s51, s8
	s_xor_b32 s51, exec_lo, s51
	s_cbranch_execnz .LBB166_36
; %bb.10:                               ;   in Loop: Header=BB166_9 Depth=1
	s_andn2_saveexec_b32 s51, s51
	s_cbranch_execnz .LBB166_37
.LBB166_11:                             ;   in Loop: Header=BB166_9 Depth=1
	s_or_b32 exec_lo, exec_lo, s51
	s_and_saveexec_b32 s51, s4
	s_cbranch_execz .LBB166_13
.LBB166_12:                             ;   in Loop: Header=BB166_9 Depth=1
	v_mov_b32_e32 v2, v1
	v_mov_b32_e32 v3, v1
	;; [unrolled: 1-line block ×3, first 2 shown]
	ds_write_b128 v56, v[1:4]
.LBB166_13:                             ;   in Loop: Header=BB166_9 Depth=1
	s_or_b32 exec_lo, exec_lo, s51
	ds_bpermute_b32 v2, v51, v7
	ds_bpermute_b32 v3, v51, v8
	;; [unrolled: 1-line block ×4, first 2 shown]
	s_waitcnt lgkmcnt(0)
	s_waitcnt_vscnt null, 0x0
	s_barrier
	buffer_gl0_inv
	v_add_f64 v[2:3], v[7:8], v[2:3]
	v_add_f64 v[4:5], v[5:6], v[38:39]
	ds_bpermute_b32 v6, v52, v2
	ds_bpermute_b32 v7, v52, v3
	ds_bpermute_b32 v38, v52, v4
	ds_bpermute_b32 v39, v52, v5
	s_waitcnt lgkmcnt(2)
	v_add_f64 v[2:3], v[2:3], v[6:7]
	s_waitcnt lgkmcnt(0)
	v_add_f64 v[4:5], v[4:5], v[38:39]
	ds_bpermute_b32 v6, v53, v2
	ds_bpermute_b32 v7, v53, v3
	ds_bpermute_b32 v38, v53, v4
	ds_bpermute_b32 v39, v53, v5
	s_waitcnt lgkmcnt(2)
	v_add_f64 v[2:3], v[2:3], v[6:7]
	s_waitcnt lgkmcnt(0)
	;; [unrolled: 8-line block ×3, first 2 shown]
	v_add_f64 v[6:7], v[4:5], v[38:39]
	ds_bpermute_b32 v4, v55, v2
	ds_bpermute_b32 v5, v55, v3
	;; [unrolled: 1-line block ×4, first 2 shown]
	s_and_saveexec_b32 s51, s10
	s_cbranch_execz .LBB166_15
; %bb.14:                               ;   in Loop: Header=BB166_9 Depth=1
	s_waitcnt lgkmcnt(0)
	v_add_f64 v[6:7], v[6:7], v[38:39]
	v_add_f64 v[4:5], v[2:3], v[4:5]
	ds_write_b128 v57, v[4:7]
.LBB166_15:                             ;   in Loop: Header=BB166_9 Depth=1
	s_or_b32 exec_lo, exec_lo, s51
	v_mov_b32_e32 v7, 0
	s_waitcnt lgkmcnt(2)
	v_mov_b32_e32 v5, 0
	v_mov_b32_e32 v8, 0
	;; [unrolled: 1-line block ×3, first 2 shown]
	s_waitcnt lgkmcnt(0)
	s_barrier
	buffer_gl0_inv
	s_and_saveexec_b32 s51, s5
	s_cbranch_execnz .LBB166_43
; %bb.16:                               ;   in Loop: Header=BB166_9 Depth=1
	s_or_b32 exec_lo, exec_lo, s51
	s_and_saveexec_b32 s51, s4
	s_cbranch_execnz .LBB166_44
.LBB166_17:                             ;   in Loop: Header=BB166_9 Depth=1
	s_or_b32 exec_lo, exec_lo, s51
	s_and_saveexec_b32 s51, s4
	s_cbranch_execz .LBB166_19
.LBB166_18:                             ;   in Loop: Header=BB166_9 Depth=1
	v_mov_b32_e32 v2, v1
	v_mov_b32_e32 v3, v1
	;; [unrolled: 1-line block ×3, first 2 shown]
	ds_write_b128 v56, v[1:4]
.LBB166_19:                             ;   in Loop: Header=BB166_9 Depth=1
	s_or_b32 exec_lo, exec_lo, s51
	ds_bpermute_b32 v2, v51, v9
	ds_bpermute_b32 v3, v51, v10
	;; [unrolled: 1-line block ×4, first 2 shown]
	s_waitcnt lgkmcnt(0)
	s_barrier
	buffer_gl0_inv
	v_add_f64 v[2:3], v[9:10], v[2:3]
	v_add_f64 v[9:10], v[11:12], v[38:39]
	ds_bpermute_b32 v11, v52, v2
	ds_bpermute_b32 v12, v52, v3
	ds_bpermute_b32 v38, v52, v9
	ds_bpermute_b32 v39, v52, v10
	s_waitcnt lgkmcnt(2)
	v_add_f64 v[2:3], v[2:3], v[11:12]
	s_waitcnt lgkmcnt(0)
	v_add_f64 v[9:10], v[9:10], v[38:39]
	ds_bpermute_b32 v11, v53, v2
	ds_bpermute_b32 v12, v53, v3
	ds_bpermute_b32 v38, v53, v9
	ds_bpermute_b32 v39, v53, v10
	s_waitcnt lgkmcnt(2)
	v_add_f64 v[2:3], v[2:3], v[11:12]
	s_waitcnt lgkmcnt(0)
	;; [unrolled: 8-line block ×3, first 2 shown]
	v_add_f64 v[11:12], v[9:10], v[38:39]
	ds_bpermute_b32 v9, v55, v2
	ds_bpermute_b32 v10, v55, v3
	;; [unrolled: 1-line block ×4, first 2 shown]
	s_and_saveexec_b32 s51, s10
	s_cbranch_execz .LBB166_21
; %bb.20:                               ;   in Loop: Header=BB166_9 Depth=1
	s_waitcnt lgkmcnt(0)
	v_add_f64 v[11:12], v[11:12], v[38:39]
	v_add_f64 v[9:10], v[2:3], v[9:10]
	ds_write_b128 v57, v[9:12]
.LBB166_21:                             ;   in Loop: Header=BB166_9 Depth=1
	s_or_b32 exec_lo, exec_lo, s51
	v_mov_b32_e32 v11, 0
	s_waitcnt lgkmcnt(2)
	v_mov_b32_e32 v9, 0
	v_mov_b32_e32 v12, 0
	;; [unrolled: 1-line block ×3, first 2 shown]
	s_waitcnt lgkmcnt(0)
	s_barrier
	buffer_gl0_inv
	s_and_saveexec_b32 s51, s5
	s_cbranch_execnz .LBB166_45
; %bb.22:                               ;   in Loop: Header=BB166_9 Depth=1
	s_or_b32 exec_lo, exec_lo, s51
	s_and_saveexec_b32 s51, s4
	s_cbranch_execnz .LBB166_46
.LBB166_23:                             ;   in Loop: Header=BB166_9 Depth=1
	s_or_b32 exec_lo, exec_lo, s51
	s_and_saveexec_b32 s51, s4
	s_cbranch_execz .LBB166_25
.LBB166_24:                             ;   in Loop: Header=BB166_9 Depth=1
	v_mov_b32_e32 v2, v1
	v_mov_b32_e32 v3, v1
	;; [unrolled: 1-line block ×3, first 2 shown]
	ds_write_b128 v56, v[1:4]
.LBB166_25:                             ;   in Loop: Header=BB166_9 Depth=1
	s_or_b32 exec_lo, exec_lo, s51
	ds_bpermute_b32 v2, v51, v13
	ds_bpermute_b32 v3, v51, v14
	;; [unrolled: 1-line block ×4, first 2 shown]
	s_waitcnt lgkmcnt(0)
	s_barrier
	buffer_gl0_inv
	v_add_f64 v[2:3], v[13:14], v[2:3]
	v_add_f64 v[13:14], v[15:16], v[38:39]
	ds_bpermute_b32 v15, v52, v2
	ds_bpermute_b32 v16, v52, v3
	ds_bpermute_b32 v38, v52, v13
	ds_bpermute_b32 v39, v52, v14
	s_waitcnt lgkmcnt(2)
	v_add_f64 v[2:3], v[2:3], v[15:16]
	s_waitcnt lgkmcnt(0)
	v_add_f64 v[13:14], v[13:14], v[38:39]
	ds_bpermute_b32 v15, v53, v2
	ds_bpermute_b32 v16, v53, v3
	ds_bpermute_b32 v38, v53, v13
	ds_bpermute_b32 v39, v53, v14
	s_waitcnt lgkmcnt(2)
	v_add_f64 v[2:3], v[2:3], v[15:16]
	s_waitcnt lgkmcnt(0)
	;; [unrolled: 8-line block ×3, first 2 shown]
	v_add_f64 v[15:16], v[13:14], v[38:39]
	ds_bpermute_b32 v13, v55, v2
	ds_bpermute_b32 v14, v55, v3
	;; [unrolled: 1-line block ×4, first 2 shown]
	s_and_saveexec_b32 s51, s10
	s_cbranch_execz .LBB166_27
; %bb.26:                               ;   in Loop: Header=BB166_9 Depth=1
	s_waitcnt lgkmcnt(0)
	v_add_f64 v[15:16], v[15:16], v[38:39]
	v_add_f64 v[13:14], v[2:3], v[13:14]
	ds_write_b128 v57, v[13:16]
.LBB166_27:                             ;   in Loop: Header=BB166_9 Depth=1
	s_or_b32 exec_lo, exec_lo, s51
	v_mov_b32_e32 v15, 0
	s_waitcnt lgkmcnt(2)
	v_mov_b32_e32 v13, 0
	v_mov_b32_e32 v16, 0
	;; [unrolled: 1-line block ×3, first 2 shown]
	s_waitcnt lgkmcnt(0)
	s_barrier
	buffer_gl0_inv
	s_and_saveexec_b32 s51, s5
	s_cbranch_execnz .LBB166_47
; %bb.28:                               ;   in Loop: Header=BB166_9 Depth=1
	s_or_b32 exec_lo, exec_lo, s51
	s_and_saveexec_b32 s51, s4
	s_cbranch_execnz .LBB166_48
.LBB166_29:                             ;   in Loop: Header=BB166_9 Depth=1
	s_or_b32 exec_lo, exec_lo, s51
	s_and_saveexec_b32 s51, s4
	s_cbranch_execz .LBB166_31
.LBB166_30:                             ;   in Loop: Header=BB166_9 Depth=1
	v_mov_b32_e32 v2, v1
	v_mov_b32_e32 v3, v1
	;; [unrolled: 1-line block ×3, first 2 shown]
	ds_write_b128 v56, v[1:4]
.LBB166_31:                             ;   in Loop: Header=BB166_9 Depth=1
	s_or_b32 exec_lo, exec_lo, s51
	ds_bpermute_b32 v2, v51, v17
	ds_bpermute_b32 v3, v51, v18
	;; [unrolled: 1-line block ×4, first 2 shown]
	s_waitcnt lgkmcnt(0)
	s_barrier
	buffer_gl0_inv
	v_add_f64 v[2:3], v[17:18], v[2:3]
	v_add_f64 v[17:18], v[19:20], v[38:39]
	ds_bpermute_b32 v19, v52, v2
	ds_bpermute_b32 v20, v52, v3
	ds_bpermute_b32 v38, v52, v17
	ds_bpermute_b32 v39, v52, v18
	s_waitcnt lgkmcnt(2)
	v_add_f64 v[2:3], v[2:3], v[19:20]
	s_waitcnt lgkmcnt(0)
	v_add_f64 v[17:18], v[17:18], v[38:39]
	ds_bpermute_b32 v19, v53, v2
	ds_bpermute_b32 v20, v53, v3
	ds_bpermute_b32 v38, v53, v17
	ds_bpermute_b32 v39, v53, v18
	s_waitcnt lgkmcnt(2)
	v_add_f64 v[2:3], v[2:3], v[19:20]
	s_waitcnt lgkmcnt(0)
	;; [unrolled: 8-line block ×3, first 2 shown]
	v_add_f64 v[19:20], v[17:18], v[38:39]
	ds_bpermute_b32 v17, v55, v2
	ds_bpermute_b32 v18, v55, v3
	;; [unrolled: 1-line block ×4, first 2 shown]
	s_and_saveexec_b32 s51, s10
	s_cbranch_execz .LBB166_33
; %bb.32:                               ;   in Loop: Header=BB166_9 Depth=1
	s_waitcnt lgkmcnt(0)
	v_add_f64 v[19:20], v[19:20], v[38:39]
	v_add_f64 v[17:18], v[2:3], v[17:18]
	ds_write_b128 v57, v[17:20]
.LBB166_33:                             ;   in Loop: Header=BB166_9 Depth=1
	s_or_b32 exec_lo, exec_lo, s51
	v_mov_b32_e32 v19, 0
	s_waitcnt lgkmcnt(2)
	v_mov_b32_e32 v17, 0
	v_mov_b32_e32 v20, 0
	;; [unrolled: 1-line block ×3, first 2 shown]
	s_waitcnt lgkmcnt(0)
	s_barrier
	buffer_gl0_inv
	s_and_saveexec_b32 s51, s5
	s_cbranch_execnz .LBB166_49
; %bb.34:                               ;   in Loop: Header=BB166_9 Depth=1
	s_or_b32 exec_lo, exec_lo, s51
	s_and_saveexec_b32 s51, s4
	s_cbranch_execnz .LBB166_50
.LBB166_35:                             ;   in Loop: Header=BB166_9 Depth=1
	s_or_b32 exec_lo, exec_lo, s51
	s_and_saveexec_b32 s51, s11
	s_cbranch_execz .LBB166_8
	s_branch .LBB166_51
.LBB166_36:                             ;   in Loop: Header=BB166_9 Depth=1
	s_clause 0x2
	global_load_dwordx4 v[2:5], v[28:29], off
	global_load_dwordx4 v[6:9], v[30:31], off
	global_load_dwordx4 v[10:13], v[32:33], off
	s_mul_i32 s53, s7, s35
	s_mul_hi_u32 s54, s7, s34
	s_or_b32 s55, s7, 1
	s_mul_i32 s52, s7, s34
	s_add_i32 s53, s54, s53
	s_mul_i32 s59, s55, s35
	s_mul_hi_u32 s60, s55, s34
	s_mul_i32 s54, s55, s34
	s_lshl_b64 s[52:53], s[52:53], 4
	s_add_i32 s55, s60, s59
	s_waitcnt lgkmcnt(0)
	v_add_co_u32 v18, vcc_lo, v21, s52
	s_lshl_b64 s[54:55], s[54:55], 4
	v_add_co_ci_u32_e64 v19, null, s53, v22, vcc_lo
	v_add_co_u32 v38, vcc_lo, v21, s54
	v_add_co_ci_u32_e64 v39, null, s55, v22, vcc_lo
	global_load_dwordx4 v[58:61], v[26:27], off
	global_load_dwordx4 v[14:17], v[18:19], off
	s_or_b32 s56, s7, 2
	global_load_dwordx4 v[62:65], v[38:39], off
	s_or_b32 s57, s7, 3
	s_mul_i32 s61, s56, s35
	s_mul_hi_u32 s62, s56, s34
	s_mul_i32 s56, s56, s34
	s_mul_i32 s63, s57, s35
	s_mul_hi_u32 s64, s57, s34
	s_mul_i32 s58, s57, s34
	s_add_i32 s57, s62, s61
	s_add_i32 s59, s64, s63
	s_lshl_b64 s[52:53], s[56:57], 4
	s_lshl_b64 s[54:55], s[58:59], 4
	v_add_co_u32 v102, vcc_lo, v21, s52
	v_add_co_ci_u32_e64 v103, null, s53, v22, vcc_lo
	v_add_co_u32 v106, vcc_lo, v21, s54
	v_add_co_ci_u32_e64 v107, null, s55, v22, vcc_lo
	s_clause 0x2
	global_load_dwordx4 v[66:69], v[18:19], off offset:16
	global_load_dwordx4 v[70:73], v[102:103], off
	global_load_dwordx4 v[74:77], v[106:107], off
	s_waitcnt vmcnt(8)
	buffer_store_dword v5, v40, s[0:3], 0 offen offset:12
	buffer_store_dword v4, v40, s[0:3], 0 offen offset:8
	;; [unrolled: 1-line block ×3, first 2 shown]
	buffer_store_dword v2, v40, s[0:3], 0 offen
	s_waitcnt vmcnt(7)
	buffer_store_dword v9, v41, s[0:3], 0 offen offset:12
	buffer_store_dword v8, v41, s[0:3], 0 offen offset:8
	;; [unrolled: 1-line block ×3, first 2 shown]
	buffer_store_dword v6, v41, s[0:3], 0 offen
	s_clause 0x6
	buffer_load_dword v110, off, s[0:3], 0 offset:16
	buffer_load_dword v113, off, s[0:3], 0 offset:28
	;; [unrolled: 1-line block ×7, first 2 shown]
	s_clause 0x2
	global_load_dwordx4 v[2:5], v[38:39], off offset:16
	global_load_dwordx4 v[6:9], v[102:103], off offset:16
	;; [unrolled: 1-line block ×3, first 2 shown]
	buffer_load_dword v116, off, s[0:3], 0 offset:40
	s_clause 0x4
	global_load_dwordx4 v[82:85], v[18:19], off offset:32
	global_load_dwordx4 v[86:89], v[38:39], off offset:32
	;; [unrolled: 1-line block ×5, first 2 shown]
	s_waitcnt vmcnt(22)
	buffer_store_dword v13, v42, s[0:3], 0 offen offset:12
	buffer_store_dword v12, v42, s[0:3], 0 offen offset:8
	;; [unrolled: 1-line block ×3, first 2 shown]
	s_clause 0x1
	buffer_load_dword v19, off, s[0:3], 0 offset:60
	buffer_load_dword v18, off, s[0:3], 0 offset:56
	buffer_store_dword v10, v42, s[0:3], 0 offen
	s_clause 0x1
	buffer_load_dword v118, off, s[0:3], 0 offset:48
	buffer_load_dword v119, off, s[0:3], 0 offset:52
	s_clause 0x2
	global_load_dwordx4 v[10:13], v[38:39], off offset:48
	global_load_dwordx4 v[102:105], v[102:103], off offset:48
	;; [unrolled: 1-line block ×3, first 2 shown]
	s_waitcnt vmcnt(28)
	buffer_store_dword v61, off, s[0:3], 0 offset:12
	buffer_store_dword v60, off, s[0:3], 0 offset:8
	;; [unrolled: 1-line block ×3, first 2 shown]
	buffer_store_dword v58, off, s[0:3], 0
	s_waitcnt vmcnt(27)
	v_mul_f64 v[38:39], v[60:61], v[16:17]
	v_mul_f64 v[16:17], v[58:59], v[16:17]
	s_waitcnt vmcnt(26)
	v_mul_f64 v[120:121], v[60:61], v[64:65]
	v_mul_f64 v[64:65], v[58:59], v[64:65]
	s_waitcnt vmcnt(24)
	v_mul_f64 v[122:123], v[60:61], v[72:73]
	v_mul_f64 v[72:73], v[58:59], v[72:73]
	s_waitcnt vmcnt(23)
	v_mul_f64 v[124:125], v[60:61], v[76:77]
	v_fma_f64 v[38:39], v[58:59], v[14:15], -v[38:39]
	v_fma_f64 v[14:15], v[60:61], v[14:15], v[16:17]
	v_mul_f64 v[16:17], v[58:59], v[76:77]
	v_fma_f64 v[76:77], v[58:59], v[62:63], -v[120:121]
	v_fma_f64 v[62:63], v[60:61], v[62:63], v[64:65]
	v_fma_f64 v[120:121], v[58:59], v[70:71], -v[122:123]
	v_fma_f64 v[70:71], v[60:61], v[70:71], v[72:73]
	v_fma_f64 v[122:123], v[58:59], v[74:75], -v[124:125]
	v_add_f64 v[38:39], v[38:39], 0
	v_add_f64 v[14:15], v[14:15], 0
	v_fma_f64 v[16:17], v[60:61], v[74:75], v[16:17]
	v_add_f64 v[76:77], v[76:77], 0
	v_add_f64 v[62:63], v[62:63], 0
	;; [unrolled: 1-line block ×4, first 2 shown]
	s_waitcnt vmcnt(17)
	v_mul_f64 v[64:65], v[112:113], v[68:69]
	s_waitcnt vmcnt(16)
	v_mul_f64 v[68:69], v[110:111], v[68:69]
	s_waitcnt vmcnt(15)
	v_mul_f64 v[72:73], v[112:113], v[4:5]
	v_mul_f64 v[4:5], v[110:111], v[4:5]
	s_waitcnt vmcnt(14)
	v_mul_f64 v[74:75], v[112:113], v[8:9]
	v_mul_f64 v[8:9], v[110:111], v[8:9]
	s_waitcnt vmcnt(13)
	v_mul_f64 v[124:125], v[112:113], v[80:81]
	v_fma_f64 v[64:65], v[110:111], v[66:67], -v[64:65]
	v_fma_f64 v[66:67], v[112:113], v[66:67], v[68:69]
	v_mul_f64 v[68:69], v[110:111], v[80:81]
	s_waitcnt vmcnt(11)
	v_mul_f64 v[80:81], v[116:117], v[84:85]
	v_fma_f64 v[72:73], v[110:111], v[2:3], -v[72:73]
	v_fma_f64 v[2:3], v[112:113], v[2:3], v[4:5]
	;; [unrolled: 5-line block ×3, first 2 shown]
	v_mul_f64 v[8:9], v[114:115], v[88:89]
	s_waitcnt vmcnt(9)
	v_mul_f64 v[88:89], v[116:117], v[92:93]
	v_fma_f64 v[110:111], v[110:111], v[78:79], -v[124:125]
	v_mul_f64 v[92:93], v[114:115], v[92:93]
	v_add_f64 v[38:39], v[38:39], v[64:65]
	v_add_f64 v[14:15], v[14:15], v[66:67]
	v_fma_f64 v[68:69], v[112:113], v[78:79], v[68:69]
	s_waitcnt vmcnt(8)
	v_mul_f64 v[78:79], v[116:117], v[96:97]
	v_mul_f64 v[96:97], v[114:115], v[96:97]
	v_add_f64 v[112:113], v[120:121], 0
	v_add_f64 v[120:121], v[122:123], 0
	s_waitcnt vmcnt(5)
	v_mul_f64 v[122:123], v[18:19], v[100:101]
	v_fma_f64 v[80:81], v[114:115], v[82:83], -v[80:81]
	v_fma_f64 v[4:5], v[116:117], v[82:83], v[4:5]
	s_waitcnt vmcnt(3)
	v_mul_f64 v[82:83], v[118:119], v[100:101]
	s_waitcnt vmcnt(2)
	v_mul_f64 v[100:101], v[18:19], v[12:13]
	v_fma_f64 v[84:85], v[114:115], v[86:87], -v[84:85]
	v_fma_f64 v[8:9], v[116:117], v[86:87], v[8:9]
	v_mul_f64 v[12:13], v[118:119], v[12:13]
	s_waitcnt vmcnt(1)
	v_mul_f64 v[86:87], v[18:19], v[104:105]
	v_fma_f64 v[88:89], v[114:115], v[90:91], -v[88:89]
	v_fma_f64 v[90:91], v[116:117], v[90:91], v[92:93]
	v_mul_f64 v[92:93], v[118:119], v[104:105]
	s_waitcnt vmcnt(0)
	v_mul_f64 v[104:105], v[18:19], v[108:109]
	v_mul_f64 v[108:109], v[118:119], v[108:109]
	v_add_f64 v[64:65], v[76:77], v[72:73]
	v_add_f64 v[2:3], v[62:63], v[2:3]
	;; [unrolled: 1-line block ×4, first 2 shown]
	v_fma_f64 v[78:79], v[114:115], v[94:95], -v[78:79]
	v_fma_f64 v[94:95], v[116:117], v[94:95], v[96:97]
	v_add_f64 v[62:63], v[112:113], v[74:75]
	v_add_f64 v[66:67], v[120:121], v[110:111]
	v_fma_f64 v[68:69], v[118:119], v[98:99], -v[122:123]
	v_add_f64 v[38:39], v[38:39], v[80:81]
	v_add_f64 v[4:5], v[14:15], v[4:5]
	v_fma_f64 v[70:71], v[18:19], v[98:99], v[82:83]
	v_fma_f64 v[72:73], v[118:119], v[10:11], -v[100:101]
	v_fma_f64 v[11:12], v[18:19], v[10:11], v[12:13]
	v_fma_f64 v[74:75], v[118:119], v[102:103], -v[86:87]
	;; [unrolled: 2-line block ×3, first 2 shown]
	v_fma_f64 v[19:20], v[18:19], v[106:107], v[108:109]
	v_add_f64 v[13:14], v[64:65], v[84:85]
	v_add_f64 v[2:3], v[2:3], v[8:9]
	;; [unrolled: 1-line block ×14, first 2 shown]
	s_andn2_saveexec_b32 s51, s51
	s_cbranch_execz .LBB166_11
.LBB166_37:                             ;   in Loop: Header=BB166_9 Depth=1
	s_waitcnt lgkmcnt(0)
	v_mov_b32_e32 v17, 0
	v_mov_b32_e32 v19, 0
	;; [unrolled: 1-line block ×16, first 2 shown]
	s_and_saveexec_b32 s52, s9
	s_cbranch_execz .LBB166_53
; %bb.38:                               ;   in Loop: Header=BB166_9 Depth=1
	s_andn2_b32 vcc_lo, exec_lo, s48
	s_cbranch_vccnz .LBB166_52
; %bb.39:                               ;   in Loop: Header=BB166_9 Depth=1
	v_mov_b32_e32 v2, v34
	v_mov_b32_e32 v3, v35
	s_mov_b32 s53, 0
	s_mov_b32 s54, s31
	.p2align	6
.LBB166_40:                             ;   Parent Loop BB166_9 Depth=1
                                        ; =>  This Inner Loop Header: Depth=2
	global_load_dwordx4 v[4:7], v[2:3], off
	v_add_co_u32 v2, vcc_lo, v2, s26
	v_mov_b32_e32 v8, s53
	v_add_co_ci_u32_e64 v3, null, s27, v3, vcc_lo
	s_add_i32 s54, s54, -1
	s_add_i32 s53, s53, 16
	s_cmp_eq_u32 s54, 0
	s_waitcnt vmcnt(0)
	buffer_store_dword v7, v8, s[0:3], 0 offen offset:12
	buffer_store_dword v6, v8, s[0:3], 0 offen offset:8
	;; [unrolled: 1-line block ×3, first 2 shown]
	buffer_store_dword v4, v8, s[0:3], 0 offen
	s_cbranch_scc0 .LBB166_40
; %bb.41:                               ;   in Loop: Header=BB166_9 Depth=1
	v_mov_b32_e32 v5, 0
	v_mov_b32_e32 v7, 0
	;; [unrolled: 1-line block ×18, first 2 shown]
	s_mov_b32 s53, 0
	s_mov_b32 s54, s31
.LBB166_42:                             ;   Parent Loop BB166_9 Depth=1
                                        ; =>  This Inner Loop Header: Depth=2
	v_add_co_u32 v38, vcc_lo, v2, s42
	v_add_co_ci_u32_e64 v39, null, s43, v3, vcc_lo
	v_mov_b32_e32 v4, s53
	v_add_co_u32 v66, vcc_lo, v38, s42
	v_add_co_ci_u32_e64 v67, null, s43, v39, vcc_lo
	global_load_dwordx4 v[58:61], v[2:3], off
	v_add_co_u32 v70, vcc_lo, v66, s42
	v_add_co_ci_u32_e64 v71, null, s43, v67, vcc_lo
	s_clause 0x3
	buffer_load_dword v74, v4, s[0:3], 0 offen
	buffer_load_dword v75, v4, s[0:3], 0 offen offset:4
	buffer_load_dword v76, v4, s[0:3], 0 offen offset:8
	;; [unrolled: 1-line block ×3, first 2 shown]
	s_clause 0x2
	global_load_dwordx4 v[62:65], v[38:39], off
	global_load_dwordx4 v[66:69], v[66:67], off
	;; [unrolled: 1-line block ×3, first 2 shown]
	v_add_co_u32 v2, vcc_lo, v2, 16
	v_add_co_ci_u32_e64 v3, null, 0, v3, vcc_lo
	s_add_i32 s54, s54, -1
	s_add_i32 s53, s53, 16
	s_cmp_lg_u32 s54, 0
	s_waitcnt vmcnt(3)
	v_mul_f64 v[38:39], v[76:77], v[60:61]
	v_mul_f64 v[60:61], v[74:75], v[60:61]
	s_waitcnt vmcnt(2)
	v_mul_f64 v[78:79], v[76:77], v[64:65]
	v_mul_f64 v[64:65], v[74:75], v[64:65]
	;; [unrolled: 3-line block ×4, first 2 shown]
	v_fma_f64 v[38:39], v[74:75], v[58:59], -v[38:39]
	v_fma_f64 v[58:59], v[76:77], v[58:59], v[60:61]
	v_fma_f64 v[60:61], v[74:75], v[62:63], -v[78:79]
	v_fma_f64 v[62:63], v[76:77], v[62:63], v[64:65]
	;; [unrolled: 2-line block ×4, first 2 shown]
	v_add_f64 v[7:8], v[7:8], v[38:39]
	v_add_f64 v[5:6], v[5:6], v[58:59]
	;; [unrolled: 1-line block ×8, first 2 shown]
	s_cbranch_scc1 .LBB166_42
	s_branch .LBB166_53
.LBB166_43:                             ;   in Loop: Header=BB166_9 Depth=1
	ds_read_b128 v[5:8], v56
	s_or_b32 exec_lo, exec_lo, s51
	s_and_saveexec_b32 s51, s4
	s_cbranch_execz .LBB166_17
.LBB166_44:                             ;   in Loop: Header=BB166_9 Depth=1
	s_waitcnt lgkmcnt(0)
	ds_bpermute_b32 v2, v53, v5
	ds_bpermute_b32 v3, v53, v6
	ds_bpermute_b32 v38, v53, v7
	ds_bpermute_b32 v39, v53, v8
	s_waitcnt lgkmcnt(2)
	v_add_f64 v[2:3], v[5:6], v[2:3]
	s_waitcnt lgkmcnt(0)
	v_add_f64 v[4:5], v[7:8], v[38:39]
	ds_bpermute_b32 v6, v54, v2
	ds_bpermute_b32 v7, v54, v3
	ds_bpermute_b32 v38, v54, v4
	ds_bpermute_b32 v39, v54, v5
	s_waitcnt lgkmcnt(2)
	v_add_f64 v[2:3], v[2:3], v[6:7]
	s_waitcnt lgkmcnt(0)
	v_add_f64 v[7:8], v[4:5], v[38:39]
	;; [unrolled: 8-line block ×3, first 2 shown]
	s_or_b32 exec_lo, exec_lo, s51
	s_and_saveexec_b32 s51, s4
	s_cbranch_execnz .LBB166_18
	s_branch .LBB166_19
.LBB166_45:                             ;   in Loop: Header=BB166_9 Depth=1
	ds_read_b128 v[9:12], v56
	s_or_b32 exec_lo, exec_lo, s51
	s_and_saveexec_b32 s51, s4
	s_cbranch_execz .LBB166_23
.LBB166_46:                             ;   in Loop: Header=BB166_9 Depth=1
	s_waitcnt lgkmcnt(0)
	ds_bpermute_b32 v2, v53, v9
	ds_bpermute_b32 v3, v53, v10
	ds_bpermute_b32 v38, v53, v11
	ds_bpermute_b32 v39, v53, v12
	s_waitcnt lgkmcnt(2)
	v_add_f64 v[2:3], v[9:10], v[2:3]
	s_waitcnt lgkmcnt(0)
	v_add_f64 v[9:10], v[11:12], v[38:39]
	ds_bpermute_b32 v11, v54, v2
	ds_bpermute_b32 v12, v54, v3
	ds_bpermute_b32 v38, v54, v9
	ds_bpermute_b32 v39, v54, v10
	s_waitcnt lgkmcnt(2)
	v_add_f64 v[2:3], v[2:3], v[11:12]
	s_waitcnt lgkmcnt(0)
	v_add_f64 v[11:12], v[9:10], v[38:39]
	ds_bpermute_b32 v9, v55, v2
	ds_bpermute_b32 v10, v55, v3
	ds_bpermute_b32 v38, v55, v11
	ds_bpermute_b32 v39, v55, v12
	s_waitcnt lgkmcnt(2)
	v_add_f64 v[9:10], v[2:3], v[9:10]
	s_waitcnt lgkmcnt(0)
	v_add_f64 v[11:12], v[11:12], v[38:39]
	s_or_b32 exec_lo, exec_lo, s51
	s_and_saveexec_b32 s51, s4
	s_cbranch_execnz .LBB166_24
	s_branch .LBB166_25
.LBB166_47:                             ;   in Loop: Header=BB166_9 Depth=1
	ds_read_b128 v[13:16], v56
	s_or_b32 exec_lo, exec_lo, s51
	s_and_saveexec_b32 s51, s4
	s_cbranch_execz .LBB166_29
.LBB166_48:                             ;   in Loop: Header=BB166_9 Depth=1
	s_waitcnt lgkmcnt(0)
	ds_bpermute_b32 v2, v53, v13
	ds_bpermute_b32 v3, v53, v14
	ds_bpermute_b32 v38, v53, v15
	ds_bpermute_b32 v39, v53, v16
	s_waitcnt lgkmcnt(2)
	v_add_f64 v[2:3], v[13:14], v[2:3]
	s_waitcnt lgkmcnt(0)
	v_add_f64 v[13:14], v[15:16], v[38:39]
	ds_bpermute_b32 v15, v54, v2
	ds_bpermute_b32 v16, v54, v3
	ds_bpermute_b32 v38, v54, v13
	ds_bpermute_b32 v39, v54, v14
	s_waitcnt lgkmcnt(2)
	v_add_f64 v[2:3], v[2:3], v[15:16]
	s_waitcnt lgkmcnt(0)
	v_add_f64 v[15:16], v[13:14], v[38:39]
	;; [unrolled: 8-line block ×3, first 2 shown]
	s_or_b32 exec_lo, exec_lo, s51
	s_and_saveexec_b32 s51, s4
	s_cbranch_execnz .LBB166_30
	s_branch .LBB166_31
.LBB166_49:                             ;   in Loop: Header=BB166_9 Depth=1
	ds_read_b128 v[17:20], v56
	s_or_b32 exec_lo, exec_lo, s51
	s_and_saveexec_b32 s51, s4
	s_cbranch_execz .LBB166_35
.LBB166_50:                             ;   in Loop: Header=BB166_9 Depth=1
	s_waitcnt lgkmcnt(0)
	ds_bpermute_b32 v2, v53, v17
	ds_bpermute_b32 v3, v53, v18
	ds_bpermute_b32 v38, v53, v19
	ds_bpermute_b32 v39, v53, v20
	s_waitcnt lgkmcnt(2)
	v_add_f64 v[2:3], v[17:18], v[2:3]
	s_waitcnt lgkmcnt(0)
	v_add_f64 v[17:18], v[19:20], v[38:39]
	ds_bpermute_b32 v19, v54, v2
	ds_bpermute_b32 v20, v54, v3
	ds_bpermute_b32 v38, v54, v17
	ds_bpermute_b32 v39, v54, v18
	s_waitcnt lgkmcnt(2)
	v_add_f64 v[2:3], v[2:3], v[19:20]
	s_waitcnt lgkmcnt(0)
	v_add_f64 v[19:20], v[17:18], v[38:39]
	;; [unrolled: 8-line block ×3, first 2 shown]
	s_or_b32 exec_lo, exec_lo, s51
	s_and_saveexec_b32 s51, s11
	s_cbranch_execz .LBB166_8
.LBB166_51:                             ;   in Loop: Header=BB166_9 Depth=1
	v_mul_f64 v[2:3], s[14:15], v[7:8]
	v_mul_f64 v[7:8], s[12:13], v[7:8]
	;; [unrolled: 1-line block ×6, first 2 shown]
	s_waitcnt lgkmcnt(0)
	v_mul_f64 v[60:61], s[14:15], v[19:20]
	v_mul_f64 v[19:20], s[12:13], v[19:20]
	s_mul_hi_u32 s53, s7, s30
	s_mul_i32 s52, s7, s30
	s_lshl_b64 s[52:53], s[52:53], 4
	s_add_u32 s52, s49, s52
	s_addc_u32 s53, s50, s53
	s_or_b32 s54, s7, 1
	s_mul_hi_u32 s55, s54, s30
	s_mul_i32 s54, s54, s30
	s_lshl_b64 s[54:55], s[54:55], 4
	s_add_u32 s54, s49, s54
	v_fma_f64 v[2:3], s[12:13], v[5:6], -v[2:3]
	v_fma_f64 v[4:5], s[14:15], v[5:6], v[7:8]
	v_fma_f64 v[6:7], s[12:13], v[9:10], -v[38:39]
	v_fma_f64 v[8:9], s[14:15], v[9:10], v[11:12]
	;; [unrolled: 2-line block ×4, first 2 shown]
	s_addc_u32 s55, s50, s55
	s_or_b32 s56, s7, 2
	s_mul_hi_u32 s57, s56, s30
	s_mul_i32 s56, s56, s30
	s_lshl_b64 s[56:57], s[56:57], 4
	s_add_u32 s56, s49, s56
	s_addc_u32 s57, s50, s57
	s_or_b32 s58, s7, 3
	s_mul_hi_u32 s59, s58, s30
	s_mul_i32 s58, s58, s30
	s_lshl_b64 s[58:59], s[58:59], 4
	s_add_u32 s58, s49, s58
	s_addc_u32 s59, s50, s59
	global_store_dwordx4 v1, v[2:5], s[52:53]
	global_store_dwordx4 v1, v[6:9], s[54:55]
	;; [unrolled: 1-line block ×4, first 2 shown]
	s_branch .LBB166_8
.LBB166_52:                             ;   in Loop: Header=BB166_9 Depth=1
	v_mov_b32_e32 v17, 0
	v_mov_b32_e32 v19, 0
	;; [unrolled: 1-line block ×16, first 2 shown]
.LBB166_53:                             ;   in Loop: Header=BB166_9 Depth=1
	s_or_b32 exec_lo, exec_lo, s52
	s_or_b32 exec_lo, exec_lo, s51
	s_and_saveexec_b32 s51, s4
	s_cbranch_execnz .LBB166_12
	s_branch .LBB166_13
.LBB166_54:
	s_mov_b32 s7, 0
.LBB166_55:
	s_cmp_ge_i32 s7, s29
	s_cbranch_scc1 .LBB166_77
; %bb.56:
	v_cmp_gt_u32_e64 s5, 24, v47
	v_mad_i64_i32 v[7:8], null, s36, v45, 0
	v_cmp_gt_u32_e64 s4, 32, v0
	v_cmp_gt_u32_e64 s8, 8, v0
	v_cndmask_b32_e64 v1, 0, 8, s5
	v_cmp_gt_u32_e64 s5, 28, v47
	s_mov_b32 s10, s6
	v_cmp_eq_u32_e64 s6, 0, v0
	s_cmp_gt_i32 s31, 0
	v_add_lshl_u32 v28, v1, v47, 2
	v_cndmask_b32_e64 v2, 0, 4, s5
	v_cmp_gt_u32_e64 s5, 30, v47
	s_mov_b32 s11, 0
	v_mad_i64_i32 v[11:12], null, s36, v44, 0
	v_add_lshl_u32 v29, v2, v47, 2
	v_cndmask_b32_e64 v3, 0, 2, s5
	v_cmp_ne_u32_e64 s5, 31, v47
	v_mad_i64_i32 v[1:2], null, s36, v25, 0
	v_cmp_ge_i32_e32 vcc_lo, s28, v49
	v_add_lshl_u32 v30, v3, v47, 2
	v_add_co_ci_u32_e64 v4, null, 0, v47, s5
	v_cmp_ge_i32_e64 s9, s28, v50
	s_cselect_b32 s28, -1, 0
	v_lshlrev_b64 v[0:1], 4, v[1:2]
	v_lshlrev_b32_e32 v31, 2, v4
	v_mad_i64_i32 v[3:4], null, s36, v48, 0
	s_lshl_b64 s[10:11], s[10:11], 4
	v_lshlrev_b64 v[9:10], 4, v[7:8]
	s_add_u32 s26, s45, s10
	v_add_co_u32 v5, s10, s33, v0
	v_add_co_ci_u32_e64 v6, null, s44, v1, s10
	v_lshlrev_b64 v[2:3], 4, v[3:4]
	s_addc_u32 s27, s46, s11
	s_and_b32 s28, s28, s9
	s_add_u32 s9, s22, s38
	s_mul_hi_u32 s11, s34, s7
	v_lshlrev_b32_e32 v26, 4, v43
	v_add_co_u32 v7, s10, s33, v2
	v_add_co_ci_u32_e64 v8, null, s44, v3, s10
	v_add_co_u32 v9, s10, s33, v9
	v_lshlrev_b64 v[2:3], 4, v[11:12]
	v_add_co_ci_u32_e64 v10, null, s44, v10, s10
	s_addc_u32 s10, s23, s39
	s_add_u32 s24, s9, s24
	s_mul_i32 s9, s35, s7
	s_addc_u32 s25, s10, s25
	s_add_i32 s11, s11, s9
	s_mul_i32 s10, s34, s7
	v_add_co_u32 v11, s9, s33, v2
	s_lshl_b64 s[22:23], s[10:11], 4
	s_lshl_b64 s[10:11], s[36:37], 4
	v_add_co_ci_u32_e64 v12, null, s44, v3, s9
	s_add_u32 s9, s20, s22
	s_addc_u32 s20, s21, s23
	s_add_u32 s9, s9, s18
	s_addc_u32 s18, s20, s19
	s_add_u32 s9, s16, s9
	s_addc_u32 s16, s17, s18
	v_add_co_u32 v2, s9, s9, v23
	v_add_co_ci_u32_e64 v3, null, s16, v24, s9
	v_add_co_u32 v13, s9, s24, v0
	v_add_co_ci_u32_e64 v14, null, s25, v1, s9
	v_add_co_u32 v15, s9, v2, 8
	v_lshl_or_b32 v27, v47, 2, 64
	v_cmp_eq_u32_e64 s5, 0, v43
	v_and_b32_e32 v25, 0x70, v46
	v_add_co_ci_u32_e64 v16, null, 0, v3, s9
	v_mov_b32_e32 v0, 0
	s_lshl_b64 s[16:17], s[34:35], 4
	s_branch .LBB166_58
.LBB166_57:                             ;   in Loop: Header=BB166_58 Depth=1
	s_or_b32 exec_lo, exec_lo, s9
	v_add_co_u32 v15, s9, v15, s16
	v_add_co_ci_u32_e64 v16, null, s17, v16, s9
	s_add_i32 s7, s7, 1
	s_cmp_lt_i32 s7, s29
	s_cbranch_scc0 .LBB166_77
.LBB166_58:                             ; =>This Loop Header: Depth=1
                                        ;     Child Loop BB166_70 Depth 2
                                        ;     Child Loop BB166_72 Depth 2
                                        ; implicit-def: $vgpr17_vgpr18
                                        ; implicit-def: $vgpr19_vgpr20
	s_and_saveexec_b32 s9, vcc_lo
	s_xor_b32 s18, exec_lo, s9
	s_cbranch_execnz .LBB166_67
; %bb.59:                               ;   in Loop: Header=BB166_58 Depth=1
	s_andn2_saveexec_b32 s18, s18
	s_cbranch_execnz .LBB166_68
.LBB166_60:                             ;   in Loop: Header=BB166_58 Depth=1
	s_or_b32 exec_lo, exec_lo, s18
	s_and_saveexec_b32 s9, s4
	s_cbranch_execz .LBB166_62
.LBB166_61:                             ;   in Loop: Header=BB166_58 Depth=1
	s_waitcnt lgkmcnt(0)
	v_mov_b32_e32 v1, v0
	v_mov_b32_e32 v2, v0
	;; [unrolled: 1-line block ×3, first 2 shown]
	ds_write_b128 v26, v[0:3]
.LBB166_62:                             ;   in Loop: Header=BB166_58 Depth=1
	s_or_b32 exec_lo, exec_lo, s9
	s_waitcnt lgkmcnt(0)
	ds_bpermute_b32 v1, v27, v17
	ds_bpermute_b32 v2, v27, v18
	;; [unrolled: 1-line block ×4, first 2 shown]
	s_waitcnt lgkmcnt(0)
	s_waitcnt_vscnt null, 0x0
	s_barrier
	buffer_gl0_inv
	v_add_f64 v[1:2], v[17:18], v[1:2]
	v_add_f64 v[3:4], v[19:20], v[3:4]
	ds_bpermute_b32 v17, v28, v1
	ds_bpermute_b32 v18, v28, v2
	ds_bpermute_b32 v19, v28, v3
	ds_bpermute_b32 v20, v28, v4
	s_waitcnt lgkmcnt(2)
	v_add_f64 v[1:2], v[1:2], v[17:18]
	s_waitcnt lgkmcnt(0)
	v_add_f64 v[3:4], v[3:4], v[19:20]
	ds_bpermute_b32 v17, v29, v1
	ds_bpermute_b32 v18, v29, v2
	ds_bpermute_b32 v19, v29, v3
	ds_bpermute_b32 v20, v29, v4
	s_waitcnt lgkmcnt(2)
	v_add_f64 v[1:2], v[1:2], v[17:18]
	s_waitcnt lgkmcnt(0)
	;; [unrolled: 8-line block ×3, first 2 shown]
	v_add_f64 v[17:18], v[3:4], v[19:20]
	ds_bpermute_b32 v3, v31, v1
	ds_bpermute_b32 v4, v31, v2
	;; [unrolled: 1-line block ×4, first 2 shown]
	s_and_saveexec_b32 s9, s5
	s_cbranch_execz .LBB166_64
; %bb.63:                               ;   in Loop: Header=BB166_58 Depth=1
	s_waitcnt lgkmcnt(0)
	v_add_f64 v[19:20], v[17:18], v[19:20]
	v_add_f64 v[17:18], v[1:2], v[3:4]
	ds_write_b128 v25, v[17:20]
.LBB166_64:                             ;   in Loop: Header=BB166_58 Depth=1
	s_or_b32 exec_lo, exec_lo, s9
	s_waitcnt lgkmcnt(2)
	v_mov_b32_e32 v3, 0
	v_mov_b32_e32 v1, 0
	;; [unrolled: 1-line block ×4, first 2 shown]
	s_waitcnt lgkmcnt(0)
	s_barrier
	buffer_gl0_inv
	s_and_saveexec_b32 s9, s8
	s_cbranch_execnz .LBB166_74
; %bb.65:                               ;   in Loop: Header=BB166_58 Depth=1
	s_or_b32 exec_lo, exec_lo, s9
	s_and_saveexec_b32 s9, s4
	s_cbranch_execnz .LBB166_75
.LBB166_66:                             ;   in Loop: Header=BB166_58 Depth=1
	s_or_b32 exec_lo, exec_lo, s9
	s_and_saveexec_b32 s9, s6
	s_cbranch_execz .LBB166_57
	s_branch .LBB166_76
.LBB166_67:                             ;   in Loop: Header=BB166_58 Depth=1
	s_waitcnt lgkmcnt(0)
	global_load_dwordx4 v[1:4], v[7:8], off
	s_waitcnt lgkmcnt(0)
	s_clause 0x1
	global_load_dwordx4 v[17:20], v[9:10], off
	global_load_dwordx4 v[32:35], v[11:12], off
	s_mul_i32 s9, s7, s35
	s_mul_hi_u32 s19, s7, s34
	s_mul_i32 s20, s7, s34
	s_add_i32 s21, s19, s9
	s_lshl_b64 s[20:21], s[20:21], 4
	v_add_co_u32 v23, s9, v21, s20
	v_add_co_ci_u32_e64 v24, null, s21, v22, s9
	global_load_dwordx4 v[36:39], v[5:6], off
	s_clause 0x1
	global_load_dwordx4 v[43:46], v[23:24], off
	global_load_dwordx4 v[47:50], v[23:24], off offset:16
	s_waitcnt vmcnt(5)
	buffer_store_dword v4, v40, s[0:3], 0 offen offset:12
	buffer_store_dword v3, v40, s[0:3], 0 offen offset:8
	s_waitcnt vmcnt(4)
	buffer_store_dword v20, v41, s[0:3], 0 offen offset:12
	buffer_store_dword v19, v41, s[0:3], 0 offen offset:8
	;; [unrolled: 1-line block ×3, first 2 shown]
	buffer_store_dword v17, v41, s[0:3], 0 offen
	s_clause 0x4
	buffer_load_dword v52, off, s[0:3], 0 offset:28
	buffer_load_dword v53, off, s[0:3], 0 offset:32
	;; [unrolled: 1-line block ×5, first 2 shown]
	buffer_store_dword v2, v40, s[0:3], 0 offen offset:4
	buffer_store_dword v1, v40, s[0:3], 0 offen
	global_load_dwordx4 v[1:4], v[23:24], off offset:32
	s_clause 0x2
	buffer_load_dword v56, off, s[0:3], 0 offset:44
	buffer_load_dword v57, off, s[0:3], 0 offset:16
	;; [unrolled: 1-line block ×3, first 2 shown]
	global_load_dwordx4 v[17:20], v[23:24], off offset:48
	s_waitcnt vmcnt(13)
	buffer_store_dword v35, v42, s[0:3], 0 offen offset:12
	buffer_store_dword v34, v42, s[0:3], 0 offen offset:8
	s_clause 0x1
	buffer_load_dword v24, off, s[0:3], 0 offset:60
	buffer_load_dword v23, off, s[0:3], 0 offset:56
	buffer_store_dword v33, v42, s[0:3], 0 offen offset:4
	buffer_store_dword v32, v42, s[0:3], 0 offen
	s_clause 0x1
	buffer_load_dword v32, off, s[0:3], 0 offset:48
	buffer_load_dword v33, off, s[0:3], 0 offset:52
	s_waitcnt vmcnt(16)
	buffer_store_dword v39, off, s[0:3], 0 offset:12
	buffer_store_dword v38, off, s[0:3], 0 offset:8
	;; [unrolled: 1-line block ×3, first 2 shown]
	buffer_store_dword v36, off, s[0:3], 0
	s_waitcnt vmcnt(15)
	v_mul_f64 v[34:35], v[45:46], v[38:39]
	v_mul_f64 v[59:60], v[43:44], v[38:39]
	v_fma_f64 v[34:35], v[43:44], v[36:37], -v[34:35]
	v_fma_f64 v[43:44], v[45:46], v[36:37], v[59:60]
	v_add_f64 v[34:35], v[34:35], 0
	v_add_f64 v[43:44], v[43:44], 0
	s_waitcnt vmcnt(9)
	v_mul_f64 v[45:46], v[49:50], v[51:52]
	v_mul_f64 v[51:52], v[47:48], v[51:52]
	s_waitcnt vmcnt(7)
	v_mul_f64 v[59:60], v[3:4], v[55:56]
	v_mul_f64 v[55:56], v[1:2], v[55:56]
	s_waitcnt vmcnt(5)
	v_fma_f64 v[45:46], v[47:48], v[57:58], -v[45:46]
	v_fma_f64 v[47:48], v[49:50], v[57:58], v[51:52]
	s_waitcnt vmcnt(2)
	v_mul_f64 v[49:50], v[19:20], v[23:24]
	v_mul_f64 v[23:24], v[17:18], v[23:24]
	v_fma_f64 v[1:2], v[1:2], v[53:54], -v[59:60]
	v_fma_f64 v[3:4], v[3:4], v[53:54], v[55:56]
	v_add_f64 v[34:35], v[34:35], v[45:46]
	v_add_f64 v[43:44], v[43:44], v[47:48]
	s_waitcnt vmcnt(0)
	v_fma_f64 v[17:18], v[17:18], v[32:33], -v[49:50]
	v_fma_f64 v[19:20], v[19:20], v[32:33], v[23:24]
	v_add_f64 v[1:2], v[34:35], v[1:2]
	v_add_f64 v[3:4], v[43:44], v[3:4]
	;; [unrolled: 1-line block ×4, first 2 shown]
	s_andn2_saveexec_b32 s18, s18
	s_cbranch_execz .LBB166_60
.LBB166_68:                             ;   in Loop: Header=BB166_58 Depth=1
	s_waitcnt lgkmcnt(0)
	v_mov_b32_e32 v17, 0
	v_mov_b32_e32 v19, 0
	;; [unrolled: 1-line block ×4, first 2 shown]
	s_and_saveexec_b32 s19, s28
	s_cbranch_execz .LBB166_73
; %bb.69:                               ;   in Loop: Header=BB166_58 Depth=1
	v_mov_b32_e32 v1, v13
	v_mov_b32_e32 v2, v14
	s_mov_b32 s20, 0
	s_mov_b32 s21, s31
	.p2align	6
.LBB166_70:                             ;   Parent Loop BB166_58 Depth=1
                                        ; =>  This Inner Loop Header: Depth=2
	global_load_dwordx4 v[17:20], v[1:2], off
	v_add_co_u32 v1, s9, v1, s10
	v_mov_b32_e32 v3, s20
	v_add_co_ci_u32_e64 v2, null, s11, v2, s9
	s_add_i32 s21, s21, -1
	s_add_i32 s20, s20, 16
	s_cmp_eq_u32 s21, 0
	s_waitcnt vmcnt(0)
	buffer_store_dword v20, v3, s[0:3], 0 offen offset:12
	buffer_store_dword v19, v3, s[0:3], 0 offen offset:8
	;; [unrolled: 1-line block ×3, first 2 shown]
	buffer_store_dword v17, v3, s[0:3], 0 offen
	s_cbranch_scc0 .LBB166_70
; %bb.71:                               ;   in Loop: Header=BB166_58 Depth=1
	v_mov_b32_e32 v17, 0
	v_mov_b32_e32 v19, 0
	;; [unrolled: 1-line block ×6, first 2 shown]
	s_mov_b32 s20, 0
	s_mov_b32 s21, s31
	.p2align	6
.LBB166_72:                             ;   Parent Loop BB166_58 Depth=1
                                        ; =>  This Inner Loop Header: Depth=2
	v_mov_b32_e32 v24, s20
	global_load_dwordx4 v[32:35], v[1:2], off offset:-8
	v_add_co_u32 v1, s9, v1, 16
	v_add_co_ci_u32_e64 v2, null, 0, v2, s9
	s_clause 0x3
	buffer_load_dword v3, v24, s[0:3], 0 offen offset:8
	buffer_load_dword v4, v24, s[0:3], 0 offen offset:12
	buffer_load_dword v23, v24, s[0:3], 0 offen
	buffer_load_dword v24, v24, s[0:3], 0 offen offset:4
	s_add_i32 s21, s21, -1
	s_add_i32 s20, s20, 16
	s_cmp_lg_u32 s21, 0
	s_waitcnt vmcnt(2)
	v_mul_f64 v[36:37], v[34:35], v[3:4]
	v_mul_f64 v[3:4], v[32:33], v[3:4]
	s_waitcnt vmcnt(0)
	v_fma_f64 v[32:33], v[32:33], v[23:24], -v[36:37]
	v_fma_f64 v[3:4], v[34:35], v[23:24], v[3:4]
	v_add_f64 v[17:18], v[17:18], v[32:33]
	v_add_f64 v[19:20], v[19:20], v[3:4]
	s_cbranch_scc1 .LBB166_72
.LBB166_73:                             ;   in Loop: Header=BB166_58 Depth=1
	s_or_b32 exec_lo, exec_lo, s19
	s_or_b32 exec_lo, exec_lo, s18
	s_and_saveexec_b32 s9, s4
	s_cbranch_execnz .LBB166_61
	s_branch .LBB166_62
.LBB166_74:                             ;   in Loop: Header=BB166_58 Depth=1
	ds_read_b128 v[1:4], v26
	s_or_b32 exec_lo, exec_lo, s9
	s_and_saveexec_b32 s9, s4
	s_cbranch_execz .LBB166_66
.LBB166_75:                             ;   in Loop: Header=BB166_58 Depth=1
	s_waitcnt lgkmcnt(0)
	ds_bpermute_b32 v17, v29, v1
	ds_bpermute_b32 v18, v29, v2
	ds_bpermute_b32 v19, v29, v3
	ds_bpermute_b32 v20, v29, v4
	s_waitcnt lgkmcnt(2)
	v_add_f64 v[1:2], v[1:2], v[17:18]
	s_waitcnt lgkmcnt(0)
	v_add_f64 v[3:4], v[3:4], v[19:20]
	ds_bpermute_b32 v17, v30, v1
	ds_bpermute_b32 v18, v30, v2
	ds_bpermute_b32 v19, v30, v3
	ds_bpermute_b32 v20, v30, v4
	s_waitcnt lgkmcnt(2)
	v_add_f64 v[1:2], v[1:2], v[17:18]
	s_waitcnt lgkmcnt(0)
	v_add_f64 v[3:4], v[3:4], v[19:20]
	;; [unrolled: 8-line block ×3, first 2 shown]
	s_or_b32 exec_lo, exec_lo, s9
	s_and_saveexec_b32 s9, s6
	s_cbranch_execz .LBB166_57
.LBB166_76:                             ;   in Loop: Header=BB166_58 Depth=1
	s_waitcnt lgkmcnt(0)
	v_mul_f64 v[17:18], s[14:15], v[3:4]
	v_mul_f64 v[3:4], s[12:13], v[3:4]
	s_mul_hi_u32 s19, s7, s30
	s_mul_i32 s18, s7, s30
	s_lshl_b64 s[18:19], s[18:19], 4
	s_add_u32 s18, s26, s18
	s_addc_u32 s19, s27, s19
	v_fma_f64 v[17:18], s[12:13], v[1:2], -v[17:18]
	v_fma_f64 v[19:20], s[14:15], v[1:2], v[3:4]
	global_store_dwordx4 v0, v[17:20], s[18:19]
	s_branch .LBB166_57
.LBB166_77:
	s_endpgm
	.section	.rodata,"a",@progbits
	.p2align	6, 0x0
	.amdhsa_kernel _ZL23rocblas_gemvt_sn_kernelILb0ELi256ELi4El19rocblas_complex_numIdES1_S1_EviiT4_lPKT3_lilS5_lilPT5_i
		.amdhsa_group_segment_fixed_size 512
		.amdhsa_private_segment_fixed_size 80
		.amdhsa_kernarg_size 368
		.amdhsa_user_sgpr_count 6
		.amdhsa_user_sgpr_private_segment_buffer 1
		.amdhsa_user_sgpr_dispatch_ptr 0
		.amdhsa_user_sgpr_queue_ptr 0
		.amdhsa_user_sgpr_kernarg_segment_ptr 1
		.amdhsa_user_sgpr_dispatch_id 0
		.amdhsa_user_sgpr_flat_scratch_init 0
		.amdhsa_user_sgpr_private_segment_size 0
		.amdhsa_wavefront_size32 1
		.amdhsa_uses_dynamic_stack 0
		.amdhsa_system_sgpr_private_segment_wavefront_offset 1
		.amdhsa_system_sgpr_workgroup_id_x 1
		.amdhsa_system_sgpr_workgroup_id_y 0
		.amdhsa_system_sgpr_workgroup_id_z 1
		.amdhsa_system_sgpr_workgroup_info 0
		.amdhsa_system_vgpr_workitem_id 0
		.amdhsa_next_free_vgpr 126
		.amdhsa_next_free_sgpr 65
		.amdhsa_reserve_vcc 1
		.amdhsa_reserve_flat_scratch 0
		.amdhsa_float_round_mode_32 0
		.amdhsa_float_round_mode_16_64 0
		.amdhsa_float_denorm_mode_32 3
		.amdhsa_float_denorm_mode_16_64 3
		.amdhsa_dx10_clamp 1
		.amdhsa_ieee_mode 1
		.amdhsa_fp16_overflow 0
		.amdhsa_workgroup_processor_mode 1
		.amdhsa_memory_ordered 1
		.amdhsa_forward_progress 1
		.amdhsa_shared_vgpr_count 0
		.amdhsa_exception_fp_ieee_invalid_op 0
		.amdhsa_exception_fp_denorm_src 0
		.amdhsa_exception_fp_ieee_div_zero 0
		.amdhsa_exception_fp_ieee_overflow 0
		.amdhsa_exception_fp_ieee_underflow 0
		.amdhsa_exception_fp_ieee_inexact 0
		.amdhsa_exception_int_div_zero 0
	.end_amdhsa_kernel
	.section	.text._ZL23rocblas_gemvt_sn_kernelILb0ELi256ELi4El19rocblas_complex_numIdES1_S1_EviiT4_lPKT3_lilS5_lilPT5_i,"axG",@progbits,_ZL23rocblas_gemvt_sn_kernelILb0ELi256ELi4El19rocblas_complex_numIdES1_S1_EviiT4_lPKT3_lilS5_lilPT5_i,comdat
.Lfunc_end166:
	.size	_ZL23rocblas_gemvt_sn_kernelILb0ELi256ELi4El19rocblas_complex_numIdES1_S1_EviiT4_lPKT3_lilS5_lilPT5_i, .Lfunc_end166-_ZL23rocblas_gemvt_sn_kernelILb0ELi256ELi4El19rocblas_complex_numIdES1_S1_EviiT4_lPKT3_lilS5_lilPT5_i
                                        ; -- End function
	.set _ZL23rocblas_gemvt_sn_kernelILb0ELi256ELi4El19rocblas_complex_numIdES1_S1_EviiT4_lPKT3_lilS5_lilPT5_i.num_vgpr, 126
	.set _ZL23rocblas_gemvt_sn_kernelILb0ELi256ELi4El19rocblas_complex_numIdES1_S1_EviiT4_lPKT3_lilS5_lilPT5_i.num_agpr, 0
	.set _ZL23rocblas_gemvt_sn_kernelILb0ELi256ELi4El19rocblas_complex_numIdES1_S1_EviiT4_lPKT3_lilS5_lilPT5_i.numbered_sgpr, 65
	.set _ZL23rocblas_gemvt_sn_kernelILb0ELi256ELi4El19rocblas_complex_numIdES1_S1_EviiT4_lPKT3_lilS5_lilPT5_i.num_named_barrier, 0
	.set _ZL23rocblas_gemvt_sn_kernelILb0ELi256ELi4El19rocblas_complex_numIdES1_S1_EviiT4_lPKT3_lilS5_lilPT5_i.private_seg_size, 80
	.set _ZL23rocblas_gemvt_sn_kernelILb0ELi256ELi4El19rocblas_complex_numIdES1_S1_EviiT4_lPKT3_lilS5_lilPT5_i.uses_vcc, 1
	.set _ZL23rocblas_gemvt_sn_kernelILb0ELi256ELi4El19rocblas_complex_numIdES1_S1_EviiT4_lPKT3_lilS5_lilPT5_i.uses_flat_scratch, 0
	.set _ZL23rocblas_gemvt_sn_kernelILb0ELi256ELi4El19rocblas_complex_numIdES1_S1_EviiT4_lPKT3_lilS5_lilPT5_i.has_dyn_sized_stack, 0
	.set _ZL23rocblas_gemvt_sn_kernelILb0ELi256ELi4El19rocblas_complex_numIdES1_S1_EviiT4_lPKT3_lilS5_lilPT5_i.has_recursion, 0
	.set _ZL23rocblas_gemvt_sn_kernelILb0ELi256ELi4El19rocblas_complex_numIdES1_S1_EviiT4_lPKT3_lilS5_lilPT5_i.has_indirect_call, 0
	.section	.AMDGPU.csdata,"",@progbits
; Kernel info:
; codeLenInByte = 7984
; TotalNumSgprs: 67
; NumVgprs: 126
; ScratchSize: 80
; MemoryBound: 0
; FloatMode: 240
; IeeeMode: 1
; LDSByteSize: 512 bytes/workgroup (compile time only)
; SGPRBlocks: 0
; VGPRBlocks: 15
; NumSGPRsForWavesPerEU: 67
; NumVGPRsForWavesPerEU: 126
; Occupancy: 8
; WaveLimiterHint : 1
; COMPUTE_PGM_RSRC2:SCRATCH_EN: 1
; COMPUTE_PGM_RSRC2:USER_SGPR: 6
; COMPUTE_PGM_RSRC2:TRAP_HANDLER: 0
; COMPUTE_PGM_RSRC2:TGID_X_EN: 1
; COMPUTE_PGM_RSRC2:TGID_Y_EN: 0
; COMPUTE_PGM_RSRC2:TGID_Z_EN: 1
; COMPUTE_PGM_RSRC2:TIDIG_COMP_CNT: 0
	.section	.text._ZL23rocblas_gemvt_sn_reduceILi256ELi8E19rocblas_complex_numIdES1_S1_EviT2_lPT3_lilPT1_i,"axG",@progbits,_ZL23rocblas_gemvt_sn_reduceILi256ELi8E19rocblas_complex_numIdES1_S1_EviT2_lPT3_lilPT1_i,comdat
	.globl	_ZL23rocblas_gemvt_sn_reduceILi256ELi8E19rocblas_complex_numIdES1_S1_EviT2_lPT3_lilPT1_i ; -- Begin function _ZL23rocblas_gemvt_sn_reduceILi256ELi8E19rocblas_complex_numIdES1_S1_EviT2_lPT3_lilPT1_i
	.p2align	8
	.type	_ZL23rocblas_gemvt_sn_reduceILi256ELi8E19rocblas_complex_numIdES1_S1_EviT2_lPT3_lilPT1_i,@function
_ZL23rocblas_gemvt_sn_reduceILi256ELi8E19rocblas_complex_numIdES1_S1_EviT2_lPT3_lilPT1_i: ; @_ZL23rocblas_gemvt_sn_reduceILi256ELi8E19rocblas_complex_numIdES1_S1_EviT2_lPT3_lilPT1_i
; %bb.0:
	s_clause 0x2
	s_load_dword s0, s[4:5], 0x54
	s_load_dword s6, s[4:5], 0x0
	s_load_dwordx2 s[2:3], s[4:5], 0x40
	v_mov_b32_e32 v1, 0
	v_mov_b32_e32 v3, 0
	v_lshlrev_b32_e32 v7, 3, v0
	v_mov_b32_e32 v2, 0
	v_mov_b32_e32 v4, 0
	s_waitcnt lgkmcnt(0)
	s_mul_i32 s10, s0, s8
	s_ashr_i32 s9, s6, 31
	s_add_u32 s0, s4, 0x50
	s_addc_u32 s1, s5, 0
	s_add_i32 s10, s10, s7
	s_lshr_b32 s11, s9, 29
	s_mul_i32 s12, s10, s9
	s_add_i32 s9, s6, s11
	s_mul_hi_u32 s11, s10, s6
	s_and_b32 s9, s9, -8
	s_add_i32 s11, s11, s12
	s_mul_i32 s10, s10, s6
	s_mov_b32 s12, exec_lo
	v_cmpx_gt_i32_e64 s9, v7
	s_cbranch_execz .LBB167_4
; %bb.1:
	s_load_dword s0, s[0:1], 0xc
	v_lshlrev_b32_e32 v3, 7, v0
	s_lshl_b64 s[14:15], s[10:11], 4
	v_mov_b32_e32 v1, 0
	v_mov_b32_e32 v2, 0
	s_waitcnt lgkmcnt(0)
	s_and_b32 s0, s0, 0xffff
	s_lshl_b32 s1, s0, 3
	s_add_u32 s13, s2, s14
	s_addc_u32 s14, s3, s15
	v_add_co_u32 v5, s13, s13, v3
	v_add_co_ci_u32_e64 v6, null, s14, 0, s13
	v_mov_b32_e32 v3, 0
	v_add_co_u32 v5, vcc_lo, 0x78, v5
	v_mov_b32_e32 v4, 0
	v_add_co_ci_u32_e64 v6, null, 0, v6, vcc_lo
	s_mov_b32 s13, 0
	s_lshl_b32 s14, s0, 7
.LBB167_2:                              ; =>This Inner Loop Header: Depth=1
	s_clause 0x7
	global_load_dwordx4 v[8:11], v[5:6], off offset:-120
	global_load_dwordx4 v[12:15], v[5:6], off offset:-104
	;; [unrolled: 1-line block ×8, first 2 shown]
	v_add_nc_u32_e32 v7, s1, v7
	v_add_co_u32 v5, s0, v5, s14
	v_add_co_ci_u32_e64 v6, null, 0, v6, s0
	v_cmp_le_i32_e32 vcc_lo, s9, v7
	s_or_b32 s13, vcc_lo, s13
	s_waitcnt vmcnt(7)
	v_add_f64 v[3:4], v[3:4], v[8:9]
	v_add_f64 v[1:2], v[1:2], v[10:11]
	s_waitcnt vmcnt(6)
	v_add_f64 v[3:4], v[3:4], v[12:13]
	v_add_f64 v[1:2], v[1:2], v[14:15]
	;; [unrolled: 3-line block ×8, first 2 shown]
	s_andn2_b32 exec_lo, exec_lo, s13
	s_cbranch_execnz .LBB167_2
; %bb.3:
	s_or_b32 exec_lo, exec_lo, s13
.LBB167_4:
	s_or_b32 exec_lo, exec_lo, s12
	s_load_dwordx4 s[12:15], s[4:5], 0x8
	s_sub_i32 s0, s6, s9
	v_cmp_gt_u32_e32 vcc_lo, s0, v0
	s_and_saveexec_b32 s0, vcc_lo
	s_cbranch_execz .LBB167_6
; %bb.5:
	v_xad_u32 v5, v0, -1, s6
	v_mov_b32_e32 v6, 0
	s_lshl_b64 s[10:11], s[10:11], 4
	s_add_u32 s1, s2, s10
	s_addc_u32 s2, s3, s11
	v_lshlrev_b64 v[5:6], 4, v[5:6]
	v_add_co_u32 v5, vcc_lo, s1, v5
	v_add_co_ci_u32_e64 v6, null, s2, v6, vcc_lo
	global_load_dwordx4 v[5:8], v[5:6], off
	s_waitcnt vmcnt(0)
	v_add_f64 v[3:4], v[3:4], v[5:6]
	v_add_f64 v[1:2], v[1:2], v[7:8]
.LBB167_6:
	s_or_b32 exec_lo, exec_lo, s0
	v_and_b32_e32 v13, 31, v0
	v_cmp_gt_u32_e32 vcc_lo, 32, v0
	v_lshlrev_b32_e32 v9, 4, v13
	s_and_saveexec_b32 s0, vcc_lo
	s_cbranch_execz .LBB167_8
; %bb.7:
	v_mov_b32_e32 v5, 0
	v_mov_b32_e32 v6, v5
	;; [unrolled: 1-line block ×4, first 2 shown]
	ds_write_b128 v9, v[5:8]
.LBB167_8:
	s_or_b32 exec_lo, exec_lo, s0
	v_mbcnt_lo_u32_b32 v12, -1, 0
	s_mov_b32 s1, exec_lo
	s_waitcnt lgkmcnt(0)
	s_barrier
	buffer_gl0_inv
	v_lshl_or_b32 v8, v12, 2, 64
	v_cmp_gt_u32_e64 s0, 24, v12
	ds_bpermute_b32 v5, v8, v3
	ds_bpermute_b32 v6, v8, v4
	;; [unrolled: 1-line block ×4, first 2 shown]
	s_waitcnt lgkmcnt(2)
	v_add_f64 v[3:4], v[3:4], v[5:6]
	v_cndmask_b32_e64 v5, 0, 8, s0
	s_waitcnt lgkmcnt(0)
	v_add_f64 v[1:2], v[1:2], v[7:8]
	v_cmp_gt_u32_e64 s0, 28, v12
	v_add_lshl_u32 v8, v5, v12, 2
	ds_bpermute_b32 v5, v8, v3
	ds_bpermute_b32 v6, v8, v4
	;; [unrolled: 1-line block ×4, first 2 shown]
	s_waitcnt lgkmcnt(2)
	v_add_f64 v[3:4], v[3:4], v[5:6]
	v_cndmask_b32_e64 v5, 0, 4, s0
	s_waitcnt lgkmcnt(0)
	v_add_f64 v[1:2], v[1:2], v[7:8]
	v_cmp_gt_u32_e64 s0, 30, v12
	v_add_lshl_u32 v10, v5, v12, 2
	ds_bpermute_b32 v5, v10, v3
	ds_bpermute_b32 v6, v10, v4
	;; [unrolled: 1-line block ×4, first 2 shown]
	s_waitcnt lgkmcnt(2)
	v_add_f64 v[3:4], v[3:4], v[5:6]
	s_waitcnt lgkmcnt(0)
	v_add_f64 v[5:6], v[1:2], v[7:8]
	v_cndmask_b32_e64 v1, 0, 2, s0
	v_cmp_ne_u32_e64 s0, 31, v12
	v_add_lshl_u32 v11, v1, v12, 2
	ds_bpermute_b32 v1, v11, v3
	ds_bpermute_b32 v2, v11, v4
	;; [unrolled: 1-line block ×4, first 2 shown]
	s_waitcnt lgkmcnt(2)
	v_add_f64 v[1:2], v[3:4], v[1:2]
	s_waitcnt lgkmcnt(0)
	v_add_f64 v[3:4], v[5:6], v[7:8]
	v_add_co_ci_u32_e64 v5, null, 0, v12, s0
	v_lshlrev_b32_e32 v12, 2, v5
	ds_bpermute_b32 v5, v12, v1
	ds_bpermute_b32 v6, v12, v2
	;; [unrolled: 1-line block ×4, first 2 shown]
	v_cmpx_eq_u32_e32 0, v13
	s_cbranch_execz .LBB167_10
; %bb.9:
	s_waitcnt lgkmcnt(0)
	v_add_f64 v[3:4], v[3:4], v[7:8]
	v_add_f64 v[1:2], v[1:2], v[5:6]
	v_lshrrev_b32_e32 v5, 1, v0
	v_and_b32_e32 v5, 0x70, v5
	ds_write_b128 v5, v[1:4]
.LBB167_10:
	s_or_b32 exec_lo, exec_lo, s1
	v_mov_b32_e32 v3, 0
	v_mov_b32_e32 v1, 0
	;; [unrolled: 1-line block ×4, first 2 shown]
	s_mov_b32 s1, exec_lo
	s_waitcnt lgkmcnt(0)
	s_barrier
	buffer_gl0_inv
	v_cmpx_gt_u32_e32 8, v0
; %bb.11:
	ds_read_b128 v[1:4], v9
; %bb.12:
	s_or_b32 exec_lo, exec_lo, s1
	s_and_saveexec_b32 s0, vcc_lo
	s_cbranch_execz .LBB167_14
; %bb.13:
	s_waitcnt lgkmcnt(0)
	ds_bpermute_b32 v5, v10, v1
	ds_bpermute_b32 v6, v10, v2
	ds_bpermute_b32 v7, v10, v3
	ds_bpermute_b32 v8, v10, v4
	s_waitcnt lgkmcnt(2)
	v_add_f64 v[1:2], v[1:2], v[5:6]
	s_waitcnt lgkmcnt(0)
	v_add_f64 v[3:4], v[3:4], v[7:8]
	ds_bpermute_b32 v5, v11, v1
	ds_bpermute_b32 v6, v11, v2
	ds_bpermute_b32 v7, v11, v3
	ds_bpermute_b32 v8, v11, v4
	s_waitcnt lgkmcnt(2)
	v_add_f64 v[1:2], v[1:2], v[5:6]
	s_waitcnt lgkmcnt(0)
	v_add_f64 v[3:4], v[3:4], v[7:8]
	;; [unrolled: 8-line block ×3, first 2 shown]
.LBB167_14:
	s_or_b32 exec_lo, exec_lo, s0
	s_mov_b32 s0, exec_lo
	v_cmpx_eq_u32_e32 0, v0
	s_cbranch_execz .LBB167_18
; %bb.15:
	s_clause 0x2
	s_load_dwordx2 s[10:11], s[4:5], 0x38
	s_load_dword s6, s[4:5], 0x30
	s_load_dwordx4 s[0:3], s[4:5], 0x20
	v_cmp_neq_f64_e64 s9, s[12:13], 0
	v_cmp_neq_f64_e64 s16, s[14:15], 0
	s_waitcnt lgkmcnt(0)
	s_mul_i32 s5, s11, s8
	s_mul_hi_u32 s11, s10, s8
	s_mul_i32 s4, s10, s8
	s_add_i32 s5, s11, s5
	s_ashr_i32 s8, s6, 31
	s_lshl_b64 s[4:5], s[4:5], 4
	s_mul_i32 s8, s8, s7
	s_add_u32 s4, s0, s4
	s_addc_u32 s5, s1, s5
	s_lshl_b64 s[0:1], s[2:3], 4
	s_add_u32 s2, s4, s0
	s_addc_u32 s3, s5, s1
	s_or_b32 s0, s9, s16
	s_mul_hi_u32 s1, s6, s7
	s_andn2_b32 vcc_lo, exec_lo, s0
	s_add_i32 s1, s1, s8
	s_mul_i32 s0, s6, s7
	s_cbranch_vccnz .LBB167_17
; %bb.16:
	s_lshl_b64 s[4:5], s[0:1], 4
	s_add_u32 s4, s2, s4
	s_addc_u32 s5, s3, s5
	s_load_dwordx4 s[4:7], s[4:5], 0x0
	s_waitcnt lgkmcnt(0)
	v_mul_f64 v[5:6], s[14:15], s[6:7]
	v_mul_f64 v[7:8], s[12:13], s[6:7]
	v_fma_f64 v[5:6], s[12:13], s[4:5], -v[5:6]
	v_fma_f64 v[7:8], s[14:15], s[4:5], v[7:8]
	v_add_f64 v[1:2], v[1:2], v[5:6]
	v_add_f64 v[3:4], v[3:4], v[7:8]
.LBB167_17:
	s_lshl_b64 s[0:1], s[0:1], 4
	v_mov_b32_e32 v0, 0
	s_add_u32 s0, s2, s0
	s_addc_u32 s1, s3, s1
	global_store_dwordx4 v0, v[1:4], s[0:1]
.LBB167_18:
	s_endpgm
	.section	.rodata,"a",@progbits
	.p2align	6, 0x0
	.amdhsa_kernel _ZL23rocblas_gemvt_sn_reduceILi256ELi8E19rocblas_complex_numIdES1_S1_EviT2_lPT3_lilPT1_i
		.amdhsa_group_segment_fixed_size 512
		.amdhsa_private_segment_fixed_size 0
		.amdhsa_kernarg_size 336
		.amdhsa_user_sgpr_count 6
		.amdhsa_user_sgpr_private_segment_buffer 1
		.amdhsa_user_sgpr_dispatch_ptr 0
		.amdhsa_user_sgpr_queue_ptr 0
		.amdhsa_user_sgpr_kernarg_segment_ptr 1
		.amdhsa_user_sgpr_dispatch_id 0
		.amdhsa_user_sgpr_flat_scratch_init 0
		.amdhsa_user_sgpr_private_segment_size 0
		.amdhsa_wavefront_size32 1
		.amdhsa_uses_dynamic_stack 0
		.amdhsa_system_sgpr_private_segment_wavefront_offset 0
		.amdhsa_system_sgpr_workgroup_id_x 1
		.amdhsa_system_sgpr_workgroup_id_y 1
		.amdhsa_system_sgpr_workgroup_id_z 1
		.amdhsa_system_sgpr_workgroup_info 0
		.amdhsa_system_vgpr_workitem_id 0
		.amdhsa_next_free_vgpr 40
		.amdhsa_next_free_sgpr 17
		.amdhsa_reserve_vcc 1
		.amdhsa_reserve_flat_scratch 0
		.amdhsa_float_round_mode_32 0
		.amdhsa_float_round_mode_16_64 0
		.amdhsa_float_denorm_mode_32 3
		.amdhsa_float_denorm_mode_16_64 3
		.amdhsa_dx10_clamp 1
		.amdhsa_ieee_mode 1
		.amdhsa_fp16_overflow 0
		.amdhsa_workgroup_processor_mode 1
		.amdhsa_memory_ordered 1
		.amdhsa_forward_progress 1
		.amdhsa_shared_vgpr_count 0
		.amdhsa_exception_fp_ieee_invalid_op 0
		.amdhsa_exception_fp_denorm_src 0
		.amdhsa_exception_fp_ieee_div_zero 0
		.amdhsa_exception_fp_ieee_overflow 0
		.amdhsa_exception_fp_ieee_underflow 0
		.amdhsa_exception_fp_ieee_inexact 0
		.amdhsa_exception_int_div_zero 0
	.end_amdhsa_kernel
	.section	.text._ZL23rocblas_gemvt_sn_reduceILi256ELi8E19rocblas_complex_numIdES1_S1_EviT2_lPT3_lilPT1_i,"axG",@progbits,_ZL23rocblas_gemvt_sn_reduceILi256ELi8E19rocblas_complex_numIdES1_S1_EviT2_lPT3_lilPT1_i,comdat
.Lfunc_end167:
	.size	_ZL23rocblas_gemvt_sn_reduceILi256ELi8E19rocblas_complex_numIdES1_S1_EviT2_lPT3_lilPT1_i, .Lfunc_end167-_ZL23rocblas_gemvt_sn_reduceILi256ELi8E19rocblas_complex_numIdES1_S1_EviT2_lPT3_lilPT1_i
                                        ; -- End function
	.set _ZL23rocblas_gemvt_sn_reduceILi256ELi8E19rocblas_complex_numIdES1_S1_EviT2_lPT3_lilPT1_i.num_vgpr, 40
	.set _ZL23rocblas_gemvt_sn_reduceILi256ELi8E19rocblas_complex_numIdES1_S1_EviT2_lPT3_lilPT1_i.num_agpr, 0
	.set _ZL23rocblas_gemvt_sn_reduceILi256ELi8E19rocblas_complex_numIdES1_S1_EviT2_lPT3_lilPT1_i.numbered_sgpr, 17
	.set _ZL23rocblas_gemvt_sn_reduceILi256ELi8E19rocblas_complex_numIdES1_S1_EviT2_lPT3_lilPT1_i.num_named_barrier, 0
	.set _ZL23rocblas_gemvt_sn_reduceILi256ELi8E19rocblas_complex_numIdES1_S1_EviT2_lPT3_lilPT1_i.private_seg_size, 0
	.set _ZL23rocblas_gemvt_sn_reduceILi256ELi8E19rocblas_complex_numIdES1_S1_EviT2_lPT3_lilPT1_i.uses_vcc, 1
	.set _ZL23rocblas_gemvt_sn_reduceILi256ELi8E19rocblas_complex_numIdES1_S1_EviT2_lPT3_lilPT1_i.uses_flat_scratch, 0
	.set _ZL23rocblas_gemvt_sn_reduceILi256ELi8E19rocblas_complex_numIdES1_S1_EviT2_lPT3_lilPT1_i.has_dyn_sized_stack, 0
	.set _ZL23rocblas_gemvt_sn_reduceILi256ELi8E19rocblas_complex_numIdES1_S1_EviT2_lPT3_lilPT1_i.has_recursion, 0
	.set _ZL23rocblas_gemvt_sn_reduceILi256ELi8E19rocblas_complex_numIdES1_S1_EviT2_lPT3_lilPT1_i.has_indirect_call, 0
	.section	.AMDGPU.csdata,"",@progbits
; Kernel info:
; codeLenInByte = 1548
; TotalNumSgprs: 19
; NumVgprs: 40
; ScratchSize: 0
; MemoryBound: 1
; FloatMode: 240
; IeeeMode: 1
; LDSByteSize: 512 bytes/workgroup (compile time only)
; SGPRBlocks: 0
; VGPRBlocks: 4
; NumSGPRsForWavesPerEU: 19
; NumVGPRsForWavesPerEU: 40
; Occupancy: 16
; WaveLimiterHint : 0
; COMPUTE_PGM_RSRC2:SCRATCH_EN: 0
; COMPUTE_PGM_RSRC2:USER_SGPR: 6
; COMPUTE_PGM_RSRC2:TRAP_HANDLER: 0
; COMPUTE_PGM_RSRC2:TGID_X_EN: 1
; COMPUTE_PGM_RSRC2:TGID_Y_EN: 1
; COMPUTE_PGM_RSRC2:TGID_Z_EN: 1
; COMPUTE_PGM_RSRC2:TIDIG_COMP_CNT: 0
	.section	.text._ZL32rocblas_gemvt_warp_reduce_kernelILb0ELi256Ei19rocblas_complex_numIdEPKS1_S1_EviiT3_lPKT2_lT1_lS7_lS8_lS4_lPT4_lS8_li,"axG",@progbits,_ZL32rocblas_gemvt_warp_reduce_kernelILb0ELi256Ei19rocblas_complex_numIdEPKS1_S1_EviiT3_lPKT2_lT1_lS7_lS8_lS4_lPT4_lS8_li,comdat
	.globl	_ZL32rocblas_gemvt_warp_reduce_kernelILb0ELi256Ei19rocblas_complex_numIdEPKS1_S1_EviiT3_lPKT2_lT1_lS7_lS8_lS4_lPT4_lS8_li ; -- Begin function _ZL32rocblas_gemvt_warp_reduce_kernelILb0ELi256Ei19rocblas_complex_numIdEPKS1_S1_EviiT3_lPKT2_lT1_lS7_lS8_lS4_lPT4_lS8_li
	.p2align	8
	.type	_ZL32rocblas_gemvt_warp_reduce_kernelILb0ELi256Ei19rocblas_complex_numIdEPKS1_S1_EviiT3_lPKT2_lT1_lS7_lS8_lS4_lPT4_lS8_li,@function
_ZL32rocblas_gemvt_warp_reduce_kernelILb0ELi256Ei19rocblas_complex_numIdEPKS1_S1_EviiT3_lPKT2_lT1_lS7_lS8_lS4_lPT4_lS8_li: ; @_ZL32rocblas_gemvt_warp_reduce_kernelILb0ELi256Ei19rocblas_complex_numIdEPKS1_S1_EviiT3_lPKT2_lT1_lS7_lS8_lS4_lPT4_lS8_li
; %bb.0:
	s_clause 0x1
	s_load_dwordx8 s[8:15], s[4:5], 0x8
	s_load_dwordx8 s[16:23], s[4:5], 0x50
	s_waitcnt lgkmcnt(0)
	s_mul_i32 s1, s11, s7
	s_mul_hi_u32 s2, s10, s7
	s_mul_i32 s0, s10, s7
	s_add_i32 s1, s2, s1
	s_lshl_b64 s[0:1], s[0:1], 4
	s_add_u32 s0, s8, s0
	s_addc_u32 s1, s9, s1
	s_load_dwordx4 s[8:11], s[0:1], 0x0
	s_mul_i32 s0, s21, s7
	s_mul_hi_u32 s1, s20, s7
	s_add_i32 s1, s1, s0
	s_mul_i32 s0, s20, s7
	s_lshl_b64 s[0:1], s[0:1], 4
	s_add_u32 s0, s18, s0
	s_addc_u32 s1, s19, s1
	s_load_dwordx4 s[24:27], s[0:1], 0x0
	s_mov_b32 s1, -1
	s_waitcnt lgkmcnt(0)
	v_cmp_neq_f64_e64 s2, s[8:9], 0
	v_cmp_neq_f64_e64 s3, s[10:11], 0
	s_or_b32 s0, s2, s3
	s_and_b32 vcc_lo, exec_lo, s0
	s_cbranch_vccnz .LBB168_2
; %bb.1:
	v_cmp_neq_f64_e64 s1, s[24:25], 1.0
	v_cmp_neq_f64_e64 s2, s[26:27], 0
	s_or_b32 s1, s1, s2
.LBB168_2:
	s_andn2_b32 vcc_lo, exec_lo, s1
	s_cbranch_vccnz .LBB168_32
; %bb.3:
	s_clause 0x2
	s_load_dwordx2 s[2:3], s[4:5], 0x80
	s_load_dwordx2 s[18:19], s[4:5], 0x70
	s_load_dword s20, s[4:5], 0x78
	s_xor_b32 s21, s0, -1
	s_waitcnt lgkmcnt(0)
	s_mul_i32 s1, s3, s7
	s_mul_hi_u32 s3, s2, s7
	s_mul_i32 s0, s2, s7
	s_add_i32 s1, s3, s1
	s_lshl_b64 s[0:1], s[0:1], 4
	s_add_u32 s22, s22, s0
	s_addc_u32 s1, s23, s1
	s_lshl_b64 s[2:3], s[18:19], 4
	v_cmp_eq_u32_e64 s0, 0, v0
	s_add_u32 s18, s22, s2
	s_addc_u32 s19, s1, s3
	s_andn2_b32 vcc_lo, exec_lo, s21
	s_mov_b32 s21, 0
	s_cbranch_vccnz .LBB168_7
; %bb.4:
	s_mov_b32 s1, 0
                                        ; implicit-def: $vgpr3_vgpr4
                                        ; implicit-def: $sgpr2_sgpr3
	s_and_saveexec_b32 s22, s0
	s_cbranch_execz .LBB168_8
; %bb.5:
	v_cmp_neq_f64_e64 s0, s[24:25], 0
	v_cmp_neq_f64_e64 s2, s[26:27], 0
	s_or_b32 s0, s0, s2
	s_mul_i32 s2, s20, s6
	s_andn2_b32 vcc_lo, exec_lo, s0
	s_ashr_i32 s3, s2, 31
	s_cbranch_vccnz .LBB168_9
; %bb.6:
	s_lshl_b64 s[28:29], s[2:3], 4
	s_add_u32 s28, s18, s28
	s_addc_u32 s29, s19, s29
	s_load_dwordx4 s[28:31], s[28:29], 0x0
	s_waitcnt lgkmcnt(0)
	v_mul_f64 v[1:2], s[26:27], s[30:31]
	v_mul_f64 v[3:4], s[24:25], s[30:31]
	v_fma_f64 v[1:2], s[24:25], s[28:29], -v[1:2]
	v_fma_f64 v[3:4], s[26:27], s[28:29], v[3:4]
	s_branch .LBB168_10
.LBB168_7:
                                        ; implicit-def: $vgpr3_vgpr4
                                        ; implicit-def: $sgpr2_sgpr3
	s_cbranch_execnz .LBB168_11
	s_branch .LBB168_30
.LBB168_8:
	s_or_b32 exec_lo, exec_lo, s22
	s_and_b32 vcc_lo, exec_lo, s1
	s_cbranch_vccnz .LBB168_11
	s_branch .LBB168_30
.LBB168_9:
	v_mov_b32_e32 v3, 0
	v_mov_b32_e32 v1, 0
	;; [unrolled: 1-line block ×4, first 2 shown]
.LBB168_10:
	s_mov_b32 s21, exec_lo
	s_or_b32 exec_lo, exec_lo, s22
	s_and_b32 vcc_lo, exec_lo, s1
	s_cbranch_vccz .LBB168_30
.LBB168_11:
	s_clause 0x4
	s_load_dwordx4 s[0:3], s[4:5], 0x30
	s_load_dwordx2 s[30:31], s[4:5], 0x40
	s_load_dword s28, s[4:5], 0x0
	s_load_dword s29, s[4:5], 0x28
	;; [unrolled: 1-line block ×3, first 2 shown]
	s_mul_i32 s17, s17, s7
	s_mul_hi_u32 s23, s16, s7
	s_mul_i32 s16, s16, s7
	s_add_i32 s17, s23, s17
	v_mov_b32_e32 v1, 0
	s_lshl_b64 s[4:5], s[16:17], 4
	v_mov_b32_e32 v3, 0
	v_mov_b32_e32 v2, 0
	;; [unrolled: 1-line block ×3, first 2 shown]
	s_waitcnt lgkmcnt(0)
	s_add_u32 s4, s2, s4
	s_addc_u32 s5, s3, s5
	v_cmp_gt_i32_e32 vcc_lo, s28, v0
	s_lshl_b64 s[2:3], s[30:31], 4
	s_mul_i32 s17, s1, s7
	s_add_u32 s1, s4, s2
	s_addc_u32 s23, s5, s3
	v_cndmask_b32_e32 v5, 0, v0, vcc_lo
	s_ashr_i32 s2, s28, 31
	s_mul_hi_u32 s3, s0, s7
	s_lshr_b32 s2, s2, 24
	s_mul_i32 s4, s29, s6
	v_lshlrev_b32_e32 v9, 4, v5
	s_add_i32 s2, s28, s2
	s_mul_i32 s16, s0, s7
	s_and_b32 s2, s2, 0xffffff00
	s_add_i32 s17, s3, s17
	s_mov_b32 s7, 0
	s_ashr_i32 s5, s4, 31
	s_mov_b32 s3, exec_lo
	v_cmpx_gt_i32_e64 s2, v0
	s_cbranch_execz .LBB168_15
; %bb.12:
	s_lshl_b64 s[30:31], s[16:17], 4
	s_lshl_b64 s[34:35], s[14:15], 4
	v_mul_lo_u32 v7, v0, s22
	s_add_u32 s0, s30, s34
	s_addc_u32 s29, s31, s35
	s_lshl_b64 s[30:31], s[4:5], 4
	v_mov_b32_e32 v3, 0
	s_add_u32 s0, s0, s30
	s_addc_u32 s29, s29, s31
	s_add_u32 s0, s12, s0
	s_addc_u32 s29, s13, s29
	v_add_co_u32 v1, s0, s0, v9
	v_add_co_ci_u32_e64 v2, null, s29, 0, s0
	v_mov_b32_e32 v4, 0
	v_add_co_u32 v5, vcc_lo, v1, 8
	v_add_co_ci_u32_e64 v6, null, 0, v2, vcc_lo
	v_mov_b32_e32 v1, 0
	v_mov_b32_e32 v2, 0
	;; [unrolled: 1-line block ×3, first 2 shown]
	s_lshl_b32 s29, s22, 8
	s_inst_prefetch 0x1
	.p2align	6
.LBB168_13:                             ; =>This Inner Loop Header: Depth=1
	v_ashrrev_i32_e32 v8, 31, v7
	v_add_nc_u32_e32 v10, 0x100, v10
	v_lshlrev_b64 v[11:12], 4, v[7:8]
	v_cmp_le_i32_e64 s0, s2, v10
	v_add_nc_u32_e32 v7, s29, v7
	s_or_b32 s7, s0, s7
	v_add_co_u32 v15, vcc_lo, s1, v11
	v_add_co_ci_u32_e64 v16, null, s23, v12, vcc_lo
	global_load_dwordx4 v[11:14], v[5:6], off offset:-8
	global_load_dwordx4 v[15:18], v[15:16], off
	v_add_co_u32 v5, vcc_lo, 0x1000, v5
	v_add_co_ci_u32_e64 v6, null, 0, v6, vcc_lo
	s_waitcnt vmcnt(0)
	v_mul_f64 v[19:20], v[13:14], v[17:18]
	v_mul_f64 v[17:18], v[11:12], v[17:18]
	v_fma_f64 v[11:12], v[11:12], v[15:16], -v[19:20]
	v_fma_f64 v[13:14], v[13:14], v[15:16], v[17:18]
	v_add_f64 v[3:4], v[3:4], v[11:12]
	v_add_f64 v[1:2], v[1:2], v[13:14]
	s_andn2_b32 exec_lo, exec_lo, s7
	s_cbranch_execnz .LBB168_13
; %bb.14:
	s_inst_prefetch 0x2
	s_or_b32 exec_lo, exec_lo, s7
.LBB168_15:
	s_or_b32 exec_lo, exec_lo, s3
	v_add_nc_u32_e32 v5, s2, v0
	s_mov_b32 s0, exec_lo
	v_cmpx_gt_i32_e64 s28, v5
	s_cbranch_execz .LBB168_17
; %bb.16:
	s_lshl_b64 s[16:17], s[16:17], 4
	v_mul_lo_u32 v5, s22, v5
	s_add_u32 s3, s12, s16
	s_addc_u32 s7, s13, s17
	s_lshl_b64 s[12:13], s[14:15], 4
	s_add_u32 s3, s3, s12
	s_addc_u32 s7, s7, s13
	v_add_co_u32 v7, s3, s3, v9
	v_ashrrev_i32_e32 v6, 31, v5
	v_add_co_ci_u32_e64 v8, null, s7, 0, s3
	s_lshl_b64 s[4:5], s[4:5], 4
	s_ashr_i32 s3, s2, 31
	v_add_co_u32 v7, vcc_lo, v7, s4
	v_lshlrev_b64 v[5:6], 4, v[5:6]
	v_add_co_ci_u32_e64 v8, null, s5, v8, vcc_lo
	s_lshl_b64 s[2:3], s[2:3], 4
	v_add_co_u32 v7, vcc_lo, v7, s2
	v_add_co_ci_u32_e64 v8, null, s3, v8, vcc_lo
	v_add_co_u32 v9, vcc_lo, s1, v5
	v_add_co_ci_u32_e64 v10, null, s23, v6, vcc_lo
	global_load_dwordx4 v[5:8], v[7:8], off
	global_load_dwordx4 v[9:12], v[9:10], off
	s_waitcnt vmcnt(0)
	v_mul_f64 v[13:14], v[7:8], v[11:12]
	v_mul_f64 v[11:12], v[5:6], v[11:12]
	v_fma_f64 v[5:6], v[5:6], v[9:10], -v[13:14]
	v_fma_f64 v[7:8], v[7:8], v[9:10], v[11:12]
	v_add_f64 v[3:4], v[3:4], v[5:6]
	v_add_f64 v[1:2], v[1:2], v[7:8]
.LBB168_17:
	s_or_b32 exec_lo, exec_lo, s0
	v_and_b32_e32 v13, 31, v0
	v_cmp_gt_u32_e32 vcc_lo, 32, v0
	v_lshlrev_b32_e32 v9, 4, v13
	s_and_saveexec_b32 s0, vcc_lo
	s_cbranch_execz .LBB168_19
; %bb.18:
	v_mov_b32_e32 v5, 0
	v_mov_b32_e32 v6, v5
	;; [unrolled: 1-line block ×4, first 2 shown]
	ds_write_b128 v9, v[5:8]
.LBB168_19:
	s_or_b32 exec_lo, exec_lo, s0
	v_mbcnt_lo_u32_b32 v12, -1, 0
	s_mov_b32 s1, exec_lo
	s_waitcnt lgkmcnt(0)
	s_barrier
	buffer_gl0_inv
	v_lshl_or_b32 v8, v12, 2, 64
	v_cmp_gt_u32_e64 s0, 24, v12
	ds_bpermute_b32 v5, v8, v3
	ds_bpermute_b32 v6, v8, v4
	;; [unrolled: 1-line block ×4, first 2 shown]
	s_waitcnt lgkmcnt(2)
	v_add_f64 v[3:4], v[3:4], v[5:6]
	v_cndmask_b32_e64 v5, 0, 8, s0
	s_waitcnt lgkmcnt(0)
	v_add_f64 v[1:2], v[1:2], v[7:8]
	v_cmp_gt_u32_e64 s0, 28, v12
	v_add_lshl_u32 v8, v5, v12, 2
	ds_bpermute_b32 v5, v8, v3
	ds_bpermute_b32 v6, v8, v4
	;; [unrolled: 1-line block ×4, first 2 shown]
	s_waitcnt lgkmcnt(2)
	v_add_f64 v[3:4], v[3:4], v[5:6]
	v_cndmask_b32_e64 v5, 0, 4, s0
	s_waitcnt lgkmcnt(0)
	v_add_f64 v[1:2], v[1:2], v[7:8]
	v_cmp_gt_u32_e64 s0, 30, v12
	v_add_lshl_u32 v10, v5, v12, 2
	ds_bpermute_b32 v5, v10, v3
	ds_bpermute_b32 v6, v10, v4
	;; [unrolled: 1-line block ×4, first 2 shown]
	s_waitcnt lgkmcnt(2)
	v_add_f64 v[3:4], v[3:4], v[5:6]
	s_waitcnt lgkmcnt(0)
	v_add_f64 v[5:6], v[1:2], v[7:8]
	v_cndmask_b32_e64 v1, 0, 2, s0
	v_cmp_ne_u32_e64 s0, 31, v12
	v_add_lshl_u32 v11, v1, v12, 2
	ds_bpermute_b32 v1, v11, v3
	ds_bpermute_b32 v2, v11, v4
	;; [unrolled: 1-line block ×4, first 2 shown]
	s_waitcnt lgkmcnt(2)
	v_add_f64 v[1:2], v[3:4], v[1:2]
	s_waitcnt lgkmcnt(0)
	v_add_f64 v[3:4], v[5:6], v[7:8]
	v_add_co_ci_u32_e64 v5, null, 0, v12, s0
	v_lshlrev_b32_e32 v12, 2, v5
	ds_bpermute_b32 v5, v12, v1
	ds_bpermute_b32 v6, v12, v2
	;; [unrolled: 1-line block ×4, first 2 shown]
	v_cmpx_eq_u32_e32 0, v13
	s_cbranch_execz .LBB168_21
; %bb.20:
	s_waitcnt lgkmcnt(0)
	v_add_f64 v[3:4], v[3:4], v[7:8]
	v_add_f64 v[1:2], v[1:2], v[5:6]
	v_lshrrev_b32_e32 v5, 1, v0
	v_and_b32_e32 v5, 0x70, v5
	ds_write_b128 v5, v[1:4]
.LBB168_21:
	s_or_b32 exec_lo, exec_lo, s1
	s_waitcnt lgkmcnt(0)
	v_mov_b32_e32 v7, 0
	v_mov_b32_e32 v5, 0
	v_mov_b32_e32 v8, 0
	v_mov_b32_e32 v6, 0
	s_mov_b32 s1, exec_lo
	s_barrier
	buffer_gl0_inv
	v_cmpx_gt_u32_e32 8, v0
; %bb.22:
	ds_read_b128 v[5:8], v9
; %bb.23:
	s_or_b32 exec_lo, exec_lo, s1
	s_and_saveexec_b32 s0, vcc_lo
	s_cbranch_execz .LBB168_25
; %bb.24:
	s_waitcnt lgkmcnt(0)
	ds_bpermute_b32 v1, v10, v5
	ds_bpermute_b32 v2, v10, v6
	ds_bpermute_b32 v3, v10, v7
	ds_bpermute_b32 v4, v10, v8
	s_waitcnt lgkmcnt(2)
	v_add_f64 v[1:2], v[5:6], v[1:2]
	s_waitcnt lgkmcnt(0)
	v_add_f64 v[3:4], v[7:8], v[3:4]
	ds_bpermute_b32 v5, v11, v1
	ds_bpermute_b32 v6, v11, v2
	ds_bpermute_b32 v7, v11, v3
	ds_bpermute_b32 v8, v11, v4
	s_waitcnt lgkmcnt(2)
	v_add_f64 v[1:2], v[1:2], v[5:6]
	s_waitcnt lgkmcnt(0)
	v_add_f64 v[3:4], v[3:4], v[7:8]
	;; [unrolled: 8-line block ×3, first 2 shown]
.LBB168_25:
	s_or_b32 exec_lo, exec_lo, s0
	s_mov_b32 s0, exec_lo
                                        ; implicit-def: $vgpr3_vgpr4
                                        ; implicit-def: $sgpr2_sgpr3
	v_cmpx_eq_u32_e32 0, v0
	s_cbranch_execz .LBB168_29
; %bb.26:
	s_waitcnt lgkmcnt(0)
	v_mul_f64 v[0:1], s[10:11], v[7:8]
	v_mul_f64 v[3:4], s[8:9], v[7:8]
	v_cmp_neq_f64_e64 s1, s[24:25], 0
	v_cmp_neq_f64_e64 s2, s[26:27], 0
	v_fma_f64 v[1:2], s[8:9], v[5:6], -v[0:1]
	v_fma_f64 v[3:4], s[10:11], v[5:6], v[3:4]
	s_or_b32 s1, s1, s2
	s_mul_i32 s2, s20, s6
	s_andn2_b32 vcc_lo, exec_lo, s1
	s_ashr_i32 s3, s2, 31
	s_cbranch_vccnz .LBB168_28
; %bb.27:
	s_lshl_b64 s[4:5], s[2:3], 4
	s_add_u32 s4, s18, s4
	s_addc_u32 s5, s19, s5
	s_load_dwordx4 s[4:7], s[4:5], 0x0
	s_waitcnt lgkmcnt(0)
	v_mul_f64 v[5:6], s[26:27], s[6:7]
	v_mul_f64 v[7:8], s[24:25], s[6:7]
	v_fma_f64 v[5:6], s[24:25], s[4:5], -v[5:6]
	v_fma_f64 v[7:8], s[26:27], s[4:5], v[7:8]
	v_add_f64 v[1:2], v[1:2], v[5:6]
	v_add_f64 v[3:4], v[3:4], v[7:8]
.LBB168_28:
	s_or_b32 s21, s21, exec_lo
.LBB168_29:
	s_or_b32 exec_lo, exec_lo, s0
.LBB168_30:
	s_and_saveexec_b32 s0, s21
	s_cbranch_execz .LBB168_32
; %bb.31:
	s_lshl_b64 s[0:1], s[2:3], 4
	v_mov_b32_e32 v0, 0
	s_add_u32 s0, s18, s0
	s_addc_u32 s1, s19, s1
	global_store_dwordx4 v0, v[1:4], s[0:1]
.LBB168_32:
	s_endpgm
	.section	.rodata,"a",@progbits
	.p2align	6, 0x0
	.amdhsa_kernel _ZL32rocblas_gemvt_warp_reduce_kernelILb0ELi256Ei19rocblas_complex_numIdEPKS1_S1_EviiT3_lPKT2_lT1_lS7_lS8_lS4_lPT4_lS8_li
		.amdhsa_group_segment_fixed_size 512
		.amdhsa_private_segment_fixed_size 0
		.amdhsa_kernarg_size 140
		.amdhsa_user_sgpr_count 6
		.amdhsa_user_sgpr_private_segment_buffer 1
		.amdhsa_user_sgpr_dispatch_ptr 0
		.amdhsa_user_sgpr_queue_ptr 0
		.amdhsa_user_sgpr_kernarg_segment_ptr 1
		.amdhsa_user_sgpr_dispatch_id 0
		.amdhsa_user_sgpr_flat_scratch_init 0
		.amdhsa_user_sgpr_private_segment_size 0
		.amdhsa_wavefront_size32 1
		.amdhsa_uses_dynamic_stack 0
		.amdhsa_system_sgpr_private_segment_wavefront_offset 0
		.amdhsa_system_sgpr_workgroup_id_x 1
		.amdhsa_system_sgpr_workgroup_id_y 0
		.amdhsa_system_sgpr_workgroup_id_z 1
		.amdhsa_system_sgpr_workgroup_info 0
		.amdhsa_system_vgpr_workitem_id 0
		.amdhsa_next_free_vgpr 21
		.amdhsa_next_free_sgpr 36
		.amdhsa_reserve_vcc 1
		.amdhsa_reserve_flat_scratch 0
		.amdhsa_float_round_mode_32 0
		.amdhsa_float_round_mode_16_64 0
		.amdhsa_float_denorm_mode_32 3
		.amdhsa_float_denorm_mode_16_64 3
		.amdhsa_dx10_clamp 1
		.amdhsa_ieee_mode 1
		.amdhsa_fp16_overflow 0
		.amdhsa_workgroup_processor_mode 1
		.amdhsa_memory_ordered 1
		.amdhsa_forward_progress 1
		.amdhsa_shared_vgpr_count 0
		.amdhsa_exception_fp_ieee_invalid_op 0
		.amdhsa_exception_fp_denorm_src 0
		.amdhsa_exception_fp_ieee_div_zero 0
		.amdhsa_exception_fp_ieee_overflow 0
		.amdhsa_exception_fp_ieee_underflow 0
		.amdhsa_exception_fp_ieee_inexact 0
		.amdhsa_exception_int_div_zero 0
	.end_amdhsa_kernel
	.section	.text._ZL32rocblas_gemvt_warp_reduce_kernelILb0ELi256Ei19rocblas_complex_numIdEPKS1_S1_EviiT3_lPKT2_lT1_lS7_lS8_lS4_lPT4_lS8_li,"axG",@progbits,_ZL32rocblas_gemvt_warp_reduce_kernelILb0ELi256Ei19rocblas_complex_numIdEPKS1_S1_EviiT3_lPKT2_lT1_lS7_lS8_lS4_lPT4_lS8_li,comdat
.Lfunc_end168:
	.size	_ZL32rocblas_gemvt_warp_reduce_kernelILb0ELi256Ei19rocblas_complex_numIdEPKS1_S1_EviiT3_lPKT2_lT1_lS7_lS8_lS4_lPT4_lS8_li, .Lfunc_end168-_ZL32rocblas_gemvt_warp_reduce_kernelILb0ELi256Ei19rocblas_complex_numIdEPKS1_S1_EviiT3_lPKT2_lT1_lS7_lS8_lS4_lPT4_lS8_li
                                        ; -- End function
	.set _ZL32rocblas_gemvt_warp_reduce_kernelILb0ELi256Ei19rocblas_complex_numIdEPKS1_S1_EviiT3_lPKT2_lT1_lS7_lS8_lS4_lPT4_lS8_li.num_vgpr, 21
	.set _ZL32rocblas_gemvt_warp_reduce_kernelILb0ELi256Ei19rocblas_complex_numIdEPKS1_S1_EviiT3_lPKT2_lT1_lS7_lS8_lS4_lPT4_lS8_li.num_agpr, 0
	.set _ZL32rocblas_gemvt_warp_reduce_kernelILb0ELi256Ei19rocblas_complex_numIdEPKS1_S1_EviiT3_lPKT2_lT1_lS7_lS8_lS4_lPT4_lS8_li.numbered_sgpr, 36
	.set _ZL32rocblas_gemvt_warp_reduce_kernelILb0ELi256Ei19rocblas_complex_numIdEPKS1_S1_EviiT3_lPKT2_lT1_lS7_lS8_lS4_lPT4_lS8_li.num_named_barrier, 0
	.set _ZL32rocblas_gemvt_warp_reduce_kernelILb0ELi256Ei19rocblas_complex_numIdEPKS1_S1_EviiT3_lPKT2_lT1_lS7_lS8_lS4_lPT4_lS8_li.private_seg_size, 0
	.set _ZL32rocblas_gemvt_warp_reduce_kernelILb0ELi256Ei19rocblas_complex_numIdEPKS1_S1_EviiT3_lPKT2_lT1_lS7_lS8_lS4_lPT4_lS8_li.uses_vcc, 1
	.set _ZL32rocblas_gemvt_warp_reduce_kernelILb0ELi256Ei19rocblas_complex_numIdEPKS1_S1_EviiT3_lPKT2_lT1_lS7_lS8_lS4_lPT4_lS8_li.uses_flat_scratch, 0
	.set _ZL32rocblas_gemvt_warp_reduce_kernelILb0ELi256Ei19rocblas_complex_numIdEPKS1_S1_EviiT3_lPKT2_lT1_lS7_lS8_lS4_lPT4_lS8_li.has_dyn_sized_stack, 0
	.set _ZL32rocblas_gemvt_warp_reduce_kernelILb0ELi256Ei19rocblas_complex_numIdEPKS1_S1_EviiT3_lPKT2_lT1_lS7_lS8_lS4_lPT4_lS8_li.has_recursion, 0
	.set _ZL32rocblas_gemvt_warp_reduce_kernelILb0ELi256Ei19rocblas_complex_numIdEPKS1_S1_EviiT3_lPKT2_lT1_lS7_lS8_lS4_lPT4_lS8_li.has_indirect_call, 0
	.section	.AMDGPU.csdata,"",@progbits
; Kernel info:
; codeLenInByte = 1996
; TotalNumSgprs: 38
; NumVgprs: 21
; ScratchSize: 0
; MemoryBound: 0
; FloatMode: 240
; IeeeMode: 1
; LDSByteSize: 512 bytes/workgroup (compile time only)
; SGPRBlocks: 0
; VGPRBlocks: 2
; NumSGPRsForWavesPerEU: 38
; NumVGPRsForWavesPerEU: 21
; Occupancy: 16
; WaveLimiterHint : 1
; COMPUTE_PGM_RSRC2:SCRATCH_EN: 0
; COMPUTE_PGM_RSRC2:USER_SGPR: 6
; COMPUTE_PGM_RSRC2:TRAP_HANDLER: 0
; COMPUTE_PGM_RSRC2:TGID_X_EN: 1
; COMPUTE_PGM_RSRC2:TGID_Y_EN: 0
; COMPUTE_PGM_RSRC2:TGID_Z_EN: 1
; COMPUTE_PGM_RSRC2:TIDIG_COMP_CNT: 0
	.section	.text._ZL32rocblas_gemvt_warp_reduce_kernelILb0ELi256El19rocblas_complex_numIdEPKS1_S1_EviiT3_lPKT2_lT1_lS7_lS8_lS4_lPT4_lS8_li,"axG",@progbits,_ZL32rocblas_gemvt_warp_reduce_kernelILb0ELi256El19rocblas_complex_numIdEPKS1_S1_EviiT3_lPKT2_lT1_lS7_lS8_lS4_lPT4_lS8_li,comdat
	.globl	_ZL32rocblas_gemvt_warp_reduce_kernelILb0ELi256El19rocblas_complex_numIdEPKS1_S1_EviiT3_lPKT2_lT1_lS7_lS8_lS4_lPT4_lS8_li ; -- Begin function _ZL32rocblas_gemvt_warp_reduce_kernelILb0ELi256El19rocblas_complex_numIdEPKS1_S1_EviiT3_lPKT2_lT1_lS7_lS8_lS4_lPT4_lS8_li
	.p2align	8
	.type	_ZL32rocblas_gemvt_warp_reduce_kernelILb0ELi256El19rocblas_complex_numIdEPKS1_S1_EviiT3_lPKT2_lT1_lS7_lS8_lS4_lPT4_lS8_li,@function
_ZL32rocblas_gemvt_warp_reduce_kernelILb0ELi256El19rocblas_complex_numIdEPKS1_S1_EviiT3_lPKT2_lT1_lS7_lS8_lS4_lPT4_lS8_li: ; @_ZL32rocblas_gemvt_warp_reduce_kernelILb0ELi256El19rocblas_complex_numIdEPKS1_S1_EviiT3_lPKT2_lT1_lS7_lS8_lS4_lPT4_lS8_li
; %bb.0:
	s_clause 0x1
	s_load_dwordx16 s[36:51], s[4:5], 0x8
	s_load_dwordx16 s[8:23], s[4:5], 0x48
	s_waitcnt lgkmcnt(0)
	s_mul_i32 s1, s39, s7
	s_mul_hi_u32 s2, s38, s7
	s_mul_i32 s0, s38, s7
	s_add_i32 s1, s2, s1
	s_lshl_b64 s[0:1], s[0:1], 4
	s_add_u32 s0, s36, s0
	s_addc_u32 s1, s37, s1
	s_load_dwordx4 s[24:27], s[0:1], 0x0
	s_mul_i32 s0, s15, s7
	s_mul_hi_u32 s1, s14, s7
	s_add_i32 s1, s1, s0
	s_mul_i32 s0, s14, s7
	s_lshl_b64 s[0:1], s[0:1], 4
	s_add_u32 s0, s12, s0
	s_addc_u32 s1, s13, s1
	s_load_dwordx4 s[12:15], s[0:1], 0x0
	s_mov_b32 s1, -1
	s_waitcnt lgkmcnt(0)
	v_cmp_neq_f64_e64 s2, s[24:25], 0
	v_cmp_neq_f64_e64 s3, s[26:27], 0
	s_or_b32 s0, s2, s3
	s_and_b32 vcc_lo, exec_lo, s0
	s_cbranch_vccnz .LBB169_2
; %bb.1:
	v_cmp_neq_f64_e64 s1, s[12:13], 1.0
	v_cmp_neq_f64_e64 s2, s[14:15], 0
	s_or_b32 s1, s1, s2
.LBB169_2:
	s_andn2_b32 vcc_lo, exec_lo, s1
	s_cbranch_vccnz .LBB169_32
; %bb.3:
	s_mul_i32 s1, s23, s7
	s_mul_hi_u32 s3, s22, s7
	s_mul_i32 s2, s22, s7
	s_add_i32 s3, s3, s1
	s_xor_b32 s23, s0, -1
	s_lshl_b64 s[2:3], s[2:3], 4
	s_add_u32 s0, s16, s2
	s_addc_u32 s16, s17, s3
	s_lshl_b64 s[2:3], s[18:19], 4
	s_add_u32 s1, s0, s2
	v_cmp_eq_u32_e64 s0, 0, v0
	s_addc_u32 s22, s16, s3
	s_andn2_b32 vcc_lo, exec_lo, s23
	s_mov_b32 s23, 0
	s_cbranch_vccnz .LBB169_7
; %bb.4:
	s_mov_b32 s16, 0
                                        ; implicit-def: $vgpr3_vgpr4
                                        ; implicit-def: $sgpr2_sgpr3
	s_and_saveexec_b32 s17, s0
	s_cbranch_execz .LBB169_8
; %bb.5:
	v_cmp_neq_f64_e64 s0, s[12:13], 0
	v_cmp_neq_f64_e64 s2, s[14:15], 0
	s_mul_hi_u32 s3, s20, s6
	s_or_b32 s0, s0, s2
	s_ashr_i32 s2, s6, 31
	s_andn2_b32 vcc_lo, exec_lo, s0
	s_mul_i32 s2, s20, s2
	s_add_i32 s2, s3, s2
	s_mul_i32 s3, s21, s6
	s_add_i32 s3, s2, s3
	s_mul_i32 s2, s20, s6
	s_cbranch_vccnz .LBB169_9
; %bb.6:
	s_lshl_b64 s[18:19], s[2:3], 4
	s_add_u32 s18, s1, s18
	s_addc_u32 s19, s22, s19
	s_load_dwordx4 s[28:31], s[18:19], 0x0
	s_waitcnt lgkmcnt(0)
	v_mul_f64 v[1:2], s[14:15], s[30:31]
	v_mul_f64 v[3:4], s[12:13], s[30:31]
	v_fma_f64 v[1:2], s[12:13], s[28:29], -v[1:2]
	v_fma_f64 v[3:4], s[14:15], s[28:29], v[3:4]
	s_branch .LBB169_10
.LBB169_7:
                                        ; implicit-def: $vgpr3_vgpr4
                                        ; implicit-def: $sgpr2_sgpr3
	s_cbranch_execnz .LBB169_11
	s_branch .LBB169_30
.LBB169_8:
	s_or_b32 exec_lo, exec_lo, s17
	s_and_b32 vcc_lo, exec_lo, s16
	s_cbranch_vccnz .LBB169_11
	s_branch .LBB169_30
.LBB169_9:
	v_mov_b32_e32 v3, 0
	v_mov_b32_e32 v1, 0
	;; [unrolled: 1-line block ×4, first 2 shown]
.LBB169_10:
	s_mov_b32 s23, exec_lo
	s_or_b32 exec_lo, exec_lo, s17
	s_and_b32 vcc_lo, exec_lo, s16
	s_cbranch_vccz .LBB169_30
.LBB169_11:
	s_load_dword s5, s[4:5], 0x0
	s_mul_i32 s0, s11, s7
	s_mul_hi_u32 s3, s10, s7
	s_mul_i32 s2, s10, s7
	s_add_i32 s3, s3, s0
	s_mul_i32 s4, s47, s7
	s_mul_hi_u32 s11, s46, s7
	s_mul_i32 s10, s46, s7
	s_ashr_i32 s7, s6, 31
	s_mul_hi_u32 s16, s44, s6
	v_mov_b32_e32 v1, 0
	v_mov_b32_e32 v3, 0
	s_mul_i32 s18, s44, s7
	v_mov_b32_e32 v2, 0
	v_mov_b32_e32 v4, 0
	s_mul_i32 s17, s45, s6
	s_add_i32 s11, s11, s4
	s_mov_b32 s29, 0
	s_mov_b32 s28, exec_lo
	s_waitcnt lgkmcnt(0)
	v_cmp_gt_i32_e32 vcc_lo, s5, v0
	s_ashr_i32 s0, s5, 31
	s_lshr_b32 s0, s0, 24
	s_add_i32 s0, s5, s0
	v_cndmask_b32_e32 v5, 0, v0, vcc_lo
	s_and_b32 s4, s0, 0xffffff00
	s_add_i32 s0, s16, s18
	s_mul_i32 s16, s44, s6
	s_add_i32 s17, s0, s17
	v_lshlrev_b32_e32 v9, 4, v5
	v_cmpx_gt_i32_e64 s4, v0
	s_cbranch_execz .LBB169_15
; %bb.12:
	v_mad_u64_u32 v[1:2], null, s8, v0, 0
	s_lshl_b64 s[18:19], s[50:51], 4
	s_lshl_b64 s[30:31], s[2:3], 4
	s_add_u32 s0, s48, s18
	s_addc_u32 s18, s49, s19
	s_add_u32 s0, s0, s30
	s_addc_u32 s33, s18, s31
	v_mad_u64_u32 v[2:3], null, s9, v0, v[2:3]
	s_lshl_b64 s[30:31], s[16:17], 4
	s_lshl_b64 s[34:35], s[10:11], 4
	;; [unrolled: 1-line block ×3, first 2 shown]
	s_add_u32 s34, s30, s34
	s_addc_u32 s35, s31, s35
	s_lshl_b64 s[30:31], s[42:43], 4
	v_lshlrev_b64 v[1:2], 4, v[1:2]
	s_add_u32 s30, s34, s30
	s_addc_u32 s31, s35, s31
	s_add_u32 s30, s40, s30
	s_addc_u32 s31, s41, s31
	v_mov_b32_e32 v10, v0
	v_add_co_u32 v1, vcc_lo, s0, v1
	v_add_co_ci_u32_e64 v2, null, s33, v2, vcc_lo
	v_add_co_u32 v3, s0, s30, v9
	v_add_co_ci_u32_e64 v4, null, s31, 0, s0
	v_add_co_u32 v5, vcc_lo, v1, 8
	v_add_co_ci_u32_e64 v6, null, 0, v2, vcc_lo
	v_add_co_u32 v7, vcc_lo, v3, 8
	v_add_co_ci_u32_e64 v8, null, 0, v4, vcc_lo
	v_mov_b32_e32 v1, 0
	v_mov_b32_e32 v3, 0
	;; [unrolled: 1-line block ×4, first 2 shown]
	.p2align	6
.LBB169_13:                             ; =>This Inner Loop Header: Depth=1
	global_load_dwordx4 v[11:14], v[7:8], off offset:-8
	global_load_dwordx4 v[15:18], v[5:6], off offset:-8
	v_add_nc_u32_e32 v10, 0x100, v10
	v_add_co_u32 v5, vcc_lo, v5, s18
	v_add_co_ci_u32_e64 v6, null, s19, v6, vcc_lo
	v_cmp_le_i32_e32 vcc_lo, s4, v10
	v_add_co_u32 v7, s0, 0x1000, v7
	v_add_co_ci_u32_e64 v8, null, 0, v8, s0
	s_or_b32 s29, vcc_lo, s29
	s_waitcnt vmcnt(0)
	v_mul_f64 v[19:20], v[13:14], v[17:18]
	v_mul_f64 v[17:18], v[11:12], v[17:18]
	v_fma_f64 v[11:12], v[11:12], v[15:16], -v[19:20]
	v_fma_f64 v[13:14], v[13:14], v[15:16], v[17:18]
	v_add_f64 v[3:4], v[3:4], v[11:12]
	v_add_f64 v[1:2], v[1:2], v[13:14]
	s_andn2_b32 exec_lo, exec_lo, s29
	s_cbranch_execnz .LBB169_13
; %bb.14:
	s_or_b32 exec_lo, exec_lo, s29
.LBB169_15:
	s_or_b32 exec_lo, exec_lo, s28
	v_add_nc_u32_e32 v5, s4, v0
	s_mov_b32 s0, exec_lo
	v_cmpx_gt_i32_e64 s5, v5
	s_cbranch_execz .LBB169_17
; %bb.16:
	v_ashrrev_i32_e32 v6, 31, v5
	s_lshl_b64 s[10:11], s[10:11], 4
	v_mul_lo_u32 v7, s9, v5
	s_add_u32 s5, s40, s10
	s_addc_u32 s18, s41, s11
	v_mul_lo_u32 v8, s8, v6
	v_mad_u64_u32 v[5:6], null, s8, v5, 0
	s_lshl_b64 s[10:11], s[42:43], 4
	s_add_u32 s5, s5, s10
	s_addc_u32 s18, s18, s11
	s_lshl_b64 s[2:3], s[2:3], 4
	v_add_co_u32 v9, s5, s5, v9
	s_lshl_b64 s[10:11], s[16:17], 4
	v_add3_u32 v6, v6, v8, v7
	s_add_u32 s16, s48, s2
	v_add_co_ci_u32_e64 v10, null, s18, 0, s5
	s_addc_u32 s17, s49, s3
	s_lshl_b64 s[2:3], s[50:51], 4
	v_add_co_u32 v7, vcc_lo, v9, s10
	s_add_u32 s8, s16, s2
	s_addc_u32 s9, s17, s3
	s_ashr_i32 s5, s4, 31
	v_lshlrev_b64 v[5:6], 4, v[5:6]
	v_add_co_ci_u32_e64 v8, null, s11, v10, vcc_lo
	s_lshl_b64 s[2:3], s[4:5], 4
	v_add_co_u32 v7, vcc_lo, v7, s2
	v_add_co_ci_u32_e64 v8, null, s3, v8, vcc_lo
	v_add_co_u32 v9, vcc_lo, s8, v5
	v_add_co_ci_u32_e64 v10, null, s9, v6, vcc_lo
	global_load_dwordx4 v[5:8], v[7:8], off
	global_load_dwordx4 v[9:12], v[9:10], off
	s_waitcnt vmcnt(0)
	v_mul_f64 v[13:14], v[7:8], v[11:12]
	v_mul_f64 v[11:12], v[5:6], v[11:12]
	v_fma_f64 v[5:6], v[5:6], v[9:10], -v[13:14]
	v_fma_f64 v[7:8], v[7:8], v[9:10], v[11:12]
	v_add_f64 v[3:4], v[3:4], v[5:6]
	v_add_f64 v[1:2], v[1:2], v[7:8]
.LBB169_17:
	s_or_b32 exec_lo, exec_lo, s0
	v_and_b32_e32 v13, 31, v0
	v_cmp_gt_u32_e32 vcc_lo, 32, v0
	v_lshlrev_b32_e32 v9, 4, v13
	s_and_saveexec_b32 s0, vcc_lo
	s_cbranch_execz .LBB169_19
; %bb.18:
	v_mov_b32_e32 v5, 0
	v_mov_b32_e32 v6, v5
	;; [unrolled: 1-line block ×4, first 2 shown]
	ds_write_b128 v9, v[5:8]
.LBB169_19:
	s_or_b32 exec_lo, exec_lo, s0
	v_mbcnt_lo_u32_b32 v12, -1, 0
	s_mov_b32 s2, exec_lo
	s_waitcnt lgkmcnt(0)
	s_barrier
	buffer_gl0_inv
	v_lshl_or_b32 v8, v12, 2, 64
	v_cmp_gt_u32_e64 s0, 24, v12
	ds_bpermute_b32 v5, v8, v3
	ds_bpermute_b32 v6, v8, v4
	;; [unrolled: 1-line block ×4, first 2 shown]
	s_waitcnt lgkmcnt(2)
	v_add_f64 v[3:4], v[3:4], v[5:6]
	v_cndmask_b32_e64 v5, 0, 8, s0
	s_waitcnt lgkmcnt(0)
	v_add_f64 v[1:2], v[1:2], v[7:8]
	v_cmp_gt_u32_e64 s0, 28, v12
	v_add_lshl_u32 v8, v5, v12, 2
	ds_bpermute_b32 v5, v8, v3
	ds_bpermute_b32 v6, v8, v4
	;; [unrolled: 1-line block ×4, first 2 shown]
	s_waitcnt lgkmcnt(2)
	v_add_f64 v[3:4], v[3:4], v[5:6]
	v_cndmask_b32_e64 v5, 0, 4, s0
	s_waitcnt lgkmcnt(0)
	v_add_f64 v[1:2], v[1:2], v[7:8]
	v_cmp_gt_u32_e64 s0, 30, v12
	v_add_lshl_u32 v10, v5, v12, 2
	ds_bpermute_b32 v5, v10, v3
	ds_bpermute_b32 v6, v10, v4
	;; [unrolled: 1-line block ×4, first 2 shown]
	s_waitcnt lgkmcnt(2)
	v_add_f64 v[3:4], v[3:4], v[5:6]
	s_waitcnt lgkmcnt(0)
	v_add_f64 v[5:6], v[1:2], v[7:8]
	v_cndmask_b32_e64 v1, 0, 2, s0
	v_cmp_ne_u32_e64 s0, 31, v12
	v_add_lshl_u32 v11, v1, v12, 2
	ds_bpermute_b32 v1, v11, v3
	ds_bpermute_b32 v2, v11, v4
	ds_bpermute_b32 v7, v11, v5
	ds_bpermute_b32 v8, v11, v6
	s_waitcnt lgkmcnt(2)
	v_add_f64 v[1:2], v[3:4], v[1:2]
	s_waitcnt lgkmcnt(0)
	v_add_f64 v[3:4], v[5:6], v[7:8]
	v_add_co_ci_u32_e64 v5, null, 0, v12, s0
	v_lshlrev_b32_e32 v12, 2, v5
	ds_bpermute_b32 v5, v12, v1
	ds_bpermute_b32 v6, v12, v2
	;; [unrolled: 1-line block ×4, first 2 shown]
	v_cmpx_eq_u32_e32 0, v13
	s_cbranch_execz .LBB169_21
; %bb.20:
	s_waitcnt lgkmcnt(0)
	v_add_f64 v[3:4], v[3:4], v[7:8]
	v_add_f64 v[1:2], v[1:2], v[5:6]
	v_lshrrev_b32_e32 v5, 1, v0
	v_and_b32_e32 v5, 0x70, v5
	ds_write_b128 v5, v[1:4]
.LBB169_21:
	s_or_b32 exec_lo, exec_lo, s2
	s_waitcnt lgkmcnt(0)
	v_mov_b32_e32 v7, 0
	v_mov_b32_e32 v5, 0
	;; [unrolled: 1-line block ×4, first 2 shown]
	s_mov_b32 s2, exec_lo
	s_barrier
	buffer_gl0_inv
	v_cmpx_gt_u32_e32 8, v0
; %bb.22:
	ds_read_b128 v[5:8], v9
; %bb.23:
	s_or_b32 exec_lo, exec_lo, s2
	s_and_saveexec_b32 s0, vcc_lo
	s_cbranch_execz .LBB169_25
; %bb.24:
	s_waitcnt lgkmcnt(0)
	ds_bpermute_b32 v1, v10, v5
	ds_bpermute_b32 v2, v10, v6
	ds_bpermute_b32 v3, v10, v7
	ds_bpermute_b32 v4, v10, v8
	s_waitcnt lgkmcnt(2)
	v_add_f64 v[1:2], v[5:6], v[1:2]
	s_waitcnt lgkmcnt(0)
	v_add_f64 v[3:4], v[7:8], v[3:4]
	ds_bpermute_b32 v5, v11, v1
	ds_bpermute_b32 v6, v11, v2
	ds_bpermute_b32 v7, v11, v3
	ds_bpermute_b32 v8, v11, v4
	s_waitcnt lgkmcnt(2)
	v_add_f64 v[1:2], v[1:2], v[5:6]
	s_waitcnt lgkmcnt(0)
	v_add_f64 v[3:4], v[3:4], v[7:8]
	;; [unrolled: 8-line block ×3, first 2 shown]
.LBB169_25:
	s_or_b32 exec_lo, exec_lo, s0
	s_mov_b32 s0, exec_lo
                                        ; implicit-def: $vgpr3_vgpr4
                                        ; implicit-def: $sgpr2_sgpr3
	v_cmpx_eq_u32_e32 0, v0
	s_cbranch_execz .LBB169_29
; %bb.26:
	s_waitcnt lgkmcnt(0)
	v_mul_f64 v[0:1], s[26:27], v[7:8]
	v_mul_f64 v[3:4], s[24:25], v[7:8]
	v_cmp_neq_f64_e64 s2, s[12:13], 0
	v_cmp_neq_f64_e64 s3, s[14:15], 0
	s_mul_hi_u32 s4, s20, s6
	v_fma_f64 v[1:2], s[24:25], v[5:6], -v[0:1]
	v_fma_f64 v[3:4], s[26:27], v[5:6], v[3:4]
	s_or_b32 s2, s2, s3
	s_mul_i32 s3, s20, s7
	s_andn2_b32 vcc_lo, exec_lo, s2
	s_add_i32 s3, s4, s3
	s_mul_i32 s4, s21, s6
	s_mul_i32 s2, s20, s6
	s_add_i32 s3, s3, s4
	s_cbranch_vccnz .LBB169_28
; %bb.27:
	s_lshl_b64 s[4:5], s[2:3], 4
	s_add_u32 s4, s1, s4
	s_addc_u32 s5, s22, s5
	s_load_dwordx4 s[4:7], s[4:5], 0x0
	s_waitcnt lgkmcnt(0)
	v_mul_f64 v[5:6], s[14:15], s[6:7]
	v_mul_f64 v[7:8], s[12:13], s[6:7]
	v_fma_f64 v[5:6], s[12:13], s[4:5], -v[5:6]
	v_fma_f64 v[7:8], s[14:15], s[4:5], v[7:8]
	v_add_f64 v[1:2], v[1:2], v[5:6]
	v_add_f64 v[3:4], v[3:4], v[7:8]
.LBB169_28:
	s_or_b32 s23, s23, exec_lo
.LBB169_29:
	s_or_b32 exec_lo, exec_lo, s0
.LBB169_30:
	s_and_saveexec_b32 s0, s23
	s_cbranch_execz .LBB169_32
; %bb.31:
	s_lshl_b64 s[2:3], s[2:3], 4
	v_mov_b32_e32 v0, 0
	s_add_u32 s0, s1, s2
	s_addc_u32 s1, s22, s3
	global_store_dwordx4 v0, v[1:4], s[0:1]
.LBB169_32:
	s_endpgm
	.section	.rodata,"a",@progbits
	.p2align	6, 0x0
	.amdhsa_kernel _ZL32rocblas_gemvt_warp_reduce_kernelILb0ELi256El19rocblas_complex_numIdEPKS1_S1_EviiT3_lPKT2_lT1_lS7_lS8_lS4_lPT4_lS8_li
		.amdhsa_group_segment_fixed_size 512
		.amdhsa_private_segment_fixed_size 0
		.amdhsa_kernarg_size 140
		.amdhsa_user_sgpr_count 6
		.amdhsa_user_sgpr_private_segment_buffer 1
		.amdhsa_user_sgpr_dispatch_ptr 0
		.amdhsa_user_sgpr_queue_ptr 0
		.amdhsa_user_sgpr_kernarg_segment_ptr 1
		.amdhsa_user_sgpr_dispatch_id 0
		.amdhsa_user_sgpr_flat_scratch_init 0
		.amdhsa_user_sgpr_private_segment_size 0
		.amdhsa_wavefront_size32 1
		.amdhsa_uses_dynamic_stack 0
		.amdhsa_system_sgpr_private_segment_wavefront_offset 0
		.amdhsa_system_sgpr_workgroup_id_x 1
		.amdhsa_system_sgpr_workgroup_id_y 0
		.amdhsa_system_sgpr_workgroup_id_z 1
		.amdhsa_system_sgpr_workgroup_info 0
		.amdhsa_system_vgpr_workitem_id 0
		.amdhsa_next_free_vgpr 21
		.amdhsa_next_free_sgpr 52
		.amdhsa_reserve_vcc 1
		.amdhsa_reserve_flat_scratch 0
		.amdhsa_float_round_mode_32 0
		.amdhsa_float_round_mode_16_64 0
		.amdhsa_float_denorm_mode_32 3
		.amdhsa_float_denorm_mode_16_64 3
		.amdhsa_dx10_clamp 1
		.amdhsa_ieee_mode 1
		.amdhsa_fp16_overflow 0
		.amdhsa_workgroup_processor_mode 1
		.amdhsa_memory_ordered 1
		.amdhsa_forward_progress 1
		.amdhsa_shared_vgpr_count 0
		.amdhsa_exception_fp_ieee_invalid_op 0
		.amdhsa_exception_fp_denorm_src 0
		.amdhsa_exception_fp_ieee_div_zero 0
		.amdhsa_exception_fp_ieee_overflow 0
		.amdhsa_exception_fp_ieee_underflow 0
		.amdhsa_exception_fp_ieee_inexact 0
		.amdhsa_exception_int_div_zero 0
	.end_amdhsa_kernel
	.section	.text._ZL32rocblas_gemvt_warp_reduce_kernelILb0ELi256El19rocblas_complex_numIdEPKS1_S1_EviiT3_lPKT2_lT1_lS7_lS8_lS4_lPT4_lS8_li,"axG",@progbits,_ZL32rocblas_gemvt_warp_reduce_kernelILb0ELi256El19rocblas_complex_numIdEPKS1_S1_EviiT3_lPKT2_lT1_lS7_lS8_lS4_lPT4_lS8_li,comdat
.Lfunc_end169:
	.size	_ZL32rocblas_gemvt_warp_reduce_kernelILb0ELi256El19rocblas_complex_numIdEPKS1_S1_EviiT3_lPKT2_lT1_lS7_lS8_lS4_lPT4_lS8_li, .Lfunc_end169-_ZL32rocblas_gemvt_warp_reduce_kernelILb0ELi256El19rocblas_complex_numIdEPKS1_S1_EviiT3_lPKT2_lT1_lS7_lS8_lS4_lPT4_lS8_li
                                        ; -- End function
	.set _ZL32rocblas_gemvt_warp_reduce_kernelILb0ELi256El19rocblas_complex_numIdEPKS1_S1_EviiT3_lPKT2_lT1_lS7_lS8_lS4_lPT4_lS8_li.num_vgpr, 21
	.set _ZL32rocblas_gemvt_warp_reduce_kernelILb0ELi256El19rocblas_complex_numIdEPKS1_S1_EviiT3_lPKT2_lT1_lS7_lS8_lS4_lPT4_lS8_li.num_agpr, 0
	.set _ZL32rocblas_gemvt_warp_reduce_kernelILb0ELi256El19rocblas_complex_numIdEPKS1_S1_EviiT3_lPKT2_lT1_lS7_lS8_lS4_lPT4_lS8_li.numbered_sgpr, 52
	.set _ZL32rocblas_gemvt_warp_reduce_kernelILb0ELi256El19rocblas_complex_numIdEPKS1_S1_EviiT3_lPKT2_lT1_lS7_lS8_lS4_lPT4_lS8_li.num_named_barrier, 0
	.set _ZL32rocblas_gemvt_warp_reduce_kernelILb0ELi256El19rocblas_complex_numIdEPKS1_S1_EviiT3_lPKT2_lT1_lS7_lS8_lS4_lPT4_lS8_li.private_seg_size, 0
	.set _ZL32rocblas_gemvt_warp_reduce_kernelILb0ELi256El19rocblas_complex_numIdEPKS1_S1_EviiT3_lPKT2_lT1_lS7_lS8_lS4_lPT4_lS8_li.uses_vcc, 1
	.set _ZL32rocblas_gemvt_warp_reduce_kernelILb0ELi256El19rocblas_complex_numIdEPKS1_S1_EviiT3_lPKT2_lT1_lS7_lS8_lS4_lPT4_lS8_li.uses_flat_scratch, 0
	.set _ZL32rocblas_gemvt_warp_reduce_kernelILb0ELi256El19rocblas_complex_numIdEPKS1_S1_EviiT3_lPKT2_lT1_lS7_lS8_lS4_lPT4_lS8_li.has_dyn_sized_stack, 0
	.set _ZL32rocblas_gemvt_warp_reduce_kernelILb0ELi256El19rocblas_complex_numIdEPKS1_S1_EviiT3_lPKT2_lT1_lS7_lS8_lS4_lPT4_lS8_li.has_recursion, 0
	.set _ZL32rocblas_gemvt_warp_reduce_kernelILb0ELi256El19rocblas_complex_numIdEPKS1_S1_EviiT3_lPKT2_lT1_lS7_lS8_lS4_lPT4_lS8_li.has_indirect_call, 0
	.section	.AMDGPU.csdata,"",@progbits
; Kernel info:
; codeLenInByte = 2100
; TotalNumSgprs: 54
; NumVgprs: 21
; ScratchSize: 0
; MemoryBound: 0
; FloatMode: 240
; IeeeMode: 1
; LDSByteSize: 512 bytes/workgroup (compile time only)
; SGPRBlocks: 0
; VGPRBlocks: 2
; NumSGPRsForWavesPerEU: 54
; NumVGPRsForWavesPerEU: 21
; Occupancy: 16
; WaveLimiterHint : 0
; COMPUTE_PGM_RSRC2:SCRATCH_EN: 0
; COMPUTE_PGM_RSRC2:USER_SGPR: 6
; COMPUTE_PGM_RSRC2:TRAP_HANDLER: 0
; COMPUTE_PGM_RSRC2:TGID_X_EN: 1
; COMPUTE_PGM_RSRC2:TGID_Y_EN: 0
; COMPUTE_PGM_RSRC2:TGID_Z_EN: 1
; COMPUTE_PGM_RSRC2:TIDIG_COMP_CNT: 0
	.section	.text._ZL32rocblas_gemvt_warp_reduce_kernelILb0ELi256Ei19rocblas_complex_numIdES1_S1_EviiT3_lPKT2_lT1_lS5_lS6_lS2_lPT4_lS6_li,"axG",@progbits,_ZL32rocblas_gemvt_warp_reduce_kernelILb0ELi256Ei19rocblas_complex_numIdES1_S1_EviiT3_lPKT2_lT1_lS5_lS6_lS2_lPT4_lS6_li,comdat
	.globl	_ZL32rocblas_gemvt_warp_reduce_kernelILb0ELi256Ei19rocblas_complex_numIdES1_S1_EviiT3_lPKT2_lT1_lS5_lS6_lS2_lPT4_lS6_li ; -- Begin function _ZL32rocblas_gemvt_warp_reduce_kernelILb0ELi256Ei19rocblas_complex_numIdES1_S1_EviiT3_lPKT2_lT1_lS5_lS6_lS2_lPT4_lS6_li
	.p2align	8
	.type	_ZL32rocblas_gemvt_warp_reduce_kernelILb0ELi256Ei19rocblas_complex_numIdES1_S1_EviiT3_lPKT2_lT1_lS5_lS6_lS2_lPT4_lS6_li,@function
_ZL32rocblas_gemvt_warp_reduce_kernelILb0ELi256Ei19rocblas_complex_numIdES1_S1_EviiT3_lPKT2_lT1_lS5_lS6_lS2_lPT4_lS6_li: ; @_ZL32rocblas_gemvt_warp_reduce_kernelILb0ELi256Ei19rocblas_complex_numIdES1_S1_EviiT3_lPKT2_lT1_lS5_lS6_lS2_lPT4_lS6_li
; %bb.0:
	s_clause 0x2
	s_load_dwordx4 s[12:15], s[4:5], 0x8
	s_load_dwordx4 s[8:11], s[4:5], 0x58
	s_load_dwordx2 s[20:21], s[4:5], 0x68
	s_waitcnt lgkmcnt(0)
	v_cmp_neq_f64_e64 s0, s[12:13], 0
	v_cmp_neq_f64_e64 s1, s[14:15], 0
	s_or_b32 s0, s0, s1
	s_mov_b32 s1, -1
	s_and_b32 vcc_lo, exec_lo, s0
	s_cbranch_vccnz .LBB170_2
; %bb.1:
	v_cmp_neq_f64_e64 s1, s[10:11], 1.0
	v_cmp_neq_f64_e64 s2, s[20:21], 0
	s_or_b32 s1, s1, s2
.LBB170_2:
	s_andn2_b32 vcc_lo, exec_lo, s1
	s_cbranch_vccnz .LBB170_32
; %bb.3:
	s_clause 0x2
	s_load_dwordx2 s[2:3], s[4:5], 0x90
	s_load_dwordx4 s[16:19], s[4:5], 0x78
	s_load_dword s24, s[4:5], 0x88
	s_xor_b32 s25, s0, -1
	s_waitcnt lgkmcnt(0)
	s_mul_i32 s1, s3, s7
	s_mul_hi_u32 s3, s2, s7
	s_mul_i32 s0, s2, s7
	s_add_i32 s1, s3, s1
	s_lshl_b64 s[0:1], s[0:1], 4
	s_add_u32 s16, s16, s0
	s_addc_u32 s1, s17, s1
	s_lshl_b64 s[2:3], s[18:19], 4
	v_cmp_eq_u32_e64 s0, 0, v0
	s_add_u32 s22, s16, s2
	s_addc_u32 s23, s1, s3
	s_andn2_b32 vcc_lo, exec_lo, s25
	s_mov_b32 s25, 0
	s_cbranch_vccnz .LBB170_7
; %bb.4:
	s_mov_b32 s1, 0
                                        ; implicit-def: $vgpr3_vgpr4
                                        ; implicit-def: $sgpr2_sgpr3
	s_and_saveexec_b32 s16, s0
	s_cbranch_execz .LBB170_8
; %bb.5:
	v_cmp_neq_f64_e64 s0, s[10:11], 0
	v_cmp_neq_f64_e64 s2, s[20:21], 0
	s_or_b32 s0, s0, s2
	s_mul_i32 s2, s24, s6
	s_andn2_b32 vcc_lo, exec_lo, s0
	s_ashr_i32 s3, s2, 31
	s_cbranch_vccnz .LBB170_9
; %bb.6:
	s_lshl_b64 s[18:19], s[2:3], 4
	s_add_u32 s18, s22, s18
	s_addc_u32 s19, s23, s19
	s_load_dwordx4 s[28:31], s[18:19], 0x0
	s_waitcnt lgkmcnt(0)
	v_mul_f64 v[1:2], s[20:21], s[30:31]
	v_mul_f64 v[3:4], s[10:11], s[30:31]
	v_fma_f64 v[1:2], s[10:11], s[28:29], -v[1:2]
	v_fma_f64 v[3:4], s[20:21], s[28:29], v[3:4]
	s_branch .LBB170_10
.LBB170_7:
                                        ; implicit-def: $vgpr3_vgpr4
                                        ; implicit-def: $sgpr2_sgpr3
	s_cbranch_execnz .LBB170_11
	s_branch .LBB170_30
.LBB170_8:
	s_or_b32 exec_lo, exec_lo, s16
	s_and_b32 vcc_lo, exec_lo, s1
	s_cbranch_vccnz .LBB170_11
	s_branch .LBB170_30
.LBB170_9:
	v_mov_b32_e32 v3, 0
	v_mov_b32_e32 v1, 0
	;; [unrolled: 1-line block ×4, first 2 shown]
.LBB170_10:
	s_mov_b32 s25, exec_lo
	s_or_b32 exec_lo, exec_lo, s16
	s_and_b32 vcc_lo, exec_lo, s1
	s_cbranch_vccz .LBB170_30
.LBB170_11:
	s_clause 0x5
	s_load_dwordx4 s[0:3], s[4:5], 0x38
	s_load_dwordx2 s[30:31], s[4:5], 0x48
	s_load_dword s28, s[4:5], 0x0
	s_load_dwordx4 s[16:19], s[4:5], 0x20
	s_load_dword s29, s[4:5], 0x30
	s_load_dword s26, s[4:5], 0x50
	s_mul_i32 s9, s9, s7
	s_mul_hi_u32 s27, s8, s7
	s_mul_i32 s8, s8, s7
	s_add_i32 s9, s27, s9
	v_mov_b32_e32 v1, 0
	s_lshl_b64 s[4:5], s[8:9], 4
	v_mov_b32_e32 v3, 0
	v_mov_b32_e32 v2, 0
	;; [unrolled: 1-line block ×3, first 2 shown]
	s_waitcnt lgkmcnt(0)
	s_add_u32 s4, s2, s4
	s_addc_u32 s5, s3, s5
	v_cmp_gt_i32_e32 vcc_lo, s28, v0
	s_lshl_b64 s[2:3], s[30:31], 4
	s_mul_i32 s9, s1, s7
	s_add_u32 s1, s4, s2
	s_addc_u32 s27, s5, s3
	v_cndmask_b32_e32 v5, 0, v0, vcc_lo
	s_ashr_i32 s2, s28, 31
	s_mul_hi_u32 s3, s0, s7
	s_lshr_b32 s2, s2, 24
	s_mul_i32 s4, s29, s6
	v_lshlrev_b32_e32 v9, 4, v5
	s_add_i32 s2, s28, s2
	s_mul_i32 s8, s0, s7
	s_and_b32 s2, s2, 0xffffff00
	s_add_i32 s9, s3, s9
	s_mov_b32 s7, 0
	s_ashr_i32 s5, s4, 31
	s_mov_b32 s3, exec_lo
	v_cmpx_gt_i32_e64 s2, v0
	s_cbranch_execz .LBB170_15
; %bb.12:
	s_lshl_b64 s[30:31], s[8:9], 4
	s_lshl_b64 s[34:35], s[18:19], 4
	v_mul_lo_u32 v7, v0, s26
	s_add_u32 s0, s30, s34
	s_addc_u32 s29, s31, s35
	s_lshl_b64 s[30:31], s[4:5], 4
	v_mov_b32_e32 v3, 0
	s_add_u32 s0, s0, s30
	s_addc_u32 s29, s29, s31
	s_add_u32 s0, s16, s0
	s_addc_u32 s29, s17, s29
	v_add_co_u32 v1, s0, s0, v9
	v_add_co_ci_u32_e64 v2, null, s29, 0, s0
	v_mov_b32_e32 v4, 0
	v_add_co_u32 v5, vcc_lo, v1, 8
	v_add_co_ci_u32_e64 v6, null, 0, v2, vcc_lo
	v_mov_b32_e32 v1, 0
	v_mov_b32_e32 v2, 0
	;; [unrolled: 1-line block ×3, first 2 shown]
	s_lshl_b32 s29, s26, 8
	s_inst_prefetch 0x1
	.p2align	6
.LBB170_13:                             ; =>This Inner Loop Header: Depth=1
	v_ashrrev_i32_e32 v8, 31, v7
	v_add_nc_u32_e32 v10, 0x100, v10
	v_lshlrev_b64 v[11:12], 4, v[7:8]
	v_cmp_le_i32_e64 s0, s2, v10
	v_add_nc_u32_e32 v7, s29, v7
	s_or_b32 s7, s0, s7
	v_add_co_u32 v15, vcc_lo, s1, v11
	v_add_co_ci_u32_e64 v16, null, s27, v12, vcc_lo
	global_load_dwordx4 v[11:14], v[5:6], off offset:-8
	global_load_dwordx4 v[15:18], v[15:16], off
	v_add_co_u32 v5, vcc_lo, 0x1000, v5
	v_add_co_ci_u32_e64 v6, null, 0, v6, vcc_lo
	s_waitcnt vmcnt(0)
	v_mul_f64 v[19:20], v[13:14], v[17:18]
	v_mul_f64 v[17:18], v[11:12], v[17:18]
	v_fma_f64 v[11:12], v[11:12], v[15:16], -v[19:20]
	v_fma_f64 v[13:14], v[13:14], v[15:16], v[17:18]
	v_add_f64 v[3:4], v[3:4], v[11:12]
	v_add_f64 v[1:2], v[1:2], v[13:14]
	s_andn2_b32 exec_lo, exec_lo, s7
	s_cbranch_execnz .LBB170_13
; %bb.14:
	s_inst_prefetch 0x2
	s_or_b32 exec_lo, exec_lo, s7
.LBB170_15:
	s_or_b32 exec_lo, exec_lo, s3
	v_add_nc_u32_e32 v5, s2, v0
	s_mov_b32 s0, exec_lo
	v_cmpx_gt_i32_e64 s28, v5
	s_cbranch_execz .LBB170_17
; %bb.16:
	s_lshl_b64 s[8:9], s[8:9], 4
	v_mul_lo_u32 v5, s26, v5
	s_add_u32 s3, s16, s8
	s_addc_u32 s7, s17, s9
	s_lshl_b64 s[8:9], s[18:19], 4
	s_add_u32 s3, s3, s8
	s_addc_u32 s7, s7, s9
	v_add_co_u32 v7, s3, s3, v9
	v_ashrrev_i32_e32 v6, 31, v5
	v_add_co_ci_u32_e64 v8, null, s7, 0, s3
	s_lshl_b64 s[4:5], s[4:5], 4
	s_ashr_i32 s3, s2, 31
	v_add_co_u32 v7, vcc_lo, v7, s4
	v_lshlrev_b64 v[5:6], 4, v[5:6]
	v_add_co_ci_u32_e64 v8, null, s5, v8, vcc_lo
	s_lshl_b64 s[2:3], s[2:3], 4
	v_add_co_u32 v7, vcc_lo, v7, s2
	v_add_co_ci_u32_e64 v8, null, s3, v8, vcc_lo
	v_add_co_u32 v9, vcc_lo, s1, v5
	v_add_co_ci_u32_e64 v10, null, s27, v6, vcc_lo
	global_load_dwordx4 v[5:8], v[7:8], off
	global_load_dwordx4 v[9:12], v[9:10], off
	s_waitcnt vmcnt(0)
	v_mul_f64 v[13:14], v[7:8], v[11:12]
	v_mul_f64 v[11:12], v[5:6], v[11:12]
	v_fma_f64 v[5:6], v[5:6], v[9:10], -v[13:14]
	v_fma_f64 v[7:8], v[7:8], v[9:10], v[11:12]
	v_add_f64 v[3:4], v[3:4], v[5:6]
	v_add_f64 v[1:2], v[1:2], v[7:8]
.LBB170_17:
	s_or_b32 exec_lo, exec_lo, s0
	v_and_b32_e32 v13, 31, v0
	v_cmp_gt_u32_e32 vcc_lo, 32, v0
	v_lshlrev_b32_e32 v9, 4, v13
	s_and_saveexec_b32 s0, vcc_lo
	s_cbranch_execz .LBB170_19
; %bb.18:
	v_mov_b32_e32 v5, 0
	v_mov_b32_e32 v6, v5
	;; [unrolled: 1-line block ×4, first 2 shown]
	ds_write_b128 v9, v[5:8]
.LBB170_19:
	s_or_b32 exec_lo, exec_lo, s0
	v_mbcnt_lo_u32_b32 v12, -1, 0
	s_mov_b32 s1, exec_lo
	s_waitcnt lgkmcnt(0)
	s_barrier
	buffer_gl0_inv
	v_lshl_or_b32 v8, v12, 2, 64
	v_cmp_gt_u32_e64 s0, 24, v12
	ds_bpermute_b32 v5, v8, v3
	ds_bpermute_b32 v6, v8, v4
	;; [unrolled: 1-line block ×4, first 2 shown]
	s_waitcnt lgkmcnt(2)
	v_add_f64 v[3:4], v[3:4], v[5:6]
	v_cndmask_b32_e64 v5, 0, 8, s0
	s_waitcnt lgkmcnt(0)
	v_add_f64 v[1:2], v[1:2], v[7:8]
	v_cmp_gt_u32_e64 s0, 28, v12
	v_add_lshl_u32 v8, v5, v12, 2
	ds_bpermute_b32 v5, v8, v3
	ds_bpermute_b32 v6, v8, v4
	;; [unrolled: 1-line block ×4, first 2 shown]
	s_waitcnt lgkmcnt(2)
	v_add_f64 v[3:4], v[3:4], v[5:6]
	v_cndmask_b32_e64 v5, 0, 4, s0
	s_waitcnt lgkmcnt(0)
	v_add_f64 v[1:2], v[1:2], v[7:8]
	v_cmp_gt_u32_e64 s0, 30, v12
	v_add_lshl_u32 v10, v5, v12, 2
	ds_bpermute_b32 v5, v10, v3
	ds_bpermute_b32 v6, v10, v4
	;; [unrolled: 1-line block ×4, first 2 shown]
	s_waitcnt lgkmcnt(2)
	v_add_f64 v[3:4], v[3:4], v[5:6]
	s_waitcnt lgkmcnt(0)
	v_add_f64 v[5:6], v[1:2], v[7:8]
	v_cndmask_b32_e64 v1, 0, 2, s0
	v_cmp_ne_u32_e64 s0, 31, v12
	v_add_lshl_u32 v11, v1, v12, 2
	ds_bpermute_b32 v1, v11, v3
	ds_bpermute_b32 v2, v11, v4
	;; [unrolled: 1-line block ×4, first 2 shown]
	s_waitcnt lgkmcnt(2)
	v_add_f64 v[1:2], v[3:4], v[1:2]
	s_waitcnt lgkmcnt(0)
	v_add_f64 v[3:4], v[5:6], v[7:8]
	v_add_co_ci_u32_e64 v5, null, 0, v12, s0
	v_lshlrev_b32_e32 v12, 2, v5
	ds_bpermute_b32 v5, v12, v1
	ds_bpermute_b32 v6, v12, v2
	ds_bpermute_b32 v7, v12, v3
	ds_bpermute_b32 v8, v12, v4
	v_cmpx_eq_u32_e32 0, v13
	s_cbranch_execz .LBB170_21
; %bb.20:
	s_waitcnt lgkmcnt(0)
	v_add_f64 v[3:4], v[3:4], v[7:8]
	v_add_f64 v[1:2], v[1:2], v[5:6]
	v_lshrrev_b32_e32 v5, 1, v0
	v_and_b32_e32 v5, 0x70, v5
	ds_write_b128 v5, v[1:4]
.LBB170_21:
	s_or_b32 exec_lo, exec_lo, s1
	s_waitcnt lgkmcnt(0)
	v_mov_b32_e32 v7, 0
	v_mov_b32_e32 v5, 0
	;; [unrolled: 1-line block ×4, first 2 shown]
	s_mov_b32 s1, exec_lo
	s_barrier
	buffer_gl0_inv
	v_cmpx_gt_u32_e32 8, v0
; %bb.22:
	ds_read_b128 v[5:8], v9
; %bb.23:
	s_or_b32 exec_lo, exec_lo, s1
	s_and_saveexec_b32 s0, vcc_lo
	s_cbranch_execz .LBB170_25
; %bb.24:
	s_waitcnt lgkmcnt(0)
	ds_bpermute_b32 v1, v10, v5
	ds_bpermute_b32 v2, v10, v6
	ds_bpermute_b32 v3, v10, v7
	ds_bpermute_b32 v4, v10, v8
	s_waitcnt lgkmcnt(2)
	v_add_f64 v[1:2], v[5:6], v[1:2]
	s_waitcnt lgkmcnt(0)
	v_add_f64 v[3:4], v[7:8], v[3:4]
	ds_bpermute_b32 v5, v11, v1
	ds_bpermute_b32 v6, v11, v2
	ds_bpermute_b32 v7, v11, v3
	ds_bpermute_b32 v8, v11, v4
	s_waitcnt lgkmcnt(2)
	v_add_f64 v[1:2], v[1:2], v[5:6]
	s_waitcnt lgkmcnt(0)
	v_add_f64 v[3:4], v[3:4], v[7:8]
	;; [unrolled: 8-line block ×3, first 2 shown]
.LBB170_25:
	s_or_b32 exec_lo, exec_lo, s0
	s_mov_b32 s0, exec_lo
                                        ; implicit-def: $vgpr3_vgpr4
                                        ; implicit-def: $sgpr2_sgpr3
	v_cmpx_eq_u32_e32 0, v0
	s_cbranch_execz .LBB170_29
; %bb.26:
	s_waitcnt lgkmcnt(0)
	v_mul_f64 v[0:1], s[14:15], v[7:8]
	v_mul_f64 v[3:4], s[12:13], v[7:8]
	v_cmp_neq_f64_e64 s1, s[10:11], 0
	v_cmp_neq_f64_e64 s2, s[20:21], 0
	v_fma_f64 v[1:2], s[12:13], v[5:6], -v[0:1]
	v_fma_f64 v[3:4], s[14:15], v[5:6], v[3:4]
	s_or_b32 s1, s1, s2
	s_mul_i32 s2, s24, s6
	s_andn2_b32 vcc_lo, exec_lo, s1
	s_ashr_i32 s3, s2, 31
	s_cbranch_vccnz .LBB170_28
; %bb.27:
	s_lshl_b64 s[4:5], s[2:3], 4
	s_add_u32 s4, s22, s4
	s_addc_u32 s5, s23, s5
	s_load_dwordx4 s[4:7], s[4:5], 0x0
	s_waitcnt lgkmcnt(0)
	v_mul_f64 v[5:6], s[20:21], s[6:7]
	v_mul_f64 v[7:8], s[10:11], s[6:7]
	v_fma_f64 v[5:6], s[10:11], s[4:5], -v[5:6]
	v_fma_f64 v[7:8], s[20:21], s[4:5], v[7:8]
	v_add_f64 v[1:2], v[1:2], v[5:6]
	v_add_f64 v[3:4], v[3:4], v[7:8]
.LBB170_28:
	s_or_b32 s25, s25, exec_lo
.LBB170_29:
	s_or_b32 exec_lo, exec_lo, s0
.LBB170_30:
	s_and_saveexec_b32 s0, s25
	s_cbranch_execz .LBB170_32
; %bb.31:
	s_lshl_b64 s[0:1], s[2:3], 4
	v_mov_b32_e32 v0, 0
	s_add_u32 s0, s22, s0
	s_addc_u32 s1, s23, s1
	global_store_dwordx4 v0, v[1:4], s[0:1]
.LBB170_32:
	s_endpgm
	.section	.rodata,"a",@progbits
	.p2align	6, 0x0
	.amdhsa_kernel _ZL32rocblas_gemvt_warp_reduce_kernelILb0ELi256Ei19rocblas_complex_numIdES1_S1_EviiT3_lPKT2_lT1_lS5_lS6_lS2_lPT4_lS6_li
		.amdhsa_group_segment_fixed_size 512
		.amdhsa_private_segment_fixed_size 0
		.amdhsa_kernarg_size 156
		.amdhsa_user_sgpr_count 6
		.amdhsa_user_sgpr_private_segment_buffer 1
		.amdhsa_user_sgpr_dispatch_ptr 0
		.amdhsa_user_sgpr_queue_ptr 0
		.amdhsa_user_sgpr_kernarg_segment_ptr 1
		.amdhsa_user_sgpr_dispatch_id 0
		.amdhsa_user_sgpr_flat_scratch_init 0
		.amdhsa_user_sgpr_private_segment_size 0
		.amdhsa_wavefront_size32 1
		.amdhsa_uses_dynamic_stack 0
		.amdhsa_system_sgpr_private_segment_wavefront_offset 0
		.amdhsa_system_sgpr_workgroup_id_x 1
		.amdhsa_system_sgpr_workgroup_id_y 0
		.amdhsa_system_sgpr_workgroup_id_z 1
		.amdhsa_system_sgpr_workgroup_info 0
		.amdhsa_system_vgpr_workitem_id 0
		.amdhsa_next_free_vgpr 21
		.amdhsa_next_free_sgpr 36
		.amdhsa_reserve_vcc 1
		.amdhsa_reserve_flat_scratch 0
		.amdhsa_float_round_mode_32 0
		.amdhsa_float_round_mode_16_64 0
		.amdhsa_float_denorm_mode_32 3
		.amdhsa_float_denorm_mode_16_64 3
		.amdhsa_dx10_clamp 1
		.amdhsa_ieee_mode 1
		.amdhsa_fp16_overflow 0
		.amdhsa_workgroup_processor_mode 1
		.amdhsa_memory_ordered 1
		.amdhsa_forward_progress 1
		.amdhsa_shared_vgpr_count 0
		.amdhsa_exception_fp_ieee_invalid_op 0
		.amdhsa_exception_fp_denorm_src 0
		.amdhsa_exception_fp_ieee_div_zero 0
		.amdhsa_exception_fp_ieee_overflow 0
		.amdhsa_exception_fp_ieee_underflow 0
		.amdhsa_exception_fp_ieee_inexact 0
		.amdhsa_exception_int_div_zero 0
	.end_amdhsa_kernel
	.section	.text._ZL32rocblas_gemvt_warp_reduce_kernelILb0ELi256Ei19rocblas_complex_numIdES1_S1_EviiT3_lPKT2_lT1_lS5_lS6_lS2_lPT4_lS6_li,"axG",@progbits,_ZL32rocblas_gemvt_warp_reduce_kernelILb0ELi256Ei19rocblas_complex_numIdES1_S1_EviiT3_lPKT2_lT1_lS5_lS6_lS2_lPT4_lS6_li,comdat
.Lfunc_end170:
	.size	_ZL32rocblas_gemvt_warp_reduce_kernelILb0ELi256Ei19rocblas_complex_numIdES1_S1_EviiT3_lPKT2_lT1_lS5_lS6_lS2_lPT4_lS6_li, .Lfunc_end170-_ZL32rocblas_gemvt_warp_reduce_kernelILb0ELi256Ei19rocblas_complex_numIdES1_S1_EviiT3_lPKT2_lT1_lS5_lS6_lS2_lPT4_lS6_li
                                        ; -- End function
	.set _ZL32rocblas_gemvt_warp_reduce_kernelILb0ELi256Ei19rocblas_complex_numIdES1_S1_EviiT3_lPKT2_lT1_lS5_lS6_lS2_lPT4_lS6_li.num_vgpr, 21
	.set _ZL32rocblas_gemvt_warp_reduce_kernelILb0ELi256Ei19rocblas_complex_numIdES1_S1_EviiT3_lPKT2_lT1_lS5_lS6_lS2_lPT4_lS6_li.num_agpr, 0
	.set _ZL32rocblas_gemvt_warp_reduce_kernelILb0ELi256Ei19rocblas_complex_numIdES1_S1_EviiT3_lPKT2_lT1_lS5_lS6_lS2_lPT4_lS6_li.numbered_sgpr, 36
	.set _ZL32rocblas_gemvt_warp_reduce_kernelILb0ELi256Ei19rocblas_complex_numIdES1_S1_EviiT3_lPKT2_lT1_lS5_lS6_lS2_lPT4_lS6_li.num_named_barrier, 0
	.set _ZL32rocblas_gemvt_warp_reduce_kernelILb0ELi256Ei19rocblas_complex_numIdES1_S1_EviiT3_lPKT2_lT1_lS5_lS6_lS2_lPT4_lS6_li.private_seg_size, 0
	.set _ZL32rocblas_gemvt_warp_reduce_kernelILb0ELi256Ei19rocblas_complex_numIdES1_S1_EviiT3_lPKT2_lT1_lS5_lS6_lS2_lPT4_lS6_li.uses_vcc, 1
	.set _ZL32rocblas_gemvt_warp_reduce_kernelILb0ELi256Ei19rocblas_complex_numIdES1_S1_EviiT3_lPKT2_lT1_lS5_lS6_lS2_lPT4_lS6_li.uses_flat_scratch, 0
	.set _ZL32rocblas_gemvt_warp_reduce_kernelILb0ELi256Ei19rocblas_complex_numIdES1_S1_EviiT3_lPKT2_lT1_lS5_lS6_lS2_lPT4_lS6_li.has_dyn_sized_stack, 0
	.set _ZL32rocblas_gemvt_warp_reduce_kernelILb0ELi256Ei19rocblas_complex_numIdES1_S1_EviiT3_lPKT2_lT1_lS5_lS6_lS2_lPT4_lS6_li.has_recursion, 0
	.set _ZL32rocblas_gemvt_warp_reduce_kernelILb0ELi256Ei19rocblas_complex_numIdES1_S1_EviiT3_lPKT2_lT1_lS5_lS6_lS2_lPT4_lS6_li.has_indirect_call, 0
	.section	.AMDGPU.csdata,"",@progbits
; Kernel info:
; codeLenInByte = 1996
; TotalNumSgprs: 38
; NumVgprs: 21
; ScratchSize: 0
; MemoryBound: 0
; FloatMode: 240
; IeeeMode: 1
; LDSByteSize: 512 bytes/workgroup (compile time only)
; SGPRBlocks: 0
; VGPRBlocks: 2
; NumSGPRsForWavesPerEU: 38
; NumVGPRsForWavesPerEU: 21
; Occupancy: 16
; WaveLimiterHint : 1
; COMPUTE_PGM_RSRC2:SCRATCH_EN: 0
; COMPUTE_PGM_RSRC2:USER_SGPR: 6
; COMPUTE_PGM_RSRC2:TRAP_HANDLER: 0
; COMPUTE_PGM_RSRC2:TGID_X_EN: 1
; COMPUTE_PGM_RSRC2:TGID_Y_EN: 0
; COMPUTE_PGM_RSRC2:TGID_Z_EN: 1
; COMPUTE_PGM_RSRC2:TIDIG_COMP_CNT: 0
	.section	.text._ZL32rocblas_gemvt_warp_reduce_kernelILb0ELi256El19rocblas_complex_numIdES1_S1_EviiT3_lPKT2_lT1_lS5_lS6_lS2_lPT4_lS6_li,"axG",@progbits,_ZL32rocblas_gemvt_warp_reduce_kernelILb0ELi256El19rocblas_complex_numIdES1_S1_EviiT3_lPKT2_lT1_lS5_lS6_lS2_lPT4_lS6_li,comdat
	.globl	_ZL32rocblas_gemvt_warp_reduce_kernelILb0ELi256El19rocblas_complex_numIdES1_S1_EviiT3_lPKT2_lT1_lS5_lS6_lS2_lPT4_lS6_li ; -- Begin function _ZL32rocblas_gemvt_warp_reduce_kernelILb0ELi256El19rocblas_complex_numIdES1_S1_EviiT3_lPKT2_lT1_lS5_lS6_lS2_lPT4_lS6_li
	.p2align	8
	.type	_ZL32rocblas_gemvt_warp_reduce_kernelILb0ELi256El19rocblas_complex_numIdES1_S1_EviiT3_lPKT2_lT1_lS5_lS6_lS2_lPT4_lS6_li,@function
_ZL32rocblas_gemvt_warp_reduce_kernelILb0ELi256El19rocblas_complex_numIdES1_S1_EviiT3_lPKT2_lT1_lS5_lS6_lS2_lPT4_lS6_li: ; @_ZL32rocblas_gemvt_warp_reduce_kernelILb0ELi256El19rocblas_complex_numIdES1_S1_EviiT3_lPKT2_lT1_lS5_lS6_lS2_lPT4_lS6_li
; %bb.0:
	s_clause 0x1
	s_load_dwordx4 s[36:39], s[4:5], 0x8
	s_load_dwordx4 s[28:31], s[4:5], 0x60
	s_waitcnt lgkmcnt(0)
	v_cmp_neq_f64_e64 s0, s[36:37], 0
	v_cmp_neq_f64_e64 s1, s[38:39], 0
	s_or_b32 s0, s0, s1
	s_mov_b32 s1, -1
	s_and_b32 vcc_lo, exec_lo, s0
	s_cbranch_vccnz .LBB171_2
; %bb.1:
	v_cmp_neq_f64_e64 s1, s[28:29], 1.0
	v_cmp_neq_f64_e64 s2, s[30:31], 0
	s_or_b32 s1, s1, s2
.LBB171_2:
	s_andn2_b32 vcc_lo, exec_lo, s1
	s_cbranch_vccnz .LBB171_32
; %bb.3:
	s_load_dwordx8 s[20:27], s[4:5], 0x78
	s_xor_b32 s8, s0, -1
	s_waitcnt lgkmcnt(0)
	s_mul_i32 s1, s27, s7
	s_mul_hi_u32 s2, s26, s7
	s_mul_i32 s0, s26, s7
	s_add_i32 s1, s2, s1
	s_mov_b32 s27, 0
	s_lshl_b64 s[0:1], s[0:1], 4
	s_add_u32 s9, s20, s0
	s_addc_u32 s10, s21, s1
	s_lshl_b64 s[2:3], s[22:23], 4
	v_cmp_eq_u32_e64 s0, 0, v0
	s_add_u32 s1, s9, s2
	s_addc_u32 s26, s10, s3
	s_andn2_b32 vcc_lo, exec_lo, s8
	s_cbranch_vccnz .LBB171_7
; %bb.4:
	s_mov_b32 s8, 0
                                        ; implicit-def: $vgpr3_vgpr4
                                        ; implicit-def: $sgpr2_sgpr3
	s_and_saveexec_b32 s9, s0
	s_cbranch_execz .LBB171_8
; %bb.5:
	v_cmp_neq_f64_e64 s0, s[28:29], 0
	v_cmp_neq_f64_e64 s2, s[30:31], 0
	s_mul_hi_u32 s3, s24, s6
	s_or_b32 s0, s0, s2
	s_ashr_i32 s2, s6, 31
	s_andn2_b32 vcc_lo, exec_lo, s0
	s_mul_i32 s2, s24, s2
	s_add_i32 s2, s3, s2
	s_mul_i32 s3, s25, s6
	s_add_i32 s3, s2, s3
	s_mul_i32 s2, s24, s6
	s_cbranch_vccnz .LBB171_9
; %bb.6:
	s_lshl_b64 s[10:11], s[2:3], 4
	s_add_u32 s10, s1, s10
	s_addc_u32 s11, s26, s11
	s_load_dwordx4 s[12:15], s[10:11], 0x0
	s_waitcnt lgkmcnt(0)
	v_mul_f64 v[1:2], s[30:31], s[14:15]
	v_mul_f64 v[3:4], s[28:29], s[14:15]
	v_fma_f64 v[1:2], s[28:29], s[12:13], -v[1:2]
	v_fma_f64 v[3:4], s[30:31], s[12:13], v[3:4]
	s_branch .LBB171_10
.LBB171_7:
                                        ; implicit-def: $vgpr3_vgpr4
                                        ; implicit-def: $sgpr2_sgpr3
	s_cbranch_execnz .LBB171_11
	s_branch .LBB171_30
.LBB171_8:
	s_or_b32 exec_lo, exec_lo, s9
	s_and_b32 vcc_lo, exec_lo, s8
	s_cbranch_vccnz .LBB171_11
	s_branch .LBB171_30
.LBB171_9:
	v_mov_b32_e32 v3, 0
	v_mov_b32_e32 v1, 0
	;; [unrolled: 1-line block ×4, first 2 shown]
.LBB171_10:
	s_mov_b32 s27, exec_lo
	s_or_b32 exec_lo, exec_lo, s9
	s_and_b32 vcc_lo, exec_lo, s8
	s_cbranch_vccz .LBB171_30
.LBB171_11:
	s_clause 0x1
	s_load_dwordx16 s[8:23], s[4:5], 0x20
	s_load_dword s3, s[4:5], 0x0
	s_ashr_i32 s33, s6, 31
	v_mov_b32_e32 v1, 0
	v_mov_b32_e32 v3, 0
	;; [unrolled: 1-line block ×4, first 2 shown]
	s_waitcnt lgkmcnt(0)
	s_mul_i32 s0, s23, s7
	v_cmp_gt_i32_e32 vcc_lo, s3, v0
	s_ashr_i32 s5, s3, 31
	s_mul_hi_u32 s2, s22, s7
	s_lshr_b32 s34, s5, 24
	s_mul_i32 s4, s22, s7
	v_cndmask_b32_e32 v5, 0, v0, vcc_lo
	s_mul_i32 s15, s15, s7
	s_mul_hi_u32 s22, s14, s7
	s_mul_i32 s14, s14, s7
	s_mul_hi_u32 s7, s12, s6
	s_mul_i32 s23, s12, s33
	s_add_i32 s5, s2, s0
	s_add_i32 s0, s3, s34
	v_lshlrev_b32_e32 v9, 4, v5
	s_mul_i32 s13, s13, s6
	s_and_b32 s2, s0, 0xffffff00
	s_add_i32 s0, s7, s23
	s_add_i32 s15, s22, s15
	s_mov_b32 s34, 0
	s_add_i32 s13, s0, s13
	s_mul_i32 s12, s12, s6
	s_mov_b32 s7, exec_lo
	v_cmpx_gt_i32_e64 s2, v0
	s_cbranch_execz .LBB171_15
; %bb.12:
	v_mad_u64_u32 v[1:2], null, s20, v0, 0
	s_lshl_b64 s[22:23], s[18:19], 4
	s_lshl_b64 s[40:41], s[4:5], 4
	s_add_u32 s0, s16, s22
	s_addc_u32 s22, s17, s23
	s_add_u32 s0, s0, s40
	s_addc_u32 s35, s22, s41
	v_mad_u64_u32 v[2:3], null, s21, v0, v[2:3]
	s_lshl_b64 s[40:41], s[12:13], 4
	s_lshl_b64 s[42:43], s[14:15], 4
	;; [unrolled: 1-line block ×3, first 2 shown]
	s_add_u32 s42, s40, s42
	s_addc_u32 s43, s41, s43
	s_lshl_b64 s[40:41], s[10:11], 4
	v_lshlrev_b64 v[1:2], 4, v[1:2]
	s_add_u32 s40, s42, s40
	s_addc_u32 s41, s43, s41
	s_add_u32 s40, s8, s40
	s_addc_u32 s41, s9, s41
	v_mov_b32_e32 v10, v0
	v_add_co_u32 v1, vcc_lo, s0, v1
	v_add_co_ci_u32_e64 v2, null, s35, v2, vcc_lo
	v_add_co_u32 v3, s0, s40, v9
	v_add_co_ci_u32_e64 v4, null, s41, 0, s0
	v_add_co_u32 v5, vcc_lo, v1, 8
	v_add_co_ci_u32_e64 v6, null, 0, v2, vcc_lo
	v_add_co_u32 v7, vcc_lo, v3, 8
	v_add_co_ci_u32_e64 v8, null, 0, v4, vcc_lo
	v_mov_b32_e32 v1, 0
	v_mov_b32_e32 v3, 0
	;; [unrolled: 1-line block ×4, first 2 shown]
	.p2align	6
.LBB171_13:                             ; =>This Inner Loop Header: Depth=1
	global_load_dwordx4 v[11:14], v[7:8], off offset:-8
	global_load_dwordx4 v[15:18], v[5:6], off offset:-8
	v_add_nc_u32_e32 v10, 0x100, v10
	v_add_co_u32 v5, vcc_lo, v5, s22
	v_add_co_ci_u32_e64 v6, null, s23, v6, vcc_lo
	v_cmp_le_i32_e32 vcc_lo, s2, v10
	v_add_co_u32 v7, s0, 0x1000, v7
	v_add_co_ci_u32_e64 v8, null, 0, v8, s0
	s_or_b32 s34, vcc_lo, s34
	s_waitcnt vmcnt(0)
	v_mul_f64 v[19:20], v[13:14], v[17:18]
	v_mul_f64 v[17:18], v[11:12], v[17:18]
	v_fma_f64 v[11:12], v[11:12], v[15:16], -v[19:20]
	v_fma_f64 v[13:14], v[13:14], v[15:16], v[17:18]
	v_add_f64 v[3:4], v[3:4], v[11:12]
	v_add_f64 v[1:2], v[1:2], v[13:14]
	s_andn2_b32 exec_lo, exec_lo, s34
	s_cbranch_execnz .LBB171_13
; %bb.14:
	s_or_b32 exec_lo, exec_lo, s34
.LBB171_15:
	s_or_b32 exec_lo, exec_lo, s7
	v_add_nc_u32_e32 v5, s2, v0
	s_mov_b32 s0, exec_lo
	v_cmpx_gt_i32_e64 s3, v5
	s_cbranch_execz .LBB171_17
; %bb.16:
	v_ashrrev_i32_e32 v6, 31, v5
	s_lshl_b64 s[14:15], s[14:15], 4
	v_mul_lo_u32 v7, s21, v5
	s_add_u32 s3, s8, s14
	s_addc_u32 s7, s9, s15
	v_mul_lo_u32 v8, s20, v6
	v_mad_u64_u32 v[5:6], null, s20, v5, 0
	s_lshl_b64 s[8:9], s[10:11], 4
	s_add_u32 s3, s3, s8
	s_addc_u32 s7, s7, s9
	s_lshl_b64 s[4:5], s[4:5], 4
	v_add_co_u32 v9, s3, s3, v9
	s_lshl_b64 s[8:9], s[12:13], 4
	v_add3_u32 v6, v6, v8, v7
	s_add_u32 s10, s16, s4
	v_add_co_ci_u32_e64 v10, null, s7, 0, s3
	s_addc_u32 s11, s17, s5
	s_lshl_b64 s[4:5], s[18:19], 4
	v_add_co_u32 v7, vcc_lo, v9, s8
	s_add_u32 s4, s10, s4
	s_addc_u32 s5, s11, s5
	s_ashr_i32 s3, s2, 31
	v_lshlrev_b64 v[5:6], 4, v[5:6]
	v_add_co_ci_u32_e64 v8, null, s9, v10, vcc_lo
	s_lshl_b64 s[2:3], s[2:3], 4
	v_add_co_u32 v7, vcc_lo, v7, s2
	v_add_co_ci_u32_e64 v8, null, s3, v8, vcc_lo
	v_add_co_u32 v9, vcc_lo, s4, v5
	v_add_co_ci_u32_e64 v10, null, s5, v6, vcc_lo
	global_load_dwordx4 v[5:8], v[7:8], off
	global_load_dwordx4 v[9:12], v[9:10], off
	s_waitcnt vmcnt(0)
	v_mul_f64 v[13:14], v[7:8], v[11:12]
	v_mul_f64 v[11:12], v[5:6], v[11:12]
	v_fma_f64 v[5:6], v[5:6], v[9:10], -v[13:14]
	v_fma_f64 v[7:8], v[7:8], v[9:10], v[11:12]
	v_add_f64 v[3:4], v[3:4], v[5:6]
	v_add_f64 v[1:2], v[1:2], v[7:8]
.LBB171_17:
	s_or_b32 exec_lo, exec_lo, s0
	v_and_b32_e32 v13, 31, v0
	v_cmp_gt_u32_e32 vcc_lo, 32, v0
	v_lshlrev_b32_e32 v9, 4, v13
	s_and_saveexec_b32 s0, vcc_lo
	s_cbranch_execz .LBB171_19
; %bb.18:
	v_mov_b32_e32 v5, 0
	v_mov_b32_e32 v6, v5
	;; [unrolled: 1-line block ×4, first 2 shown]
	ds_write_b128 v9, v[5:8]
.LBB171_19:
	s_or_b32 exec_lo, exec_lo, s0
	v_mbcnt_lo_u32_b32 v12, -1, 0
	s_mov_b32 s2, exec_lo
	s_waitcnt lgkmcnt(0)
	s_barrier
	buffer_gl0_inv
	v_lshl_or_b32 v8, v12, 2, 64
	v_cmp_gt_u32_e64 s0, 24, v12
	ds_bpermute_b32 v5, v8, v3
	ds_bpermute_b32 v6, v8, v4
	;; [unrolled: 1-line block ×4, first 2 shown]
	s_waitcnt lgkmcnt(2)
	v_add_f64 v[3:4], v[3:4], v[5:6]
	v_cndmask_b32_e64 v5, 0, 8, s0
	s_waitcnt lgkmcnt(0)
	v_add_f64 v[1:2], v[1:2], v[7:8]
	v_cmp_gt_u32_e64 s0, 28, v12
	v_add_lshl_u32 v8, v5, v12, 2
	ds_bpermute_b32 v5, v8, v3
	ds_bpermute_b32 v6, v8, v4
	ds_bpermute_b32 v7, v8, v1
	ds_bpermute_b32 v8, v8, v2
	s_waitcnt lgkmcnt(2)
	v_add_f64 v[3:4], v[3:4], v[5:6]
	v_cndmask_b32_e64 v5, 0, 4, s0
	s_waitcnt lgkmcnt(0)
	v_add_f64 v[1:2], v[1:2], v[7:8]
	v_cmp_gt_u32_e64 s0, 30, v12
	v_add_lshl_u32 v10, v5, v12, 2
	ds_bpermute_b32 v5, v10, v3
	ds_bpermute_b32 v6, v10, v4
	;; [unrolled: 1-line block ×4, first 2 shown]
	s_waitcnt lgkmcnt(2)
	v_add_f64 v[3:4], v[3:4], v[5:6]
	s_waitcnt lgkmcnt(0)
	v_add_f64 v[5:6], v[1:2], v[7:8]
	v_cndmask_b32_e64 v1, 0, 2, s0
	v_cmp_ne_u32_e64 s0, 31, v12
	v_add_lshl_u32 v11, v1, v12, 2
	ds_bpermute_b32 v1, v11, v3
	ds_bpermute_b32 v2, v11, v4
	;; [unrolled: 1-line block ×4, first 2 shown]
	s_waitcnt lgkmcnt(2)
	v_add_f64 v[1:2], v[3:4], v[1:2]
	s_waitcnt lgkmcnt(0)
	v_add_f64 v[3:4], v[5:6], v[7:8]
	v_add_co_ci_u32_e64 v5, null, 0, v12, s0
	v_lshlrev_b32_e32 v12, 2, v5
	ds_bpermute_b32 v5, v12, v1
	ds_bpermute_b32 v6, v12, v2
	;; [unrolled: 1-line block ×4, first 2 shown]
	v_cmpx_eq_u32_e32 0, v13
	s_cbranch_execz .LBB171_21
; %bb.20:
	s_waitcnt lgkmcnt(0)
	v_add_f64 v[3:4], v[3:4], v[7:8]
	v_add_f64 v[1:2], v[1:2], v[5:6]
	v_lshrrev_b32_e32 v5, 1, v0
	v_and_b32_e32 v5, 0x70, v5
	ds_write_b128 v5, v[1:4]
.LBB171_21:
	s_or_b32 exec_lo, exec_lo, s2
	s_waitcnt lgkmcnt(0)
	v_mov_b32_e32 v7, 0
	v_mov_b32_e32 v5, 0
	;; [unrolled: 1-line block ×4, first 2 shown]
	s_mov_b32 s2, exec_lo
	s_barrier
	buffer_gl0_inv
	v_cmpx_gt_u32_e32 8, v0
; %bb.22:
	ds_read_b128 v[5:8], v9
; %bb.23:
	s_or_b32 exec_lo, exec_lo, s2
	s_and_saveexec_b32 s0, vcc_lo
	s_cbranch_execz .LBB171_25
; %bb.24:
	s_waitcnt lgkmcnt(0)
	ds_bpermute_b32 v1, v10, v5
	ds_bpermute_b32 v2, v10, v6
	ds_bpermute_b32 v3, v10, v7
	ds_bpermute_b32 v4, v10, v8
	s_waitcnt lgkmcnt(2)
	v_add_f64 v[1:2], v[5:6], v[1:2]
	s_waitcnt lgkmcnt(0)
	v_add_f64 v[3:4], v[7:8], v[3:4]
	ds_bpermute_b32 v5, v11, v1
	ds_bpermute_b32 v6, v11, v2
	ds_bpermute_b32 v7, v11, v3
	ds_bpermute_b32 v8, v11, v4
	s_waitcnt lgkmcnt(2)
	v_add_f64 v[1:2], v[1:2], v[5:6]
	s_waitcnt lgkmcnt(0)
	v_add_f64 v[3:4], v[3:4], v[7:8]
	;; [unrolled: 8-line block ×3, first 2 shown]
.LBB171_25:
	s_or_b32 exec_lo, exec_lo, s0
	s_mov_b32 s0, exec_lo
                                        ; implicit-def: $vgpr3_vgpr4
                                        ; implicit-def: $sgpr2_sgpr3
	v_cmpx_eq_u32_e32 0, v0
	s_cbranch_execz .LBB171_29
; %bb.26:
	s_waitcnt lgkmcnt(0)
	v_mul_f64 v[0:1], s[38:39], v[7:8]
	v_mul_f64 v[3:4], s[36:37], v[7:8]
	v_cmp_neq_f64_e64 s2, s[28:29], 0
	v_cmp_neq_f64_e64 s3, s[30:31], 0
	s_mul_hi_u32 s4, s24, s6
	v_fma_f64 v[1:2], s[36:37], v[5:6], -v[0:1]
	v_fma_f64 v[3:4], s[38:39], v[5:6], v[3:4]
	s_or_b32 s2, s2, s3
	s_mul_i32 s3, s24, s33
	s_andn2_b32 vcc_lo, exec_lo, s2
	s_add_i32 s3, s4, s3
	s_mul_i32 s4, s25, s6
	s_mul_i32 s2, s24, s6
	s_add_i32 s3, s3, s4
	s_cbranch_vccnz .LBB171_28
; %bb.27:
	s_lshl_b64 s[4:5], s[2:3], 4
	s_add_u32 s4, s1, s4
	s_addc_u32 s5, s26, s5
	s_load_dwordx4 s[4:7], s[4:5], 0x0
	s_waitcnt lgkmcnt(0)
	v_mul_f64 v[5:6], s[30:31], s[6:7]
	v_mul_f64 v[7:8], s[28:29], s[6:7]
	v_fma_f64 v[5:6], s[28:29], s[4:5], -v[5:6]
	v_fma_f64 v[7:8], s[30:31], s[4:5], v[7:8]
	v_add_f64 v[1:2], v[1:2], v[5:6]
	v_add_f64 v[3:4], v[3:4], v[7:8]
.LBB171_28:
	s_or_b32 s27, s27, exec_lo
.LBB171_29:
	s_or_b32 exec_lo, exec_lo, s0
.LBB171_30:
	s_and_saveexec_b32 s0, s27
	s_cbranch_execz .LBB171_32
; %bb.31:
	s_lshl_b64 s[2:3], s[2:3], 4
	v_mov_b32_e32 v0, 0
	s_add_u32 s0, s1, s2
	s_addc_u32 s1, s26, s3
	global_store_dwordx4 v0, v[1:4], s[0:1]
.LBB171_32:
	s_endpgm
	.section	.rodata,"a",@progbits
	.p2align	6, 0x0
	.amdhsa_kernel _ZL32rocblas_gemvt_warp_reduce_kernelILb0ELi256El19rocblas_complex_numIdES1_S1_EviiT3_lPKT2_lT1_lS5_lS6_lS2_lPT4_lS6_li
		.amdhsa_group_segment_fixed_size 512
		.amdhsa_private_segment_fixed_size 0
		.amdhsa_kernarg_size 156
		.amdhsa_user_sgpr_count 6
		.amdhsa_user_sgpr_private_segment_buffer 1
		.amdhsa_user_sgpr_dispatch_ptr 0
		.amdhsa_user_sgpr_queue_ptr 0
		.amdhsa_user_sgpr_kernarg_segment_ptr 1
		.amdhsa_user_sgpr_dispatch_id 0
		.amdhsa_user_sgpr_flat_scratch_init 0
		.amdhsa_user_sgpr_private_segment_size 0
		.amdhsa_wavefront_size32 1
		.amdhsa_uses_dynamic_stack 0
		.amdhsa_system_sgpr_private_segment_wavefront_offset 0
		.amdhsa_system_sgpr_workgroup_id_x 1
		.amdhsa_system_sgpr_workgroup_id_y 0
		.amdhsa_system_sgpr_workgroup_id_z 1
		.amdhsa_system_sgpr_workgroup_info 0
		.amdhsa_system_vgpr_workitem_id 0
		.amdhsa_next_free_vgpr 21
		.amdhsa_next_free_sgpr 44
		.amdhsa_reserve_vcc 1
		.amdhsa_reserve_flat_scratch 0
		.amdhsa_float_round_mode_32 0
		.amdhsa_float_round_mode_16_64 0
		.amdhsa_float_denorm_mode_32 3
		.amdhsa_float_denorm_mode_16_64 3
		.amdhsa_dx10_clamp 1
		.amdhsa_ieee_mode 1
		.amdhsa_fp16_overflow 0
		.amdhsa_workgroup_processor_mode 1
		.amdhsa_memory_ordered 1
		.amdhsa_forward_progress 1
		.amdhsa_shared_vgpr_count 0
		.amdhsa_exception_fp_ieee_invalid_op 0
		.amdhsa_exception_fp_denorm_src 0
		.amdhsa_exception_fp_ieee_div_zero 0
		.amdhsa_exception_fp_ieee_overflow 0
		.amdhsa_exception_fp_ieee_underflow 0
		.amdhsa_exception_fp_ieee_inexact 0
		.amdhsa_exception_int_div_zero 0
	.end_amdhsa_kernel
	.section	.text._ZL32rocblas_gemvt_warp_reduce_kernelILb0ELi256El19rocblas_complex_numIdES1_S1_EviiT3_lPKT2_lT1_lS5_lS6_lS2_lPT4_lS6_li,"axG",@progbits,_ZL32rocblas_gemvt_warp_reduce_kernelILb0ELi256El19rocblas_complex_numIdES1_S1_EviiT3_lPKT2_lT1_lS5_lS6_lS2_lPT4_lS6_li,comdat
.Lfunc_end171:
	.size	_ZL32rocblas_gemvt_warp_reduce_kernelILb0ELi256El19rocblas_complex_numIdES1_S1_EviiT3_lPKT2_lT1_lS5_lS6_lS2_lPT4_lS6_li, .Lfunc_end171-_ZL32rocblas_gemvt_warp_reduce_kernelILb0ELi256El19rocblas_complex_numIdES1_S1_EviiT3_lPKT2_lT1_lS5_lS6_lS2_lPT4_lS6_li
                                        ; -- End function
	.set _ZL32rocblas_gemvt_warp_reduce_kernelILb0ELi256El19rocblas_complex_numIdES1_S1_EviiT3_lPKT2_lT1_lS5_lS6_lS2_lPT4_lS6_li.num_vgpr, 21
	.set _ZL32rocblas_gemvt_warp_reduce_kernelILb0ELi256El19rocblas_complex_numIdES1_S1_EviiT3_lPKT2_lT1_lS5_lS6_lS2_lPT4_lS6_li.num_agpr, 0
	.set _ZL32rocblas_gemvt_warp_reduce_kernelILb0ELi256El19rocblas_complex_numIdES1_S1_EviiT3_lPKT2_lT1_lS5_lS6_lS2_lPT4_lS6_li.numbered_sgpr, 44
	.set _ZL32rocblas_gemvt_warp_reduce_kernelILb0ELi256El19rocblas_complex_numIdES1_S1_EviiT3_lPKT2_lT1_lS5_lS6_lS2_lPT4_lS6_li.num_named_barrier, 0
	.set _ZL32rocblas_gemvt_warp_reduce_kernelILb0ELi256El19rocblas_complex_numIdES1_S1_EviiT3_lPKT2_lT1_lS5_lS6_lS2_lPT4_lS6_li.private_seg_size, 0
	.set _ZL32rocblas_gemvt_warp_reduce_kernelILb0ELi256El19rocblas_complex_numIdES1_S1_EviiT3_lPKT2_lT1_lS5_lS6_lS2_lPT4_lS6_li.uses_vcc, 1
	.set _ZL32rocblas_gemvt_warp_reduce_kernelILb0ELi256El19rocblas_complex_numIdES1_S1_EviiT3_lPKT2_lT1_lS5_lS6_lS2_lPT4_lS6_li.uses_flat_scratch, 0
	.set _ZL32rocblas_gemvt_warp_reduce_kernelILb0ELi256El19rocblas_complex_numIdES1_S1_EviiT3_lPKT2_lT1_lS5_lS6_lS2_lPT4_lS6_li.has_dyn_sized_stack, 0
	.set _ZL32rocblas_gemvt_warp_reduce_kernelILb0ELi256El19rocblas_complex_numIdES1_S1_EviiT3_lPKT2_lT1_lS5_lS6_lS2_lPT4_lS6_li.has_recursion, 0
	.set _ZL32rocblas_gemvt_warp_reduce_kernelILb0ELi256El19rocblas_complex_numIdES1_S1_EviiT3_lPKT2_lT1_lS5_lS6_lS2_lPT4_lS6_li.has_indirect_call, 0
	.section	.AMDGPU.csdata,"",@progbits
; Kernel info:
; codeLenInByte = 2036
; TotalNumSgprs: 46
; NumVgprs: 21
; ScratchSize: 0
; MemoryBound: 0
; FloatMode: 240
; IeeeMode: 1
; LDSByteSize: 512 bytes/workgroup (compile time only)
; SGPRBlocks: 0
; VGPRBlocks: 2
; NumSGPRsForWavesPerEU: 46
; NumVGPRsForWavesPerEU: 21
; Occupancy: 16
; WaveLimiterHint : 1
; COMPUTE_PGM_RSRC2:SCRATCH_EN: 0
; COMPUTE_PGM_RSRC2:USER_SGPR: 6
; COMPUTE_PGM_RSRC2:TRAP_HANDLER: 0
; COMPUTE_PGM_RSRC2:TGID_X_EN: 1
; COMPUTE_PGM_RSRC2:TGID_Y_EN: 0
; COMPUTE_PGM_RSRC2:TGID_Z_EN: 1
; COMPUTE_PGM_RSRC2:TIDIG_COMP_CNT: 0
	.section	.text._ZL20rocblas_gemvt_kernelILb0ELi256E19rocblas_complex_numIdEPKS1_S1_EviiT2_lPKT1_lilS7_lilS4_lPT3_lili,"axG",@progbits,_ZL20rocblas_gemvt_kernelILb0ELi256E19rocblas_complex_numIdEPKS1_S1_EviiT2_lPKT1_lilS7_lilS4_lPT3_lili,comdat
	.globl	_ZL20rocblas_gemvt_kernelILb0ELi256E19rocblas_complex_numIdEPKS1_S1_EviiT2_lPKT1_lilS7_lilS4_lPT3_lili ; -- Begin function _ZL20rocblas_gemvt_kernelILb0ELi256E19rocblas_complex_numIdEPKS1_S1_EviiT2_lPKT1_lilS7_lilS4_lPT3_lili
	.p2align	8
	.type	_ZL20rocblas_gemvt_kernelILb0ELi256E19rocblas_complex_numIdEPKS1_S1_EviiT2_lPKT1_lilS7_lilS4_lPT3_lili,@function
_ZL20rocblas_gemvt_kernelILb0ELi256E19rocblas_complex_numIdEPKS1_S1_EviiT2_lPKT1_lilS7_lilS4_lPT3_lili: ; @_ZL20rocblas_gemvt_kernelILb0ELi256E19rocblas_complex_numIdEPKS1_S1_EviiT2_lPKT1_lilS7_lilS4_lPT3_lili
; %bb.0:
	s_clause 0x1
	s_load_dwordx8 s[8:15], s[4:5], 0x8
	s_load_dwordx8 s[16:23], s[4:5], 0x50
	s_waitcnt lgkmcnt(0)
	s_mul_i32 s1, s11, s7
	s_mul_hi_u32 s2, s10, s7
	s_mul_i32 s0, s10, s7
	s_add_i32 s1, s2, s1
	s_lshl_b64 s[0:1], s[0:1], 4
	s_add_u32 s0, s8, s0
	s_addc_u32 s1, s9, s1
	s_load_dwordx4 s[8:11], s[0:1], 0x0
	s_mul_i32 s0, s21, s7
	s_mul_hi_u32 s1, s20, s7
	s_add_i32 s1, s1, s0
	s_mul_i32 s0, s20, s7
	s_lshl_b64 s[0:1], s[0:1], 4
	s_add_u32 s0, s18, s0
	s_addc_u32 s1, s19, s1
	s_load_dwordx4 s[24:27], s[0:1], 0x0
	s_mov_b32 s1, -1
	s_waitcnt lgkmcnt(0)
	v_cmp_neq_f64_e64 s2, s[8:9], 0
	v_cmp_neq_f64_e64 s3, s[10:11], 0
	s_or_b32 s0, s2, s3
	s_and_b32 vcc_lo, exec_lo, s0
	s_cbranch_vccnz .LBB172_2
; %bb.1:
	v_cmp_neq_f64_e64 s1, s[24:25], 1.0
	v_cmp_neq_f64_e64 s2, s[26:27], 0
	s_or_b32 s1, s1, s2
.LBB172_2:
	s_andn2_b32 vcc_lo, exec_lo, s1
	s_cbranch_vccnz .LBB172_39
; %bb.3:
	s_clause 0x2
	s_load_dwordx2 s[2:3], s[4:5], 0x80
	s_load_dwordx2 s[18:19], s[4:5], 0x70
	s_load_dword s33, s[4:5], 0x78
	s_xor_b32 s20, s0, -1
	s_mov_b32 s34, 0
	s_waitcnt lgkmcnt(0)
	s_mul_i32 s1, s3, s7
	s_mul_hi_u32 s3, s2, s7
	s_mul_i32 s0, s2, s7
	s_add_i32 s1, s3, s1
	s_lshl_b64 s[0:1], s[0:1], 4
	s_add_u32 s21, s22, s0
	s_addc_u32 s1, s23, s1
	s_lshl_b64 s[2:3], s[18:19], 4
	v_cmp_eq_u32_e64 s0, 0, v0
	s_add_u32 s30, s21, s2
	s_addc_u32 s31, s1, s3
	s_andn2_b32 vcc_lo, exec_lo, s20
	s_cbranch_vccnz .LBB172_7
; %bb.4:
	s_mov_b32 s1, 0
                                        ; implicit-def: $vgpr3_vgpr4
                                        ; implicit-def: $sgpr2_sgpr3
	s_and_saveexec_b32 s18, s0
	s_cbranch_execz .LBB172_8
; %bb.5:
	v_cmp_neq_f64_e64 s0, s[24:25], 0
	v_cmp_neq_f64_e64 s2, s[26:27], 0
	s_mul_hi_i32 s3, s33, s6
	s_or_b32 s0, s0, s2
	s_mul_i32 s2, s33, s6
	s_andn2_b32 vcc_lo, exec_lo, s0
	s_cbranch_vccnz .LBB172_9
; %bb.6:
	s_lshl_b64 s[20:21], s[2:3], 4
	s_add_u32 s20, s30, s20
	s_addc_u32 s21, s31, s21
	s_load_dwordx4 s[20:23], s[20:21], 0x0
	s_waitcnt lgkmcnt(0)
	v_mul_f64 v[1:2], s[26:27], s[22:23]
	v_mul_f64 v[3:4], s[24:25], s[22:23]
	v_fma_f64 v[1:2], s[24:25], s[20:21], -v[1:2]
	v_fma_f64 v[3:4], s[26:27], s[20:21], v[3:4]
	s_branch .LBB172_10
.LBB172_7:
                                        ; implicit-def: $vgpr3_vgpr4
                                        ; implicit-def: $sgpr2_sgpr3
	s_cbranch_execnz .LBB172_11
	s_branch .LBB172_37
.LBB172_8:
	s_or_b32 exec_lo, exec_lo, s18
	s_and_b32 vcc_lo, exec_lo, s1
	s_cbranch_vccnz .LBB172_11
	s_branch .LBB172_37
.LBB172_9:
	v_mov_b32_e32 v3, 0
	v_mov_b32_e32 v1, 0
	;; [unrolled: 1-line block ×4, first 2 shown]
.LBB172_10:
	s_mov_b32 s34, exec_lo
	s_or_b32 exec_lo, exec_lo, s18
	s_and_b32 vcc_lo, exec_lo, s1
	s_cbranch_vccz .LBB172_37
.LBB172_11:
	s_clause 0x4
	s_load_dwordx4 s[0:3], s[4:5], 0x30
	s_load_dword s35, s[4:5], 0x0
	s_load_dword s20, s[4:5], 0x28
	s_load_dwordx2 s[18:19], s[4:5], 0x40
	s_load_dword s4, s[4:5], 0x48
	v_mov_b32_e32 v3, 0
	v_mov_b32_e32 v4, 0
	s_mul_i32 s17, s17, s7
	s_mul_hi_u32 s21, s16, s7
	s_mul_i32 s16, s16, s7
	s_add_i32 s17, s21, s17
	s_mov_b32 s36, 0
	s_waitcnt lgkmcnt(0)
	s_mul_hi_u32 s5, s0, s7
	v_cmp_gt_i32_e32 vcc_lo, s35, v0
	s_mul_i32 s22, s0, s7
	s_ashr_i32 s0, s35, 31
	s_mul_i32 s1, s1, s7
	s_lshr_b32 s0, s0, 24
	v_cndmask_b32_e32 v1, 0, v0, vcc_lo
	s_add_i32 s0, s35, s0
	s_add_i32 s23, s5, s1
	s_and_b32 s0, s0, 0xffffff00
	s_mul_hi_i32 s21, s20, s6
	v_lshlrev_b32_e32 v9, 4, v1
	v_mov_b32_e32 v1, v3
	v_mov_b32_e32 v2, v4
	s_cmpk_lt_i32 s35, 0x100
	s_mul_i32 s20, s20, s6
	s_cbranch_scc1 .LBB172_14
; %bb.12:
	s_lshl_b64 s[28:29], s[20:21], 4
	s_lshl_b64 s[38:39], s[22:23], 4
	s_ashr_i32 s5, s4, 31
	v_mad_i64_i32 v[1:2], null, s4, v0, 0
	s_add_u32 s1, s28, s38
	s_addc_u32 s7, s29, s39
	s_lshl_b64 s[28:29], s[14:15], 4
	v_mov_b32_e32 v3, 0
	s_add_u32 s1, s1, s28
	s_addc_u32 s7, s7, s29
	s_add_u32 s1, s12, s1
	s_addc_u32 s7, s13, s7
	v_add_co_u32 v5, s1, s1, v9
	s_lshl_b64 s[38:39], s[18:19], 4
	v_lshlrev_b64 v[1:2], 4, v[1:2]
	s_lshl_b64 s[28:29], s[16:17], 4
	v_add_co_ci_u32_e64 v6, null, s7, 0, s1
	s_add_u32 s1, s2, s38
	s_addc_u32 s7, s3, s39
	s_add_u32 s1, s1, s28
	s_addc_u32 s7, s7, s29
	v_add_co_u32 v1, vcc_lo, s1, v1
	v_add_co_ci_u32_e64 v2, null, s7, v2, vcc_lo
	v_mov_b32_e32 v4, 0
	v_add_co_u32 v5, vcc_lo, v5, 8
	v_add_co_ci_u32_e64 v6, null, 0, v6, vcc_lo
	v_add_co_u32 v7, vcc_lo, v1, 8
	v_add_co_ci_u32_e64 v8, null, 0, v2, vcc_lo
	v_mov_b32_e32 v1, v3
	v_mov_b32_e32 v2, v4
	s_lshl_b64 s[28:29], s[4:5], 12
	.p2align	6
.LBB172_13:                             ; =>This Inner Loop Header: Depth=1
	global_load_dwordx4 v[10:13], v[5:6], off offset:-8
	global_load_dwordx4 v[14:17], v[7:8], off offset:-8
	v_add_co_u32 v5, vcc_lo, 0x1000, v5
	v_add_co_ci_u32_e64 v6, null, 0, v6, vcc_lo
	v_add_co_u32 v7, vcc_lo, v7, s28
	v_add_co_ci_u32_e64 v8, null, s29, v8, vcc_lo
	s_addk_i32 s36, 0x100
	s_cmp_ge_i32 s36, s0
	s_waitcnt vmcnt(0)
	v_mul_f64 v[18:19], v[12:13], v[16:17]
	v_mul_f64 v[16:17], v[10:11], v[16:17]
	v_fma_f64 v[10:11], v[10:11], v[14:15], -v[18:19]
	v_fma_f64 v[12:13], v[12:13], v[14:15], v[16:17]
	v_add_f64 v[1:2], v[1:2], v[10:11]
	v_add_f64 v[3:4], v[3:4], v[12:13]
	s_cbranch_scc0 .LBB172_13
.LBB172_14:
	v_add_nc_u32_e32 v5, s0, v0
	s_mov_b32 s5, exec_lo
	v_cmpx_gt_i32_e64 s35, v5
	s_cbranch_execz .LBB172_16
; %bb.15:
	s_lshl_b64 s[22:23], s[22:23], 4
	v_mad_i64_i32 v[5:6], null, s4, v5, 0
	s_add_u32 s1, s12, s22
	s_addc_u32 s7, s13, s23
	s_lshl_b64 s[12:13], s[14:15], 4
	s_add_u32 s1, s1, s12
	s_addc_u32 s7, s7, s13
	s_lshl_b64 s[12:13], s[16:17], 4
	v_add_co_u32 v7, s1, s1, v9
	s_lshl_b64 s[14:15], s[20:21], 4
	s_add_u32 s12, s2, s12
	v_add_co_ci_u32_e64 v8, null, s7, 0, s1
	v_lshlrev_b64 v[5:6], 4, v[5:6]
	s_addc_u32 s13, s3, s13
	s_lshl_b64 s[2:3], s[18:19], 4
	v_add_co_u32 v7, vcc_lo, v7, s14
	s_add_u32 s2, s12, s2
	s_addc_u32 s3, s13, s3
	s_ashr_i32 s1, s0, 31
	v_add_co_ci_u32_e64 v8, null, s15, v8, vcc_lo
	s_lshl_b64 s[0:1], s[0:1], 4
	v_add_co_u32 v5, vcc_lo, s2, v5
	v_add_co_ci_u32_e64 v6, null, s3, v6, vcc_lo
	v_add_co_u32 v9, vcc_lo, v7, s0
	v_add_co_ci_u32_e64 v10, null, s1, v8, vcc_lo
	global_load_dwordx4 v[5:8], v[5:6], off
	global_load_dwordx4 v[9:12], v[9:10], off
	s_waitcnt vmcnt(0)
	v_mul_f64 v[13:14], v[11:12], v[7:8]
	v_mul_f64 v[7:8], v[9:10], v[7:8]
	v_fma_f64 v[9:10], v[9:10], v[5:6], -v[13:14]
	v_fma_f64 v[5:6], v[11:12], v[5:6], v[7:8]
	v_add_f64 v[1:2], v[1:2], v[9:10]
	v_add_f64 v[3:4], v[3:4], v[5:6]
.LBB172_16:
	s_or_b32 exec_lo, exec_lo, s5
	v_lshlrev_b32_e32 v5, 4, v0
	s_mov_b32 s0, exec_lo
	ds_write_b128 v5, v[1:4]
	s_waitcnt lgkmcnt(0)
	s_barrier
	buffer_gl0_inv
	v_cmpx_gt_u32_e32 0x80, v0
	s_cbranch_execz .LBB172_18
; %bb.17:
	ds_read_b128 v[1:4], v5 offset:2048
	ds_read_b128 v[6:9], v5
	s_waitcnt lgkmcnt(0)
	v_add_f64 v[1:2], v[1:2], v[6:7]
	v_add_f64 v[3:4], v[3:4], v[8:9]
	ds_write_b128 v5, v[1:4]
.LBB172_18:
	s_or_b32 exec_lo, exec_lo, s0
	s_mov_b32 s0, exec_lo
	s_waitcnt lgkmcnt(0)
	s_barrier
	buffer_gl0_inv
	v_cmpx_gt_u32_e32 64, v0
	s_cbranch_execz .LBB172_20
; %bb.19:
	ds_read_b128 v[1:4], v5 offset:1024
	ds_read_b128 v[6:9], v5
	s_waitcnt lgkmcnt(0)
	v_add_f64 v[1:2], v[1:2], v[6:7]
	v_add_f64 v[3:4], v[3:4], v[8:9]
	ds_write_b128 v5, v[1:4]
.LBB172_20:
	s_or_b32 exec_lo, exec_lo, s0
	s_mov_b32 s0, exec_lo
	;; [unrolled: 15-line block ×6, first 2 shown]
	s_waitcnt lgkmcnt(0)
	s_barrier
	buffer_gl0_inv
	v_cmpx_gt_u32_e32 2, v0
	s_cbranch_execz .LBB172_30
; %bb.29:
	ds_read_b128 v[1:4], v5
	ds_read_b128 v[6:9], v5 offset:32
	s_waitcnt lgkmcnt(0)
	v_add_f64 v[1:2], v[6:7], v[1:2]
	v_add_f64 v[3:4], v[8:9], v[3:4]
	ds_write_b128 v5, v[1:4]
.LBB172_30:
	s_or_b32 exec_lo, exec_lo, s0
	v_cmp_eq_u32_e32 vcc_lo, 0, v0
	s_waitcnt lgkmcnt(0)
	s_barrier
	buffer_gl0_inv
	s_and_saveexec_b32 s0, vcc_lo
	s_cbranch_execz .LBB172_32
; %bb.31:
	v_mov_b32_e32 v8, 0
	ds_read_b128 v[0:3], v8
	ds_read_b128 v[4:7], v8 offset:16
	s_waitcnt lgkmcnt(0)
	v_add_f64 v[0:1], v[4:5], v[0:1]
	v_add_f64 v[2:3], v[6:7], v[2:3]
	ds_write_b128 v8, v[0:3]
.LBB172_32:
	s_or_b32 exec_lo, exec_lo, s0
	s_waitcnt lgkmcnt(0)
	s_barrier
	buffer_gl0_inv
                                        ; implicit-def: $vgpr3_vgpr4
                                        ; implicit-def: $sgpr2_sgpr3
	s_and_saveexec_b32 s0, vcc_lo
	s_cbranch_execz .LBB172_36
; %bb.33:
	v_mov_b32_e32 v0, 0
	v_cmp_neq_f64_e64 s1, s[24:25], 0
	v_cmp_neq_f64_e64 s2, s[26:27], 0
	s_mul_hi_i32 s3, s33, s6
	ds_read_b128 v[3:6], v0
	s_or_b32 s1, s1, s2
	s_waitcnt lgkmcnt(0)
	v_mul_f64 v[0:1], s[10:11], v[5:6]
	v_mul_f64 v[5:6], s[8:9], v[5:6]
	s_andn2_b32 vcc_lo, exec_lo, s1
	s_mul_i32 s2, s33, s6
	v_fma_f64 v[1:2], s[8:9], v[3:4], -v[0:1]
	v_fma_f64 v[3:4], s[10:11], v[3:4], v[5:6]
	s_cbranch_vccnz .LBB172_35
; %bb.34:
	s_lshl_b64 s[4:5], s[2:3], 4
	s_add_u32 s4, s30, s4
	s_addc_u32 s5, s31, s5
	s_load_dwordx4 s[4:7], s[4:5], 0x0
	s_waitcnt lgkmcnt(0)
	v_mul_f64 v[5:6], s[26:27], s[6:7]
	v_mul_f64 v[7:8], s[24:25], s[6:7]
	v_fma_f64 v[5:6], s[24:25], s[4:5], -v[5:6]
	v_fma_f64 v[7:8], s[26:27], s[4:5], v[7:8]
	v_add_f64 v[1:2], v[1:2], v[5:6]
	v_add_f64 v[3:4], v[3:4], v[7:8]
.LBB172_35:
	s_or_b32 s34, s34, exec_lo
.LBB172_36:
	s_or_b32 exec_lo, exec_lo, s0
.LBB172_37:
	s_and_saveexec_b32 s0, s34
	s_cbranch_execz .LBB172_39
; %bb.38:
	s_lshl_b64 s[0:1], s[2:3], 4
	v_mov_b32_e32 v0, 0
	s_add_u32 s0, s30, s0
	s_addc_u32 s1, s31, s1
	global_store_dwordx4 v0, v[1:4], s[0:1]
.LBB172_39:
	s_endpgm
	.section	.rodata,"a",@progbits
	.p2align	6, 0x0
	.amdhsa_kernel _ZL20rocblas_gemvt_kernelILb0ELi256E19rocblas_complex_numIdEPKS1_S1_EviiT2_lPKT1_lilS7_lilS4_lPT3_lili
		.amdhsa_group_segment_fixed_size 4096
		.amdhsa_private_segment_fixed_size 0
		.amdhsa_kernarg_size 140
		.amdhsa_user_sgpr_count 6
		.amdhsa_user_sgpr_private_segment_buffer 1
		.amdhsa_user_sgpr_dispatch_ptr 0
		.amdhsa_user_sgpr_queue_ptr 0
		.amdhsa_user_sgpr_kernarg_segment_ptr 1
		.amdhsa_user_sgpr_dispatch_id 0
		.amdhsa_user_sgpr_flat_scratch_init 0
		.amdhsa_user_sgpr_private_segment_size 0
		.amdhsa_wavefront_size32 1
		.amdhsa_uses_dynamic_stack 0
		.amdhsa_system_sgpr_private_segment_wavefront_offset 0
		.amdhsa_system_sgpr_workgroup_id_x 1
		.amdhsa_system_sgpr_workgroup_id_y 0
		.amdhsa_system_sgpr_workgroup_id_z 1
		.amdhsa_system_sgpr_workgroup_info 0
		.amdhsa_system_vgpr_workitem_id 0
		.amdhsa_next_free_vgpr 20
		.amdhsa_next_free_sgpr 40
		.amdhsa_reserve_vcc 1
		.amdhsa_reserve_flat_scratch 0
		.amdhsa_float_round_mode_32 0
		.amdhsa_float_round_mode_16_64 0
		.amdhsa_float_denorm_mode_32 3
		.amdhsa_float_denorm_mode_16_64 3
		.amdhsa_dx10_clamp 1
		.amdhsa_ieee_mode 1
		.amdhsa_fp16_overflow 0
		.amdhsa_workgroup_processor_mode 1
		.amdhsa_memory_ordered 1
		.amdhsa_forward_progress 1
		.amdhsa_shared_vgpr_count 0
		.amdhsa_exception_fp_ieee_invalid_op 0
		.amdhsa_exception_fp_denorm_src 0
		.amdhsa_exception_fp_ieee_div_zero 0
		.amdhsa_exception_fp_ieee_overflow 0
		.amdhsa_exception_fp_ieee_underflow 0
		.amdhsa_exception_fp_ieee_inexact 0
		.amdhsa_exception_int_div_zero 0
	.end_amdhsa_kernel
	.section	.text._ZL20rocblas_gemvt_kernelILb0ELi256E19rocblas_complex_numIdEPKS1_S1_EviiT2_lPKT1_lilS7_lilS4_lPT3_lili,"axG",@progbits,_ZL20rocblas_gemvt_kernelILb0ELi256E19rocblas_complex_numIdEPKS1_S1_EviiT2_lPKT1_lilS7_lilS4_lPT3_lili,comdat
.Lfunc_end172:
	.size	_ZL20rocblas_gemvt_kernelILb0ELi256E19rocblas_complex_numIdEPKS1_S1_EviiT2_lPKT1_lilS7_lilS4_lPT3_lili, .Lfunc_end172-_ZL20rocblas_gemvt_kernelILb0ELi256E19rocblas_complex_numIdEPKS1_S1_EviiT2_lPKT1_lilS7_lilS4_lPT3_lili
                                        ; -- End function
	.set _ZL20rocblas_gemvt_kernelILb0ELi256E19rocblas_complex_numIdEPKS1_S1_EviiT2_lPKT1_lilS7_lilS4_lPT3_lili.num_vgpr, 20
	.set _ZL20rocblas_gemvt_kernelILb0ELi256E19rocblas_complex_numIdEPKS1_S1_EviiT2_lPKT1_lilS7_lilS4_lPT3_lili.num_agpr, 0
	.set _ZL20rocblas_gemvt_kernelILb0ELi256E19rocblas_complex_numIdEPKS1_S1_EviiT2_lPKT1_lilS7_lilS4_lPT3_lili.numbered_sgpr, 40
	.set _ZL20rocblas_gemvt_kernelILb0ELi256E19rocblas_complex_numIdEPKS1_S1_EviiT2_lPKT1_lilS7_lilS4_lPT3_lili.num_named_barrier, 0
	.set _ZL20rocblas_gemvt_kernelILb0ELi256E19rocblas_complex_numIdEPKS1_S1_EviiT2_lPKT1_lilS7_lilS4_lPT3_lili.private_seg_size, 0
	.set _ZL20rocblas_gemvt_kernelILb0ELi256E19rocblas_complex_numIdEPKS1_S1_EviiT2_lPKT1_lilS7_lilS4_lPT3_lili.uses_vcc, 1
	.set _ZL20rocblas_gemvt_kernelILb0ELi256E19rocblas_complex_numIdEPKS1_S1_EviiT2_lPKT1_lilS7_lilS4_lPT3_lili.uses_flat_scratch, 0
	.set _ZL20rocblas_gemvt_kernelILb0ELi256E19rocblas_complex_numIdEPKS1_S1_EviiT2_lPKT1_lilS7_lilS4_lPT3_lili.has_dyn_sized_stack, 0
	.set _ZL20rocblas_gemvt_kernelILb0ELi256E19rocblas_complex_numIdEPKS1_S1_EviiT2_lPKT1_lilS7_lilS4_lPT3_lili.has_recursion, 0
	.set _ZL20rocblas_gemvt_kernelILb0ELi256E19rocblas_complex_numIdEPKS1_S1_EviiT2_lPKT1_lilS7_lilS4_lPT3_lili.has_indirect_call, 0
	.section	.AMDGPU.csdata,"",@progbits
; Kernel info:
; codeLenInByte = 1968
; TotalNumSgprs: 42
; NumVgprs: 20
; ScratchSize: 0
; MemoryBound: 0
; FloatMode: 240
; IeeeMode: 1
; LDSByteSize: 4096 bytes/workgroup (compile time only)
; SGPRBlocks: 0
; VGPRBlocks: 2
; NumSGPRsForWavesPerEU: 42
; NumVGPRsForWavesPerEU: 20
; Occupancy: 16
; WaveLimiterHint : 1
; COMPUTE_PGM_RSRC2:SCRATCH_EN: 0
; COMPUTE_PGM_RSRC2:USER_SGPR: 6
; COMPUTE_PGM_RSRC2:TRAP_HANDLER: 0
; COMPUTE_PGM_RSRC2:TGID_X_EN: 1
; COMPUTE_PGM_RSRC2:TGID_Y_EN: 0
; COMPUTE_PGM_RSRC2:TGID_Z_EN: 1
; COMPUTE_PGM_RSRC2:TIDIG_COMP_CNT: 0
	.section	.text._ZL20rocblas_gemvt_kernelILb0ELi256E19rocblas_complex_numIdES1_S1_EviiT2_lPKT1_lilS5_lilS2_lPT3_lili,"axG",@progbits,_ZL20rocblas_gemvt_kernelILb0ELi256E19rocblas_complex_numIdES1_S1_EviiT2_lPKT1_lilS5_lilS2_lPT3_lili,comdat
	.globl	_ZL20rocblas_gemvt_kernelILb0ELi256E19rocblas_complex_numIdES1_S1_EviiT2_lPKT1_lilS5_lilS2_lPT3_lili ; -- Begin function _ZL20rocblas_gemvt_kernelILb0ELi256E19rocblas_complex_numIdES1_S1_EviiT2_lPKT1_lilS5_lilS2_lPT3_lili
	.p2align	8
	.type	_ZL20rocblas_gemvt_kernelILb0ELi256E19rocblas_complex_numIdES1_S1_EviiT2_lPKT1_lilS5_lilS2_lPT3_lili,@function
_ZL20rocblas_gemvt_kernelILb0ELi256E19rocblas_complex_numIdES1_S1_EviiT2_lPKT1_lilS5_lilS2_lPT3_lili: ; @_ZL20rocblas_gemvt_kernelILb0ELi256E19rocblas_complex_numIdES1_S1_EviiT2_lPKT1_lilS5_lilS2_lPT3_lili
; %bb.0:
	s_clause 0x2
	s_load_dwordx4 s[12:15], s[4:5], 0x8
	s_load_dwordx4 s[8:11], s[4:5], 0x58
	s_load_dwordx2 s[20:21], s[4:5], 0x68
	s_waitcnt lgkmcnt(0)
	v_cmp_neq_f64_e64 s0, s[12:13], 0
	v_cmp_neq_f64_e64 s1, s[14:15], 0
	s_or_b32 s0, s0, s1
	s_mov_b32 s1, -1
	s_and_b32 vcc_lo, exec_lo, s0
	s_cbranch_vccnz .LBB173_2
; %bb.1:
	v_cmp_neq_f64_e64 s1, s[10:11], 1.0
	v_cmp_neq_f64_e64 s2, s[20:21], 0
	s_or_b32 s1, s1, s2
.LBB173_2:
	s_andn2_b32 vcc_lo, exec_lo, s1
	s_cbranch_vccnz .LBB173_39
; %bb.3:
	s_clause 0x2
	s_load_dwordx2 s[2:3], s[4:5], 0x90
	s_load_dwordx4 s[16:19], s[4:5], 0x78
	s_load_dword s33, s[4:5], 0x88
	s_xor_b32 s22, s0, -1
	s_mov_b32 s34, 0
	s_waitcnt lgkmcnt(0)
	s_mul_i32 s1, s3, s7
	s_mul_hi_u32 s3, s2, s7
	s_mul_i32 s0, s2, s7
	s_add_i32 s1, s3, s1
	s_lshl_b64 s[0:1], s[0:1], 4
	s_add_u32 s16, s16, s0
	s_addc_u32 s1, s17, s1
	s_lshl_b64 s[2:3], s[18:19], 4
	v_cmp_eq_u32_e64 s0, 0, v0
	s_add_u32 s30, s16, s2
	s_addc_u32 s31, s1, s3
	s_andn2_b32 vcc_lo, exec_lo, s22
	s_cbranch_vccnz .LBB173_7
; %bb.4:
	s_mov_b32 s1, 0
                                        ; implicit-def: $vgpr3_vgpr4
                                        ; implicit-def: $sgpr2_sgpr3
	s_and_saveexec_b32 s16, s0
	s_cbranch_execz .LBB173_8
; %bb.5:
	v_cmp_neq_f64_e64 s0, s[10:11], 0
	v_cmp_neq_f64_e64 s2, s[20:21], 0
	s_mul_hi_i32 s3, s33, s6
	s_or_b32 s0, s0, s2
	s_mul_i32 s2, s33, s6
	s_andn2_b32 vcc_lo, exec_lo, s0
	s_cbranch_vccnz .LBB173_9
; %bb.6:
	s_lshl_b64 s[18:19], s[2:3], 4
	s_add_u32 s18, s30, s18
	s_addc_u32 s19, s31, s19
	s_load_dwordx4 s[24:27], s[18:19], 0x0
	s_waitcnt lgkmcnt(0)
	v_mul_f64 v[1:2], s[20:21], s[26:27]
	v_mul_f64 v[3:4], s[10:11], s[26:27]
	v_fma_f64 v[1:2], s[10:11], s[24:25], -v[1:2]
	v_fma_f64 v[3:4], s[20:21], s[24:25], v[3:4]
	s_branch .LBB173_10
.LBB173_7:
                                        ; implicit-def: $vgpr3_vgpr4
                                        ; implicit-def: $sgpr2_sgpr3
	s_cbranch_execnz .LBB173_11
	s_branch .LBB173_37
.LBB173_8:
	s_or_b32 exec_lo, exec_lo, s16
	s_and_b32 vcc_lo, exec_lo, s1
	s_cbranch_vccnz .LBB173_11
	s_branch .LBB173_37
.LBB173_9:
	v_mov_b32_e32 v3, 0
	v_mov_b32_e32 v1, 0
	;; [unrolled: 1-line block ×4, first 2 shown]
.LBB173_10:
	s_mov_b32 s34, exec_lo
	s_or_b32 exec_lo, exec_lo, s16
	s_and_b32 vcc_lo, exec_lo, s1
	s_cbranch_vccz .LBB173_37
.LBB173_11:
	s_clause 0x5
	s_load_dwordx4 s[0:3], s[4:5], 0x38
	s_load_dword s35, s[4:5], 0x0
	s_load_dword s24, s[4:5], 0x30
	s_load_dwordx4 s[16:19], s[4:5], 0x20
	s_load_dwordx2 s[22:23], s[4:5], 0x48
	s_load_dword s4, s[4:5], 0x50
	v_mov_b32_e32 v3, 0
	v_mov_b32_e32 v4, 0
	s_mul_i32 s9, s9, s7
	s_mul_hi_u32 s25, s8, s7
	s_mul_i32 s8, s8, s7
	s_add_i32 s9, s25, s9
	s_mov_b32 s36, 0
	s_waitcnt lgkmcnt(0)
	s_mul_hi_u32 s5, s0, s7
	v_cmp_gt_i32_e32 vcc_lo, s35, v0
	s_mul_i32 s26, s0, s7
	s_ashr_i32 s0, s35, 31
	s_mul_i32 s1, s1, s7
	s_lshr_b32 s0, s0, 24
	v_cndmask_b32_e32 v1, 0, v0, vcc_lo
	s_add_i32 s0, s35, s0
	s_add_i32 s27, s5, s1
	s_and_b32 s0, s0, 0xffffff00
	s_mul_hi_i32 s25, s24, s6
	v_lshlrev_b32_e32 v9, 4, v1
	v_mov_b32_e32 v1, v3
	v_mov_b32_e32 v2, v4
	s_cmpk_lt_i32 s35, 0x100
	s_mul_i32 s24, s24, s6
	s_cbranch_scc1 .LBB173_14
; %bb.12:
	s_lshl_b64 s[28:29], s[24:25], 4
	s_lshl_b64 s[38:39], s[26:27], 4
	s_ashr_i32 s5, s4, 31
	v_mad_i64_i32 v[1:2], null, s4, v0, 0
	s_add_u32 s1, s28, s38
	s_addc_u32 s7, s29, s39
	s_lshl_b64 s[28:29], s[18:19], 4
	v_mov_b32_e32 v3, 0
	s_add_u32 s1, s1, s28
	s_addc_u32 s7, s7, s29
	s_add_u32 s1, s16, s1
	s_addc_u32 s7, s17, s7
	v_add_co_u32 v5, s1, s1, v9
	s_lshl_b64 s[38:39], s[22:23], 4
	v_lshlrev_b64 v[1:2], 4, v[1:2]
	s_lshl_b64 s[28:29], s[8:9], 4
	v_add_co_ci_u32_e64 v6, null, s7, 0, s1
	s_add_u32 s1, s2, s38
	s_addc_u32 s7, s3, s39
	s_add_u32 s1, s1, s28
	s_addc_u32 s7, s7, s29
	v_add_co_u32 v1, vcc_lo, s1, v1
	v_add_co_ci_u32_e64 v2, null, s7, v2, vcc_lo
	v_mov_b32_e32 v4, 0
	v_add_co_u32 v5, vcc_lo, v5, 8
	v_add_co_ci_u32_e64 v6, null, 0, v6, vcc_lo
	v_add_co_u32 v7, vcc_lo, v1, 8
	v_add_co_ci_u32_e64 v8, null, 0, v2, vcc_lo
	v_mov_b32_e32 v1, v3
	v_mov_b32_e32 v2, v4
	s_lshl_b64 s[28:29], s[4:5], 12
	.p2align	6
.LBB173_13:                             ; =>This Inner Loop Header: Depth=1
	global_load_dwordx4 v[10:13], v[5:6], off offset:-8
	global_load_dwordx4 v[14:17], v[7:8], off offset:-8
	v_add_co_u32 v5, vcc_lo, 0x1000, v5
	v_add_co_ci_u32_e64 v6, null, 0, v6, vcc_lo
	v_add_co_u32 v7, vcc_lo, v7, s28
	v_add_co_ci_u32_e64 v8, null, s29, v8, vcc_lo
	s_addk_i32 s36, 0x100
	s_cmp_ge_i32 s36, s0
	s_waitcnt vmcnt(0)
	v_mul_f64 v[18:19], v[12:13], v[16:17]
	v_mul_f64 v[16:17], v[10:11], v[16:17]
	v_fma_f64 v[10:11], v[10:11], v[14:15], -v[18:19]
	v_fma_f64 v[12:13], v[12:13], v[14:15], v[16:17]
	v_add_f64 v[1:2], v[1:2], v[10:11]
	v_add_f64 v[3:4], v[3:4], v[12:13]
	s_cbranch_scc0 .LBB173_13
.LBB173_14:
	v_add_nc_u32_e32 v5, s0, v0
	s_mov_b32 s5, exec_lo
	v_cmpx_gt_i32_e64 s35, v5
	s_cbranch_execz .LBB173_16
; %bb.15:
	s_lshl_b64 s[26:27], s[26:27], 4
	v_mad_i64_i32 v[5:6], null, s4, v5, 0
	s_add_u32 s1, s16, s26
	s_addc_u32 s7, s17, s27
	s_lshl_b64 s[16:17], s[18:19], 4
	s_add_u32 s1, s1, s16
	s_addc_u32 s7, s7, s17
	s_lshl_b64 s[8:9], s[8:9], 4
	v_add_co_u32 v7, s1, s1, v9
	s_lshl_b64 s[16:17], s[24:25], 4
	s_add_u32 s8, s2, s8
	v_add_co_ci_u32_e64 v8, null, s7, 0, s1
	v_lshlrev_b64 v[5:6], 4, v[5:6]
	s_addc_u32 s9, s3, s9
	s_lshl_b64 s[2:3], s[22:23], 4
	v_add_co_u32 v7, vcc_lo, v7, s16
	s_add_u32 s2, s8, s2
	s_addc_u32 s3, s9, s3
	s_ashr_i32 s1, s0, 31
	v_add_co_ci_u32_e64 v8, null, s17, v8, vcc_lo
	s_lshl_b64 s[0:1], s[0:1], 4
	v_add_co_u32 v5, vcc_lo, s2, v5
	v_add_co_ci_u32_e64 v6, null, s3, v6, vcc_lo
	v_add_co_u32 v9, vcc_lo, v7, s0
	v_add_co_ci_u32_e64 v10, null, s1, v8, vcc_lo
	global_load_dwordx4 v[5:8], v[5:6], off
	global_load_dwordx4 v[9:12], v[9:10], off
	s_waitcnt vmcnt(0)
	v_mul_f64 v[13:14], v[11:12], v[7:8]
	v_mul_f64 v[7:8], v[9:10], v[7:8]
	v_fma_f64 v[9:10], v[9:10], v[5:6], -v[13:14]
	v_fma_f64 v[5:6], v[11:12], v[5:6], v[7:8]
	v_add_f64 v[1:2], v[1:2], v[9:10]
	v_add_f64 v[3:4], v[3:4], v[5:6]
.LBB173_16:
	s_or_b32 exec_lo, exec_lo, s5
	v_lshlrev_b32_e32 v5, 4, v0
	s_mov_b32 s0, exec_lo
	ds_write_b128 v5, v[1:4]
	s_waitcnt lgkmcnt(0)
	s_barrier
	buffer_gl0_inv
	v_cmpx_gt_u32_e32 0x80, v0
	s_cbranch_execz .LBB173_18
; %bb.17:
	ds_read_b128 v[1:4], v5 offset:2048
	ds_read_b128 v[6:9], v5
	s_waitcnt lgkmcnt(0)
	v_add_f64 v[1:2], v[1:2], v[6:7]
	v_add_f64 v[3:4], v[3:4], v[8:9]
	ds_write_b128 v5, v[1:4]
.LBB173_18:
	s_or_b32 exec_lo, exec_lo, s0
	s_mov_b32 s0, exec_lo
	s_waitcnt lgkmcnt(0)
	s_barrier
	buffer_gl0_inv
	v_cmpx_gt_u32_e32 64, v0
	s_cbranch_execz .LBB173_20
; %bb.19:
	ds_read_b128 v[1:4], v5 offset:1024
	ds_read_b128 v[6:9], v5
	s_waitcnt lgkmcnt(0)
	v_add_f64 v[1:2], v[1:2], v[6:7]
	v_add_f64 v[3:4], v[3:4], v[8:9]
	ds_write_b128 v5, v[1:4]
.LBB173_20:
	s_or_b32 exec_lo, exec_lo, s0
	s_mov_b32 s0, exec_lo
	;; [unrolled: 15-line block ×6, first 2 shown]
	s_waitcnt lgkmcnt(0)
	s_barrier
	buffer_gl0_inv
	v_cmpx_gt_u32_e32 2, v0
	s_cbranch_execz .LBB173_30
; %bb.29:
	ds_read_b128 v[1:4], v5
	ds_read_b128 v[6:9], v5 offset:32
	s_waitcnt lgkmcnt(0)
	v_add_f64 v[1:2], v[6:7], v[1:2]
	v_add_f64 v[3:4], v[8:9], v[3:4]
	ds_write_b128 v5, v[1:4]
.LBB173_30:
	s_or_b32 exec_lo, exec_lo, s0
	v_cmp_eq_u32_e32 vcc_lo, 0, v0
	s_waitcnt lgkmcnt(0)
	s_barrier
	buffer_gl0_inv
	s_and_saveexec_b32 s0, vcc_lo
	s_cbranch_execz .LBB173_32
; %bb.31:
	v_mov_b32_e32 v8, 0
	ds_read_b128 v[0:3], v8
	ds_read_b128 v[4:7], v8 offset:16
	s_waitcnt lgkmcnt(0)
	v_add_f64 v[0:1], v[4:5], v[0:1]
	v_add_f64 v[2:3], v[6:7], v[2:3]
	ds_write_b128 v8, v[0:3]
.LBB173_32:
	s_or_b32 exec_lo, exec_lo, s0
	s_waitcnt lgkmcnt(0)
	s_barrier
	buffer_gl0_inv
                                        ; implicit-def: $vgpr3_vgpr4
                                        ; implicit-def: $sgpr2_sgpr3
	s_and_saveexec_b32 s0, vcc_lo
	s_cbranch_execz .LBB173_36
; %bb.33:
	v_mov_b32_e32 v0, 0
	v_cmp_neq_f64_e64 s1, s[10:11], 0
	v_cmp_neq_f64_e64 s2, s[20:21], 0
	s_mul_hi_i32 s3, s33, s6
	ds_read_b128 v[3:6], v0
	s_or_b32 s1, s1, s2
	s_waitcnt lgkmcnt(0)
	v_mul_f64 v[0:1], s[14:15], v[5:6]
	v_mul_f64 v[5:6], s[12:13], v[5:6]
	s_andn2_b32 vcc_lo, exec_lo, s1
	s_mul_i32 s2, s33, s6
	v_fma_f64 v[1:2], s[12:13], v[3:4], -v[0:1]
	v_fma_f64 v[3:4], s[14:15], v[3:4], v[5:6]
	s_cbranch_vccnz .LBB173_35
; %bb.34:
	s_lshl_b64 s[4:5], s[2:3], 4
	s_add_u32 s4, s30, s4
	s_addc_u32 s5, s31, s5
	s_load_dwordx4 s[4:7], s[4:5], 0x0
	s_waitcnt lgkmcnt(0)
	v_mul_f64 v[5:6], s[20:21], s[6:7]
	v_mul_f64 v[7:8], s[10:11], s[6:7]
	v_fma_f64 v[5:6], s[10:11], s[4:5], -v[5:6]
	v_fma_f64 v[7:8], s[20:21], s[4:5], v[7:8]
	v_add_f64 v[1:2], v[1:2], v[5:6]
	v_add_f64 v[3:4], v[3:4], v[7:8]
.LBB173_35:
	s_or_b32 s34, s34, exec_lo
.LBB173_36:
	s_or_b32 exec_lo, exec_lo, s0
.LBB173_37:
	s_and_saveexec_b32 s0, s34
	s_cbranch_execz .LBB173_39
; %bb.38:
	s_lshl_b64 s[0:1], s[2:3], 4
	v_mov_b32_e32 v0, 0
	s_add_u32 s0, s30, s0
	s_addc_u32 s1, s31, s1
	global_store_dwordx4 v0, v[1:4], s[0:1]
.LBB173_39:
	s_endpgm
	.section	.rodata,"a",@progbits
	.p2align	6, 0x0
	.amdhsa_kernel _ZL20rocblas_gemvt_kernelILb0ELi256E19rocblas_complex_numIdES1_S1_EviiT2_lPKT1_lilS5_lilS2_lPT3_lili
		.amdhsa_group_segment_fixed_size 4096
		.amdhsa_private_segment_fixed_size 0
		.amdhsa_kernarg_size 156
		.amdhsa_user_sgpr_count 6
		.amdhsa_user_sgpr_private_segment_buffer 1
		.amdhsa_user_sgpr_dispatch_ptr 0
		.amdhsa_user_sgpr_queue_ptr 0
		.amdhsa_user_sgpr_kernarg_segment_ptr 1
		.amdhsa_user_sgpr_dispatch_id 0
		.amdhsa_user_sgpr_flat_scratch_init 0
		.amdhsa_user_sgpr_private_segment_size 0
		.amdhsa_wavefront_size32 1
		.amdhsa_uses_dynamic_stack 0
		.amdhsa_system_sgpr_private_segment_wavefront_offset 0
		.amdhsa_system_sgpr_workgroup_id_x 1
		.amdhsa_system_sgpr_workgroup_id_y 0
		.amdhsa_system_sgpr_workgroup_id_z 1
		.amdhsa_system_sgpr_workgroup_info 0
		.amdhsa_system_vgpr_workitem_id 0
		.amdhsa_next_free_vgpr 20
		.amdhsa_next_free_sgpr 40
		.amdhsa_reserve_vcc 1
		.amdhsa_reserve_flat_scratch 0
		.amdhsa_float_round_mode_32 0
		.amdhsa_float_round_mode_16_64 0
		.amdhsa_float_denorm_mode_32 3
		.amdhsa_float_denorm_mode_16_64 3
		.amdhsa_dx10_clamp 1
		.amdhsa_ieee_mode 1
		.amdhsa_fp16_overflow 0
		.amdhsa_workgroup_processor_mode 1
		.amdhsa_memory_ordered 1
		.amdhsa_forward_progress 1
		.amdhsa_shared_vgpr_count 0
		.amdhsa_exception_fp_ieee_invalid_op 0
		.amdhsa_exception_fp_denorm_src 0
		.amdhsa_exception_fp_ieee_div_zero 0
		.amdhsa_exception_fp_ieee_overflow 0
		.amdhsa_exception_fp_ieee_underflow 0
		.amdhsa_exception_fp_ieee_inexact 0
		.amdhsa_exception_int_div_zero 0
	.end_amdhsa_kernel
	.section	.text._ZL20rocblas_gemvt_kernelILb0ELi256E19rocblas_complex_numIdES1_S1_EviiT2_lPKT1_lilS5_lilS2_lPT3_lili,"axG",@progbits,_ZL20rocblas_gemvt_kernelILb0ELi256E19rocblas_complex_numIdES1_S1_EviiT2_lPKT1_lilS5_lilS2_lPT3_lili,comdat
.Lfunc_end173:
	.size	_ZL20rocblas_gemvt_kernelILb0ELi256E19rocblas_complex_numIdES1_S1_EviiT2_lPKT1_lilS5_lilS2_lPT3_lili, .Lfunc_end173-_ZL20rocblas_gemvt_kernelILb0ELi256E19rocblas_complex_numIdES1_S1_EviiT2_lPKT1_lilS5_lilS2_lPT3_lili
                                        ; -- End function
	.set _ZL20rocblas_gemvt_kernelILb0ELi256E19rocblas_complex_numIdES1_S1_EviiT2_lPKT1_lilS5_lilS2_lPT3_lili.num_vgpr, 20
	.set _ZL20rocblas_gemvt_kernelILb0ELi256E19rocblas_complex_numIdES1_S1_EviiT2_lPKT1_lilS5_lilS2_lPT3_lili.num_agpr, 0
	.set _ZL20rocblas_gemvt_kernelILb0ELi256E19rocblas_complex_numIdES1_S1_EviiT2_lPKT1_lilS5_lilS2_lPT3_lili.numbered_sgpr, 40
	.set _ZL20rocblas_gemvt_kernelILb0ELi256E19rocblas_complex_numIdES1_S1_EviiT2_lPKT1_lilS5_lilS2_lPT3_lili.num_named_barrier, 0
	.set _ZL20rocblas_gemvt_kernelILb0ELi256E19rocblas_complex_numIdES1_S1_EviiT2_lPKT1_lilS5_lilS2_lPT3_lili.private_seg_size, 0
	.set _ZL20rocblas_gemvt_kernelILb0ELi256E19rocblas_complex_numIdES1_S1_EviiT2_lPKT1_lilS5_lilS2_lPT3_lili.uses_vcc, 1
	.set _ZL20rocblas_gemvt_kernelILb0ELi256E19rocblas_complex_numIdES1_S1_EviiT2_lPKT1_lilS5_lilS2_lPT3_lili.uses_flat_scratch, 0
	.set _ZL20rocblas_gemvt_kernelILb0ELi256E19rocblas_complex_numIdES1_S1_EviiT2_lPKT1_lilS5_lilS2_lPT3_lili.has_dyn_sized_stack, 0
	.set _ZL20rocblas_gemvt_kernelILb0ELi256E19rocblas_complex_numIdES1_S1_EviiT2_lPKT1_lilS5_lilS2_lPT3_lili.has_recursion, 0
	.set _ZL20rocblas_gemvt_kernelILb0ELi256E19rocblas_complex_numIdES1_S1_EviiT2_lPKT1_lilS5_lilS2_lPT3_lili.has_indirect_call, 0
	.section	.AMDGPU.csdata,"",@progbits
; Kernel info:
; codeLenInByte = 1904
; TotalNumSgprs: 42
; NumVgprs: 20
; ScratchSize: 0
; MemoryBound: 0
; FloatMode: 240
; IeeeMode: 1
; LDSByteSize: 4096 bytes/workgroup (compile time only)
; SGPRBlocks: 0
; VGPRBlocks: 2
; NumSGPRsForWavesPerEU: 42
; NumVGPRsForWavesPerEU: 20
; Occupancy: 16
; WaveLimiterHint : 1
; COMPUTE_PGM_RSRC2:SCRATCH_EN: 0
; COMPUTE_PGM_RSRC2:USER_SGPR: 6
; COMPUTE_PGM_RSRC2:TRAP_HANDLER: 0
; COMPUTE_PGM_RSRC2:TGID_X_EN: 1
; COMPUTE_PGM_RSRC2:TGID_Y_EN: 0
; COMPUTE_PGM_RSRC2:TGID_Z_EN: 1
; COMPUTE_PGM_RSRC2:TIDIG_COMP_CNT: 0
	.section	.text._ZL32rocblas_gemvt_warp_reduce_kernelILb0ELi1024Ei19rocblas_complex_numIdEPKS1_S1_EviiT3_lPKT2_lT1_lS7_lS8_lS4_lPT4_lS8_li,"axG",@progbits,_ZL32rocblas_gemvt_warp_reduce_kernelILb0ELi1024Ei19rocblas_complex_numIdEPKS1_S1_EviiT3_lPKT2_lT1_lS7_lS8_lS4_lPT4_lS8_li,comdat
	.globl	_ZL32rocblas_gemvt_warp_reduce_kernelILb0ELi1024Ei19rocblas_complex_numIdEPKS1_S1_EviiT3_lPKT2_lT1_lS7_lS8_lS4_lPT4_lS8_li ; -- Begin function _ZL32rocblas_gemvt_warp_reduce_kernelILb0ELi1024Ei19rocblas_complex_numIdEPKS1_S1_EviiT3_lPKT2_lT1_lS7_lS8_lS4_lPT4_lS8_li
	.p2align	8
	.type	_ZL32rocblas_gemvt_warp_reduce_kernelILb0ELi1024Ei19rocblas_complex_numIdEPKS1_S1_EviiT3_lPKT2_lT1_lS7_lS8_lS4_lPT4_lS8_li,@function
_ZL32rocblas_gemvt_warp_reduce_kernelILb0ELi1024Ei19rocblas_complex_numIdEPKS1_S1_EviiT3_lPKT2_lT1_lS7_lS8_lS4_lPT4_lS8_li: ; @_ZL32rocblas_gemvt_warp_reduce_kernelILb0ELi1024Ei19rocblas_complex_numIdEPKS1_S1_EviiT3_lPKT2_lT1_lS7_lS8_lS4_lPT4_lS8_li
; %bb.0:
	s_clause 0x1
	s_load_dwordx8 s[8:15], s[4:5], 0x8
	s_load_dwordx8 s[16:23], s[4:5], 0x50
	s_waitcnt lgkmcnt(0)
	s_mul_i32 s1, s11, s7
	s_mul_hi_u32 s2, s10, s7
	s_mul_i32 s0, s10, s7
	s_add_i32 s1, s2, s1
	s_lshl_b64 s[0:1], s[0:1], 4
	s_add_u32 s0, s8, s0
	s_addc_u32 s1, s9, s1
	s_load_dwordx4 s[8:11], s[0:1], 0x0
	s_mul_i32 s0, s21, s7
	s_mul_hi_u32 s1, s20, s7
	s_add_i32 s1, s1, s0
	s_mul_i32 s0, s20, s7
	s_lshl_b64 s[0:1], s[0:1], 4
	s_add_u32 s0, s18, s0
	s_addc_u32 s1, s19, s1
	s_load_dwordx4 s[24:27], s[0:1], 0x0
	s_mov_b32 s1, -1
	s_waitcnt lgkmcnt(0)
	v_cmp_neq_f64_e64 s2, s[8:9], 0
	v_cmp_neq_f64_e64 s3, s[10:11], 0
	s_or_b32 s0, s2, s3
	s_and_b32 vcc_lo, exec_lo, s0
	s_cbranch_vccnz .LBB174_2
; %bb.1:
	v_cmp_neq_f64_e64 s1, s[24:25], 1.0
	v_cmp_neq_f64_e64 s2, s[26:27], 0
	s_or_b32 s1, s1, s2
.LBB174_2:
	s_andn2_b32 vcc_lo, exec_lo, s1
	s_cbranch_vccnz .LBB174_32
; %bb.3:
	s_clause 0x2
	s_load_dwordx2 s[2:3], s[4:5], 0x80
	s_load_dwordx2 s[18:19], s[4:5], 0x70
	s_load_dword s20, s[4:5], 0x78
	s_xor_b32 s21, s0, -1
	s_waitcnt lgkmcnt(0)
	s_mul_i32 s1, s3, s7
	s_mul_hi_u32 s3, s2, s7
	s_mul_i32 s0, s2, s7
	s_add_i32 s1, s3, s1
	s_lshl_b64 s[0:1], s[0:1], 4
	s_add_u32 s22, s22, s0
	s_addc_u32 s1, s23, s1
	s_lshl_b64 s[2:3], s[18:19], 4
	v_cmp_eq_u32_e64 s0, 0, v0
	s_add_u32 s18, s22, s2
	s_addc_u32 s19, s1, s3
	s_andn2_b32 vcc_lo, exec_lo, s21
	s_mov_b32 s21, 0
	s_cbranch_vccnz .LBB174_7
; %bb.4:
	s_mov_b32 s1, 0
                                        ; implicit-def: $vgpr3_vgpr4
                                        ; implicit-def: $sgpr2_sgpr3
	s_and_saveexec_b32 s22, s0
	s_cbranch_execz .LBB174_8
; %bb.5:
	v_cmp_neq_f64_e64 s0, s[24:25], 0
	v_cmp_neq_f64_e64 s2, s[26:27], 0
	s_or_b32 s0, s0, s2
	s_mul_i32 s2, s20, s6
	s_andn2_b32 vcc_lo, exec_lo, s0
	s_ashr_i32 s3, s2, 31
	s_cbranch_vccnz .LBB174_9
; %bb.6:
	s_lshl_b64 s[28:29], s[2:3], 4
	s_add_u32 s28, s18, s28
	s_addc_u32 s29, s19, s29
	s_load_dwordx4 s[28:31], s[28:29], 0x0
	s_waitcnt lgkmcnt(0)
	v_mul_f64 v[1:2], s[26:27], s[30:31]
	v_mul_f64 v[3:4], s[24:25], s[30:31]
	v_fma_f64 v[1:2], s[24:25], s[28:29], -v[1:2]
	v_fma_f64 v[3:4], s[26:27], s[28:29], v[3:4]
	s_branch .LBB174_10
.LBB174_7:
                                        ; implicit-def: $vgpr3_vgpr4
                                        ; implicit-def: $sgpr2_sgpr3
	s_cbranch_execnz .LBB174_11
	s_branch .LBB174_30
.LBB174_8:
	s_or_b32 exec_lo, exec_lo, s22
	s_and_b32 vcc_lo, exec_lo, s1
	s_cbranch_vccnz .LBB174_11
	s_branch .LBB174_30
.LBB174_9:
	v_mov_b32_e32 v3, 0
	v_mov_b32_e32 v1, 0
	;; [unrolled: 1-line block ×4, first 2 shown]
.LBB174_10:
	s_mov_b32 s21, exec_lo
	s_or_b32 exec_lo, exec_lo, s22
	s_and_b32 vcc_lo, exec_lo, s1
	s_cbranch_vccz .LBB174_30
.LBB174_11:
	s_clause 0x4
	s_load_dwordx4 s[0:3], s[4:5], 0x30
	s_load_dwordx2 s[30:31], s[4:5], 0x40
	s_load_dword s28, s[4:5], 0x0
	s_load_dword s29, s[4:5], 0x28
	;; [unrolled: 1-line block ×3, first 2 shown]
	s_mul_i32 s17, s17, s7
	s_mul_hi_u32 s23, s16, s7
	s_mul_i32 s16, s16, s7
	s_add_i32 s17, s23, s17
	v_mov_b32_e32 v1, 0
	s_lshl_b64 s[4:5], s[16:17], 4
	v_mov_b32_e32 v3, 0
	v_mov_b32_e32 v2, 0
	;; [unrolled: 1-line block ×3, first 2 shown]
	s_waitcnt lgkmcnt(0)
	s_add_u32 s4, s2, s4
	s_addc_u32 s5, s3, s5
	v_cmp_gt_i32_e32 vcc_lo, s28, v0
	s_lshl_b64 s[2:3], s[30:31], 4
	s_mul_i32 s17, s1, s7
	s_add_u32 s1, s4, s2
	s_addc_u32 s23, s5, s3
	v_cndmask_b32_e32 v5, 0, v0, vcc_lo
	s_ashr_i32 s2, s28, 31
	s_mul_hi_u32 s3, s0, s7
	s_lshr_b32 s2, s2, 22
	s_mul_i32 s4, s29, s6
	v_lshlrev_b32_e32 v9, 4, v5
	s_add_i32 s2, s28, s2
	s_mul_i32 s16, s0, s7
	s_and_b32 s2, s2, 0xfffffc00
	s_add_i32 s17, s3, s17
	s_mov_b32 s7, 0
	s_ashr_i32 s5, s4, 31
	s_mov_b32 s3, exec_lo
	v_cmpx_gt_i32_e64 s2, v0
	s_cbranch_execz .LBB174_15
; %bb.12:
	s_lshl_b64 s[30:31], s[16:17], 4
	s_lshl_b64 s[34:35], s[14:15], 4
	s_lshl_b32 s29, s22, 10
	s_add_u32 s0, s30, s34
	s_addc_u32 s33, s31, s35
	s_lshl_b64 s[30:31], s[4:5], 4
	v_mul_lo_u32 v5, v0, s22
	s_add_u32 s0, s0, s30
	s_addc_u32 s30, s33, s31
	s_add_u32 s0, s12, s0
	s_addc_u32 s30, s13, s30
	v_add_co_u32 v1, s0, s0, v9
	v_add_co_ci_u32_e64 v2, null, s30, 0, s0
	v_mov_b32_e32 v3, 0
	v_add_co_u32 v7, vcc_lo, v1, 8
	v_add_co_ci_u32_e64 v8, null, 0, v2, vcc_lo
	v_mov_b32_e32 v1, 0
	v_mov_b32_e32 v2, 0
	;; [unrolled: 1-line block ×4, first 2 shown]
	s_inst_prefetch 0x1
	.p2align	6
.LBB174_13:                             ; =>This Inner Loop Header: Depth=1
	v_ashrrev_i32_e32 v6, 31, v5
	v_add_nc_u32_e32 v10, 0x400, v10
	v_lshlrev_b64 v[11:12], 4, v[5:6]
	v_cmp_le_i32_e64 s0, s2, v10
	v_add_nc_u32_e32 v5, s29, v5
	s_or_b32 s7, s0, s7
	v_add_co_u32 v15, vcc_lo, s1, v11
	v_add_co_ci_u32_e64 v16, null, s23, v12, vcc_lo
	global_load_dwordx4 v[11:14], v[7:8], off offset:-8
	global_load_dwordx4 v[15:18], v[15:16], off
	v_add_co_u32 v7, vcc_lo, 0x4000, v7
	v_add_co_ci_u32_e64 v8, null, 0, v8, vcc_lo
	s_waitcnt vmcnt(0)
	v_mul_f64 v[19:20], v[13:14], v[17:18]
	v_mul_f64 v[17:18], v[11:12], v[17:18]
	v_fma_f64 v[11:12], v[11:12], v[15:16], -v[19:20]
	v_fma_f64 v[13:14], v[13:14], v[15:16], v[17:18]
	v_add_f64 v[3:4], v[3:4], v[11:12]
	v_add_f64 v[1:2], v[1:2], v[13:14]
	s_andn2_b32 exec_lo, exec_lo, s7
	s_cbranch_execnz .LBB174_13
; %bb.14:
	s_inst_prefetch 0x2
	s_or_b32 exec_lo, exec_lo, s7
.LBB174_15:
	s_or_b32 exec_lo, exec_lo, s3
	v_or_b32_e32 v5, s2, v0
	s_mov_b32 s0, exec_lo
	v_cmpx_gt_i32_e64 s28, v5
	s_cbranch_execz .LBB174_17
; %bb.16:
	s_lshl_b64 s[16:17], s[16:17], 4
	v_mul_lo_u32 v5, s22, v5
	s_add_u32 s3, s12, s16
	s_addc_u32 s7, s13, s17
	s_lshl_b64 s[12:13], s[14:15], 4
	s_add_u32 s3, s3, s12
	s_addc_u32 s7, s7, s13
	v_add_co_u32 v7, s3, s3, v9
	v_ashrrev_i32_e32 v6, 31, v5
	v_add_co_ci_u32_e64 v8, null, s7, 0, s3
	s_lshl_b64 s[4:5], s[4:5], 4
	s_ashr_i32 s3, s2, 31
	v_add_co_u32 v7, vcc_lo, v7, s4
	v_lshlrev_b64 v[5:6], 4, v[5:6]
	v_add_co_ci_u32_e64 v8, null, s5, v8, vcc_lo
	s_lshl_b64 s[2:3], s[2:3], 4
	v_add_co_u32 v7, vcc_lo, v7, s2
	v_add_co_ci_u32_e64 v8, null, s3, v8, vcc_lo
	v_add_co_u32 v9, vcc_lo, s1, v5
	v_add_co_ci_u32_e64 v10, null, s23, v6, vcc_lo
	global_load_dwordx4 v[5:8], v[7:8], off
	global_load_dwordx4 v[9:12], v[9:10], off
	s_waitcnt vmcnt(0)
	v_mul_f64 v[13:14], v[7:8], v[11:12]
	v_mul_f64 v[11:12], v[5:6], v[11:12]
	v_fma_f64 v[5:6], v[5:6], v[9:10], -v[13:14]
	v_fma_f64 v[7:8], v[7:8], v[9:10], v[11:12]
	v_add_f64 v[3:4], v[3:4], v[5:6]
	v_add_f64 v[1:2], v[1:2], v[7:8]
.LBB174_17:
	s_or_b32 exec_lo, exec_lo, s0
	v_and_b32_e32 v15, 31, v0
	v_cmp_gt_u32_e32 vcc_lo, 32, v0
	v_lshlrev_b32_e32 v12, 4, v15
	s_and_saveexec_b32 s0, vcc_lo
	s_cbranch_execz .LBB174_19
; %bb.18:
	v_mov_b32_e32 v5, 0
	v_mov_b32_e32 v6, v5
	;; [unrolled: 1-line block ×4, first 2 shown]
	ds_write_b128 v12, v[5:8]
.LBB174_19:
	s_or_b32 exec_lo, exec_lo, s0
	v_mbcnt_lo_u32_b32 v14, -1, 0
	s_mov_b32 s1, exec_lo
	s_waitcnt lgkmcnt(0)
	s_barrier
	buffer_gl0_inv
	v_lshl_or_b32 v9, v14, 2, 64
	v_cmp_gt_u32_e64 s0, 24, v14
	ds_bpermute_b32 v5, v9, v3
	ds_bpermute_b32 v6, v9, v4
	;; [unrolled: 1-line block ×4, first 2 shown]
	s_waitcnt lgkmcnt(2)
	v_add_f64 v[3:4], v[3:4], v[5:6]
	v_cndmask_b32_e64 v5, 0, 8, s0
	s_waitcnt lgkmcnt(0)
	v_add_f64 v[1:2], v[1:2], v[7:8]
	v_cmp_gt_u32_e64 s0, 28, v14
	v_add_lshl_u32 v10, v5, v14, 2
	ds_bpermute_b32 v5, v10, v3
	ds_bpermute_b32 v6, v10, v4
	;; [unrolled: 1-line block ×4, first 2 shown]
	s_waitcnt lgkmcnt(2)
	v_add_f64 v[3:4], v[3:4], v[5:6]
	v_cndmask_b32_e64 v5, 0, 4, s0
	s_waitcnt lgkmcnt(0)
	v_add_f64 v[1:2], v[1:2], v[7:8]
	v_cmp_gt_u32_e64 s0, 30, v14
	v_add_lshl_u32 v11, v5, v14, 2
	ds_bpermute_b32 v5, v11, v3
	ds_bpermute_b32 v6, v11, v4
	;; [unrolled: 1-line block ×4, first 2 shown]
	s_waitcnt lgkmcnt(2)
	v_add_f64 v[3:4], v[3:4], v[5:6]
	s_waitcnt lgkmcnt(0)
	v_add_f64 v[5:6], v[1:2], v[7:8]
	v_cndmask_b32_e64 v1, 0, 2, s0
	v_cmp_ne_u32_e64 s0, 31, v14
	v_add_lshl_u32 v13, v1, v14, 2
	ds_bpermute_b32 v1, v13, v3
	ds_bpermute_b32 v2, v13, v4
	;; [unrolled: 1-line block ×4, first 2 shown]
	s_waitcnt lgkmcnt(2)
	v_add_f64 v[1:2], v[3:4], v[1:2]
	s_waitcnt lgkmcnt(0)
	v_add_f64 v[3:4], v[5:6], v[7:8]
	v_add_co_ci_u32_e64 v5, null, 0, v14, s0
	v_lshlrev_b32_e32 v14, 2, v5
	ds_bpermute_b32 v5, v14, v1
	ds_bpermute_b32 v6, v14, v2
	;; [unrolled: 1-line block ×4, first 2 shown]
	v_cmpx_eq_u32_e32 0, v15
	s_cbranch_execz .LBB174_21
; %bb.20:
	s_waitcnt lgkmcnt(0)
	v_add_f64 v[3:4], v[3:4], v[7:8]
	v_add_f64 v[1:2], v[1:2], v[5:6]
	v_lshrrev_b32_e32 v5, 1, v0
	v_and_b32_e32 v5, 0x1f0, v5
	ds_write_b128 v5, v[1:4]
.LBB174_21:
	s_or_b32 exec_lo, exec_lo, s1
	s_waitcnt lgkmcnt(0)
	v_mov_b32_e32 v7, 0
	v_mov_b32_e32 v5, 0
	;; [unrolled: 1-line block ×4, first 2 shown]
	s_barrier
	buffer_gl0_inv
	s_and_saveexec_b32 s0, vcc_lo
; %bb.22:
	ds_read_b128 v[5:8], v12
; %bb.23:
	s_or_b32 exec_lo, exec_lo, s0
	s_and_saveexec_b32 s0, vcc_lo
	s_cbranch_execz .LBB174_25
; %bb.24:
	s_waitcnt lgkmcnt(0)
	ds_bpermute_b32 v1, v9, v5
	ds_bpermute_b32 v2, v9, v6
	ds_bpermute_b32 v3, v9, v7
	ds_bpermute_b32 v4, v9, v8
	s_waitcnt lgkmcnt(2)
	v_add_f64 v[1:2], v[5:6], v[1:2]
	s_waitcnt lgkmcnt(0)
	v_add_f64 v[3:4], v[7:8], v[3:4]
	ds_bpermute_b32 v5, v10, v1
	ds_bpermute_b32 v6, v10, v2
	ds_bpermute_b32 v7, v10, v3
	ds_bpermute_b32 v8, v10, v4
	s_waitcnt lgkmcnt(2)
	v_add_f64 v[1:2], v[1:2], v[5:6]
	s_waitcnt lgkmcnt(0)
	v_add_f64 v[3:4], v[3:4], v[7:8]
	;; [unrolled: 8-line block ×5, first 2 shown]
.LBB174_25:
	s_or_b32 exec_lo, exec_lo, s0
	s_mov_b32 s0, exec_lo
                                        ; implicit-def: $vgpr3_vgpr4
                                        ; implicit-def: $sgpr2_sgpr3
	v_cmpx_eq_u32_e32 0, v0
	s_cbranch_execz .LBB174_29
; %bb.26:
	s_waitcnt lgkmcnt(0)
	v_mul_f64 v[0:1], s[10:11], v[7:8]
	v_mul_f64 v[3:4], s[8:9], v[7:8]
	v_cmp_neq_f64_e64 s1, s[24:25], 0
	v_cmp_neq_f64_e64 s2, s[26:27], 0
	v_fma_f64 v[1:2], s[8:9], v[5:6], -v[0:1]
	v_fma_f64 v[3:4], s[10:11], v[5:6], v[3:4]
	s_or_b32 s1, s1, s2
	s_mul_i32 s2, s20, s6
	s_andn2_b32 vcc_lo, exec_lo, s1
	s_ashr_i32 s3, s2, 31
	s_cbranch_vccnz .LBB174_28
; %bb.27:
	s_lshl_b64 s[4:5], s[2:3], 4
	s_add_u32 s4, s18, s4
	s_addc_u32 s5, s19, s5
	s_load_dwordx4 s[4:7], s[4:5], 0x0
	s_waitcnt lgkmcnt(0)
	v_mul_f64 v[5:6], s[26:27], s[6:7]
	v_mul_f64 v[7:8], s[24:25], s[6:7]
	v_fma_f64 v[5:6], s[24:25], s[4:5], -v[5:6]
	v_fma_f64 v[7:8], s[26:27], s[4:5], v[7:8]
	v_add_f64 v[1:2], v[1:2], v[5:6]
	v_add_f64 v[3:4], v[3:4], v[7:8]
.LBB174_28:
	s_or_b32 s21, s21, exec_lo
.LBB174_29:
	s_or_b32 exec_lo, exec_lo, s0
.LBB174_30:
	s_and_saveexec_b32 s0, s21
	s_cbranch_execz .LBB174_32
; %bb.31:
	s_lshl_b64 s[0:1], s[2:3], 4
	v_mov_b32_e32 v0, 0
	s_add_u32 s0, s18, s0
	s_addc_u32 s1, s19, s1
	global_store_dwordx4 v0, v[1:4], s[0:1]
.LBB174_32:
	s_endpgm
	.section	.rodata,"a",@progbits
	.p2align	6, 0x0
	.amdhsa_kernel _ZL32rocblas_gemvt_warp_reduce_kernelILb0ELi1024Ei19rocblas_complex_numIdEPKS1_S1_EviiT3_lPKT2_lT1_lS7_lS8_lS4_lPT4_lS8_li
		.amdhsa_group_segment_fixed_size 512
		.amdhsa_private_segment_fixed_size 0
		.amdhsa_kernarg_size 140
		.amdhsa_user_sgpr_count 6
		.amdhsa_user_sgpr_private_segment_buffer 1
		.amdhsa_user_sgpr_dispatch_ptr 0
		.amdhsa_user_sgpr_queue_ptr 0
		.amdhsa_user_sgpr_kernarg_segment_ptr 1
		.amdhsa_user_sgpr_dispatch_id 0
		.amdhsa_user_sgpr_flat_scratch_init 0
		.amdhsa_user_sgpr_private_segment_size 0
		.amdhsa_wavefront_size32 1
		.amdhsa_uses_dynamic_stack 0
		.amdhsa_system_sgpr_private_segment_wavefront_offset 0
		.amdhsa_system_sgpr_workgroup_id_x 1
		.amdhsa_system_sgpr_workgroup_id_y 0
		.amdhsa_system_sgpr_workgroup_id_z 1
		.amdhsa_system_sgpr_workgroup_info 0
		.amdhsa_system_vgpr_workitem_id 0
		.amdhsa_next_free_vgpr 21
		.amdhsa_next_free_sgpr 36
		.amdhsa_reserve_vcc 1
		.amdhsa_reserve_flat_scratch 0
		.amdhsa_float_round_mode_32 0
		.amdhsa_float_round_mode_16_64 0
		.amdhsa_float_denorm_mode_32 3
		.amdhsa_float_denorm_mode_16_64 3
		.amdhsa_dx10_clamp 1
		.amdhsa_ieee_mode 1
		.amdhsa_fp16_overflow 0
		.amdhsa_workgroup_processor_mode 1
		.amdhsa_memory_ordered 1
		.amdhsa_forward_progress 1
		.amdhsa_shared_vgpr_count 0
		.amdhsa_exception_fp_ieee_invalid_op 0
		.amdhsa_exception_fp_denorm_src 0
		.amdhsa_exception_fp_ieee_div_zero 0
		.amdhsa_exception_fp_ieee_overflow 0
		.amdhsa_exception_fp_ieee_underflow 0
		.amdhsa_exception_fp_ieee_inexact 0
		.amdhsa_exception_int_div_zero 0
	.end_amdhsa_kernel
	.section	.text._ZL32rocblas_gemvt_warp_reduce_kernelILb0ELi1024Ei19rocblas_complex_numIdEPKS1_S1_EviiT3_lPKT2_lT1_lS7_lS8_lS4_lPT4_lS8_li,"axG",@progbits,_ZL32rocblas_gemvt_warp_reduce_kernelILb0ELi1024Ei19rocblas_complex_numIdEPKS1_S1_EviiT3_lPKT2_lT1_lS7_lS8_lS4_lPT4_lS8_li,comdat
.Lfunc_end174:
	.size	_ZL32rocblas_gemvt_warp_reduce_kernelILb0ELi1024Ei19rocblas_complex_numIdEPKS1_S1_EviiT3_lPKT2_lT1_lS7_lS8_lS4_lPT4_lS8_li, .Lfunc_end174-_ZL32rocblas_gemvt_warp_reduce_kernelILb0ELi1024Ei19rocblas_complex_numIdEPKS1_S1_EviiT3_lPKT2_lT1_lS7_lS8_lS4_lPT4_lS8_li
                                        ; -- End function
	.set _ZL32rocblas_gemvt_warp_reduce_kernelILb0ELi1024Ei19rocblas_complex_numIdEPKS1_S1_EviiT3_lPKT2_lT1_lS7_lS8_lS4_lPT4_lS8_li.num_vgpr, 21
	.set _ZL32rocblas_gemvt_warp_reduce_kernelILb0ELi1024Ei19rocblas_complex_numIdEPKS1_S1_EviiT3_lPKT2_lT1_lS7_lS8_lS4_lPT4_lS8_li.num_agpr, 0
	.set _ZL32rocblas_gemvt_warp_reduce_kernelILb0ELi1024Ei19rocblas_complex_numIdEPKS1_S1_EviiT3_lPKT2_lT1_lS7_lS8_lS4_lPT4_lS8_li.numbered_sgpr, 36
	.set _ZL32rocblas_gemvt_warp_reduce_kernelILb0ELi1024Ei19rocblas_complex_numIdEPKS1_S1_EviiT3_lPKT2_lT1_lS7_lS8_lS4_lPT4_lS8_li.num_named_barrier, 0
	.set _ZL32rocblas_gemvt_warp_reduce_kernelILb0ELi1024Ei19rocblas_complex_numIdEPKS1_S1_EviiT3_lPKT2_lT1_lS7_lS8_lS4_lPT4_lS8_li.private_seg_size, 0
	.set _ZL32rocblas_gemvt_warp_reduce_kernelILb0ELi1024Ei19rocblas_complex_numIdEPKS1_S1_EviiT3_lPKT2_lT1_lS7_lS8_lS4_lPT4_lS8_li.uses_vcc, 1
	.set _ZL32rocblas_gemvt_warp_reduce_kernelILb0ELi1024Ei19rocblas_complex_numIdEPKS1_S1_EviiT3_lPKT2_lT1_lS7_lS8_lS4_lPT4_lS8_li.uses_flat_scratch, 0
	.set _ZL32rocblas_gemvt_warp_reduce_kernelILb0ELi1024Ei19rocblas_complex_numIdEPKS1_S1_EviiT3_lPKT2_lT1_lS7_lS8_lS4_lPT4_lS8_li.has_dyn_sized_stack, 0
	.set _ZL32rocblas_gemvt_warp_reduce_kernelILb0ELi1024Ei19rocblas_complex_numIdEPKS1_S1_EviiT3_lPKT2_lT1_lS7_lS8_lS4_lPT4_lS8_li.has_recursion, 0
	.set _ZL32rocblas_gemvt_warp_reduce_kernelILb0ELi1024Ei19rocblas_complex_numIdEPKS1_S1_EviiT3_lPKT2_lT1_lS7_lS8_lS4_lPT4_lS8_li.has_indirect_call, 0
	.section	.AMDGPU.csdata,"",@progbits
; Kernel info:
; codeLenInByte = 2104
; TotalNumSgprs: 38
; NumVgprs: 21
; ScratchSize: 0
; MemoryBound: 0
; FloatMode: 240
; IeeeMode: 1
; LDSByteSize: 512 bytes/workgroup (compile time only)
; SGPRBlocks: 0
; VGPRBlocks: 2
; NumSGPRsForWavesPerEU: 38
; NumVGPRsForWavesPerEU: 21
; Occupancy: 16
; WaveLimiterHint : 1
; COMPUTE_PGM_RSRC2:SCRATCH_EN: 0
; COMPUTE_PGM_RSRC2:USER_SGPR: 6
; COMPUTE_PGM_RSRC2:TRAP_HANDLER: 0
; COMPUTE_PGM_RSRC2:TGID_X_EN: 1
; COMPUTE_PGM_RSRC2:TGID_Y_EN: 0
; COMPUTE_PGM_RSRC2:TGID_Z_EN: 1
; COMPUTE_PGM_RSRC2:TIDIG_COMP_CNT: 0
	.section	.text._ZL32rocblas_gemvt_warp_reduce_kernelILb0ELi1024El19rocblas_complex_numIdEPKS1_S1_EviiT3_lPKT2_lT1_lS7_lS8_lS4_lPT4_lS8_li,"axG",@progbits,_ZL32rocblas_gemvt_warp_reduce_kernelILb0ELi1024El19rocblas_complex_numIdEPKS1_S1_EviiT3_lPKT2_lT1_lS7_lS8_lS4_lPT4_lS8_li,comdat
	.globl	_ZL32rocblas_gemvt_warp_reduce_kernelILb0ELi1024El19rocblas_complex_numIdEPKS1_S1_EviiT3_lPKT2_lT1_lS7_lS8_lS4_lPT4_lS8_li ; -- Begin function _ZL32rocblas_gemvt_warp_reduce_kernelILb0ELi1024El19rocblas_complex_numIdEPKS1_S1_EviiT3_lPKT2_lT1_lS7_lS8_lS4_lPT4_lS8_li
	.p2align	8
	.type	_ZL32rocblas_gemvt_warp_reduce_kernelILb0ELi1024El19rocblas_complex_numIdEPKS1_S1_EviiT3_lPKT2_lT1_lS7_lS8_lS4_lPT4_lS8_li,@function
_ZL32rocblas_gemvt_warp_reduce_kernelILb0ELi1024El19rocblas_complex_numIdEPKS1_S1_EviiT3_lPKT2_lT1_lS7_lS8_lS4_lPT4_lS8_li: ; @_ZL32rocblas_gemvt_warp_reduce_kernelILb0ELi1024El19rocblas_complex_numIdEPKS1_S1_EviiT3_lPKT2_lT1_lS7_lS8_lS4_lPT4_lS8_li
; %bb.0:
	s_clause 0x1
	s_load_dwordx16 s[36:51], s[4:5], 0x8
	s_load_dwordx16 s[8:23], s[4:5], 0x48
	s_waitcnt lgkmcnt(0)
	s_mul_i32 s1, s39, s7
	s_mul_hi_u32 s2, s38, s7
	s_mul_i32 s0, s38, s7
	s_add_i32 s1, s2, s1
	s_lshl_b64 s[0:1], s[0:1], 4
	s_add_u32 s0, s36, s0
	s_addc_u32 s1, s37, s1
	s_load_dwordx4 s[24:27], s[0:1], 0x0
	s_mul_i32 s0, s15, s7
	s_mul_hi_u32 s1, s14, s7
	s_add_i32 s1, s1, s0
	s_mul_i32 s0, s14, s7
	s_lshl_b64 s[0:1], s[0:1], 4
	s_add_u32 s0, s12, s0
	s_addc_u32 s1, s13, s1
	s_load_dwordx4 s[12:15], s[0:1], 0x0
	s_mov_b32 s1, -1
	s_waitcnt lgkmcnt(0)
	v_cmp_neq_f64_e64 s2, s[24:25], 0
	v_cmp_neq_f64_e64 s3, s[26:27], 0
	s_or_b32 s0, s2, s3
	s_and_b32 vcc_lo, exec_lo, s0
	s_cbranch_vccnz .LBB175_2
; %bb.1:
	v_cmp_neq_f64_e64 s1, s[12:13], 1.0
	v_cmp_neq_f64_e64 s2, s[14:15], 0
	s_or_b32 s1, s1, s2
.LBB175_2:
	s_andn2_b32 vcc_lo, exec_lo, s1
	s_cbranch_vccnz .LBB175_32
; %bb.3:
	s_mul_i32 s1, s23, s7
	s_mul_hi_u32 s3, s22, s7
	s_mul_i32 s2, s22, s7
	s_add_i32 s3, s3, s1
	s_xor_b32 s23, s0, -1
	s_lshl_b64 s[2:3], s[2:3], 4
	s_add_u32 s0, s16, s2
	s_addc_u32 s16, s17, s3
	s_lshl_b64 s[2:3], s[18:19], 4
	s_add_u32 s1, s0, s2
	v_cmp_eq_u32_e64 s0, 0, v0
	s_addc_u32 s22, s16, s3
	s_andn2_b32 vcc_lo, exec_lo, s23
	s_mov_b32 s23, 0
	s_cbranch_vccnz .LBB175_7
; %bb.4:
	s_mov_b32 s16, 0
                                        ; implicit-def: $vgpr3_vgpr4
                                        ; implicit-def: $sgpr2_sgpr3
	s_and_saveexec_b32 s17, s0
	s_cbranch_execz .LBB175_8
; %bb.5:
	v_cmp_neq_f64_e64 s0, s[12:13], 0
	v_cmp_neq_f64_e64 s2, s[14:15], 0
	s_mul_hi_u32 s3, s20, s6
	s_or_b32 s0, s0, s2
	s_ashr_i32 s2, s6, 31
	s_andn2_b32 vcc_lo, exec_lo, s0
	s_mul_i32 s2, s20, s2
	s_add_i32 s2, s3, s2
	s_mul_i32 s3, s21, s6
	s_add_i32 s3, s2, s3
	s_mul_i32 s2, s20, s6
	s_cbranch_vccnz .LBB175_9
; %bb.6:
	s_lshl_b64 s[18:19], s[2:3], 4
	s_add_u32 s18, s1, s18
	s_addc_u32 s19, s22, s19
	s_load_dwordx4 s[28:31], s[18:19], 0x0
	s_waitcnt lgkmcnt(0)
	v_mul_f64 v[1:2], s[14:15], s[30:31]
	v_mul_f64 v[3:4], s[12:13], s[30:31]
	v_fma_f64 v[1:2], s[12:13], s[28:29], -v[1:2]
	v_fma_f64 v[3:4], s[14:15], s[28:29], v[3:4]
	s_branch .LBB175_10
.LBB175_7:
                                        ; implicit-def: $vgpr3_vgpr4
                                        ; implicit-def: $sgpr2_sgpr3
	s_cbranch_execnz .LBB175_11
	s_branch .LBB175_30
.LBB175_8:
	s_or_b32 exec_lo, exec_lo, s17
	s_and_b32 vcc_lo, exec_lo, s16
	s_cbranch_vccnz .LBB175_11
	s_branch .LBB175_30
.LBB175_9:
	v_mov_b32_e32 v3, 0
	v_mov_b32_e32 v1, 0
	;; [unrolled: 1-line block ×4, first 2 shown]
.LBB175_10:
	s_mov_b32 s23, exec_lo
	s_or_b32 exec_lo, exec_lo, s17
	s_and_b32 vcc_lo, exec_lo, s16
	s_cbranch_vccz .LBB175_30
.LBB175_11:
	s_load_dword s5, s[4:5], 0x0
	s_mul_i32 s0, s11, s7
	s_mul_hi_u32 s3, s10, s7
	s_mul_i32 s2, s10, s7
	s_add_i32 s3, s3, s0
	s_mul_i32 s4, s47, s7
	s_mul_hi_u32 s11, s46, s7
	s_mul_i32 s10, s46, s7
	s_ashr_i32 s7, s6, 31
	s_mul_hi_u32 s16, s44, s6
	v_mov_b32_e32 v1, 0
	v_mov_b32_e32 v3, 0
	s_mul_i32 s18, s44, s7
	v_mov_b32_e32 v2, 0
	v_mov_b32_e32 v4, 0
	s_mul_i32 s17, s45, s6
	s_add_i32 s11, s11, s4
	s_mov_b32 s29, 0
	s_mov_b32 s28, exec_lo
	s_waitcnt lgkmcnt(0)
	v_cmp_gt_i32_e32 vcc_lo, s5, v0
	s_ashr_i32 s0, s5, 31
	s_lshr_b32 s0, s0, 22
	s_add_i32 s0, s5, s0
	v_cndmask_b32_e32 v5, 0, v0, vcc_lo
	s_and_b32 s4, s0, 0xfffffc00
	s_add_i32 s0, s16, s18
	s_mul_i32 s16, s44, s6
	s_add_i32 s17, s0, s17
	v_lshlrev_b32_e32 v9, 4, v5
	v_cmpx_gt_i32_e64 s4, v0
	s_cbranch_execz .LBB175_15
; %bb.12:
	v_mad_u64_u32 v[1:2], null, s8, v0, 0
	s_lshl_b64 s[18:19], s[50:51], 4
	s_lshl_b64 s[30:31], s[2:3], 4
	s_add_u32 s0, s48, s18
	s_addc_u32 s18, s49, s19
	s_add_u32 s0, s0, s30
	s_addc_u32 s33, s18, s31
	v_mad_u64_u32 v[2:3], null, s9, v0, v[2:3]
	s_lshl_b64 s[30:31], s[16:17], 4
	s_lshl_b64 s[34:35], s[10:11], 4
	;; [unrolled: 1-line block ×3, first 2 shown]
	s_add_u32 s34, s30, s34
	s_addc_u32 s35, s31, s35
	s_lshl_b64 s[30:31], s[42:43], 4
	v_lshlrev_b64 v[1:2], 4, v[1:2]
	s_add_u32 s30, s34, s30
	s_addc_u32 s31, s35, s31
	s_add_u32 s30, s40, s30
	s_addc_u32 s31, s41, s31
	v_mov_b32_e32 v10, v0
	v_add_co_u32 v1, vcc_lo, s0, v1
	v_add_co_ci_u32_e64 v2, null, s33, v2, vcc_lo
	v_add_co_u32 v3, s0, s30, v9
	v_add_co_ci_u32_e64 v4, null, s31, 0, s0
	v_add_co_u32 v5, vcc_lo, v1, 8
	v_add_co_ci_u32_e64 v6, null, 0, v2, vcc_lo
	v_add_co_u32 v7, vcc_lo, v3, 8
	v_add_co_ci_u32_e64 v8, null, 0, v4, vcc_lo
	v_mov_b32_e32 v1, 0
	v_mov_b32_e32 v3, 0
	;; [unrolled: 1-line block ×4, first 2 shown]
	.p2align	6
.LBB175_13:                             ; =>This Inner Loop Header: Depth=1
	global_load_dwordx4 v[11:14], v[7:8], off offset:-8
	global_load_dwordx4 v[15:18], v[5:6], off offset:-8
	v_add_nc_u32_e32 v10, 0x400, v10
	v_add_co_u32 v5, vcc_lo, v5, s18
	v_add_co_ci_u32_e64 v6, null, s19, v6, vcc_lo
	v_cmp_le_i32_e32 vcc_lo, s4, v10
	v_add_co_u32 v7, s0, 0x4000, v7
	v_add_co_ci_u32_e64 v8, null, 0, v8, s0
	s_or_b32 s29, vcc_lo, s29
	s_waitcnt vmcnt(0)
	v_mul_f64 v[19:20], v[13:14], v[17:18]
	v_mul_f64 v[17:18], v[11:12], v[17:18]
	v_fma_f64 v[11:12], v[11:12], v[15:16], -v[19:20]
	v_fma_f64 v[13:14], v[13:14], v[15:16], v[17:18]
	v_add_f64 v[3:4], v[3:4], v[11:12]
	v_add_f64 v[1:2], v[1:2], v[13:14]
	s_andn2_b32 exec_lo, exec_lo, s29
	s_cbranch_execnz .LBB175_13
; %bb.14:
	s_or_b32 exec_lo, exec_lo, s29
.LBB175_15:
	s_or_b32 exec_lo, exec_lo, s28
	v_or_b32_e32 v5, s4, v0
	s_mov_b32 s0, exec_lo
	v_cmpx_gt_i32_e64 s5, v5
	s_cbranch_execz .LBB175_17
; %bb.16:
	v_ashrrev_i32_e32 v6, 31, v5
	s_lshl_b64 s[10:11], s[10:11], 4
	v_mul_lo_u32 v7, s9, v5
	s_add_u32 s5, s40, s10
	s_addc_u32 s18, s41, s11
	v_mul_lo_u32 v8, s8, v6
	v_mad_u64_u32 v[5:6], null, s8, v5, 0
	s_lshl_b64 s[10:11], s[42:43], 4
	s_add_u32 s5, s5, s10
	s_addc_u32 s18, s18, s11
	s_lshl_b64 s[2:3], s[2:3], 4
	v_add_co_u32 v9, s5, s5, v9
	s_lshl_b64 s[10:11], s[16:17], 4
	v_add3_u32 v6, v6, v8, v7
	s_add_u32 s16, s48, s2
	v_add_co_ci_u32_e64 v10, null, s18, 0, s5
	s_addc_u32 s17, s49, s3
	s_lshl_b64 s[2:3], s[50:51], 4
	v_add_co_u32 v7, vcc_lo, v9, s10
	s_add_u32 s8, s16, s2
	s_addc_u32 s9, s17, s3
	s_ashr_i32 s5, s4, 31
	v_lshlrev_b64 v[5:6], 4, v[5:6]
	v_add_co_ci_u32_e64 v8, null, s11, v10, vcc_lo
	s_lshl_b64 s[2:3], s[4:5], 4
	v_add_co_u32 v7, vcc_lo, v7, s2
	v_add_co_ci_u32_e64 v8, null, s3, v8, vcc_lo
	v_add_co_u32 v9, vcc_lo, s8, v5
	v_add_co_ci_u32_e64 v10, null, s9, v6, vcc_lo
	global_load_dwordx4 v[5:8], v[7:8], off
	global_load_dwordx4 v[9:12], v[9:10], off
	s_waitcnt vmcnt(0)
	v_mul_f64 v[13:14], v[7:8], v[11:12]
	v_mul_f64 v[11:12], v[5:6], v[11:12]
	v_fma_f64 v[5:6], v[5:6], v[9:10], -v[13:14]
	v_fma_f64 v[7:8], v[7:8], v[9:10], v[11:12]
	v_add_f64 v[3:4], v[3:4], v[5:6]
	v_add_f64 v[1:2], v[1:2], v[7:8]
.LBB175_17:
	s_or_b32 exec_lo, exec_lo, s0
	v_and_b32_e32 v15, 31, v0
	v_cmp_gt_u32_e32 vcc_lo, 32, v0
	v_lshlrev_b32_e32 v12, 4, v15
	s_and_saveexec_b32 s0, vcc_lo
	s_cbranch_execz .LBB175_19
; %bb.18:
	v_mov_b32_e32 v5, 0
	v_mov_b32_e32 v6, v5
	;; [unrolled: 1-line block ×4, first 2 shown]
	ds_write_b128 v12, v[5:8]
.LBB175_19:
	s_or_b32 exec_lo, exec_lo, s0
	v_mbcnt_lo_u32_b32 v14, -1, 0
	s_mov_b32 s2, exec_lo
	s_waitcnt lgkmcnt(0)
	s_barrier
	buffer_gl0_inv
	v_lshl_or_b32 v9, v14, 2, 64
	v_cmp_gt_u32_e64 s0, 24, v14
	ds_bpermute_b32 v5, v9, v3
	ds_bpermute_b32 v6, v9, v4
	ds_bpermute_b32 v7, v9, v1
	ds_bpermute_b32 v8, v9, v2
	s_waitcnt lgkmcnt(2)
	v_add_f64 v[3:4], v[3:4], v[5:6]
	v_cndmask_b32_e64 v5, 0, 8, s0
	s_waitcnt lgkmcnt(0)
	v_add_f64 v[1:2], v[1:2], v[7:8]
	v_cmp_gt_u32_e64 s0, 28, v14
	v_add_lshl_u32 v10, v5, v14, 2
	ds_bpermute_b32 v5, v10, v3
	ds_bpermute_b32 v6, v10, v4
	;; [unrolled: 1-line block ×4, first 2 shown]
	s_waitcnt lgkmcnt(2)
	v_add_f64 v[3:4], v[3:4], v[5:6]
	v_cndmask_b32_e64 v5, 0, 4, s0
	s_waitcnt lgkmcnt(0)
	v_add_f64 v[1:2], v[1:2], v[7:8]
	v_cmp_gt_u32_e64 s0, 30, v14
	v_add_lshl_u32 v11, v5, v14, 2
	ds_bpermute_b32 v5, v11, v3
	ds_bpermute_b32 v6, v11, v4
	;; [unrolled: 1-line block ×4, first 2 shown]
	s_waitcnt lgkmcnt(2)
	v_add_f64 v[3:4], v[3:4], v[5:6]
	s_waitcnt lgkmcnt(0)
	v_add_f64 v[5:6], v[1:2], v[7:8]
	v_cndmask_b32_e64 v1, 0, 2, s0
	v_cmp_ne_u32_e64 s0, 31, v14
	v_add_lshl_u32 v13, v1, v14, 2
	ds_bpermute_b32 v1, v13, v3
	ds_bpermute_b32 v2, v13, v4
	;; [unrolled: 1-line block ×4, first 2 shown]
	s_waitcnt lgkmcnt(2)
	v_add_f64 v[1:2], v[3:4], v[1:2]
	s_waitcnt lgkmcnt(0)
	v_add_f64 v[3:4], v[5:6], v[7:8]
	v_add_co_ci_u32_e64 v5, null, 0, v14, s0
	v_lshlrev_b32_e32 v14, 2, v5
	ds_bpermute_b32 v5, v14, v1
	ds_bpermute_b32 v6, v14, v2
	;; [unrolled: 1-line block ×4, first 2 shown]
	v_cmpx_eq_u32_e32 0, v15
	s_cbranch_execz .LBB175_21
; %bb.20:
	s_waitcnt lgkmcnt(0)
	v_add_f64 v[3:4], v[3:4], v[7:8]
	v_add_f64 v[1:2], v[1:2], v[5:6]
	v_lshrrev_b32_e32 v5, 1, v0
	v_and_b32_e32 v5, 0x1f0, v5
	ds_write_b128 v5, v[1:4]
.LBB175_21:
	s_or_b32 exec_lo, exec_lo, s2
	s_waitcnt lgkmcnt(0)
	v_mov_b32_e32 v7, 0
	v_mov_b32_e32 v5, 0
	;; [unrolled: 1-line block ×4, first 2 shown]
	s_barrier
	buffer_gl0_inv
	s_and_saveexec_b32 s0, vcc_lo
; %bb.22:
	ds_read_b128 v[5:8], v12
; %bb.23:
	s_or_b32 exec_lo, exec_lo, s0
	s_and_saveexec_b32 s0, vcc_lo
	s_cbranch_execz .LBB175_25
; %bb.24:
	s_waitcnt lgkmcnt(0)
	ds_bpermute_b32 v1, v9, v5
	ds_bpermute_b32 v2, v9, v6
	ds_bpermute_b32 v3, v9, v7
	ds_bpermute_b32 v4, v9, v8
	s_waitcnt lgkmcnt(2)
	v_add_f64 v[1:2], v[5:6], v[1:2]
	s_waitcnt lgkmcnt(0)
	v_add_f64 v[3:4], v[7:8], v[3:4]
	ds_bpermute_b32 v5, v10, v1
	ds_bpermute_b32 v6, v10, v2
	ds_bpermute_b32 v7, v10, v3
	ds_bpermute_b32 v8, v10, v4
	s_waitcnt lgkmcnt(2)
	v_add_f64 v[1:2], v[1:2], v[5:6]
	s_waitcnt lgkmcnt(0)
	v_add_f64 v[3:4], v[3:4], v[7:8]
	;; [unrolled: 8-line block ×5, first 2 shown]
.LBB175_25:
	s_or_b32 exec_lo, exec_lo, s0
	s_mov_b32 s0, exec_lo
                                        ; implicit-def: $vgpr3_vgpr4
                                        ; implicit-def: $sgpr2_sgpr3
	v_cmpx_eq_u32_e32 0, v0
	s_cbranch_execz .LBB175_29
; %bb.26:
	s_waitcnt lgkmcnt(0)
	v_mul_f64 v[0:1], s[26:27], v[7:8]
	v_mul_f64 v[3:4], s[24:25], v[7:8]
	v_cmp_neq_f64_e64 s2, s[12:13], 0
	v_cmp_neq_f64_e64 s3, s[14:15], 0
	s_mul_hi_u32 s4, s20, s6
	v_fma_f64 v[1:2], s[24:25], v[5:6], -v[0:1]
	v_fma_f64 v[3:4], s[26:27], v[5:6], v[3:4]
	s_or_b32 s2, s2, s3
	s_mul_i32 s3, s20, s7
	s_andn2_b32 vcc_lo, exec_lo, s2
	s_add_i32 s3, s4, s3
	s_mul_i32 s4, s21, s6
	s_mul_i32 s2, s20, s6
	s_add_i32 s3, s3, s4
	s_cbranch_vccnz .LBB175_28
; %bb.27:
	s_lshl_b64 s[4:5], s[2:3], 4
	s_add_u32 s4, s1, s4
	s_addc_u32 s5, s22, s5
	s_load_dwordx4 s[4:7], s[4:5], 0x0
	s_waitcnt lgkmcnt(0)
	v_mul_f64 v[5:6], s[14:15], s[6:7]
	v_mul_f64 v[7:8], s[12:13], s[6:7]
	v_fma_f64 v[5:6], s[12:13], s[4:5], -v[5:6]
	v_fma_f64 v[7:8], s[14:15], s[4:5], v[7:8]
	v_add_f64 v[1:2], v[1:2], v[5:6]
	v_add_f64 v[3:4], v[3:4], v[7:8]
.LBB175_28:
	s_or_b32 s23, s23, exec_lo
.LBB175_29:
	s_or_b32 exec_lo, exec_lo, s0
.LBB175_30:
	s_and_saveexec_b32 s0, s23
	s_cbranch_execz .LBB175_32
; %bb.31:
	s_lshl_b64 s[2:3], s[2:3], 4
	v_mov_b32_e32 v0, 0
	s_add_u32 s0, s1, s2
	s_addc_u32 s1, s22, s3
	global_store_dwordx4 v0, v[1:4], s[0:1]
.LBB175_32:
	s_endpgm
	.section	.rodata,"a",@progbits
	.p2align	6, 0x0
	.amdhsa_kernel _ZL32rocblas_gemvt_warp_reduce_kernelILb0ELi1024El19rocblas_complex_numIdEPKS1_S1_EviiT3_lPKT2_lT1_lS7_lS8_lS4_lPT4_lS8_li
		.amdhsa_group_segment_fixed_size 512
		.amdhsa_private_segment_fixed_size 0
		.amdhsa_kernarg_size 140
		.amdhsa_user_sgpr_count 6
		.amdhsa_user_sgpr_private_segment_buffer 1
		.amdhsa_user_sgpr_dispatch_ptr 0
		.amdhsa_user_sgpr_queue_ptr 0
		.amdhsa_user_sgpr_kernarg_segment_ptr 1
		.amdhsa_user_sgpr_dispatch_id 0
		.amdhsa_user_sgpr_flat_scratch_init 0
		.amdhsa_user_sgpr_private_segment_size 0
		.amdhsa_wavefront_size32 1
		.amdhsa_uses_dynamic_stack 0
		.amdhsa_system_sgpr_private_segment_wavefront_offset 0
		.amdhsa_system_sgpr_workgroup_id_x 1
		.amdhsa_system_sgpr_workgroup_id_y 0
		.amdhsa_system_sgpr_workgroup_id_z 1
		.amdhsa_system_sgpr_workgroup_info 0
		.amdhsa_system_vgpr_workitem_id 0
		.amdhsa_next_free_vgpr 21
		.amdhsa_next_free_sgpr 52
		.amdhsa_reserve_vcc 1
		.amdhsa_reserve_flat_scratch 0
		.amdhsa_float_round_mode_32 0
		.amdhsa_float_round_mode_16_64 0
		.amdhsa_float_denorm_mode_32 3
		.amdhsa_float_denorm_mode_16_64 3
		.amdhsa_dx10_clamp 1
		.amdhsa_ieee_mode 1
		.amdhsa_fp16_overflow 0
		.amdhsa_workgroup_processor_mode 1
		.amdhsa_memory_ordered 1
		.amdhsa_forward_progress 1
		.amdhsa_shared_vgpr_count 0
		.amdhsa_exception_fp_ieee_invalid_op 0
		.amdhsa_exception_fp_denorm_src 0
		.amdhsa_exception_fp_ieee_div_zero 0
		.amdhsa_exception_fp_ieee_overflow 0
		.amdhsa_exception_fp_ieee_underflow 0
		.amdhsa_exception_fp_ieee_inexact 0
		.amdhsa_exception_int_div_zero 0
	.end_amdhsa_kernel
	.section	.text._ZL32rocblas_gemvt_warp_reduce_kernelILb0ELi1024El19rocblas_complex_numIdEPKS1_S1_EviiT3_lPKT2_lT1_lS7_lS8_lS4_lPT4_lS8_li,"axG",@progbits,_ZL32rocblas_gemvt_warp_reduce_kernelILb0ELi1024El19rocblas_complex_numIdEPKS1_S1_EviiT3_lPKT2_lT1_lS7_lS8_lS4_lPT4_lS8_li,comdat
.Lfunc_end175:
	.size	_ZL32rocblas_gemvt_warp_reduce_kernelILb0ELi1024El19rocblas_complex_numIdEPKS1_S1_EviiT3_lPKT2_lT1_lS7_lS8_lS4_lPT4_lS8_li, .Lfunc_end175-_ZL32rocblas_gemvt_warp_reduce_kernelILb0ELi1024El19rocblas_complex_numIdEPKS1_S1_EviiT3_lPKT2_lT1_lS7_lS8_lS4_lPT4_lS8_li
                                        ; -- End function
	.set _ZL32rocblas_gemvt_warp_reduce_kernelILb0ELi1024El19rocblas_complex_numIdEPKS1_S1_EviiT3_lPKT2_lT1_lS7_lS8_lS4_lPT4_lS8_li.num_vgpr, 21
	.set _ZL32rocblas_gemvt_warp_reduce_kernelILb0ELi1024El19rocblas_complex_numIdEPKS1_S1_EviiT3_lPKT2_lT1_lS7_lS8_lS4_lPT4_lS8_li.num_agpr, 0
	.set _ZL32rocblas_gemvt_warp_reduce_kernelILb0ELi1024El19rocblas_complex_numIdEPKS1_S1_EviiT3_lPKT2_lT1_lS7_lS8_lS4_lPT4_lS8_li.numbered_sgpr, 52
	.set _ZL32rocblas_gemvt_warp_reduce_kernelILb0ELi1024El19rocblas_complex_numIdEPKS1_S1_EviiT3_lPKT2_lT1_lS7_lS8_lS4_lPT4_lS8_li.num_named_barrier, 0
	.set _ZL32rocblas_gemvt_warp_reduce_kernelILb0ELi1024El19rocblas_complex_numIdEPKS1_S1_EviiT3_lPKT2_lT1_lS7_lS8_lS4_lPT4_lS8_li.private_seg_size, 0
	.set _ZL32rocblas_gemvt_warp_reduce_kernelILb0ELi1024El19rocblas_complex_numIdEPKS1_S1_EviiT3_lPKT2_lT1_lS7_lS8_lS4_lPT4_lS8_li.uses_vcc, 1
	.set _ZL32rocblas_gemvt_warp_reduce_kernelILb0ELi1024El19rocblas_complex_numIdEPKS1_S1_EviiT3_lPKT2_lT1_lS7_lS8_lS4_lPT4_lS8_li.uses_flat_scratch, 0
	.set _ZL32rocblas_gemvt_warp_reduce_kernelILb0ELi1024El19rocblas_complex_numIdEPKS1_S1_EviiT3_lPKT2_lT1_lS7_lS8_lS4_lPT4_lS8_li.has_dyn_sized_stack, 0
	.set _ZL32rocblas_gemvt_warp_reduce_kernelILb0ELi1024El19rocblas_complex_numIdEPKS1_S1_EviiT3_lPKT2_lT1_lS7_lS8_lS4_lPT4_lS8_li.has_recursion, 0
	.set _ZL32rocblas_gemvt_warp_reduce_kernelILb0ELi1024El19rocblas_complex_numIdEPKS1_S1_EviiT3_lPKT2_lT1_lS7_lS8_lS4_lPT4_lS8_li.has_indirect_call, 0
	.section	.AMDGPU.csdata,"",@progbits
; Kernel info:
; codeLenInByte = 2208
; TotalNumSgprs: 54
; NumVgprs: 21
; ScratchSize: 0
; MemoryBound: 0
; FloatMode: 240
; IeeeMode: 1
; LDSByteSize: 512 bytes/workgroup (compile time only)
; SGPRBlocks: 0
; VGPRBlocks: 2
; NumSGPRsForWavesPerEU: 54
; NumVGPRsForWavesPerEU: 21
; Occupancy: 16
; WaveLimiterHint : 0
; COMPUTE_PGM_RSRC2:SCRATCH_EN: 0
; COMPUTE_PGM_RSRC2:USER_SGPR: 6
; COMPUTE_PGM_RSRC2:TRAP_HANDLER: 0
; COMPUTE_PGM_RSRC2:TGID_X_EN: 1
; COMPUTE_PGM_RSRC2:TGID_Y_EN: 0
; COMPUTE_PGM_RSRC2:TGID_Z_EN: 1
; COMPUTE_PGM_RSRC2:TIDIG_COMP_CNT: 0
	.section	.text._ZL32rocblas_gemvt_warp_reduce_kernelILb0ELi1024Ei19rocblas_complex_numIdES1_S1_EviiT3_lPKT2_lT1_lS5_lS6_lS2_lPT4_lS6_li,"axG",@progbits,_ZL32rocblas_gemvt_warp_reduce_kernelILb0ELi1024Ei19rocblas_complex_numIdES1_S1_EviiT3_lPKT2_lT1_lS5_lS6_lS2_lPT4_lS6_li,comdat
	.globl	_ZL32rocblas_gemvt_warp_reduce_kernelILb0ELi1024Ei19rocblas_complex_numIdES1_S1_EviiT3_lPKT2_lT1_lS5_lS6_lS2_lPT4_lS6_li ; -- Begin function _ZL32rocblas_gemvt_warp_reduce_kernelILb0ELi1024Ei19rocblas_complex_numIdES1_S1_EviiT3_lPKT2_lT1_lS5_lS6_lS2_lPT4_lS6_li
	.p2align	8
	.type	_ZL32rocblas_gemvt_warp_reduce_kernelILb0ELi1024Ei19rocblas_complex_numIdES1_S1_EviiT3_lPKT2_lT1_lS5_lS6_lS2_lPT4_lS6_li,@function
_ZL32rocblas_gemvt_warp_reduce_kernelILb0ELi1024Ei19rocblas_complex_numIdES1_S1_EviiT3_lPKT2_lT1_lS5_lS6_lS2_lPT4_lS6_li: ; @_ZL32rocblas_gemvt_warp_reduce_kernelILb0ELi1024Ei19rocblas_complex_numIdES1_S1_EviiT3_lPKT2_lT1_lS5_lS6_lS2_lPT4_lS6_li
; %bb.0:
	s_clause 0x2
	s_load_dwordx4 s[12:15], s[4:5], 0x8
	s_load_dwordx4 s[8:11], s[4:5], 0x58
	s_load_dwordx2 s[20:21], s[4:5], 0x68
	s_waitcnt lgkmcnt(0)
	v_cmp_neq_f64_e64 s0, s[12:13], 0
	v_cmp_neq_f64_e64 s1, s[14:15], 0
	s_or_b32 s0, s0, s1
	s_mov_b32 s1, -1
	s_and_b32 vcc_lo, exec_lo, s0
	s_cbranch_vccnz .LBB176_2
; %bb.1:
	v_cmp_neq_f64_e64 s1, s[10:11], 1.0
	v_cmp_neq_f64_e64 s2, s[20:21], 0
	s_or_b32 s1, s1, s2
.LBB176_2:
	s_andn2_b32 vcc_lo, exec_lo, s1
	s_cbranch_vccnz .LBB176_32
; %bb.3:
	s_clause 0x2
	s_load_dwordx2 s[2:3], s[4:5], 0x90
	s_load_dwordx4 s[16:19], s[4:5], 0x78
	s_load_dword s24, s[4:5], 0x88
	s_xor_b32 s25, s0, -1
	s_waitcnt lgkmcnt(0)
	s_mul_i32 s1, s3, s7
	s_mul_hi_u32 s3, s2, s7
	s_mul_i32 s0, s2, s7
	s_add_i32 s1, s3, s1
	s_lshl_b64 s[0:1], s[0:1], 4
	s_add_u32 s16, s16, s0
	s_addc_u32 s1, s17, s1
	s_lshl_b64 s[2:3], s[18:19], 4
	v_cmp_eq_u32_e64 s0, 0, v0
	s_add_u32 s22, s16, s2
	s_addc_u32 s23, s1, s3
	s_andn2_b32 vcc_lo, exec_lo, s25
	s_mov_b32 s25, 0
	s_cbranch_vccnz .LBB176_7
; %bb.4:
	s_mov_b32 s1, 0
                                        ; implicit-def: $vgpr3_vgpr4
                                        ; implicit-def: $sgpr2_sgpr3
	s_and_saveexec_b32 s16, s0
	s_cbranch_execz .LBB176_8
; %bb.5:
	v_cmp_neq_f64_e64 s0, s[10:11], 0
	v_cmp_neq_f64_e64 s2, s[20:21], 0
	s_or_b32 s0, s0, s2
	s_mul_i32 s2, s24, s6
	s_andn2_b32 vcc_lo, exec_lo, s0
	s_ashr_i32 s3, s2, 31
	s_cbranch_vccnz .LBB176_9
; %bb.6:
	s_lshl_b64 s[18:19], s[2:3], 4
	s_add_u32 s18, s22, s18
	s_addc_u32 s19, s23, s19
	s_load_dwordx4 s[28:31], s[18:19], 0x0
	s_waitcnt lgkmcnt(0)
	v_mul_f64 v[1:2], s[20:21], s[30:31]
	v_mul_f64 v[3:4], s[10:11], s[30:31]
	v_fma_f64 v[1:2], s[10:11], s[28:29], -v[1:2]
	v_fma_f64 v[3:4], s[20:21], s[28:29], v[3:4]
	s_branch .LBB176_10
.LBB176_7:
                                        ; implicit-def: $vgpr3_vgpr4
                                        ; implicit-def: $sgpr2_sgpr3
	s_cbranch_execnz .LBB176_11
	s_branch .LBB176_30
.LBB176_8:
	s_or_b32 exec_lo, exec_lo, s16
	s_and_b32 vcc_lo, exec_lo, s1
	s_cbranch_vccnz .LBB176_11
	s_branch .LBB176_30
.LBB176_9:
	v_mov_b32_e32 v3, 0
	v_mov_b32_e32 v1, 0
	;; [unrolled: 1-line block ×4, first 2 shown]
.LBB176_10:
	s_mov_b32 s25, exec_lo
	s_or_b32 exec_lo, exec_lo, s16
	s_and_b32 vcc_lo, exec_lo, s1
	s_cbranch_vccz .LBB176_30
.LBB176_11:
	s_clause 0x5
	s_load_dwordx4 s[0:3], s[4:5], 0x38
	s_load_dwordx2 s[30:31], s[4:5], 0x48
	s_load_dword s28, s[4:5], 0x0
	s_load_dwordx4 s[16:19], s[4:5], 0x20
	s_load_dword s29, s[4:5], 0x30
	s_load_dword s26, s[4:5], 0x50
	s_mul_i32 s9, s9, s7
	s_mul_hi_u32 s27, s8, s7
	s_mul_i32 s8, s8, s7
	s_add_i32 s9, s27, s9
	v_mov_b32_e32 v1, 0
	s_lshl_b64 s[4:5], s[8:9], 4
	v_mov_b32_e32 v3, 0
	v_mov_b32_e32 v2, 0
	;; [unrolled: 1-line block ×3, first 2 shown]
	s_waitcnt lgkmcnt(0)
	s_add_u32 s4, s2, s4
	s_addc_u32 s5, s3, s5
	v_cmp_gt_i32_e32 vcc_lo, s28, v0
	s_lshl_b64 s[2:3], s[30:31], 4
	s_mul_i32 s9, s1, s7
	s_add_u32 s1, s4, s2
	s_addc_u32 s27, s5, s3
	v_cndmask_b32_e32 v5, 0, v0, vcc_lo
	s_ashr_i32 s2, s28, 31
	s_mul_hi_u32 s3, s0, s7
	s_lshr_b32 s2, s2, 22
	s_mul_i32 s4, s29, s6
	v_lshlrev_b32_e32 v9, 4, v5
	s_add_i32 s2, s28, s2
	s_mul_i32 s8, s0, s7
	s_and_b32 s2, s2, 0xfffffc00
	s_add_i32 s9, s3, s9
	s_mov_b32 s7, 0
	s_ashr_i32 s5, s4, 31
	s_mov_b32 s3, exec_lo
	v_cmpx_gt_i32_e64 s2, v0
	s_cbranch_execz .LBB176_15
; %bb.12:
	s_lshl_b64 s[30:31], s[8:9], 4
	s_lshl_b64 s[34:35], s[18:19], 4
	s_lshl_b32 s29, s26, 10
	s_add_u32 s0, s30, s34
	s_addc_u32 s33, s31, s35
	s_lshl_b64 s[30:31], s[4:5], 4
	v_mul_lo_u32 v5, v0, s26
	s_add_u32 s0, s0, s30
	s_addc_u32 s30, s33, s31
	s_add_u32 s0, s16, s0
	s_addc_u32 s30, s17, s30
	v_add_co_u32 v1, s0, s0, v9
	v_add_co_ci_u32_e64 v2, null, s30, 0, s0
	v_mov_b32_e32 v3, 0
	v_add_co_u32 v7, vcc_lo, v1, 8
	v_add_co_ci_u32_e64 v8, null, 0, v2, vcc_lo
	v_mov_b32_e32 v1, 0
	v_mov_b32_e32 v2, 0
	;; [unrolled: 1-line block ×4, first 2 shown]
	s_inst_prefetch 0x1
	.p2align	6
.LBB176_13:                             ; =>This Inner Loop Header: Depth=1
	v_ashrrev_i32_e32 v6, 31, v5
	v_add_nc_u32_e32 v10, 0x400, v10
	v_lshlrev_b64 v[11:12], 4, v[5:6]
	v_cmp_le_i32_e64 s0, s2, v10
	v_add_nc_u32_e32 v5, s29, v5
	s_or_b32 s7, s0, s7
	v_add_co_u32 v15, vcc_lo, s1, v11
	v_add_co_ci_u32_e64 v16, null, s27, v12, vcc_lo
	global_load_dwordx4 v[11:14], v[7:8], off offset:-8
	global_load_dwordx4 v[15:18], v[15:16], off
	v_add_co_u32 v7, vcc_lo, 0x4000, v7
	v_add_co_ci_u32_e64 v8, null, 0, v8, vcc_lo
	s_waitcnt vmcnt(0)
	v_mul_f64 v[19:20], v[13:14], v[17:18]
	v_mul_f64 v[17:18], v[11:12], v[17:18]
	v_fma_f64 v[11:12], v[11:12], v[15:16], -v[19:20]
	v_fma_f64 v[13:14], v[13:14], v[15:16], v[17:18]
	v_add_f64 v[3:4], v[3:4], v[11:12]
	v_add_f64 v[1:2], v[1:2], v[13:14]
	s_andn2_b32 exec_lo, exec_lo, s7
	s_cbranch_execnz .LBB176_13
; %bb.14:
	s_inst_prefetch 0x2
	s_or_b32 exec_lo, exec_lo, s7
.LBB176_15:
	s_or_b32 exec_lo, exec_lo, s3
	v_or_b32_e32 v5, s2, v0
	s_mov_b32 s0, exec_lo
	v_cmpx_gt_i32_e64 s28, v5
	s_cbranch_execz .LBB176_17
; %bb.16:
	s_lshl_b64 s[8:9], s[8:9], 4
	v_mul_lo_u32 v5, s26, v5
	s_add_u32 s3, s16, s8
	s_addc_u32 s7, s17, s9
	s_lshl_b64 s[8:9], s[18:19], 4
	s_add_u32 s3, s3, s8
	s_addc_u32 s7, s7, s9
	v_add_co_u32 v7, s3, s3, v9
	v_ashrrev_i32_e32 v6, 31, v5
	v_add_co_ci_u32_e64 v8, null, s7, 0, s3
	s_lshl_b64 s[4:5], s[4:5], 4
	s_ashr_i32 s3, s2, 31
	v_add_co_u32 v7, vcc_lo, v7, s4
	v_lshlrev_b64 v[5:6], 4, v[5:6]
	v_add_co_ci_u32_e64 v8, null, s5, v8, vcc_lo
	s_lshl_b64 s[2:3], s[2:3], 4
	v_add_co_u32 v7, vcc_lo, v7, s2
	v_add_co_ci_u32_e64 v8, null, s3, v8, vcc_lo
	v_add_co_u32 v9, vcc_lo, s1, v5
	v_add_co_ci_u32_e64 v10, null, s27, v6, vcc_lo
	global_load_dwordx4 v[5:8], v[7:8], off
	global_load_dwordx4 v[9:12], v[9:10], off
	s_waitcnt vmcnt(0)
	v_mul_f64 v[13:14], v[7:8], v[11:12]
	v_mul_f64 v[11:12], v[5:6], v[11:12]
	v_fma_f64 v[5:6], v[5:6], v[9:10], -v[13:14]
	v_fma_f64 v[7:8], v[7:8], v[9:10], v[11:12]
	v_add_f64 v[3:4], v[3:4], v[5:6]
	v_add_f64 v[1:2], v[1:2], v[7:8]
.LBB176_17:
	s_or_b32 exec_lo, exec_lo, s0
	v_and_b32_e32 v15, 31, v0
	v_cmp_gt_u32_e32 vcc_lo, 32, v0
	v_lshlrev_b32_e32 v12, 4, v15
	s_and_saveexec_b32 s0, vcc_lo
	s_cbranch_execz .LBB176_19
; %bb.18:
	v_mov_b32_e32 v5, 0
	v_mov_b32_e32 v6, v5
	;; [unrolled: 1-line block ×4, first 2 shown]
	ds_write_b128 v12, v[5:8]
.LBB176_19:
	s_or_b32 exec_lo, exec_lo, s0
	v_mbcnt_lo_u32_b32 v14, -1, 0
	s_mov_b32 s1, exec_lo
	s_waitcnt lgkmcnt(0)
	s_barrier
	buffer_gl0_inv
	v_lshl_or_b32 v9, v14, 2, 64
	v_cmp_gt_u32_e64 s0, 24, v14
	ds_bpermute_b32 v5, v9, v3
	ds_bpermute_b32 v6, v9, v4
	;; [unrolled: 1-line block ×4, first 2 shown]
	s_waitcnt lgkmcnt(2)
	v_add_f64 v[3:4], v[3:4], v[5:6]
	v_cndmask_b32_e64 v5, 0, 8, s0
	s_waitcnt lgkmcnt(0)
	v_add_f64 v[1:2], v[1:2], v[7:8]
	v_cmp_gt_u32_e64 s0, 28, v14
	v_add_lshl_u32 v10, v5, v14, 2
	ds_bpermute_b32 v5, v10, v3
	ds_bpermute_b32 v6, v10, v4
	;; [unrolled: 1-line block ×4, first 2 shown]
	s_waitcnt lgkmcnt(2)
	v_add_f64 v[3:4], v[3:4], v[5:6]
	v_cndmask_b32_e64 v5, 0, 4, s0
	s_waitcnt lgkmcnt(0)
	v_add_f64 v[1:2], v[1:2], v[7:8]
	v_cmp_gt_u32_e64 s0, 30, v14
	v_add_lshl_u32 v11, v5, v14, 2
	ds_bpermute_b32 v5, v11, v3
	ds_bpermute_b32 v6, v11, v4
	ds_bpermute_b32 v7, v11, v1
	ds_bpermute_b32 v8, v11, v2
	s_waitcnt lgkmcnt(2)
	v_add_f64 v[3:4], v[3:4], v[5:6]
	s_waitcnt lgkmcnt(0)
	v_add_f64 v[5:6], v[1:2], v[7:8]
	v_cndmask_b32_e64 v1, 0, 2, s0
	v_cmp_ne_u32_e64 s0, 31, v14
	v_add_lshl_u32 v13, v1, v14, 2
	ds_bpermute_b32 v1, v13, v3
	ds_bpermute_b32 v2, v13, v4
	;; [unrolled: 1-line block ×4, first 2 shown]
	s_waitcnt lgkmcnt(2)
	v_add_f64 v[1:2], v[3:4], v[1:2]
	s_waitcnt lgkmcnt(0)
	v_add_f64 v[3:4], v[5:6], v[7:8]
	v_add_co_ci_u32_e64 v5, null, 0, v14, s0
	v_lshlrev_b32_e32 v14, 2, v5
	ds_bpermute_b32 v5, v14, v1
	ds_bpermute_b32 v6, v14, v2
	;; [unrolled: 1-line block ×4, first 2 shown]
	v_cmpx_eq_u32_e32 0, v15
	s_cbranch_execz .LBB176_21
; %bb.20:
	s_waitcnt lgkmcnt(0)
	v_add_f64 v[3:4], v[3:4], v[7:8]
	v_add_f64 v[1:2], v[1:2], v[5:6]
	v_lshrrev_b32_e32 v5, 1, v0
	v_and_b32_e32 v5, 0x1f0, v5
	ds_write_b128 v5, v[1:4]
.LBB176_21:
	s_or_b32 exec_lo, exec_lo, s1
	s_waitcnt lgkmcnt(0)
	v_mov_b32_e32 v7, 0
	v_mov_b32_e32 v5, 0
	;; [unrolled: 1-line block ×4, first 2 shown]
	s_barrier
	buffer_gl0_inv
	s_and_saveexec_b32 s0, vcc_lo
; %bb.22:
	ds_read_b128 v[5:8], v12
; %bb.23:
	s_or_b32 exec_lo, exec_lo, s0
	s_and_saveexec_b32 s0, vcc_lo
	s_cbranch_execz .LBB176_25
; %bb.24:
	s_waitcnt lgkmcnt(0)
	ds_bpermute_b32 v1, v9, v5
	ds_bpermute_b32 v2, v9, v6
	ds_bpermute_b32 v3, v9, v7
	ds_bpermute_b32 v4, v9, v8
	s_waitcnt lgkmcnt(2)
	v_add_f64 v[1:2], v[5:6], v[1:2]
	s_waitcnt lgkmcnt(0)
	v_add_f64 v[3:4], v[7:8], v[3:4]
	ds_bpermute_b32 v5, v10, v1
	ds_bpermute_b32 v6, v10, v2
	ds_bpermute_b32 v7, v10, v3
	ds_bpermute_b32 v8, v10, v4
	s_waitcnt lgkmcnt(2)
	v_add_f64 v[1:2], v[1:2], v[5:6]
	s_waitcnt lgkmcnt(0)
	v_add_f64 v[3:4], v[3:4], v[7:8]
	;; [unrolled: 8-line block ×5, first 2 shown]
.LBB176_25:
	s_or_b32 exec_lo, exec_lo, s0
	s_mov_b32 s0, exec_lo
                                        ; implicit-def: $vgpr3_vgpr4
                                        ; implicit-def: $sgpr2_sgpr3
	v_cmpx_eq_u32_e32 0, v0
	s_cbranch_execz .LBB176_29
; %bb.26:
	s_waitcnt lgkmcnt(0)
	v_mul_f64 v[0:1], s[14:15], v[7:8]
	v_mul_f64 v[3:4], s[12:13], v[7:8]
	v_cmp_neq_f64_e64 s1, s[10:11], 0
	v_cmp_neq_f64_e64 s2, s[20:21], 0
	v_fma_f64 v[1:2], s[12:13], v[5:6], -v[0:1]
	v_fma_f64 v[3:4], s[14:15], v[5:6], v[3:4]
	s_or_b32 s1, s1, s2
	s_mul_i32 s2, s24, s6
	s_andn2_b32 vcc_lo, exec_lo, s1
	s_ashr_i32 s3, s2, 31
	s_cbranch_vccnz .LBB176_28
; %bb.27:
	s_lshl_b64 s[4:5], s[2:3], 4
	s_add_u32 s4, s22, s4
	s_addc_u32 s5, s23, s5
	s_load_dwordx4 s[4:7], s[4:5], 0x0
	s_waitcnt lgkmcnt(0)
	v_mul_f64 v[5:6], s[20:21], s[6:7]
	v_mul_f64 v[7:8], s[10:11], s[6:7]
	v_fma_f64 v[5:6], s[10:11], s[4:5], -v[5:6]
	v_fma_f64 v[7:8], s[20:21], s[4:5], v[7:8]
	v_add_f64 v[1:2], v[1:2], v[5:6]
	v_add_f64 v[3:4], v[3:4], v[7:8]
.LBB176_28:
	s_or_b32 s25, s25, exec_lo
.LBB176_29:
	s_or_b32 exec_lo, exec_lo, s0
.LBB176_30:
	s_and_saveexec_b32 s0, s25
	s_cbranch_execz .LBB176_32
; %bb.31:
	s_lshl_b64 s[0:1], s[2:3], 4
	v_mov_b32_e32 v0, 0
	s_add_u32 s0, s22, s0
	s_addc_u32 s1, s23, s1
	global_store_dwordx4 v0, v[1:4], s[0:1]
.LBB176_32:
	s_endpgm
	.section	.rodata,"a",@progbits
	.p2align	6, 0x0
	.amdhsa_kernel _ZL32rocblas_gemvt_warp_reduce_kernelILb0ELi1024Ei19rocblas_complex_numIdES1_S1_EviiT3_lPKT2_lT1_lS5_lS6_lS2_lPT4_lS6_li
		.amdhsa_group_segment_fixed_size 512
		.amdhsa_private_segment_fixed_size 0
		.amdhsa_kernarg_size 156
		.amdhsa_user_sgpr_count 6
		.amdhsa_user_sgpr_private_segment_buffer 1
		.amdhsa_user_sgpr_dispatch_ptr 0
		.amdhsa_user_sgpr_queue_ptr 0
		.amdhsa_user_sgpr_kernarg_segment_ptr 1
		.amdhsa_user_sgpr_dispatch_id 0
		.amdhsa_user_sgpr_flat_scratch_init 0
		.amdhsa_user_sgpr_private_segment_size 0
		.amdhsa_wavefront_size32 1
		.amdhsa_uses_dynamic_stack 0
		.amdhsa_system_sgpr_private_segment_wavefront_offset 0
		.amdhsa_system_sgpr_workgroup_id_x 1
		.amdhsa_system_sgpr_workgroup_id_y 0
		.amdhsa_system_sgpr_workgroup_id_z 1
		.amdhsa_system_sgpr_workgroup_info 0
		.amdhsa_system_vgpr_workitem_id 0
		.amdhsa_next_free_vgpr 21
		.amdhsa_next_free_sgpr 36
		.amdhsa_reserve_vcc 1
		.amdhsa_reserve_flat_scratch 0
		.amdhsa_float_round_mode_32 0
		.amdhsa_float_round_mode_16_64 0
		.amdhsa_float_denorm_mode_32 3
		.amdhsa_float_denorm_mode_16_64 3
		.amdhsa_dx10_clamp 1
		.amdhsa_ieee_mode 1
		.amdhsa_fp16_overflow 0
		.amdhsa_workgroup_processor_mode 1
		.amdhsa_memory_ordered 1
		.amdhsa_forward_progress 1
		.amdhsa_shared_vgpr_count 0
		.amdhsa_exception_fp_ieee_invalid_op 0
		.amdhsa_exception_fp_denorm_src 0
		.amdhsa_exception_fp_ieee_div_zero 0
		.amdhsa_exception_fp_ieee_overflow 0
		.amdhsa_exception_fp_ieee_underflow 0
		.amdhsa_exception_fp_ieee_inexact 0
		.amdhsa_exception_int_div_zero 0
	.end_amdhsa_kernel
	.section	.text._ZL32rocblas_gemvt_warp_reduce_kernelILb0ELi1024Ei19rocblas_complex_numIdES1_S1_EviiT3_lPKT2_lT1_lS5_lS6_lS2_lPT4_lS6_li,"axG",@progbits,_ZL32rocblas_gemvt_warp_reduce_kernelILb0ELi1024Ei19rocblas_complex_numIdES1_S1_EviiT3_lPKT2_lT1_lS5_lS6_lS2_lPT4_lS6_li,comdat
.Lfunc_end176:
	.size	_ZL32rocblas_gemvt_warp_reduce_kernelILb0ELi1024Ei19rocblas_complex_numIdES1_S1_EviiT3_lPKT2_lT1_lS5_lS6_lS2_lPT4_lS6_li, .Lfunc_end176-_ZL32rocblas_gemvt_warp_reduce_kernelILb0ELi1024Ei19rocblas_complex_numIdES1_S1_EviiT3_lPKT2_lT1_lS5_lS6_lS2_lPT4_lS6_li
                                        ; -- End function
	.set _ZL32rocblas_gemvt_warp_reduce_kernelILb0ELi1024Ei19rocblas_complex_numIdES1_S1_EviiT3_lPKT2_lT1_lS5_lS6_lS2_lPT4_lS6_li.num_vgpr, 21
	.set _ZL32rocblas_gemvt_warp_reduce_kernelILb0ELi1024Ei19rocblas_complex_numIdES1_S1_EviiT3_lPKT2_lT1_lS5_lS6_lS2_lPT4_lS6_li.num_agpr, 0
	.set _ZL32rocblas_gemvt_warp_reduce_kernelILb0ELi1024Ei19rocblas_complex_numIdES1_S1_EviiT3_lPKT2_lT1_lS5_lS6_lS2_lPT4_lS6_li.numbered_sgpr, 36
	.set _ZL32rocblas_gemvt_warp_reduce_kernelILb0ELi1024Ei19rocblas_complex_numIdES1_S1_EviiT3_lPKT2_lT1_lS5_lS6_lS2_lPT4_lS6_li.num_named_barrier, 0
	.set _ZL32rocblas_gemvt_warp_reduce_kernelILb0ELi1024Ei19rocblas_complex_numIdES1_S1_EviiT3_lPKT2_lT1_lS5_lS6_lS2_lPT4_lS6_li.private_seg_size, 0
	.set _ZL32rocblas_gemvt_warp_reduce_kernelILb0ELi1024Ei19rocblas_complex_numIdES1_S1_EviiT3_lPKT2_lT1_lS5_lS6_lS2_lPT4_lS6_li.uses_vcc, 1
	.set _ZL32rocblas_gemvt_warp_reduce_kernelILb0ELi1024Ei19rocblas_complex_numIdES1_S1_EviiT3_lPKT2_lT1_lS5_lS6_lS2_lPT4_lS6_li.uses_flat_scratch, 0
	.set _ZL32rocblas_gemvt_warp_reduce_kernelILb0ELi1024Ei19rocblas_complex_numIdES1_S1_EviiT3_lPKT2_lT1_lS5_lS6_lS2_lPT4_lS6_li.has_dyn_sized_stack, 0
	.set _ZL32rocblas_gemvt_warp_reduce_kernelILb0ELi1024Ei19rocblas_complex_numIdES1_S1_EviiT3_lPKT2_lT1_lS5_lS6_lS2_lPT4_lS6_li.has_recursion, 0
	.set _ZL32rocblas_gemvt_warp_reduce_kernelILb0ELi1024Ei19rocblas_complex_numIdES1_S1_EviiT3_lPKT2_lT1_lS5_lS6_lS2_lPT4_lS6_li.has_indirect_call, 0
	.section	.AMDGPU.csdata,"",@progbits
; Kernel info:
; codeLenInByte = 2104
; TotalNumSgprs: 38
; NumVgprs: 21
; ScratchSize: 0
; MemoryBound: 0
; FloatMode: 240
; IeeeMode: 1
; LDSByteSize: 512 bytes/workgroup (compile time only)
; SGPRBlocks: 0
; VGPRBlocks: 2
; NumSGPRsForWavesPerEU: 38
; NumVGPRsForWavesPerEU: 21
; Occupancy: 16
; WaveLimiterHint : 1
; COMPUTE_PGM_RSRC2:SCRATCH_EN: 0
; COMPUTE_PGM_RSRC2:USER_SGPR: 6
; COMPUTE_PGM_RSRC2:TRAP_HANDLER: 0
; COMPUTE_PGM_RSRC2:TGID_X_EN: 1
; COMPUTE_PGM_RSRC2:TGID_Y_EN: 0
; COMPUTE_PGM_RSRC2:TGID_Z_EN: 1
; COMPUTE_PGM_RSRC2:TIDIG_COMP_CNT: 0
	.section	.text._ZL32rocblas_gemvt_warp_reduce_kernelILb0ELi1024El19rocblas_complex_numIdES1_S1_EviiT3_lPKT2_lT1_lS5_lS6_lS2_lPT4_lS6_li,"axG",@progbits,_ZL32rocblas_gemvt_warp_reduce_kernelILb0ELi1024El19rocblas_complex_numIdES1_S1_EviiT3_lPKT2_lT1_lS5_lS6_lS2_lPT4_lS6_li,comdat
	.globl	_ZL32rocblas_gemvt_warp_reduce_kernelILb0ELi1024El19rocblas_complex_numIdES1_S1_EviiT3_lPKT2_lT1_lS5_lS6_lS2_lPT4_lS6_li ; -- Begin function _ZL32rocblas_gemvt_warp_reduce_kernelILb0ELi1024El19rocblas_complex_numIdES1_S1_EviiT3_lPKT2_lT1_lS5_lS6_lS2_lPT4_lS6_li
	.p2align	8
	.type	_ZL32rocblas_gemvt_warp_reduce_kernelILb0ELi1024El19rocblas_complex_numIdES1_S1_EviiT3_lPKT2_lT1_lS5_lS6_lS2_lPT4_lS6_li,@function
_ZL32rocblas_gemvt_warp_reduce_kernelILb0ELi1024El19rocblas_complex_numIdES1_S1_EviiT3_lPKT2_lT1_lS5_lS6_lS2_lPT4_lS6_li: ; @_ZL32rocblas_gemvt_warp_reduce_kernelILb0ELi1024El19rocblas_complex_numIdES1_S1_EviiT3_lPKT2_lT1_lS5_lS6_lS2_lPT4_lS6_li
; %bb.0:
	s_clause 0x1
	s_load_dwordx4 s[36:39], s[4:5], 0x8
	s_load_dwordx4 s[28:31], s[4:5], 0x60
	s_waitcnt lgkmcnt(0)
	v_cmp_neq_f64_e64 s0, s[36:37], 0
	v_cmp_neq_f64_e64 s1, s[38:39], 0
	s_or_b32 s0, s0, s1
	s_mov_b32 s1, -1
	s_and_b32 vcc_lo, exec_lo, s0
	s_cbranch_vccnz .LBB177_2
; %bb.1:
	v_cmp_neq_f64_e64 s1, s[28:29], 1.0
	v_cmp_neq_f64_e64 s2, s[30:31], 0
	s_or_b32 s1, s1, s2
.LBB177_2:
	s_andn2_b32 vcc_lo, exec_lo, s1
	s_cbranch_vccnz .LBB177_32
; %bb.3:
	s_load_dwordx8 s[20:27], s[4:5], 0x78
	s_xor_b32 s8, s0, -1
	s_waitcnt lgkmcnt(0)
	s_mul_i32 s1, s27, s7
	s_mul_hi_u32 s2, s26, s7
	s_mul_i32 s0, s26, s7
	s_add_i32 s1, s2, s1
	s_mov_b32 s27, 0
	s_lshl_b64 s[0:1], s[0:1], 4
	s_add_u32 s9, s20, s0
	s_addc_u32 s10, s21, s1
	s_lshl_b64 s[2:3], s[22:23], 4
	v_cmp_eq_u32_e64 s0, 0, v0
	s_add_u32 s1, s9, s2
	s_addc_u32 s26, s10, s3
	s_andn2_b32 vcc_lo, exec_lo, s8
	s_cbranch_vccnz .LBB177_7
; %bb.4:
	s_mov_b32 s8, 0
                                        ; implicit-def: $vgpr3_vgpr4
                                        ; implicit-def: $sgpr2_sgpr3
	s_and_saveexec_b32 s9, s0
	s_cbranch_execz .LBB177_8
; %bb.5:
	v_cmp_neq_f64_e64 s0, s[28:29], 0
	v_cmp_neq_f64_e64 s2, s[30:31], 0
	s_mul_hi_u32 s3, s24, s6
	s_or_b32 s0, s0, s2
	s_ashr_i32 s2, s6, 31
	s_andn2_b32 vcc_lo, exec_lo, s0
	s_mul_i32 s2, s24, s2
	s_add_i32 s2, s3, s2
	s_mul_i32 s3, s25, s6
	s_add_i32 s3, s2, s3
	s_mul_i32 s2, s24, s6
	s_cbranch_vccnz .LBB177_9
; %bb.6:
	s_lshl_b64 s[10:11], s[2:3], 4
	s_add_u32 s10, s1, s10
	s_addc_u32 s11, s26, s11
	s_load_dwordx4 s[12:15], s[10:11], 0x0
	s_waitcnt lgkmcnt(0)
	v_mul_f64 v[1:2], s[30:31], s[14:15]
	v_mul_f64 v[3:4], s[28:29], s[14:15]
	v_fma_f64 v[1:2], s[28:29], s[12:13], -v[1:2]
	v_fma_f64 v[3:4], s[30:31], s[12:13], v[3:4]
	s_branch .LBB177_10
.LBB177_7:
                                        ; implicit-def: $vgpr3_vgpr4
                                        ; implicit-def: $sgpr2_sgpr3
	s_cbranch_execnz .LBB177_11
	s_branch .LBB177_30
.LBB177_8:
	s_or_b32 exec_lo, exec_lo, s9
	s_and_b32 vcc_lo, exec_lo, s8
	s_cbranch_vccnz .LBB177_11
	s_branch .LBB177_30
.LBB177_9:
	v_mov_b32_e32 v3, 0
	v_mov_b32_e32 v1, 0
	;; [unrolled: 1-line block ×4, first 2 shown]
.LBB177_10:
	s_mov_b32 s27, exec_lo
	s_or_b32 exec_lo, exec_lo, s9
	s_and_b32 vcc_lo, exec_lo, s8
	s_cbranch_vccz .LBB177_30
.LBB177_11:
	s_clause 0x1
	s_load_dwordx16 s[8:23], s[4:5], 0x20
	s_load_dword s3, s[4:5], 0x0
	s_ashr_i32 s33, s6, 31
	v_mov_b32_e32 v1, 0
	v_mov_b32_e32 v3, 0
	v_mov_b32_e32 v2, 0
	v_mov_b32_e32 v4, 0
	s_waitcnt lgkmcnt(0)
	s_mul_i32 s0, s23, s7
	v_cmp_gt_i32_e32 vcc_lo, s3, v0
	s_ashr_i32 s5, s3, 31
	s_mul_hi_u32 s2, s22, s7
	s_lshr_b32 s34, s5, 22
	s_mul_i32 s4, s22, s7
	v_cndmask_b32_e32 v5, 0, v0, vcc_lo
	s_mul_i32 s15, s15, s7
	s_mul_hi_u32 s22, s14, s7
	s_mul_i32 s14, s14, s7
	s_mul_hi_u32 s7, s12, s6
	s_mul_i32 s23, s12, s33
	s_add_i32 s5, s2, s0
	s_add_i32 s0, s3, s34
	v_lshlrev_b32_e32 v9, 4, v5
	s_mul_i32 s13, s13, s6
	s_and_b32 s2, s0, 0xfffffc00
	s_add_i32 s0, s7, s23
	s_add_i32 s15, s22, s15
	s_mov_b32 s34, 0
	s_add_i32 s13, s0, s13
	s_mul_i32 s12, s12, s6
	s_mov_b32 s7, exec_lo
	v_cmpx_gt_i32_e64 s2, v0
	s_cbranch_execz .LBB177_15
; %bb.12:
	v_mad_u64_u32 v[1:2], null, s20, v0, 0
	s_lshl_b64 s[22:23], s[18:19], 4
	s_lshl_b64 s[40:41], s[4:5], 4
	s_add_u32 s0, s16, s22
	s_addc_u32 s22, s17, s23
	s_add_u32 s0, s0, s40
	s_addc_u32 s35, s22, s41
	v_mad_u64_u32 v[2:3], null, s21, v0, v[2:3]
	s_lshl_b64 s[40:41], s[12:13], 4
	s_lshl_b64 s[42:43], s[14:15], 4
	s_lshl_b64 s[22:23], s[20:21], 14
	s_add_u32 s42, s40, s42
	s_addc_u32 s43, s41, s43
	s_lshl_b64 s[40:41], s[10:11], 4
	v_lshlrev_b64 v[1:2], 4, v[1:2]
	s_add_u32 s40, s42, s40
	s_addc_u32 s41, s43, s41
	s_add_u32 s40, s8, s40
	s_addc_u32 s41, s9, s41
	v_mov_b32_e32 v10, v0
	v_add_co_u32 v1, vcc_lo, s0, v1
	v_add_co_ci_u32_e64 v2, null, s35, v2, vcc_lo
	v_add_co_u32 v3, s0, s40, v9
	v_add_co_ci_u32_e64 v4, null, s41, 0, s0
	v_add_co_u32 v5, vcc_lo, v1, 8
	v_add_co_ci_u32_e64 v6, null, 0, v2, vcc_lo
	v_add_co_u32 v7, vcc_lo, v3, 8
	v_add_co_ci_u32_e64 v8, null, 0, v4, vcc_lo
	v_mov_b32_e32 v1, 0
	v_mov_b32_e32 v3, 0
	;; [unrolled: 1-line block ×4, first 2 shown]
	.p2align	6
.LBB177_13:                             ; =>This Inner Loop Header: Depth=1
	global_load_dwordx4 v[11:14], v[7:8], off offset:-8
	global_load_dwordx4 v[15:18], v[5:6], off offset:-8
	v_add_nc_u32_e32 v10, 0x400, v10
	v_add_co_u32 v5, vcc_lo, v5, s22
	v_add_co_ci_u32_e64 v6, null, s23, v6, vcc_lo
	v_cmp_le_i32_e32 vcc_lo, s2, v10
	v_add_co_u32 v7, s0, 0x4000, v7
	v_add_co_ci_u32_e64 v8, null, 0, v8, s0
	s_or_b32 s34, vcc_lo, s34
	s_waitcnt vmcnt(0)
	v_mul_f64 v[19:20], v[13:14], v[17:18]
	v_mul_f64 v[17:18], v[11:12], v[17:18]
	v_fma_f64 v[11:12], v[11:12], v[15:16], -v[19:20]
	v_fma_f64 v[13:14], v[13:14], v[15:16], v[17:18]
	v_add_f64 v[3:4], v[3:4], v[11:12]
	v_add_f64 v[1:2], v[1:2], v[13:14]
	s_andn2_b32 exec_lo, exec_lo, s34
	s_cbranch_execnz .LBB177_13
; %bb.14:
	s_or_b32 exec_lo, exec_lo, s34
.LBB177_15:
	s_or_b32 exec_lo, exec_lo, s7
	v_or_b32_e32 v5, s2, v0
	s_mov_b32 s0, exec_lo
	v_cmpx_gt_i32_e64 s3, v5
	s_cbranch_execz .LBB177_17
; %bb.16:
	v_ashrrev_i32_e32 v6, 31, v5
	s_lshl_b64 s[14:15], s[14:15], 4
	v_mul_lo_u32 v7, s21, v5
	s_add_u32 s3, s8, s14
	s_addc_u32 s7, s9, s15
	v_mul_lo_u32 v8, s20, v6
	v_mad_u64_u32 v[5:6], null, s20, v5, 0
	s_lshl_b64 s[8:9], s[10:11], 4
	s_add_u32 s3, s3, s8
	s_addc_u32 s7, s7, s9
	s_lshl_b64 s[4:5], s[4:5], 4
	v_add_co_u32 v9, s3, s3, v9
	s_lshl_b64 s[8:9], s[12:13], 4
	v_add3_u32 v6, v6, v8, v7
	s_add_u32 s10, s16, s4
	v_add_co_ci_u32_e64 v10, null, s7, 0, s3
	s_addc_u32 s11, s17, s5
	s_lshl_b64 s[4:5], s[18:19], 4
	v_add_co_u32 v7, vcc_lo, v9, s8
	s_add_u32 s4, s10, s4
	s_addc_u32 s5, s11, s5
	s_ashr_i32 s3, s2, 31
	v_lshlrev_b64 v[5:6], 4, v[5:6]
	v_add_co_ci_u32_e64 v8, null, s9, v10, vcc_lo
	s_lshl_b64 s[2:3], s[2:3], 4
	v_add_co_u32 v7, vcc_lo, v7, s2
	v_add_co_ci_u32_e64 v8, null, s3, v8, vcc_lo
	v_add_co_u32 v9, vcc_lo, s4, v5
	v_add_co_ci_u32_e64 v10, null, s5, v6, vcc_lo
	global_load_dwordx4 v[5:8], v[7:8], off
	global_load_dwordx4 v[9:12], v[9:10], off
	s_waitcnt vmcnt(0)
	v_mul_f64 v[13:14], v[7:8], v[11:12]
	v_mul_f64 v[11:12], v[5:6], v[11:12]
	v_fma_f64 v[5:6], v[5:6], v[9:10], -v[13:14]
	v_fma_f64 v[7:8], v[7:8], v[9:10], v[11:12]
	v_add_f64 v[3:4], v[3:4], v[5:6]
	v_add_f64 v[1:2], v[1:2], v[7:8]
.LBB177_17:
	s_or_b32 exec_lo, exec_lo, s0
	v_and_b32_e32 v15, 31, v0
	v_cmp_gt_u32_e32 vcc_lo, 32, v0
	v_lshlrev_b32_e32 v12, 4, v15
	s_and_saveexec_b32 s0, vcc_lo
	s_cbranch_execz .LBB177_19
; %bb.18:
	v_mov_b32_e32 v5, 0
	v_mov_b32_e32 v6, v5
	;; [unrolled: 1-line block ×4, first 2 shown]
	ds_write_b128 v12, v[5:8]
.LBB177_19:
	s_or_b32 exec_lo, exec_lo, s0
	v_mbcnt_lo_u32_b32 v14, -1, 0
	s_mov_b32 s2, exec_lo
	s_waitcnt lgkmcnt(0)
	s_barrier
	buffer_gl0_inv
	v_lshl_or_b32 v9, v14, 2, 64
	v_cmp_gt_u32_e64 s0, 24, v14
	ds_bpermute_b32 v5, v9, v3
	ds_bpermute_b32 v6, v9, v4
	;; [unrolled: 1-line block ×4, first 2 shown]
	s_waitcnt lgkmcnt(2)
	v_add_f64 v[3:4], v[3:4], v[5:6]
	v_cndmask_b32_e64 v5, 0, 8, s0
	s_waitcnt lgkmcnt(0)
	v_add_f64 v[1:2], v[1:2], v[7:8]
	v_cmp_gt_u32_e64 s0, 28, v14
	v_add_lshl_u32 v10, v5, v14, 2
	ds_bpermute_b32 v5, v10, v3
	ds_bpermute_b32 v6, v10, v4
	;; [unrolled: 1-line block ×4, first 2 shown]
	s_waitcnt lgkmcnt(2)
	v_add_f64 v[3:4], v[3:4], v[5:6]
	v_cndmask_b32_e64 v5, 0, 4, s0
	s_waitcnt lgkmcnt(0)
	v_add_f64 v[1:2], v[1:2], v[7:8]
	v_cmp_gt_u32_e64 s0, 30, v14
	v_add_lshl_u32 v11, v5, v14, 2
	ds_bpermute_b32 v5, v11, v3
	ds_bpermute_b32 v6, v11, v4
	ds_bpermute_b32 v7, v11, v1
	ds_bpermute_b32 v8, v11, v2
	s_waitcnt lgkmcnt(2)
	v_add_f64 v[3:4], v[3:4], v[5:6]
	s_waitcnt lgkmcnt(0)
	v_add_f64 v[5:6], v[1:2], v[7:8]
	v_cndmask_b32_e64 v1, 0, 2, s0
	v_cmp_ne_u32_e64 s0, 31, v14
	v_add_lshl_u32 v13, v1, v14, 2
	ds_bpermute_b32 v1, v13, v3
	ds_bpermute_b32 v2, v13, v4
	;; [unrolled: 1-line block ×4, first 2 shown]
	s_waitcnt lgkmcnt(2)
	v_add_f64 v[1:2], v[3:4], v[1:2]
	s_waitcnt lgkmcnt(0)
	v_add_f64 v[3:4], v[5:6], v[7:8]
	v_add_co_ci_u32_e64 v5, null, 0, v14, s0
	v_lshlrev_b32_e32 v14, 2, v5
	ds_bpermute_b32 v5, v14, v1
	ds_bpermute_b32 v6, v14, v2
	;; [unrolled: 1-line block ×4, first 2 shown]
	v_cmpx_eq_u32_e32 0, v15
	s_cbranch_execz .LBB177_21
; %bb.20:
	s_waitcnt lgkmcnt(0)
	v_add_f64 v[3:4], v[3:4], v[7:8]
	v_add_f64 v[1:2], v[1:2], v[5:6]
	v_lshrrev_b32_e32 v5, 1, v0
	v_and_b32_e32 v5, 0x1f0, v5
	ds_write_b128 v5, v[1:4]
.LBB177_21:
	s_or_b32 exec_lo, exec_lo, s2
	s_waitcnt lgkmcnt(0)
	v_mov_b32_e32 v7, 0
	v_mov_b32_e32 v5, 0
	;; [unrolled: 1-line block ×4, first 2 shown]
	s_barrier
	buffer_gl0_inv
	s_and_saveexec_b32 s0, vcc_lo
; %bb.22:
	ds_read_b128 v[5:8], v12
; %bb.23:
	s_or_b32 exec_lo, exec_lo, s0
	s_and_saveexec_b32 s0, vcc_lo
	s_cbranch_execz .LBB177_25
; %bb.24:
	s_waitcnt lgkmcnt(0)
	ds_bpermute_b32 v1, v9, v5
	ds_bpermute_b32 v2, v9, v6
	ds_bpermute_b32 v3, v9, v7
	ds_bpermute_b32 v4, v9, v8
	s_waitcnt lgkmcnt(2)
	v_add_f64 v[1:2], v[5:6], v[1:2]
	s_waitcnt lgkmcnt(0)
	v_add_f64 v[3:4], v[7:8], v[3:4]
	ds_bpermute_b32 v5, v10, v1
	ds_bpermute_b32 v6, v10, v2
	ds_bpermute_b32 v7, v10, v3
	ds_bpermute_b32 v8, v10, v4
	s_waitcnt lgkmcnt(2)
	v_add_f64 v[1:2], v[1:2], v[5:6]
	s_waitcnt lgkmcnt(0)
	v_add_f64 v[3:4], v[3:4], v[7:8]
	;; [unrolled: 8-line block ×5, first 2 shown]
.LBB177_25:
	s_or_b32 exec_lo, exec_lo, s0
	s_mov_b32 s0, exec_lo
                                        ; implicit-def: $vgpr3_vgpr4
                                        ; implicit-def: $sgpr2_sgpr3
	v_cmpx_eq_u32_e32 0, v0
	s_cbranch_execz .LBB177_29
; %bb.26:
	s_waitcnt lgkmcnt(0)
	v_mul_f64 v[0:1], s[38:39], v[7:8]
	v_mul_f64 v[3:4], s[36:37], v[7:8]
	v_cmp_neq_f64_e64 s2, s[28:29], 0
	v_cmp_neq_f64_e64 s3, s[30:31], 0
	s_mul_hi_u32 s4, s24, s6
	v_fma_f64 v[1:2], s[36:37], v[5:6], -v[0:1]
	v_fma_f64 v[3:4], s[38:39], v[5:6], v[3:4]
	s_or_b32 s2, s2, s3
	s_mul_i32 s3, s24, s33
	s_andn2_b32 vcc_lo, exec_lo, s2
	s_add_i32 s3, s4, s3
	s_mul_i32 s4, s25, s6
	s_mul_i32 s2, s24, s6
	s_add_i32 s3, s3, s4
	s_cbranch_vccnz .LBB177_28
; %bb.27:
	s_lshl_b64 s[4:5], s[2:3], 4
	s_add_u32 s4, s1, s4
	s_addc_u32 s5, s26, s5
	s_load_dwordx4 s[4:7], s[4:5], 0x0
	s_waitcnt lgkmcnt(0)
	v_mul_f64 v[5:6], s[30:31], s[6:7]
	v_mul_f64 v[7:8], s[28:29], s[6:7]
	v_fma_f64 v[5:6], s[28:29], s[4:5], -v[5:6]
	v_fma_f64 v[7:8], s[30:31], s[4:5], v[7:8]
	v_add_f64 v[1:2], v[1:2], v[5:6]
	v_add_f64 v[3:4], v[3:4], v[7:8]
.LBB177_28:
	s_or_b32 s27, s27, exec_lo
.LBB177_29:
	s_or_b32 exec_lo, exec_lo, s0
.LBB177_30:
	s_and_saveexec_b32 s0, s27
	s_cbranch_execz .LBB177_32
; %bb.31:
	s_lshl_b64 s[2:3], s[2:3], 4
	v_mov_b32_e32 v0, 0
	s_add_u32 s0, s1, s2
	s_addc_u32 s1, s26, s3
	global_store_dwordx4 v0, v[1:4], s[0:1]
.LBB177_32:
	s_endpgm
	.section	.rodata,"a",@progbits
	.p2align	6, 0x0
	.amdhsa_kernel _ZL32rocblas_gemvt_warp_reduce_kernelILb0ELi1024El19rocblas_complex_numIdES1_S1_EviiT3_lPKT2_lT1_lS5_lS6_lS2_lPT4_lS6_li
		.amdhsa_group_segment_fixed_size 512
		.amdhsa_private_segment_fixed_size 0
		.amdhsa_kernarg_size 156
		.amdhsa_user_sgpr_count 6
		.amdhsa_user_sgpr_private_segment_buffer 1
		.amdhsa_user_sgpr_dispatch_ptr 0
		.amdhsa_user_sgpr_queue_ptr 0
		.amdhsa_user_sgpr_kernarg_segment_ptr 1
		.amdhsa_user_sgpr_dispatch_id 0
		.amdhsa_user_sgpr_flat_scratch_init 0
		.amdhsa_user_sgpr_private_segment_size 0
		.amdhsa_wavefront_size32 1
		.amdhsa_uses_dynamic_stack 0
		.amdhsa_system_sgpr_private_segment_wavefront_offset 0
		.amdhsa_system_sgpr_workgroup_id_x 1
		.amdhsa_system_sgpr_workgroup_id_y 0
		.amdhsa_system_sgpr_workgroup_id_z 1
		.amdhsa_system_sgpr_workgroup_info 0
		.amdhsa_system_vgpr_workitem_id 0
		.amdhsa_next_free_vgpr 21
		.amdhsa_next_free_sgpr 44
		.amdhsa_reserve_vcc 1
		.amdhsa_reserve_flat_scratch 0
		.amdhsa_float_round_mode_32 0
		.amdhsa_float_round_mode_16_64 0
		.amdhsa_float_denorm_mode_32 3
		.amdhsa_float_denorm_mode_16_64 3
		.amdhsa_dx10_clamp 1
		.amdhsa_ieee_mode 1
		.amdhsa_fp16_overflow 0
		.amdhsa_workgroup_processor_mode 1
		.amdhsa_memory_ordered 1
		.amdhsa_forward_progress 1
		.amdhsa_shared_vgpr_count 0
		.amdhsa_exception_fp_ieee_invalid_op 0
		.amdhsa_exception_fp_denorm_src 0
		.amdhsa_exception_fp_ieee_div_zero 0
		.amdhsa_exception_fp_ieee_overflow 0
		.amdhsa_exception_fp_ieee_underflow 0
		.amdhsa_exception_fp_ieee_inexact 0
		.amdhsa_exception_int_div_zero 0
	.end_amdhsa_kernel
	.section	.text._ZL32rocblas_gemvt_warp_reduce_kernelILb0ELi1024El19rocblas_complex_numIdES1_S1_EviiT3_lPKT2_lT1_lS5_lS6_lS2_lPT4_lS6_li,"axG",@progbits,_ZL32rocblas_gemvt_warp_reduce_kernelILb0ELi1024El19rocblas_complex_numIdES1_S1_EviiT3_lPKT2_lT1_lS5_lS6_lS2_lPT4_lS6_li,comdat
.Lfunc_end177:
	.size	_ZL32rocblas_gemvt_warp_reduce_kernelILb0ELi1024El19rocblas_complex_numIdES1_S1_EviiT3_lPKT2_lT1_lS5_lS6_lS2_lPT4_lS6_li, .Lfunc_end177-_ZL32rocblas_gemvt_warp_reduce_kernelILb0ELi1024El19rocblas_complex_numIdES1_S1_EviiT3_lPKT2_lT1_lS5_lS6_lS2_lPT4_lS6_li
                                        ; -- End function
	.set _ZL32rocblas_gemvt_warp_reduce_kernelILb0ELi1024El19rocblas_complex_numIdES1_S1_EviiT3_lPKT2_lT1_lS5_lS6_lS2_lPT4_lS6_li.num_vgpr, 21
	.set _ZL32rocblas_gemvt_warp_reduce_kernelILb0ELi1024El19rocblas_complex_numIdES1_S1_EviiT3_lPKT2_lT1_lS5_lS6_lS2_lPT4_lS6_li.num_agpr, 0
	.set _ZL32rocblas_gemvt_warp_reduce_kernelILb0ELi1024El19rocblas_complex_numIdES1_S1_EviiT3_lPKT2_lT1_lS5_lS6_lS2_lPT4_lS6_li.numbered_sgpr, 44
	.set _ZL32rocblas_gemvt_warp_reduce_kernelILb0ELi1024El19rocblas_complex_numIdES1_S1_EviiT3_lPKT2_lT1_lS5_lS6_lS2_lPT4_lS6_li.num_named_barrier, 0
	.set _ZL32rocblas_gemvt_warp_reduce_kernelILb0ELi1024El19rocblas_complex_numIdES1_S1_EviiT3_lPKT2_lT1_lS5_lS6_lS2_lPT4_lS6_li.private_seg_size, 0
	.set _ZL32rocblas_gemvt_warp_reduce_kernelILb0ELi1024El19rocblas_complex_numIdES1_S1_EviiT3_lPKT2_lT1_lS5_lS6_lS2_lPT4_lS6_li.uses_vcc, 1
	.set _ZL32rocblas_gemvt_warp_reduce_kernelILb0ELi1024El19rocblas_complex_numIdES1_S1_EviiT3_lPKT2_lT1_lS5_lS6_lS2_lPT4_lS6_li.uses_flat_scratch, 0
	.set _ZL32rocblas_gemvt_warp_reduce_kernelILb0ELi1024El19rocblas_complex_numIdES1_S1_EviiT3_lPKT2_lT1_lS5_lS6_lS2_lPT4_lS6_li.has_dyn_sized_stack, 0
	.set _ZL32rocblas_gemvt_warp_reduce_kernelILb0ELi1024El19rocblas_complex_numIdES1_S1_EviiT3_lPKT2_lT1_lS5_lS6_lS2_lPT4_lS6_li.has_recursion, 0
	.set _ZL32rocblas_gemvt_warp_reduce_kernelILb0ELi1024El19rocblas_complex_numIdES1_S1_EviiT3_lPKT2_lT1_lS5_lS6_lS2_lPT4_lS6_li.has_indirect_call, 0
	.section	.AMDGPU.csdata,"",@progbits
; Kernel info:
; codeLenInByte = 2144
; TotalNumSgprs: 46
; NumVgprs: 21
; ScratchSize: 0
; MemoryBound: 0
; FloatMode: 240
; IeeeMode: 1
; LDSByteSize: 512 bytes/workgroup (compile time only)
; SGPRBlocks: 0
; VGPRBlocks: 2
; NumSGPRsForWavesPerEU: 46
; NumVGPRsForWavesPerEU: 21
; Occupancy: 16
; WaveLimiterHint : 1
; COMPUTE_PGM_RSRC2:SCRATCH_EN: 0
; COMPUTE_PGM_RSRC2:USER_SGPR: 6
; COMPUTE_PGM_RSRC2:TRAP_HANDLER: 0
; COMPUTE_PGM_RSRC2:TGID_X_EN: 1
; COMPUTE_PGM_RSRC2:TGID_Y_EN: 0
; COMPUTE_PGM_RSRC2:TGID_Z_EN: 1
; COMPUTE_PGM_RSRC2:TIDIG_COMP_CNT: 0
	.section	.text._ZL22rocblas_gemvtsm_kernelILb1ELi256E19rocblas_complex_numIdEPKS1_S1_EviiT2_lPKT1_lilS7_lilS4_lPT3_lil,"axG",@progbits,_ZL22rocblas_gemvtsm_kernelILb1ELi256E19rocblas_complex_numIdEPKS1_S1_EviiT2_lPKT1_lilS7_lilS4_lPT3_lil,comdat
	.globl	_ZL22rocblas_gemvtsm_kernelILb1ELi256E19rocblas_complex_numIdEPKS1_S1_EviiT2_lPKT1_lilS7_lilS4_lPT3_lil ; -- Begin function _ZL22rocblas_gemvtsm_kernelILb1ELi256E19rocblas_complex_numIdEPKS1_S1_EviiT2_lPKT1_lilS7_lilS4_lPT3_lil
	.p2align	8
	.type	_ZL22rocblas_gemvtsm_kernelILb1ELi256E19rocblas_complex_numIdEPKS1_S1_EviiT2_lPKT1_lilS7_lilS4_lPT3_lil,@function
_ZL22rocblas_gemvtsm_kernelILb1ELi256E19rocblas_complex_numIdEPKS1_S1_EviiT2_lPKT1_lilS7_lilS4_lPT3_lil: ; @_ZL22rocblas_gemvtsm_kernelILb1ELi256E19rocblas_complex_numIdEPKS1_S1_EviiT2_lPKT1_lilS7_lilS4_lPT3_lil
; %bb.0:
	s_clause 0x1
	s_load_dwordx8 s[8:15], s[4:5], 0x8
	s_load_dwordx8 s[16:23], s[4:5], 0x50
	s_waitcnt lgkmcnt(0)
	s_mul_i32 s1, s11, s6
	s_mul_hi_u32 s2, s10, s6
	s_mul_i32 s0, s10, s6
	s_add_i32 s1, s2, s1
	s_lshl_b64 s[0:1], s[0:1], 4
	s_add_u32 s0, s8, s0
	s_addc_u32 s1, s9, s1
	s_load_dwordx4 s[8:11], s[0:1], 0x0
	s_mul_i32 s0, s21, s6
	s_mul_hi_u32 s1, s20, s6
	s_add_i32 s1, s1, s0
	s_mul_i32 s0, s20, s6
	s_lshl_b64 s[0:1], s[0:1], 4
	s_add_u32 s0, s18, s0
	s_addc_u32 s1, s19, s1
	s_mov_b32 s18, -1
	s_load_dwordx4 s[0:3], s[0:1], 0x0
	s_waitcnt lgkmcnt(0)
	v_cmp_neq_f64_e64 s7, s[8:9], 0
	v_cmp_neq_f64_e64 s21, s[10:11], 0
	s_or_b32 s7, s7, s21
	s_and_b32 vcc_lo, exec_lo, s7
	s_cbranch_vccnz .LBB178_2
; %bb.1:
	v_cmp_neq_f64_e64 s18, s[0:1], 1.0
	v_cmp_neq_f64_e64 s19, s[2:3], 0
	s_or_b32 s18, s18, s19
.LBB178_2:
	s_andn2_b32 vcc_lo, exec_lo, s18
	s_cbranch_vccnz .LBB178_36
; %bb.3:
	s_clause 0x3
	s_load_dwordx2 s[24:25], s[4:5], 0x80
	s_load_dwordx2 s[28:29], s[4:5], 0x70
	s_load_dword s18, s[4:5], 0x78
	s_load_dwordx2 s[20:21], s[4:5], 0x0
	s_xor_b32 s7, s7, -1
	s_andn2_b32 vcc_lo, exec_lo, s7
	s_waitcnt lgkmcnt(0)
	s_mul_i32 s7, s25, s6
	s_mul_hi_u32 s19, s24, s6
	s_mul_i32 s30, s24, s6
	s_add_i32 s31, s19, s7
	s_mov_b32 s7, -1
	s_cbranch_vccnz .LBB178_18
; %bb.4:
	v_cmp_neq_f64_e64 s7, s[0:1], 0
	v_cmp_neq_f64_e64 s19, s[2:3], 0
	s_or_b32 s19, s7, s19
	s_cmp_gt_i32 s21, 0
	s_cselect_b32 s7, -1, 0
	s_and_b32 vcc_lo, exec_lo, s19
	s_mov_b32 s19, -1
	s_cbranch_vccnz .LBB178_11
; %bb.5:
	s_andn2_b32 vcc_lo, exec_lo, s7
	s_cbranch_vccnz .LBB178_10
; %bb.6:
	v_mad_i64_i32 v[1:2], null, s18, v0, 0
	s_lshl_b64 s[26:27], s[28:29], 4
	s_ashr_i32 s19, s18, 31
	s_lshl_b64 s[24:25], s[30:31], 4
	s_add_u32 s26, s22, s26
	s_addc_u32 s27, s23, s27
	s_add_u32 s24, s26, s24
	v_lshlrev_b64 v[1:2], 4, v[1:2]
	s_addc_u32 s25, s27, s25
	v_add_co_u32 v1, vcc_lo, s24, v1
	v_add_co_ci_u32_e64 v2, null, s25, v2, vcc_lo
	s_lshl_b64 s[24:25], s[18:19], 12
	v_add_co_u32 v5, vcc_lo, v1, 8
	v_add_co_ci_u32_e64 v6, null, 0, v2, vcc_lo
	v_mov_b32_e32 v1, 0
	s_mov_b32 s19, 0
	s_branch .LBB178_8
	.p2align	6
.LBB178_7:                              ;   in Loop: Header=BB178_8 Depth=1
	s_or_b32 exec_lo, exec_lo, s26
	v_add_co_u32 v5, vcc_lo, v5, s24
	v_add_co_ci_u32_e64 v6, null, s25, v6, vcc_lo
	s_addk_i32 s19, 0x100
	s_cmp_ge_i32 s19, s21
	s_cbranch_scc1 .LBB178_10
.LBB178_8:                              ; =>This Inner Loop Header: Depth=1
	v_add_nc_u32_e32 v2, s19, v0
	s_mov_b32 s26, exec_lo
	v_cmpx_gt_i32_e64 s21, v2
	s_cbranch_execz .LBB178_7
; %bb.9:                                ;   in Loop: Header=BB178_8 Depth=1
	v_mov_b32_e32 v2, v1
	v_mov_b32_e32 v3, v1
	;; [unrolled: 1-line block ×3, first 2 shown]
	global_store_dwordx4 v[5:6], v[1:4], off offset:-8
	s_branch .LBB178_7
.LBB178_10:
	s_mov_b32 s19, 0
.LBB178_11:
	s_andn2_b32 vcc_lo, exec_lo, s19
	s_cbranch_vccnz .LBB178_17
; %bb.12:
	s_andn2_b32 vcc_lo, exec_lo, s7
	s_cbranch_vccnz .LBB178_17
; %bb.13:
	v_mad_i64_i32 v[1:2], null, s18, v0, 0
	s_lshl_b64 s[26:27], s[28:29], 4
	s_ashr_i32 s19, s18, 31
	s_lshl_b64 s[24:25], s[30:31], 4
	s_add_u32 s7, s22, s26
	s_addc_u32 s26, s23, s27
	s_add_u32 s7, s7, s24
	v_lshlrev_b64 v[1:2], 4, v[1:2]
	s_addc_u32 s24, s26, s25
	v_add_co_u32 v1, vcc_lo, s7, v1
	v_add_co_ci_u32_e64 v2, null, s24, v2, vcc_lo
	s_lshl_b64 s[24:25], s[18:19], 12
	v_add_co_u32 v1, vcc_lo, v1, 8
	v_add_co_ci_u32_e64 v2, null, 0, v2, vcc_lo
	s_mov_b32 s7, 0
	s_inst_prefetch 0x1
	s_branch .LBB178_15
	.p2align	6
.LBB178_14:                             ;   in Loop: Header=BB178_15 Depth=1
	s_or_b32 exec_lo, exec_lo, s19
	v_add_co_u32 v1, vcc_lo, v1, s24
	v_add_co_ci_u32_e64 v2, null, s25, v2, vcc_lo
	s_addk_i32 s7, 0x100
	s_cmp_ge_i32 s7, s21
	s_cbranch_scc1 .LBB178_17
.LBB178_15:                             ; =>This Inner Loop Header: Depth=1
	v_add_nc_u32_e32 v3, s7, v0
	s_mov_b32 s19, exec_lo
	v_cmpx_gt_i32_e64 s21, v3
	s_cbranch_execz .LBB178_14
; %bb.16:                               ;   in Loop: Header=BB178_15 Depth=1
	global_load_dwordx4 v[3:6], v[1:2], off offset:-8
	s_waitcnt vmcnt(0)
	v_mul_f64 v[7:8], s[2:3], v[5:6]
	v_mul_f64 v[9:10], s[0:1], v[5:6]
	v_fma_f64 v[5:6], s[0:1], v[3:4], -v[7:8]
	v_fma_f64 v[7:8], s[2:3], v[3:4], v[9:10]
	global_store_dwordx4 v[1:2], v[5:8], off offset:-8
	s_branch .LBB178_14
.LBB178_17:
	s_inst_prefetch 0x2
	s_mov_b32 s7, 0
.LBB178_18:
	s_andn2_b32 vcc_lo, exec_lo, s7
	s_cbranch_vccnz .LBB178_36
; %bb.19:
	s_clause 0x1
	s_load_dwordx4 s[24:27], s[4:5], 0x30
	s_load_dwordx2 s[34:35], s[4:5], 0x40
	s_mov_b32 s7, exec_lo
	v_cmpx_gt_i32_e64 s20, v0
	s_cbranch_execz .LBB178_21
; %bb.20:
	s_load_dword s19, s[4:5], 0x48
	s_mul_i32 s17, s17, s6
	s_mul_hi_u32 s33, s16, s6
	s_mul_i32 s16, s16, s6
	s_add_i32 s17, s33, s17
	s_lshl_b64 s[16:17], s[16:17], 4
	s_waitcnt lgkmcnt(0)
	v_mad_i64_i32 v[1:2], null, s19, v0, 0
	s_add_u32 s19, s26, s16
	s_addc_u32 s26, s27, s17
	s_lshl_b64 s[16:17], s[34:35], 4
	s_add_u32 s16, s19, s16
	s_addc_u32 s17, s26, s17
	v_lshlrev_b64 v[1:2], 4, v[1:2]
	v_add_co_u32 v1, vcc_lo, s16, v1
	v_add_co_ci_u32_e64 v2, null, s17, v2, vcc_lo
	global_load_dwordx4 v[1:4], v[1:2], off
	s_waitcnt vmcnt(0)
	v_mul_f64 v[5:6], s[10:11], v[3:4]
	v_mul_f64 v[7:8], s[8:9], v[3:4]
	v_fma_f64 v[3:4], s[8:9], v[1:2], -v[5:6]
	v_fma_f64 v[5:6], s[10:11], v[1:2], v[7:8]
	v_lshlrev_b32_e32 v1, 4, v0
	ds_write_b128 v1, v[3:6]
.LBB178_21:
	s_or_b32 exec_lo, exec_lo, s7
	s_cmp_lt_i32 s21, 1
	s_waitcnt lgkmcnt(0)
	s_waitcnt_vscnt null, 0x0
	s_barrier
	buffer_gl0_inv
	s_cbranch_scc1 .LBB178_36
; %bb.22:
	v_cmp_neq_f64_e64 s7, s[0:1], 0
	v_cmp_neq_f64_e64 s11, s[2:3], 0
	s_load_dword s26, s[4:5], 0x28
	s_lshl_b64 s[4:5], s[30:31], 4
	s_mul_i32 s25, s25, s6
	s_add_u32 s8, s22, s4
	s_addc_u32 s9, s23, s5
	s_lshl_b64 s[4:5], s[28:29], 4
	s_mul_hi_u32 s30, s24, s6
	s_add_u32 s8, s8, s4
	s_addc_u32 s9, s9, s5
	s_ashr_i32 s10, s18, 31
	s_mul_i32 s6, s24, s6
	s_waitcnt lgkmcnt(0)
	s_ashr_i32 s27, s26, 31
	s_or_b32 s11, s7, s11
	s_cmp_gt_i32 s20, 0
	v_mad_i64_i32 v[1:2], null, s26, v0, 0
	s_cselect_b32 s16, -1, 0
	s_and_b32 s17, s20, 7
	s_cmp_gt_u32 s20, 7
	s_cselect_b32 s19, -1, 0
	s_and_b32 s20, s20, 0x7ffffff8
	s_cmp_lg_u32 s17, 0
	v_lshlrev_b64 v[1:2], 4, v[1:2]
	s_cselect_b32 s22, -1, 0
	s_add_i32 s7, s30, s25
	s_lshl_b64 s[4:5], s[14:15], 4
	s_lshl_b64 s[6:7], s[6:7], 4
	s_add_u32 s4, s12, s4
	s_addc_u32 s5, s13, s5
	s_add_u32 s4, s4, s6
	s_addc_u32 s5, s5, s7
	v_add_co_u32 v11, vcc_lo, s4, v1
	v_add_co_ci_u32_e64 v12, null, s5, v2, vcc_lo
	s_mov_b32 s5, 0
	v_add_co_u32 v5, vcc_lo, 0x78, v11
	v_add_co_ci_u32_e64 v6, null, 0, v12, vcc_lo
	s_lshl_b64 s[6:7], s[26:27], 12
	s_mov_b32 s12, 0
	s_branch .LBB178_25
.LBB178_23:                             ;   in Loop: Header=BB178_25 Depth=1
	v_add_co_u32 v7, vcc_lo, s8, v7
	v_add_co_ci_u32_e64 v8, null, s9, v8, vcc_lo
	global_store_dwordx4 v[7:8], v[1:4], off
.LBB178_24:                             ;   in Loop: Header=BB178_25 Depth=1
	s_or_b32 exec_lo, exec_lo, s13
	v_add_co_u32 v5, vcc_lo, v5, s6
	v_add_co_ci_u32_e64 v6, null, s7, v6, vcc_lo
	v_add_co_u32 v11, vcc_lo, v11, s6
	v_add_co_ci_u32_e64 v12, null, s7, v12, vcc_lo
	s_addk_i32 s12, 0x100
	s_cmp_ge_i32 s12, s21
	s_cbranch_scc1 .LBB178_36
.LBB178_25:                             ; =>This Loop Header: Depth=1
                                        ;     Child Loop BB178_31 Depth 2
                                        ;     Child Loop BB178_35 Depth 2
	v_add_nc_u32_e32 v1, s12, v0
	s_mov_b32 s13, exec_lo
	v_cmpx_gt_i32_e64 s21, v1
	s_cbranch_execz .LBB178_24
; %bb.26:                               ;   in Loop: Header=BB178_25 Depth=1
	v_mad_u64_u32 v[3:4], null, v1, s18, 0
	s_andn2_b32 vcc_lo, exec_lo, s11
	v_mov_b32_e32 v2, v4
	v_mad_u64_u32 v[1:2], null, v1, s10, v[2:3]
	v_mov_b32_e32 v4, v1
	v_mov_b32_e32 v1, 0
	;; [unrolled: 1-line block ×3, first 2 shown]
	v_lshlrev_b64 v[7:8], 4, v[3:4]
	v_mov_b32_e32 v3, 0
	v_mov_b32_e32 v4, 0
	s_cbranch_vccnz .LBB178_28
; %bb.27:                               ;   in Loop: Header=BB178_25 Depth=1
	v_add_co_u32 v1, vcc_lo, s8, v7
	v_add_co_ci_u32_e64 v2, null, s9, v8, vcc_lo
	global_load_dwordx4 v[13:16], v[1:2], off
	s_waitcnt vmcnt(0)
	v_mul_f64 v[1:2], s[2:3], v[15:16]
	v_mul_f64 v[3:4], s[0:1], v[15:16]
	v_fma_f64 v[1:2], s[0:1], v[13:14], -v[1:2]
	v_fma_f64 v[3:4], s[2:3], v[13:14], v[3:4]
.LBB178_28:                             ;   in Loop: Header=BB178_25 Depth=1
	s_andn2_b32 vcc_lo, exec_lo, s16
	s_cbranch_vccnz .LBB178_23
; %bb.29:                               ;   in Loop: Header=BB178_25 Depth=1
	s_andn2_b32 vcc_lo, exec_lo, s19
	s_mov_b32 s4, 0
	s_cbranch_vccnz .LBB178_33
; %bb.30:                               ;   in Loop: Header=BB178_25 Depth=1
	v_mov_b32_e32 v10, v6
	v_mov_b32_e32 v9, v5
	s_mov_b32 s14, 0
.LBB178_31:                             ;   Parent Loop BB178_25 Depth=1
                                        ; =>  This Inner Loop Header: Depth=2
	s_clause 0x7
	global_load_dwordx4 v[13:16], v[9:10], off offset:-120
	global_load_dwordx4 v[17:20], v[9:10], off offset:-104
	;; [unrolled: 1-line block ×8, first 2 shown]
	v_mov_b32_e32 v61, s4
	v_add_co_u32 v9, vcc_lo, 0x80, v9
	v_add_co_ci_u32_e64 v10, null, 0, v10, vcc_lo
	ds_read_b128 v[45:48], v61
	ds_read_b128 v[49:52], v61 offset:16
	s_add_i32 s14, s14, 8
	s_addk_i32 s4, 0x80
	s_cmp_eq_u32 s20, s14
	s_waitcnt vmcnt(7) lgkmcnt(1)
	v_mul_f64 v[53:54], v[15:16], v[47:48]
	v_mul_f64 v[15:16], v[15:16], v[45:46]
	s_waitcnt vmcnt(6) lgkmcnt(0)
	v_mul_f64 v[55:56], v[19:20], v[51:52]
	v_mul_f64 v[19:20], v[19:20], v[49:50]
	v_fma_f64 v[53:54], v[13:14], v[45:46], v[53:54]
	v_fma_f64 v[57:58], v[13:14], v[47:48], -v[15:16]
	ds_read_b128 v[13:16], v61 offset:32
	ds_read_b128 v[45:48], v61 offset:48
	v_fma_f64 v[49:50], v[17:18], v[49:50], v[55:56]
	v_fma_f64 v[17:18], v[17:18], v[51:52], -v[19:20]
	s_waitcnt vmcnt(5) lgkmcnt(1)
	v_mul_f64 v[59:60], v[23:24], v[15:16]
	v_mul_f64 v[23:24], v[23:24], v[13:14]
	v_add_f64 v[1:2], v[1:2], v[53:54]
	v_add_f64 v[3:4], v[3:4], v[57:58]
	s_waitcnt vmcnt(4) lgkmcnt(0)
	v_mul_f64 v[19:20], v[27:28], v[47:48]
	v_mul_f64 v[27:28], v[27:28], v[45:46]
	v_fma_f64 v[51:52], v[21:22], v[13:14], v[59:60]
	v_fma_f64 v[21:22], v[21:22], v[15:16], -v[23:24]
	v_add_f64 v[23:24], v[1:2], v[49:50]
	v_add_f64 v[17:18], v[3:4], v[17:18]
	ds_read_b128 v[1:4], v61 offset:64
	ds_read_b128 v[13:16], v61 offset:80
	v_fma_f64 v[19:20], v[25:26], v[45:46], v[19:20]
	v_fma_f64 v[25:26], v[25:26], v[47:48], -v[27:28]
	s_waitcnt vmcnt(3) lgkmcnt(1)
	v_mul_f64 v[49:50], v[31:32], v[3:4]
	v_mul_f64 v[31:32], v[31:32], v[1:2]
	v_add_f64 v[23:24], v[23:24], v[51:52]
	v_add_f64 v[17:18], v[17:18], v[21:22]
	s_waitcnt vmcnt(2) lgkmcnt(0)
	v_mul_f64 v[21:22], v[35:36], v[15:16]
	v_mul_f64 v[27:28], v[35:36], v[13:14]
	v_fma_f64 v[35:36], v[29:30], v[1:2], v[49:50]
	v_fma_f64 v[29:30], v[29:30], v[3:4], -v[31:32]
	v_add_f64 v[23:24], v[23:24], v[19:20]
	v_add_f64 v[25:26], v[17:18], v[25:26]
	;; [unrolled: 16-line block ×3, first 2 shown]
	v_fma_f64 v[17:18], v[41:42], v[17:18], v[25:26]
	v_fma_f64 v[19:20], v[41:42], v[19:20], -v[27:28]
	v_add_f64 v[1:2], v[13:14], v[1:2]
	v_add_f64 v[3:4], v[15:16], v[3:4]
	;; [unrolled: 1-line block ×4, first 2 shown]
	s_cbranch_scc0 .LBB178_31
; %bb.32:                               ;   in Loop: Header=BB178_25 Depth=1
	s_mov_b32 s4, s20
.LBB178_33:                             ;   in Loop: Header=BB178_25 Depth=1
	s_andn2_b32 vcc_lo, exec_lo, s22
	s_cbranch_vccnz .LBB178_23
; %bb.34:                               ;   in Loop: Header=BB178_25 Depth=1
	s_lshl_b64 s[14:15], s[4:5], 4
	s_lshl_b32 s4, s4, 4
	v_add_co_u32 v9, vcc_lo, v11, s14
	v_add_co_ci_u32_e64 v10, null, s15, v12, vcc_lo
	s_mov_b32 s14, s17
	.p2align	6
.LBB178_35:                             ;   Parent Loop BB178_25 Depth=1
                                        ; =>  This Inner Loop Header: Depth=2
	global_load_dwordx4 v[13:16], v[9:10], off
	v_mov_b32_e32 v17, s4
	v_add_co_u32 v9, vcc_lo, v9, 16
	v_add_co_ci_u32_e64 v10, null, 0, v10, vcc_lo
	ds_read_b128 v[17:20], v17
	s_add_i32 s14, s14, -1
	s_add_i32 s4, s4, 16
	s_cmp_lg_u32 s14, 0
	s_waitcnt vmcnt(0) lgkmcnt(0)
	v_mul_f64 v[21:22], v[15:16], v[19:20]
	v_mul_f64 v[15:16], v[15:16], v[17:18]
	v_fma_f64 v[17:18], v[13:14], v[17:18], v[21:22]
	v_fma_f64 v[13:14], v[13:14], v[19:20], -v[15:16]
	v_add_f64 v[1:2], v[1:2], v[17:18]
	v_add_f64 v[3:4], v[3:4], v[13:14]
	s_cbranch_scc1 .LBB178_35
	s_branch .LBB178_23
.LBB178_36:
	s_endpgm
	.section	.rodata,"a",@progbits
	.p2align	6, 0x0
	.amdhsa_kernel _ZL22rocblas_gemvtsm_kernelILb1ELi256E19rocblas_complex_numIdEPKS1_S1_EviiT2_lPKT1_lilS7_lilS4_lPT3_lil
		.amdhsa_group_segment_fixed_size 1024
		.amdhsa_private_segment_fixed_size 0
		.amdhsa_kernarg_size 136
		.amdhsa_user_sgpr_count 6
		.amdhsa_user_sgpr_private_segment_buffer 1
		.amdhsa_user_sgpr_dispatch_ptr 0
		.amdhsa_user_sgpr_queue_ptr 0
		.amdhsa_user_sgpr_kernarg_segment_ptr 1
		.amdhsa_user_sgpr_dispatch_id 0
		.amdhsa_user_sgpr_flat_scratch_init 0
		.amdhsa_user_sgpr_private_segment_size 0
		.amdhsa_wavefront_size32 1
		.amdhsa_uses_dynamic_stack 0
		.amdhsa_system_sgpr_private_segment_wavefront_offset 0
		.amdhsa_system_sgpr_workgroup_id_x 1
		.amdhsa_system_sgpr_workgroup_id_y 0
		.amdhsa_system_sgpr_workgroup_id_z 0
		.amdhsa_system_sgpr_workgroup_info 0
		.amdhsa_system_vgpr_workitem_id 0
		.amdhsa_next_free_vgpr 62
		.amdhsa_next_free_sgpr 36
		.amdhsa_reserve_vcc 1
		.amdhsa_reserve_flat_scratch 0
		.amdhsa_float_round_mode_32 0
		.amdhsa_float_round_mode_16_64 0
		.amdhsa_float_denorm_mode_32 3
		.amdhsa_float_denorm_mode_16_64 3
		.amdhsa_dx10_clamp 1
		.amdhsa_ieee_mode 1
		.amdhsa_fp16_overflow 0
		.amdhsa_workgroup_processor_mode 1
		.amdhsa_memory_ordered 1
		.amdhsa_forward_progress 1
		.amdhsa_shared_vgpr_count 0
		.amdhsa_exception_fp_ieee_invalid_op 0
		.amdhsa_exception_fp_denorm_src 0
		.amdhsa_exception_fp_ieee_div_zero 0
		.amdhsa_exception_fp_ieee_overflow 0
		.amdhsa_exception_fp_ieee_underflow 0
		.amdhsa_exception_fp_ieee_inexact 0
		.amdhsa_exception_int_div_zero 0
	.end_amdhsa_kernel
	.section	.text._ZL22rocblas_gemvtsm_kernelILb1ELi256E19rocblas_complex_numIdEPKS1_S1_EviiT2_lPKT1_lilS7_lilS4_lPT3_lil,"axG",@progbits,_ZL22rocblas_gemvtsm_kernelILb1ELi256E19rocblas_complex_numIdEPKS1_S1_EviiT2_lPKT1_lilS7_lilS4_lPT3_lil,comdat
.Lfunc_end178:
	.size	_ZL22rocblas_gemvtsm_kernelILb1ELi256E19rocblas_complex_numIdEPKS1_S1_EviiT2_lPKT1_lilS7_lilS4_lPT3_lil, .Lfunc_end178-_ZL22rocblas_gemvtsm_kernelILb1ELi256E19rocblas_complex_numIdEPKS1_S1_EviiT2_lPKT1_lilS7_lilS4_lPT3_lil
                                        ; -- End function
	.set _ZL22rocblas_gemvtsm_kernelILb1ELi256E19rocblas_complex_numIdEPKS1_S1_EviiT2_lPKT1_lilS7_lilS4_lPT3_lil.num_vgpr, 62
	.set _ZL22rocblas_gemvtsm_kernelILb1ELi256E19rocblas_complex_numIdEPKS1_S1_EviiT2_lPKT1_lilS7_lilS4_lPT3_lil.num_agpr, 0
	.set _ZL22rocblas_gemvtsm_kernelILb1ELi256E19rocblas_complex_numIdEPKS1_S1_EviiT2_lPKT1_lilS7_lilS4_lPT3_lil.numbered_sgpr, 36
	.set _ZL22rocblas_gemvtsm_kernelILb1ELi256E19rocblas_complex_numIdEPKS1_S1_EviiT2_lPKT1_lilS7_lilS4_lPT3_lil.num_named_barrier, 0
	.set _ZL22rocblas_gemvtsm_kernelILb1ELi256E19rocblas_complex_numIdEPKS1_S1_EviiT2_lPKT1_lilS7_lilS4_lPT3_lil.private_seg_size, 0
	.set _ZL22rocblas_gemvtsm_kernelILb1ELi256E19rocblas_complex_numIdEPKS1_S1_EviiT2_lPKT1_lilS7_lilS4_lPT3_lil.uses_vcc, 1
	.set _ZL22rocblas_gemvtsm_kernelILb1ELi256E19rocblas_complex_numIdEPKS1_S1_EviiT2_lPKT1_lilS7_lilS4_lPT3_lil.uses_flat_scratch, 0
	.set _ZL22rocblas_gemvtsm_kernelILb1ELi256E19rocblas_complex_numIdEPKS1_S1_EviiT2_lPKT1_lilS7_lilS4_lPT3_lil.has_dyn_sized_stack, 0
	.set _ZL22rocblas_gemvtsm_kernelILb1ELi256E19rocblas_complex_numIdEPKS1_S1_EviiT2_lPKT1_lilS7_lilS4_lPT3_lil.has_recursion, 0
	.set _ZL22rocblas_gemvtsm_kernelILb1ELi256E19rocblas_complex_numIdEPKS1_S1_EviiT2_lPKT1_lilS7_lilS4_lPT3_lil.has_indirect_call, 0
	.section	.AMDGPU.csdata,"",@progbits
; Kernel info:
; codeLenInByte = 2096
; TotalNumSgprs: 38
; NumVgprs: 62
; ScratchSize: 0
; MemoryBound: 0
; FloatMode: 240
; IeeeMode: 1
; LDSByteSize: 1024 bytes/workgroup (compile time only)
; SGPRBlocks: 0
; VGPRBlocks: 7
; NumSGPRsForWavesPerEU: 38
; NumVGPRsForWavesPerEU: 62
; Occupancy: 16
; WaveLimiterHint : 1
; COMPUTE_PGM_RSRC2:SCRATCH_EN: 0
; COMPUTE_PGM_RSRC2:USER_SGPR: 6
; COMPUTE_PGM_RSRC2:TRAP_HANDLER: 0
; COMPUTE_PGM_RSRC2:TGID_X_EN: 1
; COMPUTE_PGM_RSRC2:TGID_Y_EN: 0
; COMPUTE_PGM_RSRC2:TGID_Z_EN: 0
; COMPUTE_PGM_RSRC2:TIDIG_COMP_CNT: 0
	.section	.text._ZL22rocblas_gemvtsm_kernelILb1ELi256E19rocblas_complex_numIdES1_S1_EviiT2_lPKT1_lilS5_lilS2_lPT3_lil,"axG",@progbits,_ZL22rocblas_gemvtsm_kernelILb1ELi256E19rocblas_complex_numIdES1_S1_EviiT2_lPKT1_lilS5_lilS2_lPT3_lil,comdat
	.globl	_ZL22rocblas_gemvtsm_kernelILb1ELi256E19rocblas_complex_numIdES1_S1_EviiT2_lPKT1_lilS5_lilS2_lPT3_lil ; -- Begin function _ZL22rocblas_gemvtsm_kernelILb1ELi256E19rocblas_complex_numIdES1_S1_EviiT2_lPKT1_lilS5_lilS2_lPT3_lil
	.p2align	8
	.type	_ZL22rocblas_gemvtsm_kernelILb1ELi256E19rocblas_complex_numIdES1_S1_EviiT2_lPKT1_lilS5_lilS2_lPT3_lil,@function
_ZL22rocblas_gemvtsm_kernelILb1ELi256E19rocblas_complex_numIdES1_S1_EviiT2_lPKT1_lilS5_lilS2_lPT3_lil: ; @_ZL22rocblas_gemvtsm_kernelILb1ELi256E19rocblas_complex_numIdES1_S1_EviiT2_lPKT1_lilS5_lilS2_lPT3_lil
; %bb.0:
	s_clause 0x2
	s_load_dwordx4 s[12:15], s[4:5], 0x8
	s_load_dwordx4 s[0:3], s[4:5], 0x58
	s_load_dwordx2 s[20:21], s[4:5], 0x68
	s_waitcnt lgkmcnt(0)
	v_cmp_neq_f64_e64 s7, s[12:13], 0
	v_cmp_neq_f64_e64 s8, s[14:15], 0
	s_or_b32 s7, s7, s8
	s_mov_b32 s8, -1
	s_and_b32 vcc_lo, exec_lo, s7
	s_cbranch_vccnz .LBB179_2
; %bb.1:
	v_cmp_neq_f64_e64 s8, s[2:3], 1.0
	v_cmp_neq_f64_e64 s9, s[20:21], 0
	s_or_b32 s8, s8, s9
.LBB179_2:
	s_andn2_b32 vcc_lo, exec_lo, s8
	s_cbranch_vccnz .LBB179_36
; %bb.3:
	s_clause 0x3
	s_load_dwordx2 s[16:17], s[4:5], 0x90
	s_load_dword s22, s[4:5], 0x88
	s_load_dwordx2 s[24:25], s[4:5], 0x0
	s_load_dwordx4 s[8:11], s[4:5], 0x78
	s_xor_b32 s7, s7, -1
	s_andn2_b32 vcc_lo, exec_lo, s7
	s_waitcnt lgkmcnt(0)
	s_mul_i32 s7, s17, s6
	s_mul_hi_u32 s17, s16, s6
	s_mul_i32 s26, s16, s6
	s_add_i32 s27, s17, s7
	s_mov_b32 s7, -1
	s_cbranch_vccnz .LBB179_18
; %bb.4:
	v_cmp_neq_f64_e64 s7, s[2:3], 0
	v_cmp_neq_f64_e64 s16, s[20:21], 0
	s_or_b32 s16, s7, s16
	s_cmp_gt_i32 s25, 0
	s_cselect_b32 s7, -1, 0
	s_and_b32 vcc_lo, exec_lo, s16
	s_mov_b32 s16, -1
	s_cbranch_vccnz .LBB179_11
; %bb.5:
	s_andn2_b32 vcc_lo, exec_lo, s7
	s_cbranch_vccnz .LBB179_10
; %bb.6:
	v_mad_i64_i32 v[1:2], null, s22, v0, 0
	s_lshl_b64 s[18:19], s[10:11], 4
	s_ashr_i32 s23, s22, 31
	s_lshl_b64 s[16:17], s[26:27], 4
	s_add_u32 s18, s8, s18
	s_addc_u32 s19, s9, s19
	s_add_u32 s16, s18, s16
	v_lshlrev_b64 v[1:2], 4, v[1:2]
	s_addc_u32 s17, s19, s17
	s_mov_b32 s18, 0
	v_add_co_u32 v1, vcc_lo, s16, v1
	v_add_co_ci_u32_e64 v2, null, s17, v2, vcc_lo
	s_lshl_b64 s[16:17], s[22:23], 12
	v_add_co_u32 v5, vcc_lo, v1, 8
	v_add_co_ci_u32_e64 v6, null, 0, v2, vcc_lo
	v_mov_b32_e32 v1, 0
	s_branch .LBB179_8
	.p2align	6
.LBB179_7:                              ;   in Loop: Header=BB179_8 Depth=1
	s_or_b32 exec_lo, exec_lo, s19
	v_add_co_u32 v5, vcc_lo, v5, s16
	v_add_co_ci_u32_e64 v6, null, s17, v6, vcc_lo
	s_addk_i32 s18, 0x100
	s_cmp_ge_i32 s18, s25
	s_cbranch_scc1 .LBB179_10
.LBB179_8:                              ; =>This Inner Loop Header: Depth=1
	v_add_nc_u32_e32 v2, s18, v0
	s_mov_b32 s19, exec_lo
	v_cmpx_gt_i32_e64 s25, v2
	s_cbranch_execz .LBB179_7
; %bb.9:                                ;   in Loop: Header=BB179_8 Depth=1
	v_mov_b32_e32 v2, v1
	v_mov_b32_e32 v3, v1
	;; [unrolled: 1-line block ×3, first 2 shown]
	global_store_dwordx4 v[5:6], v[1:4], off offset:-8
	s_branch .LBB179_7
.LBB179_10:
	s_mov_b32 s16, 0
.LBB179_11:
	s_andn2_b32 vcc_lo, exec_lo, s16
	s_cbranch_vccnz .LBB179_17
; %bb.12:
	s_andn2_b32 vcc_lo, exec_lo, s7
	s_cbranch_vccnz .LBB179_17
; %bb.13:
	v_mad_i64_i32 v[1:2], null, s22, v0, 0
	s_lshl_b64 s[18:19], s[10:11], 4
	s_ashr_i32 s23, s22, 31
	s_lshl_b64 s[16:17], s[26:27], 4
	s_add_u32 s7, s8, s18
	s_addc_u32 s18, s9, s19
	s_add_u32 s7, s7, s16
	v_lshlrev_b64 v[1:2], 4, v[1:2]
	s_addc_u32 s16, s18, s17
	v_add_co_u32 v1, vcc_lo, s7, v1
	v_add_co_ci_u32_e64 v2, null, s16, v2, vcc_lo
	s_lshl_b64 s[16:17], s[22:23], 12
	v_add_co_u32 v1, vcc_lo, v1, 8
	v_add_co_ci_u32_e64 v2, null, 0, v2, vcc_lo
	s_mov_b32 s7, 0
	s_inst_prefetch 0x1
	s_branch .LBB179_15
	.p2align	6
.LBB179_14:                             ;   in Loop: Header=BB179_15 Depth=1
	s_or_b32 exec_lo, exec_lo, s18
	v_add_co_u32 v1, vcc_lo, v1, s16
	v_add_co_ci_u32_e64 v2, null, s17, v2, vcc_lo
	s_addk_i32 s7, 0x100
	s_cmp_ge_i32 s7, s25
	s_cbranch_scc1 .LBB179_17
.LBB179_15:                             ; =>This Inner Loop Header: Depth=1
	v_add_nc_u32_e32 v3, s7, v0
	s_mov_b32 s18, exec_lo
	v_cmpx_gt_i32_e64 s25, v3
	s_cbranch_execz .LBB179_14
; %bb.16:                               ;   in Loop: Header=BB179_15 Depth=1
	global_load_dwordx4 v[3:6], v[1:2], off offset:-8
	s_waitcnt vmcnt(0)
	v_mul_f64 v[7:8], s[20:21], v[5:6]
	v_mul_f64 v[9:10], s[2:3], v[5:6]
	v_fma_f64 v[5:6], s[2:3], v[3:4], -v[7:8]
	v_fma_f64 v[7:8], s[20:21], v[3:4], v[9:10]
	global_store_dwordx4 v[1:2], v[5:8], off offset:-8
	s_branch .LBB179_14
.LBB179_17:
	s_inst_prefetch 0x2
	s_mov_b32 s7, 0
.LBB179_18:
	s_andn2_b32 vcc_lo, exec_lo, s7
	s_cbranch_vccnz .LBB179_36
; %bb.19:
	s_clause 0x1
	s_load_dwordx4 s[16:19], s[4:5], 0x38
	s_load_dwordx2 s[28:29], s[4:5], 0x48
	s_mov_b32 s7, exec_lo
	v_cmpx_gt_i32_e64 s24, v0
	s_cbranch_execz .LBB179_21
; %bb.20:
	s_load_dword s23, s[4:5], 0x50
	s_mul_i32 s1, s1, s6
	s_mul_hi_u32 s30, s0, s6
	s_mul_i32 s0, s0, s6
	s_add_i32 s1, s30, s1
	s_lshl_b64 s[0:1], s[0:1], 4
	s_waitcnt lgkmcnt(0)
	s_add_u32 s18, s18, s0
	s_addc_u32 s19, s19, s1
	s_lshl_b64 s[0:1], s[28:29], 4
	s_add_u32 s0, s18, s0
	s_addc_u32 s1, s19, s1
	v_mad_i64_i32 v[1:2], null, s23, v0, 0
	v_lshlrev_b64 v[1:2], 4, v[1:2]
	v_add_co_u32 v1, vcc_lo, s0, v1
	v_add_co_ci_u32_e64 v2, null, s1, v2, vcc_lo
	global_load_dwordx4 v[1:4], v[1:2], off
	s_waitcnt vmcnt(0)
	v_mul_f64 v[5:6], s[14:15], v[3:4]
	v_mul_f64 v[7:8], s[12:13], v[3:4]
	v_fma_f64 v[3:4], s[12:13], v[1:2], -v[5:6]
	v_fma_f64 v[5:6], s[14:15], v[1:2], v[7:8]
	v_lshlrev_b32_e32 v1, 4, v0
	ds_write_b128 v1, v[3:6]
.LBB179_21:
	s_or_b32 exec_lo, exec_lo, s7
	s_cmp_lt_i32 s25, 1
	s_waitcnt lgkmcnt(0)
	s_waitcnt_vscnt null, 0x0
	s_barrier
	buffer_gl0_inv
	s_cbranch_scc1 .LBB179_36
; %bb.22:
	v_cmp_neq_f64_e64 s18, s[2:3], 0
	v_cmp_neq_f64_e64 s19, s[20:21], 0
	s_clause 0x1
	s_load_dword s28, s[4:5], 0x30
	s_load_dwordx4 s[12:15], s[4:5], 0x20
	s_lshl_b64 s[0:1], s[26:27], 4
	s_mul_i32 s5, s17, s6
	s_add_u32 s7, s8, s0
	s_addc_u32 s8, s9, s1
	s_lshl_b64 s[0:1], s[10:11], 4
	s_mul_hi_u32 s23, s16, s6
	s_mul_i32 s4, s16, s6
	s_add_u32 s6, s7, s0
	s_addc_u32 s7, s8, s1
	s_ashr_i32 s8, s22, 31
	s_waitcnt lgkmcnt(0)
	s_ashr_i32 s29, s28, 31
	v_mad_i64_i32 v[1:2], null, s28, v0, 0
	s_or_b32 s9, s18, s19
	s_cmp_gt_i32 s24, 0
	s_cselect_b32 s10, -1, 0
	s_and_b32 s11, s24, 7
	s_cmp_gt_u32 s24, 7
	v_lshlrev_b64 v[1:2], 4, v[1:2]
	s_cselect_b32 s16, -1, 0
	s_and_b32 s17, s24, 0x7ffffff8
	s_cmp_lg_u32 s11, 0
	s_cselect_b32 s18, -1, 0
	s_add_i32 s5, s23, s5
	s_lshl_b64 s[0:1], s[14:15], 4
	s_lshl_b64 s[4:5], s[4:5], 4
	s_add_u32 s0, s12, s0
	s_addc_u32 s1, s13, s1
	s_add_u32 s0, s0, s4
	s_addc_u32 s1, s1, s5
	v_add_co_u32 v11, vcc_lo, s0, v1
	v_add_co_ci_u32_e64 v12, null, s1, v2, vcc_lo
	s_mov_b32 s1, 0
	v_add_co_u32 v5, vcc_lo, 0x78, v11
	v_add_co_ci_u32_e64 v6, null, 0, v12, vcc_lo
	s_lshl_b64 s[4:5], s[28:29], 12
	s_mov_b32 s12, 0
	s_branch .LBB179_25
.LBB179_23:                             ;   in Loop: Header=BB179_25 Depth=1
	v_add_co_u32 v7, vcc_lo, s6, v7
	v_add_co_ci_u32_e64 v8, null, s7, v8, vcc_lo
	global_store_dwordx4 v[7:8], v[1:4], off
.LBB179_24:                             ;   in Loop: Header=BB179_25 Depth=1
	s_or_b32 exec_lo, exec_lo, s13
	v_add_co_u32 v5, vcc_lo, v5, s4
	v_add_co_ci_u32_e64 v6, null, s5, v6, vcc_lo
	v_add_co_u32 v11, vcc_lo, v11, s4
	v_add_co_ci_u32_e64 v12, null, s5, v12, vcc_lo
	s_addk_i32 s12, 0x100
	s_cmp_ge_i32 s12, s25
	s_cbranch_scc1 .LBB179_36
.LBB179_25:                             ; =>This Loop Header: Depth=1
                                        ;     Child Loop BB179_31 Depth 2
                                        ;     Child Loop BB179_35 Depth 2
	v_add_nc_u32_e32 v1, s12, v0
	s_mov_b32 s13, exec_lo
	v_cmpx_gt_i32_e64 s25, v1
	s_cbranch_execz .LBB179_24
; %bb.26:                               ;   in Loop: Header=BB179_25 Depth=1
	v_mad_u64_u32 v[3:4], null, v1, s22, 0
	s_andn2_b32 vcc_lo, exec_lo, s9
	v_mov_b32_e32 v2, v4
	v_mad_u64_u32 v[1:2], null, v1, s8, v[2:3]
	v_mov_b32_e32 v4, v1
	v_mov_b32_e32 v1, 0
	;; [unrolled: 1-line block ×3, first 2 shown]
	v_lshlrev_b64 v[7:8], 4, v[3:4]
	v_mov_b32_e32 v3, 0
	v_mov_b32_e32 v4, 0
	s_cbranch_vccnz .LBB179_28
; %bb.27:                               ;   in Loop: Header=BB179_25 Depth=1
	v_add_co_u32 v1, vcc_lo, s6, v7
	v_add_co_ci_u32_e64 v2, null, s7, v8, vcc_lo
	global_load_dwordx4 v[13:16], v[1:2], off
	s_waitcnt vmcnt(0)
	v_mul_f64 v[1:2], s[20:21], v[15:16]
	v_mul_f64 v[3:4], s[2:3], v[15:16]
	v_fma_f64 v[1:2], s[2:3], v[13:14], -v[1:2]
	v_fma_f64 v[3:4], s[20:21], v[13:14], v[3:4]
.LBB179_28:                             ;   in Loop: Header=BB179_25 Depth=1
	s_andn2_b32 vcc_lo, exec_lo, s10
	s_cbranch_vccnz .LBB179_23
; %bb.29:                               ;   in Loop: Header=BB179_25 Depth=1
	s_andn2_b32 vcc_lo, exec_lo, s16
	s_mov_b32 s0, 0
	s_cbranch_vccnz .LBB179_33
; %bb.30:                               ;   in Loop: Header=BB179_25 Depth=1
	v_mov_b32_e32 v10, v6
	v_mov_b32_e32 v9, v5
	s_mov_b32 s14, 0
.LBB179_31:                             ;   Parent Loop BB179_25 Depth=1
                                        ; =>  This Inner Loop Header: Depth=2
	s_clause 0x7
	global_load_dwordx4 v[13:16], v[9:10], off offset:-120
	global_load_dwordx4 v[17:20], v[9:10], off offset:-104
	;; [unrolled: 1-line block ×8, first 2 shown]
	v_mov_b32_e32 v61, s0
	v_add_co_u32 v9, vcc_lo, 0x80, v9
	v_add_co_ci_u32_e64 v10, null, 0, v10, vcc_lo
	ds_read_b128 v[45:48], v61
	ds_read_b128 v[49:52], v61 offset:16
	s_add_i32 s14, s14, 8
	s_addk_i32 s0, 0x80
	s_cmp_eq_u32 s17, s14
	s_waitcnt vmcnt(7) lgkmcnt(1)
	v_mul_f64 v[53:54], v[15:16], v[47:48]
	v_mul_f64 v[15:16], v[15:16], v[45:46]
	s_waitcnt vmcnt(6) lgkmcnt(0)
	v_mul_f64 v[55:56], v[19:20], v[51:52]
	v_mul_f64 v[19:20], v[19:20], v[49:50]
	v_fma_f64 v[53:54], v[13:14], v[45:46], v[53:54]
	v_fma_f64 v[57:58], v[13:14], v[47:48], -v[15:16]
	ds_read_b128 v[13:16], v61 offset:32
	ds_read_b128 v[45:48], v61 offset:48
	v_fma_f64 v[49:50], v[17:18], v[49:50], v[55:56]
	v_fma_f64 v[17:18], v[17:18], v[51:52], -v[19:20]
	s_waitcnt vmcnt(5) lgkmcnt(1)
	v_mul_f64 v[59:60], v[23:24], v[15:16]
	v_mul_f64 v[23:24], v[23:24], v[13:14]
	v_add_f64 v[1:2], v[1:2], v[53:54]
	v_add_f64 v[3:4], v[3:4], v[57:58]
	s_waitcnt vmcnt(4) lgkmcnt(0)
	v_mul_f64 v[19:20], v[27:28], v[47:48]
	v_mul_f64 v[27:28], v[27:28], v[45:46]
	v_fma_f64 v[51:52], v[21:22], v[13:14], v[59:60]
	v_fma_f64 v[21:22], v[21:22], v[15:16], -v[23:24]
	v_add_f64 v[23:24], v[1:2], v[49:50]
	v_add_f64 v[17:18], v[3:4], v[17:18]
	ds_read_b128 v[1:4], v61 offset:64
	ds_read_b128 v[13:16], v61 offset:80
	v_fma_f64 v[19:20], v[25:26], v[45:46], v[19:20]
	v_fma_f64 v[25:26], v[25:26], v[47:48], -v[27:28]
	s_waitcnt vmcnt(3) lgkmcnt(1)
	v_mul_f64 v[49:50], v[31:32], v[3:4]
	v_mul_f64 v[31:32], v[31:32], v[1:2]
	v_add_f64 v[23:24], v[23:24], v[51:52]
	v_add_f64 v[17:18], v[17:18], v[21:22]
	s_waitcnt vmcnt(2) lgkmcnt(0)
	v_mul_f64 v[21:22], v[35:36], v[15:16]
	v_mul_f64 v[27:28], v[35:36], v[13:14]
	v_fma_f64 v[35:36], v[29:30], v[1:2], v[49:50]
	v_fma_f64 v[29:30], v[29:30], v[3:4], -v[31:32]
	v_add_f64 v[23:24], v[23:24], v[19:20]
	v_add_f64 v[25:26], v[17:18], v[25:26]
	ds_read_b128 v[1:4], v61 offset:96
	ds_read_b128 v[17:20], v61 offset:112
	v_fma_f64 v[13:14], v[33:34], v[13:14], v[21:22]
	v_fma_f64 v[15:16], v[33:34], v[15:16], -v[27:28]
	s_waitcnt vmcnt(1) lgkmcnt(1)
	v_mul_f64 v[31:32], v[39:40], v[3:4]
	v_mul_f64 v[39:40], v[39:40], v[1:2]
	v_add_f64 v[21:22], v[23:24], v[35:36]
	v_add_f64 v[23:24], v[25:26], v[29:30]
	s_waitcnt vmcnt(0) lgkmcnt(0)
	v_mul_f64 v[25:26], v[43:44], v[19:20]
	v_mul_f64 v[27:28], v[43:44], v[17:18]
	v_fma_f64 v[1:2], v[37:38], v[1:2], v[31:32]
	v_fma_f64 v[3:4], v[37:38], v[3:4], -v[39:40]
	v_add_f64 v[13:14], v[21:22], v[13:14]
	v_add_f64 v[15:16], v[23:24], v[15:16]
	v_fma_f64 v[17:18], v[41:42], v[17:18], v[25:26]
	v_fma_f64 v[19:20], v[41:42], v[19:20], -v[27:28]
	v_add_f64 v[1:2], v[13:14], v[1:2]
	v_add_f64 v[3:4], v[15:16], v[3:4]
	;; [unrolled: 1-line block ×4, first 2 shown]
	s_cbranch_scc0 .LBB179_31
; %bb.32:                               ;   in Loop: Header=BB179_25 Depth=1
	s_mov_b32 s0, s17
.LBB179_33:                             ;   in Loop: Header=BB179_25 Depth=1
	s_andn2_b32 vcc_lo, exec_lo, s18
	s_cbranch_vccnz .LBB179_23
; %bb.34:                               ;   in Loop: Header=BB179_25 Depth=1
	s_lshl_b64 s[14:15], s[0:1], 4
	s_lshl_b32 s0, s0, 4
	v_add_co_u32 v9, vcc_lo, v11, s14
	v_add_co_ci_u32_e64 v10, null, s15, v12, vcc_lo
	s_mov_b32 s14, s11
	.p2align	6
.LBB179_35:                             ;   Parent Loop BB179_25 Depth=1
                                        ; =>  This Inner Loop Header: Depth=2
	global_load_dwordx4 v[13:16], v[9:10], off
	v_mov_b32_e32 v17, s0
	v_add_co_u32 v9, vcc_lo, v9, 16
	v_add_co_ci_u32_e64 v10, null, 0, v10, vcc_lo
	ds_read_b128 v[17:20], v17
	s_add_i32 s14, s14, -1
	s_add_i32 s0, s0, 16
	s_cmp_lg_u32 s14, 0
	s_waitcnt vmcnt(0) lgkmcnt(0)
	v_mul_f64 v[21:22], v[15:16], v[19:20]
	v_mul_f64 v[15:16], v[15:16], v[17:18]
	v_fma_f64 v[17:18], v[13:14], v[17:18], v[21:22]
	v_fma_f64 v[13:14], v[13:14], v[19:20], -v[15:16]
	v_add_f64 v[1:2], v[1:2], v[17:18]
	v_add_f64 v[3:4], v[3:4], v[13:14]
	s_cbranch_scc1 .LBB179_35
	s_branch .LBB179_23
.LBB179_36:
	s_endpgm
	.section	.rodata,"a",@progbits
	.p2align	6, 0x0
	.amdhsa_kernel _ZL22rocblas_gemvtsm_kernelILb1ELi256E19rocblas_complex_numIdES1_S1_EviiT2_lPKT1_lilS5_lilS2_lPT3_lil
		.amdhsa_group_segment_fixed_size 1024
		.amdhsa_private_segment_fixed_size 0
		.amdhsa_kernarg_size 152
		.amdhsa_user_sgpr_count 6
		.amdhsa_user_sgpr_private_segment_buffer 1
		.amdhsa_user_sgpr_dispatch_ptr 0
		.amdhsa_user_sgpr_queue_ptr 0
		.amdhsa_user_sgpr_kernarg_segment_ptr 1
		.amdhsa_user_sgpr_dispatch_id 0
		.amdhsa_user_sgpr_flat_scratch_init 0
		.amdhsa_user_sgpr_private_segment_size 0
		.amdhsa_wavefront_size32 1
		.amdhsa_uses_dynamic_stack 0
		.amdhsa_system_sgpr_private_segment_wavefront_offset 0
		.amdhsa_system_sgpr_workgroup_id_x 1
		.amdhsa_system_sgpr_workgroup_id_y 0
		.amdhsa_system_sgpr_workgroup_id_z 0
		.amdhsa_system_sgpr_workgroup_info 0
		.amdhsa_system_vgpr_workitem_id 0
		.amdhsa_next_free_vgpr 62
		.amdhsa_next_free_sgpr 31
		.amdhsa_reserve_vcc 1
		.amdhsa_reserve_flat_scratch 0
		.amdhsa_float_round_mode_32 0
		.amdhsa_float_round_mode_16_64 0
		.amdhsa_float_denorm_mode_32 3
		.amdhsa_float_denorm_mode_16_64 3
		.amdhsa_dx10_clamp 1
		.amdhsa_ieee_mode 1
		.amdhsa_fp16_overflow 0
		.amdhsa_workgroup_processor_mode 1
		.amdhsa_memory_ordered 1
		.amdhsa_forward_progress 1
		.amdhsa_shared_vgpr_count 0
		.amdhsa_exception_fp_ieee_invalid_op 0
		.amdhsa_exception_fp_denorm_src 0
		.amdhsa_exception_fp_ieee_div_zero 0
		.amdhsa_exception_fp_ieee_overflow 0
		.amdhsa_exception_fp_ieee_underflow 0
		.amdhsa_exception_fp_ieee_inexact 0
		.amdhsa_exception_int_div_zero 0
	.end_amdhsa_kernel
	.section	.text._ZL22rocblas_gemvtsm_kernelILb1ELi256E19rocblas_complex_numIdES1_S1_EviiT2_lPKT1_lilS5_lilS2_lPT3_lil,"axG",@progbits,_ZL22rocblas_gemvtsm_kernelILb1ELi256E19rocblas_complex_numIdES1_S1_EviiT2_lPKT1_lilS5_lilS2_lPT3_lil,comdat
.Lfunc_end179:
	.size	_ZL22rocblas_gemvtsm_kernelILb1ELi256E19rocblas_complex_numIdES1_S1_EviiT2_lPKT1_lilS5_lilS2_lPT3_lil, .Lfunc_end179-_ZL22rocblas_gemvtsm_kernelILb1ELi256E19rocblas_complex_numIdES1_S1_EviiT2_lPKT1_lilS5_lilS2_lPT3_lil
                                        ; -- End function
	.set _ZL22rocblas_gemvtsm_kernelILb1ELi256E19rocblas_complex_numIdES1_S1_EviiT2_lPKT1_lilS5_lilS2_lPT3_lil.num_vgpr, 62
	.set _ZL22rocblas_gemvtsm_kernelILb1ELi256E19rocblas_complex_numIdES1_S1_EviiT2_lPKT1_lilS5_lilS2_lPT3_lil.num_agpr, 0
	.set _ZL22rocblas_gemvtsm_kernelILb1ELi256E19rocblas_complex_numIdES1_S1_EviiT2_lPKT1_lilS5_lilS2_lPT3_lil.numbered_sgpr, 31
	.set _ZL22rocblas_gemvtsm_kernelILb1ELi256E19rocblas_complex_numIdES1_S1_EviiT2_lPKT1_lilS5_lilS2_lPT3_lil.num_named_barrier, 0
	.set _ZL22rocblas_gemvtsm_kernelILb1ELi256E19rocblas_complex_numIdES1_S1_EviiT2_lPKT1_lilS5_lilS2_lPT3_lil.private_seg_size, 0
	.set _ZL22rocblas_gemvtsm_kernelILb1ELi256E19rocblas_complex_numIdES1_S1_EviiT2_lPKT1_lilS5_lilS2_lPT3_lil.uses_vcc, 1
	.set _ZL22rocblas_gemvtsm_kernelILb1ELi256E19rocblas_complex_numIdES1_S1_EviiT2_lPKT1_lilS5_lilS2_lPT3_lil.uses_flat_scratch, 0
	.set _ZL22rocblas_gemvtsm_kernelILb1ELi256E19rocblas_complex_numIdES1_S1_EviiT2_lPKT1_lilS5_lilS2_lPT3_lil.has_dyn_sized_stack, 0
	.set _ZL22rocblas_gemvtsm_kernelILb1ELi256E19rocblas_complex_numIdES1_S1_EviiT2_lPKT1_lilS5_lilS2_lPT3_lil.has_recursion, 0
	.set _ZL22rocblas_gemvtsm_kernelILb1ELi256E19rocblas_complex_numIdES1_S1_EviiT2_lPKT1_lilS5_lilS2_lPT3_lil.has_indirect_call, 0
	.section	.AMDGPU.csdata,"",@progbits
; Kernel info:
; codeLenInByte = 2096
; TotalNumSgprs: 33
; NumVgprs: 62
; ScratchSize: 0
; MemoryBound: 0
; FloatMode: 240
; IeeeMode: 1
; LDSByteSize: 1024 bytes/workgroup (compile time only)
; SGPRBlocks: 0
; VGPRBlocks: 7
; NumSGPRsForWavesPerEU: 33
; NumVGPRsForWavesPerEU: 62
; Occupancy: 16
; WaveLimiterHint : 1
; COMPUTE_PGM_RSRC2:SCRATCH_EN: 0
; COMPUTE_PGM_RSRC2:USER_SGPR: 6
; COMPUTE_PGM_RSRC2:TRAP_HANDLER: 0
; COMPUTE_PGM_RSRC2:TGID_X_EN: 1
; COMPUTE_PGM_RSRC2:TGID_Y_EN: 0
; COMPUTE_PGM_RSRC2:TGID_Z_EN: 0
; COMPUTE_PGM_RSRC2:TIDIG_COMP_CNT: 0
	.section	.text._ZL23rocblas_gemvt_sn_kernelILb1ELi256ELi4Ei19rocblas_complex_numIdEPKS1_S1_EviiT4_lPKT3_lilS7_lilPT5_i,"axG",@progbits,_ZL23rocblas_gemvt_sn_kernelILb1ELi256ELi4Ei19rocblas_complex_numIdEPKS1_S1_EviiT4_lPKT3_lilS7_lilPT5_i,comdat
	.globl	_ZL23rocblas_gemvt_sn_kernelILb1ELi256ELi4Ei19rocblas_complex_numIdEPKS1_S1_EviiT4_lPKT3_lilS7_lilPT5_i ; -- Begin function _ZL23rocblas_gemvt_sn_kernelILb1ELi256ELi4Ei19rocblas_complex_numIdEPKS1_S1_EviiT4_lPKT3_lilS7_lilPT5_i
	.p2align	8
	.type	_ZL23rocblas_gemvt_sn_kernelILb1ELi256ELi4Ei19rocblas_complex_numIdEPKS1_S1_EviiT4_lPKT3_lilS7_lilPT5_i,@function
_ZL23rocblas_gemvt_sn_kernelILb1ELi256ELi4Ei19rocblas_complex_numIdEPKS1_S1_EviiT4_lPKT3_lilS7_lilPT5_i: ; @_ZL23rocblas_gemvt_sn_kernelILb1ELi256ELi4Ei19rocblas_complex_numIdEPKS1_S1_EviiT4_lPKT3_lilS7_lilPT5_i
; %bb.0:
	s_add_u32 s0, s0, s8
	s_load_dwordx8 s[8:15], s[4:5], 0x8
	s_addc_u32 s1, s1, 0
	s_load_dwordx4 s[20:23], s[4:5], 0x50
	s_mov_b32 s27, 0
	s_waitcnt lgkmcnt(0)
	s_mul_i32 s11, s11, s7
	s_mul_hi_u32 s16, s10, s7
	s_mul_i32 s10, s10, s7
	s_add_i32 s11, s16, s11
	s_lshl_b64 s[10:11], s[10:11], 4
	s_add_u32 s8, s8, s10
	s_addc_u32 s9, s9, s11
	s_load_dwordx4 s[16:19], s[8:9], 0x0
	s_clause 0x1
	s_load_dwordx2 s[24:25], s[4:5], 0x0
	s_load_dword s26, s[4:5], 0x68
	s_waitcnt lgkmcnt(0)
	v_cmp_neq_f64_e64 s8, s[16:17], 0
	v_cmp_neq_f64_e64 s9, s[18:19], 0
	s_ashr_i32 s30, s25, 31
	s_mul_hi_u32 s10, s25, s7
	s_mul_i32 s28, s30, s7
	s_mul_i32 s11, s25, s7
	s_add_i32 s10, s10, s28
	s_mul_hi_u32 s29, s11, s26
	s_mul_i32 s10, s10, s26
	s_mul_i32 s28, s11, s26
	s_add_i32 s29, s29, s10
	s_or_b32 s8, s8, s9
	s_mov_b32 s9, -1
	s_and_b32 vcc_lo, exec_lo, s8
	v_cmp_eq_u32_e64 s8, 0, v0
	s_cbranch_vccnz .LBB180_5
; %bb.1:
	s_cmp_gt_i32 s25, 0
	s_cselect_b32 s9, -1, 0
	s_and_b32 s8, s8, s9
	s_and_saveexec_b32 s31, s8
	s_cbranch_execz .LBB180_4
; %bb.2:
	s_mov_b32 s8, s7
	s_mov_b32 s7, 0
	v_mov_b32_e32 v1, 0
	s_lshl_b64 s[10:11], s[28:29], 4
	s_lshl_b64 s[34:35], s[6:7], 4
	s_mov_b32 s7, s8
	s_add_u32 s8, s10, s34
	s_addc_u32 s9, s11, s35
	s_add_u32 s8, s22, s8
	v_mov_b32_e32 v2, v1
	v_mov_b32_e32 v3, v1
	v_mov_b32_e32 v4, v1
	s_addc_u32 s9, s23, s9
	s_add_u32 s8, s8, 8
	s_addc_u32 s9, s9, 0
	s_lshl_b64 s[10:11], s[26:27], 4
	s_mov_b32 s27, s25
.LBB180_3:                              ; =>This Inner Loop Header: Depth=1
	s_add_i32 s27, s27, -1
	global_store_dwordx4 v1, v[1:4], s[8:9] offset:-8
	s_add_u32 s8, s8, s10
	s_addc_u32 s9, s9, s11
	s_cmp_eq_u32 s27, 0
	s_cbranch_scc0 .LBB180_3
.LBB180_4:
	s_or_b32 exec_lo, exec_lo, s31
	s_mov_b32 s9, 0
.LBB180_5:
	s_andn2_b32 vcc_lo, exec_lo, s9
	s_cbranch_vccnz .LBB180_77
; %bb.6:
	s_clause 0x3
	s_load_dwordx4 s[8:11], s[4:5], 0x30
	s_load_dwordx2 s[34:35], s[4:5], 0x40
	s_load_dword s27, s[4:5], 0x28
	s_load_dword s33, s[4:5], 0x48
	s_mul_i32 s5, s21, s7
	s_mul_hi_u32 s21, s20, s7
	s_mul_i32 s4, s20, s7
	s_add_i32 s5, s21, s5
	v_and_b32_e32 v22, 31, v0
	s_lshl_b64 s[20:21], s[4:5], 4
	v_cmp_gt_u32_e64 s4, 32, v0
	v_mbcnt_lo_u32_b32 v41, -1, 0
	v_lshrrev_b32_e32 v42, 1, v0
	v_mov_b32_e32 v36, 16
	v_mov_b32_e32 v37, 32
	;; [unrolled: 1-line block ×3, first 2 shown]
	s_waitcnt lgkmcnt(0)
	s_add_u32 s5, s10, s20
	s_addc_u32 s20, s11, s21
	s_lshl_b64 s[10:11], s[34:35], 4
	s_mul_i32 s9, s9, s7
	s_add_u32 s38, s5, s10
	s_addc_u32 s39, s20, s11
	s_lshl_b64 s[20:21], s[28:29], 4
	s_mul_hi_u32 s31, s8, s7
	s_add_u32 s11, s22, s20
	s_mul_i32 s8, s8, s7
	s_addc_u32 s42, s23, s21
	s_add_i32 s9, s31, s9
	v_cmp_gt_u32_e64 s5, 8, v0
	s_lshl_b64 s[20:21], s[8:9], 4
	s_add_u32 s7, s12, s20
	s_addc_u32 s8, s13, s21
	s_lshl_b64 s[14:15], s[14:15], 4
	s_add_u32 s7, s7, s14
	s_addc_u32 s8, s8, s15
	s_lshl_b32 s9, s6, 10
	s_lshr_b32 s10, s30, 30
	v_lshl_or_b32 v1, v0, 2, s9
	s_ashr_i32 s9, s24, 31
	s_add_i32 s10, s25, s10
	s_lshr_b32 s9, s9, 30
	s_and_b32 s43, s10, -4
	v_ashrrev_i32_e32 v2, 31, v1
	s_add_i32 s9, s24, s9
	v_mul_lo_u32 v21, s33, v1
	s_and_b32 s9, s9, -4
	v_add_nc_u32_e32 v43, 4, v1
	v_lshlrev_b64 v[23:24], 4, v[1:2]
	s_sub_i32 s40, s24, s9
	s_cmp_lt_i32 s43, 1
	v_add_nc_u32_e32 v44, s40, v1
	v_add_co_u32 v38, vcc_lo, s7, v23
	v_add_co_ci_u32_e64 v39, null, s8, v24, vcc_lo
	s_cbranch_scc1 .LBB180_54
; %bb.7:
	v_cmp_gt_u32_e32 vcc_lo, 24, v41
	v_mul_lo_u32 v25, s33, v1
	s_cmp_gt_i32 s40, 0
	v_cmp_ge_i32_e64 s7, s24, v43
	s_cselect_b32 s44, -1, 0
	v_cndmask_b32_e64 v2, 0, 8, vcc_lo
	v_cmp_gt_u32_e32 vcc_lo, 28, v41
	s_lshl_b32 s45, s27, 2
	s_lshl_b32 s46, s27, 1
	v_ashrrev_i32_e32 v26, 31, v25
	v_add_lshl_u32 v46, v2, v41, 2
	v_cndmask_b32_e64 v3, 0, 4, vcc_lo
	v_cmp_gt_u32_e32 vcc_lo, 30, v41
	s_add_u32 s22, s20, s14
	v_lshlrev_b64 v[5:6], 4, v[25:26]
	s_addc_u32 s28, s21, s15
	v_add_lshl_u32 v47, v3, v41, 2
	v_cndmask_b32_e64 v1, 0, 2, vcc_lo
	v_cmp_ne_u32_e32 vcc_lo, 31, v41
	s_add_u32 s22, s12, s22
	s_addc_u32 s28, s13, s28
	v_cmp_ge_i32_e64 s8, s24, v44
	v_add_lshl_u32 v48, v1, v41, 2
	v_add_nc_u32_e32 v1, s33, v25
	v_add_co_ci_u32_e64 v4, null, 0, v41, vcc_lo
	v_add_co_u32 v26, vcc_lo, s38, v5
	v_add_nc_u32_e32 v3, s33, v1
	v_ashrrev_i32_e32 v2, 31, v1
	v_lshlrev_b32_e32 v49, 2, v4
	v_add_co_ci_u32_e64 v27, null, s39, v6, vcc_lo
	v_add_nc_u32_e32 v7, s33, v3
	v_lshlrev_b64 v[1:2], 4, v[1:2]
	v_ashrrev_i32_e32 v4, 31, v3
	v_lshl_or_b32 v45, v41, 2, 64
	v_cmp_eq_u32_e64 s9, 0, v22
	v_ashrrev_i32_e32 v8, 31, v7
	v_lshlrev_b32_e32 v50, 4, v22
	v_lshlrev_b64 v[3:4], 4, v[3:4]
	v_add_co_u32 v28, vcc_lo, s38, v1
	v_add_co_ci_u32_e64 v29, null, s39, v2, vcc_lo
	v_lshlrev_b64 v[1:2], 4, v[7:8]
	v_add_co_u32 v30, vcc_lo, s38, v3
	v_add_co_ci_u32_e64 v31, null, s39, v4, vcc_lo
	v_and_b32_e32 v51, 0x70, v42
	v_add_co_u32 v32, vcc_lo, s38, v1
	v_add_co_ci_u32_e64 v33, null, s39, v2, vcc_lo
	v_add_co_u32 v1, vcc_lo, s22, v23
	v_add_co_ci_u32_e64 v2, null, s28, v24, vcc_lo
	v_cmp_eq_u32_e64 s10, 0, v0
	v_add_co_u32 v52, vcc_lo, v1, 8
	v_add_co_ci_u32_e64 v53, null, 0, v2, vcc_lo
	v_mov_b32_e32 v1, 0
	s_mov_b32 s23, 0
	s_mul_i32 s47, s27, 3
	s_mov_b32 s28, s23
	s_mov_b32 s48, s27
	;; [unrolled: 1-line block ×3, first 2 shown]
	s_branch .LBB180_9
.LBB180_8:                              ;   in Loop: Header=BB180_9 Depth=1
	s_or_b32 exec_lo, exec_lo, s29
	s_add_i32 s41, s41, 4
	s_add_i32 s48, s48, s45
	;; [unrolled: 1-line block ×5, first 2 shown]
	s_cmp_ge_i32 s41, s43
	s_cbranch_scc1 .LBB180_55
.LBB180_9:                              ; =>This Loop Header: Depth=1
                                        ;     Child Loop BB180_40 Depth 2
                                        ;     Child Loop BB180_42 Depth 2
                                        ; implicit-def: $vgpr17_vgpr18
                                        ; implicit-def: $vgpr19_vgpr20
                                        ; implicit-def: $vgpr13_vgpr14
                                        ; implicit-def: $vgpr15_vgpr16
                                        ; implicit-def: $vgpr9_vgpr10
                                        ; implicit-def: $vgpr11_vgpr12
                                        ; implicit-def: $vgpr7_vgpr8
                                        ; implicit-def: $vgpr5_vgpr6
	s_and_saveexec_b32 s22, s7
	s_xor_b32 s22, exec_lo, s22
	s_cbranch_execnz .LBB180_36
; %bb.10:                               ;   in Loop: Header=BB180_9 Depth=1
	s_andn2_saveexec_b32 s22, s22
	s_cbranch_execnz .LBB180_37
.LBB180_11:                             ;   in Loop: Header=BB180_9 Depth=1
	s_or_b32 exec_lo, exec_lo, s22
	s_and_saveexec_b32 s22, s4
	s_cbranch_execz .LBB180_13
.LBB180_12:                             ;   in Loop: Header=BB180_9 Depth=1
	v_mov_b32_e32 v2, v1
	v_mov_b32_e32 v3, v1
	;; [unrolled: 1-line block ×3, first 2 shown]
	ds_write_b128 v50, v[1:4]
.LBB180_13:                             ;   in Loop: Header=BB180_9 Depth=1
	s_or_b32 exec_lo, exec_lo, s22
	ds_bpermute_b32 v2, v45, v7
	ds_bpermute_b32 v3, v45, v8
	;; [unrolled: 1-line block ×4, first 2 shown]
	s_waitcnt lgkmcnt(0)
	s_waitcnt_vscnt null, 0x0
	s_barrier
	buffer_gl0_inv
	v_add_f64 v[2:3], v[7:8], v[2:3]
	v_add_f64 v[4:5], v[5:6], v[34:35]
	ds_bpermute_b32 v6, v46, v2
	ds_bpermute_b32 v7, v46, v3
	ds_bpermute_b32 v34, v46, v4
	ds_bpermute_b32 v35, v46, v5
	s_waitcnt lgkmcnt(2)
	v_add_f64 v[2:3], v[2:3], v[6:7]
	s_waitcnt lgkmcnt(0)
	v_add_f64 v[4:5], v[4:5], v[34:35]
	ds_bpermute_b32 v6, v47, v2
	ds_bpermute_b32 v7, v47, v3
	ds_bpermute_b32 v34, v47, v4
	ds_bpermute_b32 v35, v47, v5
	s_waitcnt lgkmcnt(2)
	v_add_f64 v[2:3], v[2:3], v[6:7]
	s_waitcnt lgkmcnt(0)
	;; [unrolled: 8-line block ×3, first 2 shown]
	v_add_f64 v[6:7], v[4:5], v[34:35]
	ds_bpermute_b32 v4, v49, v2
	ds_bpermute_b32 v5, v49, v3
	;; [unrolled: 1-line block ×4, first 2 shown]
	s_and_saveexec_b32 s22, s9
	s_cbranch_execz .LBB180_15
; %bb.14:                               ;   in Loop: Header=BB180_9 Depth=1
	s_waitcnt lgkmcnt(0)
	v_add_f64 v[6:7], v[6:7], v[34:35]
	v_add_f64 v[4:5], v[2:3], v[4:5]
	ds_write_b128 v51, v[4:7]
.LBB180_15:                             ;   in Loop: Header=BB180_9 Depth=1
	s_or_b32 exec_lo, exec_lo, s22
	v_mov_b32_e32 v7, 0
	s_waitcnt lgkmcnt(2)
	v_mov_b32_e32 v5, 0
	v_mov_b32_e32 v8, 0
	;; [unrolled: 1-line block ×3, first 2 shown]
	s_waitcnt lgkmcnt(0)
	s_barrier
	buffer_gl0_inv
	s_and_saveexec_b32 s22, s5
	s_cbranch_execnz .LBB180_43
; %bb.16:                               ;   in Loop: Header=BB180_9 Depth=1
	s_or_b32 exec_lo, exec_lo, s22
	s_and_saveexec_b32 s22, s4
	s_cbranch_execnz .LBB180_44
.LBB180_17:                             ;   in Loop: Header=BB180_9 Depth=1
	s_or_b32 exec_lo, exec_lo, s22
	s_and_saveexec_b32 s22, s4
	s_cbranch_execz .LBB180_19
.LBB180_18:                             ;   in Loop: Header=BB180_9 Depth=1
	v_mov_b32_e32 v2, v1
	v_mov_b32_e32 v3, v1
	;; [unrolled: 1-line block ×3, first 2 shown]
	ds_write_b128 v50, v[1:4]
.LBB180_19:                             ;   in Loop: Header=BB180_9 Depth=1
	s_or_b32 exec_lo, exec_lo, s22
	ds_bpermute_b32 v2, v45, v9
	ds_bpermute_b32 v3, v45, v10
	;; [unrolled: 1-line block ×4, first 2 shown]
	s_waitcnt lgkmcnt(0)
	s_barrier
	buffer_gl0_inv
	v_add_f64 v[2:3], v[9:10], v[2:3]
	v_add_f64 v[9:10], v[11:12], v[34:35]
	ds_bpermute_b32 v11, v46, v2
	ds_bpermute_b32 v12, v46, v3
	ds_bpermute_b32 v34, v46, v9
	ds_bpermute_b32 v35, v46, v10
	s_waitcnt lgkmcnt(2)
	v_add_f64 v[2:3], v[2:3], v[11:12]
	s_waitcnt lgkmcnt(0)
	v_add_f64 v[9:10], v[9:10], v[34:35]
	ds_bpermute_b32 v11, v47, v2
	ds_bpermute_b32 v12, v47, v3
	ds_bpermute_b32 v34, v47, v9
	ds_bpermute_b32 v35, v47, v10
	s_waitcnt lgkmcnt(2)
	v_add_f64 v[2:3], v[2:3], v[11:12]
	s_waitcnt lgkmcnt(0)
	;; [unrolled: 8-line block ×3, first 2 shown]
	v_add_f64 v[11:12], v[9:10], v[34:35]
	ds_bpermute_b32 v9, v49, v2
	ds_bpermute_b32 v10, v49, v3
	;; [unrolled: 1-line block ×4, first 2 shown]
	s_and_saveexec_b32 s22, s9
	s_cbranch_execz .LBB180_21
; %bb.20:                               ;   in Loop: Header=BB180_9 Depth=1
	s_waitcnt lgkmcnt(0)
	v_add_f64 v[11:12], v[11:12], v[34:35]
	v_add_f64 v[9:10], v[2:3], v[9:10]
	ds_write_b128 v51, v[9:12]
.LBB180_21:                             ;   in Loop: Header=BB180_9 Depth=1
	s_or_b32 exec_lo, exec_lo, s22
	v_mov_b32_e32 v11, 0
	s_waitcnt lgkmcnt(2)
	v_mov_b32_e32 v9, 0
	v_mov_b32_e32 v12, 0
	;; [unrolled: 1-line block ×3, first 2 shown]
	s_waitcnt lgkmcnt(0)
	s_barrier
	buffer_gl0_inv
	s_and_saveexec_b32 s22, s5
	s_cbranch_execnz .LBB180_45
; %bb.22:                               ;   in Loop: Header=BB180_9 Depth=1
	s_or_b32 exec_lo, exec_lo, s22
	s_and_saveexec_b32 s22, s4
	s_cbranch_execnz .LBB180_46
.LBB180_23:                             ;   in Loop: Header=BB180_9 Depth=1
	s_or_b32 exec_lo, exec_lo, s22
	s_and_saveexec_b32 s22, s4
	s_cbranch_execz .LBB180_25
.LBB180_24:                             ;   in Loop: Header=BB180_9 Depth=1
	v_mov_b32_e32 v2, v1
	v_mov_b32_e32 v3, v1
	;; [unrolled: 1-line block ×3, first 2 shown]
	ds_write_b128 v50, v[1:4]
.LBB180_25:                             ;   in Loop: Header=BB180_9 Depth=1
	s_or_b32 exec_lo, exec_lo, s22
	ds_bpermute_b32 v2, v45, v13
	ds_bpermute_b32 v3, v45, v14
	;; [unrolled: 1-line block ×4, first 2 shown]
	s_waitcnt lgkmcnt(0)
	s_barrier
	buffer_gl0_inv
	v_add_f64 v[2:3], v[13:14], v[2:3]
	v_add_f64 v[13:14], v[15:16], v[34:35]
	ds_bpermute_b32 v15, v46, v2
	ds_bpermute_b32 v16, v46, v3
	ds_bpermute_b32 v34, v46, v13
	ds_bpermute_b32 v35, v46, v14
	s_waitcnt lgkmcnt(2)
	v_add_f64 v[2:3], v[2:3], v[15:16]
	s_waitcnt lgkmcnt(0)
	v_add_f64 v[13:14], v[13:14], v[34:35]
	ds_bpermute_b32 v15, v47, v2
	ds_bpermute_b32 v16, v47, v3
	ds_bpermute_b32 v34, v47, v13
	ds_bpermute_b32 v35, v47, v14
	s_waitcnt lgkmcnt(2)
	v_add_f64 v[2:3], v[2:3], v[15:16]
	s_waitcnt lgkmcnt(0)
	;; [unrolled: 8-line block ×3, first 2 shown]
	v_add_f64 v[15:16], v[13:14], v[34:35]
	ds_bpermute_b32 v13, v49, v2
	ds_bpermute_b32 v14, v49, v3
	;; [unrolled: 1-line block ×4, first 2 shown]
	s_and_saveexec_b32 s22, s9
	s_cbranch_execz .LBB180_27
; %bb.26:                               ;   in Loop: Header=BB180_9 Depth=1
	s_waitcnt lgkmcnt(0)
	v_add_f64 v[15:16], v[15:16], v[34:35]
	v_add_f64 v[13:14], v[2:3], v[13:14]
	ds_write_b128 v51, v[13:16]
.LBB180_27:                             ;   in Loop: Header=BB180_9 Depth=1
	s_or_b32 exec_lo, exec_lo, s22
	v_mov_b32_e32 v15, 0
	s_waitcnt lgkmcnt(2)
	v_mov_b32_e32 v13, 0
	v_mov_b32_e32 v16, 0
	;; [unrolled: 1-line block ×3, first 2 shown]
	s_waitcnt lgkmcnt(0)
	s_barrier
	buffer_gl0_inv
	s_and_saveexec_b32 s22, s5
	s_cbranch_execnz .LBB180_47
; %bb.28:                               ;   in Loop: Header=BB180_9 Depth=1
	s_or_b32 exec_lo, exec_lo, s22
	s_and_saveexec_b32 s22, s4
	s_cbranch_execnz .LBB180_48
.LBB180_29:                             ;   in Loop: Header=BB180_9 Depth=1
	s_or_b32 exec_lo, exec_lo, s22
	s_and_saveexec_b32 s22, s4
	s_cbranch_execz .LBB180_31
.LBB180_30:                             ;   in Loop: Header=BB180_9 Depth=1
	v_mov_b32_e32 v2, v1
	v_mov_b32_e32 v3, v1
	;; [unrolled: 1-line block ×3, first 2 shown]
	ds_write_b128 v50, v[1:4]
.LBB180_31:                             ;   in Loop: Header=BB180_9 Depth=1
	s_or_b32 exec_lo, exec_lo, s22
	ds_bpermute_b32 v2, v45, v17
	ds_bpermute_b32 v3, v45, v18
	;; [unrolled: 1-line block ×4, first 2 shown]
	s_waitcnt lgkmcnt(0)
	s_barrier
	buffer_gl0_inv
	v_add_f64 v[2:3], v[17:18], v[2:3]
	v_add_f64 v[17:18], v[19:20], v[34:35]
	ds_bpermute_b32 v19, v46, v2
	ds_bpermute_b32 v20, v46, v3
	ds_bpermute_b32 v34, v46, v17
	ds_bpermute_b32 v35, v46, v18
	s_waitcnt lgkmcnt(2)
	v_add_f64 v[2:3], v[2:3], v[19:20]
	s_waitcnt lgkmcnt(0)
	v_add_f64 v[17:18], v[17:18], v[34:35]
	ds_bpermute_b32 v19, v47, v2
	ds_bpermute_b32 v20, v47, v3
	ds_bpermute_b32 v34, v47, v17
	ds_bpermute_b32 v35, v47, v18
	s_waitcnt lgkmcnt(2)
	v_add_f64 v[2:3], v[2:3], v[19:20]
	s_waitcnt lgkmcnt(0)
	;; [unrolled: 8-line block ×3, first 2 shown]
	v_add_f64 v[19:20], v[17:18], v[34:35]
	ds_bpermute_b32 v17, v49, v2
	ds_bpermute_b32 v18, v49, v3
	;; [unrolled: 1-line block ×4, first 2 shown]
	s_and_saveexec_b32 s22, s9
	s_cbranch_execz .LBB180_33
; %bb.32:                               ;   in Loop: Header=BB180_9 Depth=1
	s_waitcnt lgkmcnt(0)
	v_add_f64 v[19:20], v[19:20], v[34:35]
	v_add_f64 v[17:18], v[2:3], v[17:18]
	ds_write_b128 v51, v[17:20]
.LBB180_33:                             ;   in Loop: Header=BB180_9 Depth=1
	s_or_b32 exec_lo, exec_lo, s22
	v_mov_b32_e32 v19, 0
	s_waitcnt lgkmcnt(2)
	v_mov_b32_e32 v17, 0
	v_mov_b32_e32 v20, 0
	;; [unrolled: 1-line block ×3, first 2 shown]
	s_waitcnt lgkmcnt(0)
	s_barrier
	buffer_gl0_inv
	s_and_saveexec_b32 s22, s5
	s_cbranch_execnz .LBB180_49
; %bb.34:                               ;   in Loop: Header=BB180_9 Depth=1
	s_or_b32 exec_lo, exec_lo, s22
	s_and_saveexec_b32 s22, s4
	s_cbranch_execnz .LBB180_50
.LBB180_35:                             ;   in Loop: Header=BB180_9 Depth=1
	s_or_b32 exec_lo, exec_lo, s22
	s_and_saveexec_b32 s29, s10
	s_cbranch_execz .LBB180_8
	s_branch .LBB180_51
.LBB180_36:                             ;   in Loop: Header=BB180_9 Depth=1
	s_clause 0x2
	global_load_dwordx4 v[2:5], v[28:29], off
	global_load_dwordx4 v[6:9], v[30:31], off
	;; [unrolled: 1-line block ×3, first 2 shown]
	s_mul_i32 s30, s41, s27
	global_load_dwordx4 v[54:57], v[26:27], off
	s_ashr_i32 s31, s30, 31
	s_add_i32 s34, s30, s27
	s_lshl_b64 s[30:31], s[30:31], 4
	s_ashr_i32 s35, s34, 31
	s_add_i32 s36, s34, s27
	s_lshl_b64 s[34:35], s[34:35], 4
	s_waitcnt lgkmcnt(0)
	v_add_co_u32 v18, vcc_lo, v38, s30
	v_add_co_ci_u32_e64 v19, null, s31, v39, vcc_lo
	v_add_co_u32 v34, vcc_lo, v38, s34
	v_add_co_ci_u32_e64 v35, null, s35, v39, vcc_lo
	global_load_dwordx4 v[14:17], v[18:19], off
	s_ashr_i32 s37, s36, 31
	s_add_i32 s30, s36, s27
	global_load_dwordx4 v[58:61], v[34:35], off
	s_lshl_b64 s[36:37], s[36:37], 4
	s_ashr_i32 s31, s30, 31
	v_add_co_u32 v98, vcc_lo, v38, s36
	s_lshl_b64 s[30:31], s[30:31], 4
	v_add_co_ci_u32_e64 v99, null, s37, v39, vcc_lo
	v_add_co_u32 v102, vcc_lo, v38, s30
	v_add_co_ci_u32_e64 v103, null, s31, v39, vcc_lo
	s_clause 0x2
	global_load_dwordx4 v[62:65], v[18:19], off offset:16
	global_load_dwordx4 v[66:69], v[98:99], off
	global_load_dwordx4 v[70:73], v[102:103], off
	s_waitcnt vmcnt(8)
	buffer_store_dword v5, v36, s[0:3], 0 offen offset:12
	buffer_store_dword v4, v36, s[0:3], 0 offen offset:8
	;; [unrolled: 1-line block ×3, first 2 shown]
	buffer_store_dword v2, v36, s[0:3], 0 offen
	s_waitcnt vmcnt(7)
	buffer_store_dword v9, v37, s[0:3], 0 offen offset:12
	buffer_store_dword v8, v37, s[0:3], 0 offen offset:8
	;; [unrolled: 1-line block ×3, first 2 shown]
	buffer_store_dword v6, v37, s[0:3], 0 offen
	s_clause 0x6
	buffer_load_dword v106, off, s[0:3], 0 offset:16
	buffer_load_dword v109, off, s[0:3], 0 offset:28
	;; [unrolled: 1-line block ×7, first 2 shown]
	s_clause 0x2
	global_load_dwordx4 v[2:5], v[34:35], off offset:16
	global_load_dwordx4 v[6:9], v[98:99], off offset:16
	global_load_dwordx4 v[74:77], v[102:103], off offset:16
	buffer_load_dword v112, off, s[0:3], 0 offset:40
	s_clause 0x4
	global_load_dwordx4 v[78:81], v[18:19], off offset:32
	global_load_dwordx4 v[82:85], v[34:35], off offset:32
	;; [unrolled: 1-line block ×5, first 2 shown]
	s_waitcnt vmcnt(22)
	buffer_store_dword v13, v40, s[0:3], 0 offen offset:12
	buffer_store_dword v12, v40, s[0:3], 0 offen offset:8
	;; [unrolled: 1-line block ×3, first 2 shown]
	s_clause 0x1
	buffer_load_dword v19, off, s[0:3], 0 offset:60
	buffer_load_dword v18, off, s[0:3], 0 offset:56
	buffer_store_dword v10, v40, s[0:3], 0 offen
	s_clause 0x1
	buffer_load_dword v114, off, s[0:3], 0 offset:48
	buffer_load_dword v115, off, s[0:3], 0 offset:52
	s_clause 0x2
	global_load_dwordx4 v[10:13], v[34:35], off offset:48
	global_load_dwordx4 v[98:101], v[98:99], off offset:48
	;; [unrolled: 1-line block ×3, first 2 shown]
	s_waitcnt vmcnt(28)
	buffer_store_dword v57, off, s[0:3], 0 offset:12
	buffer_store_dword v56, off, s[0:3], 0 offset:8
	;; [unrolled: 1-line block ×3, first 2 shown]
	buffer_store_dword v54, off, s[0:3], 0
	s_waitcnt vmcnt(27)
	v_mul_f64 v[34:35], v[56:57], v[16:17]
	v_mul_f64 v[16:17], v[54:55], v[16:17]
	s_waitcnt vmcnt(26)
	v_mul_f64 v[116:117], v[56:57], v[60:61]
	v_mul_f64 v[60:61], v[54:55], v[60:61]
	;; [unrolled: 3-line block ×3, first 2 shown]
	s_waitcnt vmcnt(23)
	v_mul_f64 v[120:121], v[56:57], v[72:73]
	v_fma_f64 v[34:35], v[54:55], v[14:15], v[34:35]
	v_fma_f64 v[14:15], v[56:57], v[14:15], -v[16:17]
	v_mul_f64 v[16:17], v[54:55], v[72:73]
	v_fma_f64 v[72:73], v[54:55], v[58:59], v[116:117]
	v_fma_f64 v[58:59], v[56:57], v[58:59], -v[60:61]
	v_fma_f64 v[116:117], v[54:55], v[66:67], v[118:119]
	v_fma_f64 v[66:67], v[56:57], v[66:67], -v[68:69]
	v_fma_f64 v[118:119], v[54:55], v[70:71], v[120:121]
	v_add_f64 v[34:35], v[34:35], 0
	v_add_f64 v[14:15], v[14:15], 0
	v_fma_f64 v[16:17], v[56:57], v[70:71], -v[16:17]
	v_add_f64 v[72:73], v[72:73], 0
	v_add_f64 v[58:59], v[58:59], 0
	;; [unrolled: 1-line block ×4, first 2 shown]
	s_waitcnt vmcnt(17)
	v_mul_f64 v[60:61], v[108:109], v[64:65]
	s_waitcnt vmcnt(16)
	v_mul_f64 v[64:65], v[106:107], v[64:65]
	;; [unrolled: 2-line block ×3, first 2 shown]
	v_mul_f64 v[4:5], v[106:107], v[4:5]
	s_waitcnt vmcnt(14)
	v_mul_f64 v[70:71], v[108:109], v[8:9]
	v_mul_f64 v[8:9], v[106:107], v[8:9]
	s_waitcnt vmcnt(13)
	v_mul_f64 v[120:121], v[108:109], v[76:77]
	v_fma_f64 v[60:61], v[106:107], v[62:63], v[60:61]
	v_fma_f64 v[62:63], v[108:109], v[62:63], -v[64:65]
	v_mul_f64 v[64:65], v[106:107], v[76:77]
	s_waitcnt vmcnt(11)
	v_mul_f64 v[76:77], v[112:113], v[80:81]
	v_fma_f64 v[68:69], v[106:107], v[2:3], v[68:69]
	v_fma_f64 v[2:3], v[108:109], v[2:3], -v[4:5]
	v_mul_f64 v[4:5], v[110:111], v[80:81]
	s_waitcnt vmcnt(10)
	v_mul_f64 v[80:81], v[112:113], v[84:85]
	v_fma_f64 v[70:71], v[106:107], v[6:7], v[70:71]
	v_fma_f64 v[6:7], v[108:109], v[6:7], -v[8:9]
	v_mul_f64 v[8:9], v[110:111], v[84:85]
	s_waitcnt vmcnt(9)
	v_mul_f64 v[84:85], v[112:113], v[88:89]
	v_fma_f64 v[106:107], v[106:107], v[74:75], v[120:121]
	v_mul_f64 v[88:89], v[110:111], v[88:89]
	v_add_f64 v[34:35], v[34:35], v[60:61]
	v_add_f64 v[14:15], v[14:15], v[62:63]
	v_fma_f64 v[64:65], v[108:109], v[74:75], -v[64:65]
	s_waitcnt vmcnt(8)
	v_mul_f64 v[74:75], v[112:113], v[92:93]
	v_mul_f64 v[92:93], v[110:111], v[92:93]
	v_add_f64 v[108:109], v[116:117], 0
	v_add_f64 v[116:117], v[118:119], 0
	s_waitcnt vmcnt(5)
	v_mul_f64 v[118:119], v[18:19], v[96:97]
	v_fma_f64 v[76:77], v[110:111], v[78:79], v[76:77]
	v_fma_f64 v[4:5], v[112:113], v[78:79], -v[4:5]
	s_waitcnt vmcnt(3)
	v_mul_f64 v[78:79], v[114:115], v[96:97]
	s_waitcnt vmcnt(2)
	v_mul_f64 v[96:97], v[18:19], v[12:13]
	v_fma_f64 v[80:81], v[110:111], v[82:83], v[80:81]
	v_fma_f64 v[8:9], v[112:113], v[82:83], -v[8:9]
	v_mul_f64 v[12:13], v[114:115], v[12:13]
	s_waitcnt vmcnt(1)
	v_mul_f64 v[82:83], v[18:19], v[100:101]
	v_fma_f64 v[84:85], v[110:111], v[86:87], v[84:85]
	v_fma_f64 v[86:87], v[112:113], v[86:87], -v[88:89]
	v_mul_f64 v[88:89], v[114:115], v[100:101]
	s_waitcnt vmcnt(0)
	v_mul_f64 v[100:101], v[18:19], v[104:105]
	v_mul_f64 v[104:105], v[114:115], v[104:105]
	v_add_f64 v[60:61], v[72:73], v[68:69]
	v_add_f64 v[2:3], v[58:59], v[2:3]
	v_add_f64 v[6:7], v[66:67], v[6:7]
	v_add_f64 v[16:17], v[16:17], v[64:65]
	v_fma_f64 v[74:75], v[110:111], v[90:91], v[74:75]
	v_fma_f64 v[90:91], v[112:113], v[90:91], -v[92:93]
	v_add_f64 v[58:59], v[108:109], v[70:71]
	v_add_f64 v[62:63], v[116:117], v[106:107]
	v_fma_f64 v[64:65], v[114:115], v[94:95], v[118:119]
	v_add_f64 v[34:35], v[34:35], v[76:77]
	v_add_f64 v[4:5], v[14:15], v[4:5]
	v_fma_f64 v[66:67], v[18:19], v[94:95], -v[78:79]
	v_fma_f64 v[68:69], v[114:115], v[10:11], v[96:97]
	v_fma_f64 v[11:12], v[18:19], v[10:11], -v[12:13]
	v_fma_f64 v[70:71], v[114:115], v[98:99], v[82:83]
	;; [unrolled: 2-line block ×3, first 2 shown]
	v_fma_f64 v[19:20], v[18:19], v[102:103], -v[104:105]
	v_add_f64 v[13:14], v[60:61], v[80:81]
	v_add_f64 v[2:3], v[2:3], v[8:9]
	;; [unrolled: 1-line block ×14, first 2 shown]
	s_andn2_saveexec_b32 s22, s22
	s_cbranch_execz .LBB180_11
.LBB180_37:                             ;   in Loop: Header=BB180_9 Depth=1
	s_waitcnt lgkmcnt(0)
	v_mov_b32_e32 v17, 0
	v_mov_b32_e32 v19, 0
	v_mov_b32_e32 v13, 0
	v_mov_b32_e32 v15, 0
	v_mov_b32_e32 v9, 0
	v_mov_b32_e32 v11, 0
	v_mov_b32_e32 v7, 0
	v_mov_b32_e32 v5, 0
	v_mov_b32_e32 v18, 0
	v_mov_b32_e32 v20, 0
	v_mov_b32_e32 v14, 0
	v_mov_b32_e32 v16, 0
	v_mov_b32_e32 v10, 0
	v_mov_b32_e32 v12, 0
	v_mov_b32_e32 v8, 0
	v_mov_b32_e32 v6, 0
	s_and_saveexec_b32 s49, s8
	s_cbranch_execz .LBB180_53
; %bb.38:                               ;   in Loop: Header=BB180_9 Depth=1
	s_andn2_b32 vcc_lo, exec_lo, s44
	s_cbranch_vccnz .LBB180_52
; %bb.39:                               ;   in Loop: Header=BB180_9 Depth=1
	v_mov_b32_e32 v2, v25
	s_mov_b32 s29, 0
	s_mov_b32 s30, s40
	.p2align	6
.LBB180_40:                             ;   Parent Loop BB180_9 Depth=1
                                        ; =>  This Inner Loop Header: Depth=2
	v_ashrrev_i32_e32 v3, 31, v2
	v_mov_b32_e32 v7, s29
	s_add_i32 s30, s30, -1
	s_add_i32 s29, s29, 16
	s_cmp_eq_u32 s30, 0
	v_lshlrev_b64 v[3:4], 4, v[2:3]
	v_add_nc_u32_e32 v2, s33, v2
	v_add_co_u32 v3, vcc_lo, s38, v3
	v_add_co_ci_u32_e64 v4, null, s39, v4, vcc_lo
	global_load_dwordx4 v[3:6], v[3:4], off
	s_waitcnt vmcnt(0)
	buffer_store_dword v6, v7, s[0:3], 0 offen offset:12
	buffer_store_dword v5, v7, s[0:3], 0 offen offset:8
	;; [unrolled: 1-line block ×3, first 2 shown]
	buffer_store_dword v3, v7, s[0:3], 0 offen
	s_cbranch_scc0 .LBB180_40
; %bb.41:                               ;   in Loop: Header=BB180_9 Depth=1
	s_ashr_i32 s29, s28, 31
	v_mov_b32_e32 v5, 0
	s_lshl_b64 s[30:31], s[28:29], 4
	v_mov_b32_e32 v7, 0
	v_add_co_u32 v2, vcc_lo, v52, s30
	v_mov_b32_e32 v11, 0
	v_mov_b32_e32 v9, 0
	;; [unrolled: 1-line block ×6, first 2 shown]
	v_add_co_ci_u32_e64 v3, null, s31, v53, vcc_lo
	v_mov_b32_e32 v6, 0
	v_mov_b32_e32 v8, 0
	;; [unrolled: 1-line block ×8, first 2 shown]
	s_mov_b32 s29, 0
	s_mov_b32 s30, s47
	;; [unrolled: 1-line block ×5, first 2 shown]
.LBB180_42:                             ;   Parent Loop BB180_9 Depth=1
                                        ; =>  This Inner Loop Header: Depth=2
	s_ashr_i32 s37, s36, 31
	s_ashr_i32 s35, s34, 31
	s_lshl_b64 s[52:53], s[36:37], 4
	s_ashr_i32 s31, s30, 31
	s_lshl_b64 s[54:55], s[34:35], 4
	v_add_co_u32 v34, vcc_lo, v38, s52
	s_lshl_b64 s[56:57], s[30:31], 4
	v_add_co_ci_u32_e64 v35, null, s53, v39, vcc_lo
	v_add_co_u32 v62, vcc_lo, v38, s54
	v_mov_b32_e32 v4, s29
	v_add_co_ci_u32_e64 v63, null, s55, v39, vcc_lo
	v_add_co_u32 v66, vcc_lo, v38, s56
	v_add_co_ci_u32_e64 v67, null, s57, v39, vcc_lo
	global_load_dwordx4 v[54:57], v[2:3], off offset:-8
	s_clause 0x3
	buffer_load_dword v70, v4, s[0:3], 0 offen
	buffer_load_dword v72, v4, s[0:3], 0 offen offset:8
	buffer_load_dword v73, v4, s[0:3], 0 offen offset:12
	;; [unrolled: 1-line block ×3, first 2 shown]
	s_clause 0x2
	global_load_dwordx4 v[58:61], v[34:35], off
	global_load_dwordx4 v[62:65], v[62:63], off
	;; [unrolled: 1-line block ×3, first 2 shown]
	v_add_co_u32 v2, vcc_lo, v2, 16
	v_add_co_ci_u32_e64 v3, null, 0, v3, vcc_lo
	s_add_i32 s50, s50, -1
	s_add_i32 s29, s29, 16
	s_add_i32 s36, s36, 1
	;; [unrolled: 1-line block ×4, first 2 shown]
	s_cmp_lg_u32 s50, 0
	s_waitcnt vmcnt(4)
	v_mul_f64 v[34:35], v[72:73], v[56:57]
	s_waitcnt vmcnt(3)
	v_mul_f64 v[56:57], v[70:71], v[56:57]
	;; [unrolled: 2-line block ×3, first 2 shown]
	v_mul_f64 v[60:61], v[70:71], v[60:61]
	s_waitcnt vmcnt(1)
	v_mul_f64 v[76:77], v[72:73], v[64:65]
	v_mul_f64 v[64:65], v[70:71], v[64:65]
	s_waitcnt vmcnt(0)
	v_mul_f64 v[78:79], v[72:73], v[68:69]
	v_mul_f64 v[68:69], v[70:71], v[68:69]
	v_fma_f64 v[34:35], v[70:71], v[54:55], v[34:35]
	v_fma_f64 v[54:55], v[72:73], v[54:55], -v[56:57]
	v_fma_f64 v[56:57], v[70:71], v[58:59], v[74:75]
	v_fma_f64 v[58:59], v[72:73], v[58:59], -v[60:61]
	;; [unrolled: 2-line block ×4, first 2 shown]
	v_add_f64 v[7:8], v[7:8], v[34:35]
	v_add_f64 v[5:6], v[5:6], v[54:55]
	v_add_f64 v[9:10], v[9:10], v[56:57]
	v_add_f64 v[11:12], v[11:12], v[58:59]
	v_add_f64 v[13:14], v[13:14], v[60:61]
	v_add_f64 v[15:16], v[15:16], v[62:63]
	v_add_f64 v[17:18], v[17:18], v[64:65]
	v_add_f64 v[19:20], v[19:20], v[66:67]
	s_cbranch_scc1 .LBB180_42
	s_branch .LBB180_53
.LBB180_43:                             ;   in Loop: Header=BB180_9 Depth=1
	ds_read_b128 v[5:8], v50
	s_or_b32 exec_lo, exec_lo, s22
	s_and_saveexec_b32 s22, s4
	s_cbranch_execz .LBB180_17
.LBB180_44:                             ;   in Loop: Header=BB180_9 Depth=1
	s_waitcnt lgkmcnt(0)
	ds_bpermute_b32 v2, v47, v5
	ds_bpermute_b32 v3, v47, v6
	ds_bpermute_b32 v34, v47, v7
	ds_bpermute_b32 v35, v47, v8
	s_waitcnt lgkmcnt(2)
	v_add_f64 v[2:3], v[5:6], v[2:3]
	s_waitcnt lgkmcnt(0)
	v_add_f64 v[4:5], v[7:8], v[34:35]
	ds_bpermute_b32 v6, v48, v2
	ds_bpermute_b32 v7, v48, v3
	ds_bpermute_b32 v34, v48, v4
	ds_bpermute_b32 v35, v48, v5
	s_waitcnt lgkmcnt(2)
	v_add_f64 v[2:3], v[2:3], v[6:7]
	s_waitcnt lgkmcnt(0)
	v_add_f64 v[7:8], v[4:5], v[34:35]
	;; [unrolled: 8-line block ×3, first 2 shown]
	s_or_b32 exec_lo, exec_lo, s22
	s_and_saveexec_b32 s22, s4
	s_cbranch_execnz .LBB180_18
	s_branch .LBB180_19
.LBB180_45:                             ;   in Loop: Header=BB180_9 Depth=1
	ds_read_b128 v[9:12], v50
	s_or_b32 exec_lo, exec_lo, s22
	s_and_saveexec_b32 s22, s4
	s_cbranch_execz .LBB180_23
.LBB180_46:                             ;   in Loop: Header=BB180_9 Depth=1
	s_waitcnt lgkmcnt(0)
	ds_bpermute_b32 v2, v47, v9
	ds_bpermute_b32 v3, v47, v10
	ds_bpermute_b32 v34, v47, v11
	ds_bpermute_b32 v35, v47, v12
	s_waitcnt lgkmcnt(2)
	v_add_f64 v[2:3], v[9:10], v[2:3]
	s_waitcnt lgkmcnt(0)
	v_add_f64 v[9:10], v[11:12], v[34:35]
	ds_bpermute_b32 v11, v48, v2
	ds_bpermute_b32 v12, v48, v3
	ds_bpermute_b32 v34, v48, v9
	ds_bpermute_b32 v35, v48, v10
	s_waitcnt lgkmcnt(2)
	v_add_f64 v[2:3], v[2:3], v[11:12]
	s_waitcnt lgkmcnt(0)
	v_add_f64 v[11:12], v[9:10], v[34:35]
	;; [unrolled: 8-line block ×3, first 2 shown]
	s_or_b32 exec_lo, exec_lo, s22
	s_and_saveexec_b32 s22, s4
	s_cbranch_execnz .LBB180_24
	s_branch .LBB180_25
.LBB180_47:                             ;   in Loop: Header=BB180_9 Depth=1
	ds_read_b128 v[13:16], v50
	s_or_b32 exec_lo, exec_lo, s22
	s_and_saveexec_b32 s22, s4
	s_cbranch_execz .LBB180_29
.LBB180_48:                             ;   in Loop: Header=BB180_9 Depth=1
	s_waitcnt lgkmcnt(0)
	ds_bpermute_b32 v2, v47, v13
	ds_bpermute_b32 v3, v47, v14
	ds_bpermute_b32 v34, v47, v15
	ds_bpermute_b32 v35, v47, v16
	s_waitcnt lgkmcnt(2)
	v_add_f64 v[2:3], v[13:14], v[2:3]
	s_waitcnt lgkmcnt(0)
	v_add_f64 v[13:14], v[15:16], v[34:35]
	ds_bpermute_b32 v15, v48, v2
	ds_bpermute_b32 v16, v48, v3
	ds_bpermute_b32 v34, v48, v13
	ds_bpermute_b32 v35, v48, v14
	s_waitcnt lgkmcnt(2)
	v_add_f64 v[2:3], v[2:3], v[15:16]
	s_waitcnt lgkmcnt(0)
	v_add_f64 v[15:16], v[13:14], v[34:35]
	;; [unrolled: 8-line block ×3, first 2 shown]
	s_or_b32 exec_lo, exec_lo, s22
	s_and_saveexec_b32 s22, s4
	s_cbranch_execnz .LBB180_30
	s_branch .LBB180_31
.LBB180_49:                             ;   in Loop: Header=BB180_9 Depth=1
	ds_read_b128 v[17:20], v50
	s_or_b32 exec_lo, exec_lo, s22
	s_and_saveexec_b32 s22, s4
	s_cbranch_execz .LBB180_35
.LBB180_50:                             ;   in Loop: Header=BB180_9 Depth=1
	s_waitcnt lgkmcnt(0)
	ds_bpermute_b32 v2, v47, v17
	ds_bpermute_b32 v3, v47, v18
	ds_bpermute_b32 v34, v47, v19
	ds_bpermute_b32 v35, v47, v20
	s_waitcnt lgkmcnt(2)
	v_add_f64 v[2:3], v[17:18], v[2:3]
	s_waitcnt lgkmcnt(0)
	v_add_f64 v[17:18], v[19:20], v[34:35]
	ds_bpermute_b32 v19, v48, v2
	ds_bpermute_b32 v20, v48, v3
	ds_bpermute_b32 v34, v48, v17
	ds_bpermute_b32 v35, v48, v18
	s_waitcnt lgkmcnt(2)
	v_add_f64 v[2:3], v[2:3], v[19:20]
	s_waitcnt lgkmcnt(0)
	v_add_f64 v[19:20], v[17:18], v[34:35]
	;; [unrolled: 8-line block ×3, first 2 shown]
	s_or_b32 exec_lo, exec_lo, s22
	s_and_saveexec_b32 s29, s10
	s_cbranch_execz .LBB180_8
.LBB180_51:                             ;   in Loop: Header=BB180_9 Depth=1
	v_mul_f64 v[2:3], s[18:19], v[7:8]
	v_mul_f64 v[7:8], s[16:17], v[7:8]
	v_mul_f64 v[34:35], s[18:19], v[11:12]
	v_mul_f64 v[11:12], s[16:17], v[11:12]
	v_mul_f64 v[54:55], s[18:19], v[15:16]
	v_mul_f64 v[15:16], s[16:17], v[15:16]
	s_waitcnt lgkmcnt(0)
	v_mul_f64 v[56:57], s[18:19], v[19:20]
	v_mul_f64 v[19:20], s[16:17], v[19:20]
	s_mul_i32 s22, s41, s26
	s_add_i32 s22, s22, s6
	s_lshl_b64 s[30:31], s[22:23], 4
	s_add_u32 s30, s11, s30
	s_addc_u32 s31, s42, s31
	s_add_i32 s22, s22, s26
	s_lshl_b64 s[34:35], s[22:23], 4
	s_add_u32 s34, s11, s34
	s_addc_u32 s35, s42, s35
	v_fma_f64 v[2:3], s[16:17], v[5:6], -v[2:3]
	v_fma_f64 v[4:5], s[18:19], v[5:6], v[7:8]
	v_fma_f64 v[6:7], s[16:17], v[9:10], -v[34:35]
	v_fma_f64 v[8:9], s[18:19], v[9:10], v[11:12]
	;; [unrolled: 2-line block ×4, first 2 shown]
	s_add_i32 s22, s22, s26
	s_lshl_b64 s[36:37], s[22:23], 4
	s_add_u32 s36, s11, s36
	s_addc_u32 s37, s42, s37
	s_add_i32 s22, s22, s26
	s_lshl_b64 s[50:51], s[22:23], 4
	s_add_u32 s50, s11, s50
	s_addc_u32 s51, s42, s51
	global_store_dwordx4 v1, v[2:5], s[30:31]
	global_store_dwordx4 v1, v[6:9], s[34:35]
	global_store_dwordx4 v1, v[10:13], s[36:37]
	global_store_dwordx4 v1, v[14:17], s[50:51]
	s_branch .LBB180_8
.LBB180_52:                             ;   in Loop: Header=BB180_9 Depth=1
	v_mov_b32_e32 v17, 0
	v_mov_b32_e32 v19, 0
	;; [unrolled: 1-line block ×16, first 2 shown]
.LBB180_53:                             ;   in Loop: Header=BB180_9 Depth=1
	s_or_b32 exec_lo, exec_lo, s49
	s_or_b32 exec_lo, exec_lo, s22
	s_and_saveexec_b32 s22, s4
	s_cbranch_execnz .LBB180_12
	s_branch .LBB180_13
.LBB180_54:
	s_mov_b32 s41, 0
.LBB180_55:
	s_cmp_ge_i32 s41, s25
	s_cbranch_scc1 .LBB180_77
; %bb.56:
	v_cmp_gt_u32_e64 s5, 24, v41
	s_waitcnt lgkmcnt(0)
	v_lshlrev_b32_e32 v17, 4, v22
	v_cmp_gt_u32_e64 s4, 32, v0
	v_cmp_gt_u32_e64 s8, 8, v0
	v_cmp_eq_u32_e64 s9, 0, v0
	v_cndmask_b32_e64 v1, 0, 8, s5
	v_cmp_gt_u32_e64 s5, 28, v41
	s_cmp_gt_i32 s40, 0
	s_mov_b32 s7, 0
	v_cmp_ge_i32_e32 vcc_lo, s24, v43
	v_add_lshl_u32 v19, v1, v41, 2
	v_cndmask_b32_e64 v2, 0, 4, s5
	v_cmp_gt_u32_e64 s5, 30, v41
	v_add_nc_u32_e32 v1, s33, v21
	v_cmp_ge_i32_e64 s10, s24, v44
	s_cselect_b32 s24, -1, 0
	v_add_lshl_u32 v20, v2, v41, 2
	v_cndmask_b32_e64 v3, 0, 2, s5
	v_cmp_ne_u32_e64 s5, 31, v41
	v_ashrrev_i32_e32 v2, 31, v1
	v_add_nc_u32_e32 v0, s33, v1
	s_lshl_b64 s[22:23], s[6:7], 4
	v_add_lshl_u32 v25, v3, v41, 2
	v_add_co_ci_u32_e64 v4, null, 0, v41, s5
	v_cmp_eq_u32_e64 s5, 0, v22
	v_ashrrev_i32_e32 v22, 31, v21
	v_lshlrev_b64 v[7:8], 4, v[1:2]
	v_lshlrev_b32_e32 v26, 2, v4
	v_ashrrev_i32_e32 v1, 31, v0
	s_add_u32 s7, s11, s22
	v_lshlrev_b64 v[3:4], 4, v[21:22]
	s_addc_u32 s22, s42, s23
	s_and_b32 s23, s24, s10
	v_lshlrev_b64 v[1:2], 4, v[0:1]
	v_lshl_or_b32 v18, v41, 2, 64
	v_and_b32_e32 v27, 0x70, v42
	v_add_co_u32 v5, s6, s38, v3
	v_add_nc_u32_e32 v3, s33, v0
	v_add_co_ci_u32_e64 v6, null, s39, v4, s6
	v_add_co_u32 v7, s6, s38, v7
	v_ashrrev_i32_e32 v4, 31, v3
	v_add_co_ci_u32_e64 v8, null, s39, v8, s6
	v_add_co_u32 v9, s6, s38, v1
	v_add_co_ci_u32_e64 v10, null, s39, v2, s6
	s_add_u32 s6, s20, s14
	v_lshlrev_b64 v[0:1], 4, v[3:4]
	s_addc_u32 s10, s21, s15
	s_add_u32 s6, s12, s6
	s_addc_u32 s10, s13, s10
	v_add_co_u32 v2, s6, s6, v23
	v_add_co_ci_u32_e64 v3, null, s10, v24, s6
	v_add_co_u32 v11, s6, s38, v0
	v_add_co_ci_u32_e64 v12, null, s39, v1, s6
	v_add_co_u32 v22, s6, v2, 8
	v_add_co_ci_u32_e64 v23, null, 0, v3, s6
	v_mov_b32_e32 v0, 0
	s_mul_i32 s10, s41, s27
	s_branch .LBB180_58
.LBB180_57:                             ;   in Loop: Header=BB180_58 Depth=1
	s_or_b32 exec_lo, exec_lo, s6
	s_add_i32 s41, s41, 1
	s_add_i32 s10, s10, s27
	s_cmp_lt_i32 s41, s25
	s_cbranch_scc0 .LBB180_77
.LBB180_58:                             ; =>This Loop Header: Depth=1
                                        ;     Child Loop BB180_70 Depth 2
                                        ;     Child Loop BB180_72 Depth 2
                                        ; implicit-def: $vgpr13_vgpr14
                                        ; implicit-def: $vgpr15_vgpr16
	s_and_saveexec_b32 s6, vcc_lo
	s_xor_b32 s11, exec_lo, s6
	s_cbranch_execnz .LBB180_67
; %bb.59:                               ;   in Loop: Header=BB180_58 Depth=1
	s_andn2_saveexec_b32 s12, s11
	s_cbranch_execnz .LBB180_68
.LBB180_60:                             ;   in Loop: Header=BB180_58 Depth=1
	s_or_b32 exec_lo, exec_lo, s12
	s_and_saveexec_b32 s6, s4
	s_cbranch_execz .LBB180_62
.LBB180_61:                             ;   in Loop: Header=BB180_58 Depth=1
	s_waitcnt lgkmcnt(0)
	v_mov_b32_e32 v1, v0
	v_mov_b32_e32 v2, v0
	;; [unrolled: 1-line block ×3, first 2 shown]
	ds_write_b128 v17, v[0:3]
.LBB180_62:                             ;   in Loop: Header=BB180_58 Depth=1
	s_or_b32 exec_lo, exec_lo, s6
	s_waitcnt lgkmcnt(0)
	ds_bpermute_b32 v1, v18, v13
	ds_bpermute_b32 v2, v18, v14
	;; [unrolled: 1-line block ×4, first 2 shown]
	s_waitcnt lgkmcnt(0)
	s_waitcnt_vscnt null, 0x0
	s_barrier
	buffer_gl0_inv
	v_add_f64 v[1:2], v[13:14], v[1:2]
	v_add_f64 v[3:4], v[15:16], v[3:4]
	ds_bpermute_b32 v13, v19, v1
	ds_bpermute_b32 v14, v19, v2
	ds_bpermute_b32 v15, v19, v3
	ds_bpermute_b32 v16, v19, v4
	s_waitcnt lgkmcnt(2)
	v_add_f64 v[1:2], v[1:2], v[13:14]
	s_waitcnt lgkmcnt(0)
	v_add_f64 v[3:4], v[3:4], v[15:16]
	ds_bpermute_b32 v13, v20, v1
	ds_bpermute_b32 v14, v20, v2
	ds_bpermute_b32 v15, v20, v3
	ds_bpermute_b32 v16, v20, v4
	s_waitcnt lgkmcnt(2)
	v_add_f64 v[1:2], v[1:2], v[13:14]
	s_waitcnt lgkmcnt(0)
	;; [unrolled: 8-line block ×3, first 2 shown]
	v_add_f64 v[13:14], v[3:4], v[15:16]
	ds_bpermute_b32 v3, v26, v1
	ds_bpermute_b32 v4, v26, v2
	;; [unrolled: 1-line block ×4, first 2 shown]
	s_and_saveexec_b32 s6, s5
	s_cbranch_execz .LBB180_64
; %bb.63:                               ;   in Loop: Header=BB180_58 Depth=1
	s_waitcnt lgkmcnt(0)
	v_add_f64 v[15:16], v[13:14], v[15:16]
	v_add_f64 v[13:14], v[1:2], v[3:4]
	ds_write_b128 v27, v[13:16]
.LBB180_64:                             ;   in Loop: Header=BB180_58 Depth=1
	s_or_b32 exec_lo, exec_lo, s6
	s_waitcnt lgkmcnt(2)
	v_mov_b32_e32 v3, 0
	v_mov_b32_e32 v1, 0
	;; [unrolled: 1-line block ×4, first 2 shown]
	s_waitcnt lgkmcnt(0)
	s_barrier
	buffer_gl0_inv
	s_and_saveexec_b32 s6, s8
	s_cbranch_execnz .LBB180_74
; %bb.65:                               ;   in Loop: Header=BB180_58 Depth=1
	s_or_b32 exec_lo, exec_lo, s6
	s_and_saveexec_b32 s6, s4
	s_cbranch_execnz .LBB180_75
.LBB180_66:                             ;   in Loop: Header=BB180_58 Depth=1
	s_or_b32 exec_lo, exec_lo, s6
	s_and_saveexec_b32 s6, s9
	s_cbranch_execz .LBB180_57
	s_branch .LBB180_76
.LBB180_67:                             ;   in Loop: Header=BB180_58 Depth=1
	s_waitcnt lgkmcnt(0)
	s_clause 0x2
	global_load_dwordx4 v[1:4], v[7:8], off
	global_load_dwordx4 v[13:16], v[9:10], off
	;; [unrolled: 1-line block ×3, first 2 shown]
	s_mul_i32 s12, s41, s27
	s_ashr_i32 s13, s12, 31
	s_lshl_b64 s[12:13], s[12:13], 4
	v_add_co_u32 v49, s6, v38, s12
	v_add_co_ci_u32_e64 v50, null, s13, v39, s6
	global_load_dwordx4 v[32:35], v[5:6], off
	s_clause 0x1
	global_load_dwordx4 v[41:44], v[49:50], off
	global_load_dwordx4 v[45:48], v[49:50], off offset:16
	s_waitcnt vmcnt(5)
	buffer_store_dword v4, v36, s[0:3], 0 offen offset:12
	buffer_store_dword v3, v36, s[0:3], 0 offen offset:8
	;; [unrolled: 1-line block ×3, first 2 shown]
	buffer_store_dword v1, v36, s[0:3], 0 offen
	s_waitcnt vmcnt(4)
	buffer_store_dword v16, v37, s[0:3], 0 offen offset:12
	buffer_store_dword v15, v37, s[0:3], 0 offen offset:8
	;; [unrolled: 1-line block ×3, first 2 shown]
	buffer_store_dword v13, v37, s[0:3], 0 offen
	s_clause 0x7
	buffer_load_dword v51, off, s[0:3], 0 offset:16
	buffer_load_dword v54, off, s[0:3], 0 offset:28
	;; [unrolled: 1-line block ×8, first 2 shown]
	s_clause 0x1
	global_load_dwordx4 v[1:4], v[49:50], off offset:32
	global_load_dwordx4 v[13:16], v[49:50], off offset:48
	s_waitcnt vmcnt(13)
	buffer_store_dword v31, v40, s[0:3], 0 offen offset:12
	buffer_store_dword v30, v40, s[0:3], 0 offen offset:8
	;; [unrolled: 1-line block ×3, first 2 shown]
	buffer_store_dword v28, v40, s[0:3], 0 offen
	s_clause 0x3
	buffer_load_dword v28, off, s[0:3], 0 offset:48
	buffer_load_dword v31, off, s[0:3], 0 offset:60
	;; [unrolled: 1-line block ×4, first 2 shown]
	s_waitcnt vmcnt(16)
	buffer_store_dword v35, off, s[0:3], 0 offset:12
	buffer_store_dword v34, off, s[0:3], 0 offset:8
	;; [unrolled: 1-line block ×3, first 2 shown]
	buffer_store_dword v32, off, s[0:3], 0
	s_waitcnt vmcnt(15)
	v_mul_f64 v[49:50], v[43:44], v[34:35]
	v_mul_f64 v[43:44], v[43:44], v[32:33]
	v_fma_f64 v[49:50], v[41:42], v[32:33], v[49:50]
	v_fma_f64 v[41:42], v[41:42], v[34:35], -v[43:44]
	v_add_f64 v[49:50], v[49:50], 0
	v_add_f64 v[41:42], v[41:42], 0
	s_waitcnt vmcnt(8)
	v_mul_f64 v[43:44], v[47:48], v[53:54]
	s_waitcnt vmcnt(7)
	v_mul_f64 v[47:48], v[47:48], v[51:52]
	;; [unrolled: 2-line block ×3, first 2 shown]
	v_mul_f64 v[3:4], v[3:4], v[55:56]
	v_fma_f64 v[43:44], v[45:46], v[51:52], v[43:44]
	v_fma_f64 v[45:46], v[45:46], v[53:54], -v[47:48]
	s_waitcnt vmcnt(1)
	v_mul_f64 v[47:48], v[15:16], v[30:31]
	s_waitcnt vmcnt(0)
	v_mul_f64 v[15:16], v[15:16], v[28:29]
	v_fma_f64 v[51:52], v[1:2], v[55:56], v[59:60]
	v_fma_f64 v[1:2], v[1:2], v[57:58], -v[3:4]
	v_add_f64 v[3:4], v[49:50], v[43:44]
	v_add_f64 v[41:42], v[41:42], v[45:46]
	v_fma_f64 v[28:29], v[13:14], v[28:29], v[47:48]
	v_fma_f64 v[15:16], v[13:14], v[30:31], -v[15:16]
	v_add_f64 v[3:4], v[3:4], v[51:52]
	v_add_f64 v[1:2], v[41:42], v[1:2]
	;; [unrolled: 1-line block ×4, first 2 shown]
	s_andn2_saveexec_b32 s12, s11
	s_cbranch_execz .LBB180_60
.LBB180_68:                             ;   in Loop: Header=BB180_58 Depth=1
	v_mov_b32_e32 v13, 0
	v_mov_b32_e32 v15, 0
	;; [unrolled: 1-line block ×4, first 2 shown]
	s_and_saveexec_b32 s13, s23
	s_cbranch_execz .LBB180_73
; %bb.69:                               ;   in Loop: Header=BB180_58 Depth=1
	s_waitcnt lgkmcnt(0)
	v_mov_b32_e32 v1, v21
	s_mov_b32 s11, 0
	s_mov_b32 s14, s40
	.p2align	6
.LBB180_70:                             ;   Parent Loop BB180_58 Depth=1
                                        ; =>  This Inner Loop Header: Depth=2
	v_ashrrev_i32_e32 v2, 31, v1
	s_add_i32 s14, s14, -1
	v_lshlrev_b64 v[2:3], 4, v[1:2]
	v_add_nc_u32_e32 v1, s33, v1
	v_add_co_u32 v2, s6, s38, v2
	v_add_co_ci_u32_e64 v3, null, s39, v3, s6
	global_load_dwordx4 v[13:16], v[2:3], off
	v_mov_b32_e32 v2, s11
	s_add_i32 s11, s11, 16
	s_cmp_eq_u32 s14, 0
	s_waitcnt vmcnt(0)
	buffer_store_dword v16, v2, s[0:3], 0 offen offset:12
	buffer_store_dword v15, v2, s[0:3], 0 offen offset:8
	;; [unrolled: 1-line block ×3, first 2 shown]
	buffer_store_dword v13, v2, s[0:3], 0 offen
	s_cbranch_scc0 .LBB180_70
; %bb.71:                               ;   in Loop: Header=BB180_58 Depth=1
	s_ashr_i32 s11, s10, 31
	v_mov_b32_e32 v13, 0
	s_lshl_b64 s[14:15], s[10:11], 4
	v_mov_b32_e32 v15, 0
	v_add_co_u32 v1, s6, v22, s14
	v_mov_b32_e32 v14, 0
	v_mov_b32_e32 v16, 0
	v_add_co_ci_u32_e64 v2, null, s15, v23, s6
	s_mov_b32 s11, 0
	s_mov_b32 s14, s40
	.p2align	6
.LBB180_72:                             ;   Parent Loop BB180_58 Depth=1
                                        ; =>  This Inner Loop Header: Depth=2
	v_mov_b32_e32 v4, s11
	global_load_dwordx4 v[28:31], v[1:2], off offset:-8
	v_add_co_u32 v1, s6, v1, 16
	v_add_co_ci_u32_e64 v2, null, 0, v2, s6
	s_clause 0x3
	buffer_load_dword v3, v4, s[0:3], 0 offen
	buffer_load_dword v32, v4, s[0:3], 0 offen offset:8
	buffer_load_dword v33, v4, s[0:3], 0 offen offset:12
	;; [unrolled: 1-line block ×3, first 2 shown]
	s_add_i32 s14, s14, -1
	s_add_i32 s11, s11, 16
	s_cmp_lg_u32 s14, 0
	s_waitcnt vmcnt(1)
	v_mul_f64 v[34:35], v[30:31], v[32:33]
	s_waitcnt vmcnt(0)
	v_mul_f64 v[30:31], v[30:31], v[3:4]
	v_fma_f64 v[3:4], v[28:29], v[3:4], v[34:35]
	v_fma_f64 v[28:29], v[28:29], v[32:33], -v[30:31]
	v_add_f64 v[13:14], v[13:14], v[3:4]
	v_add_f64 v[15:16], v[15:16], v[28:29]
	s_cbranch_scc1 .LBB180_72
.LBB180_73:                             ;   in Loop: Header=BB180_58 Depth=1
	s_or_b32 exec_lo, exec_lo, s13
	s_or_b32 exec_lo, exec_lo, s12
	s_and_saveexec_b32 s6, s4
	s_cbranch_execnz .LBB180_61
	s_branch .LBB180_62
.LBB180_74:                             ;   in Loop: Header=BB180_58 Depth=1
	ds_read_b128 v[1:4], v17
	s_or_b32 exec_lo, exec_lo, s6
	s_and_saveexec_b32 s6, s4
	s_cbranch_execz .LBB180_66
.LBB180_75:                             ;   in Loop: Header=BB180_58 Depth=1
	s_waitcnt lgkmcnt(0)
	ds_bpermute_b32 v13, v20, v1
	ds_bpermute_b32 v14, v20, v2
	ds_bpermute_b32 v15, v20, v3
	ds_bpermute_b32 v16, v20, v4
	s_waitcnt lgkmcnt(2)
	v_add_f64 v[1:2], v[1:2], v[13:14]
	s_waitcnt lgkmcnt(0)
	v_add_f64 v[3:4], v[3:4], v[15:16]
	ds_bpermute_b32 v13, v25, v1
	ds_bpermute_b32 v14, v25, v2
	ds_bpermute_b32 v15, v25, v3
	ds_bpermute_b32 v16, v25, v4
	s_waitcnt lgkmcnt(2)
	v_add_f64 v[1:2], v[1:2], v[13:14]
	s_waitcnt lgkmcnt(0)
	v_add_f64 v[3:4], v[3:4], v[15:16]
	;; [unrolled: 8-line block ×3, first 2 shown]
	s_or_b32 exec_lo, exec_lo, s6
	s_and_saveexec_b32 s6, s9
	s_cbranch_execz .LBB180_57
.LBB180_76:                             ;   in Loop: Header=BB180_58 Depth=1
	s_waitcnt lgkmcnt(0)
	v_mul_f64 v[13:14], s[18:19], v[3:4]
	v_mul_f64 v[3:4], s[16:17], v[3:4]
	s_mul_hi_u32 s13, s41, s26
	s_mul_i32 s12, s41, s26
	s_lshl_b64 s[12:13], s[12:13], 4
	s_add_u32 s12, s7, s12
	s_addc_u32 s13, s22, s13
	v_fma_f64 v[13:14], s[16:17], v[1:2], -v[13:14]
	v_fma_f64 v[15:16], s[18:19], v[1:2], v[3:4]
	global_store_dwordx4 v0, v[13:16], s[12:13]
	s_branch .LBB180_57
.LBB180_77:
	s_endpgm
	.section	.rodata,"a",@progbits
	.p2align	6, 0x0
	.amdhsa_kernel _ZL23rocblas_gemvt_sn_kernelILb1ELi256ELi4Ei19rocblas_complex_numIdEPKS1_S1_EviiT4_lPKT3_lilS7_lilPT5_i
		.amdhsa_group_segment_fixed_size 512
		.amdhsa_private_segment_fixed_size 80
		.amdhsa_kernarg_size 360
		.amdhsa_user_sgpr_count 6
		.amdhsa_user_sgpr_private_segment_buffer 1
		.amdhsa_user_sgpr_dispatch_ptr 0
		.amdhsa_user_sgpr_queue_ptr 0
		.amdhsa_user_sgpr_kernarg_segment_ptr 1
		.amdhsa_user_sgpr_dispatch_id 0
		.amdhsa_user_sgpr_flat_scratch_init 0
		.amdhsa_user_sgpr_private_segment_size 0
		.amdhsa_wavefront_size32 1
		.amdhsa_uses_dynamic_stack 0
		.amdhsa_system_sgpr_private_segment_wavefront_offset 1
		.amdhsa_system_sgpr_workgroup_id_x 1
		.amdhsa_system_sgpr_workgroup_id_y 0
		.amdhsa_system_sgpr_workgroup_id_z 1
		.amdhsa_system_sgpr_workgroup_info 0
		.amdhsa_system_vgpr_workitem_id 0
		.amdhsa_next_free_vgpr 122
		.amdhsa_next_free_sgpr 58
		.amdhsa_reserve_vcc 1
		.amdhsa_reserve_flat_scratch 0
		.amdhsa_float_round_mode_32 0
		.amdhsa_float_round_mode_16_64 0
		.amdhsa_float_denorm_mode_32 3
		.amdhsa_float_denorm_mode_16_64 3
		.amdhsa_dx10_clamp 1
		.amdhsa_ieee_mode 1
		.amdhsa_fp16_overflow 0
		.amdhsa_workgroup_processor_mode 1
		.amdhsa_memory_ordered 1
		.amdhsa_forward_progress 1
		.amdhsa_shared_vgpr_count 0
		.amdhsa_exception_fp_ieee_invalid_op 0
		.amdhsa_exception_fp_denorm_src 0
		.amdhsa_exception_fp_ieee_div_zero 0
		.amdhsa_exception_fp_ieee_overflow 0
		.amdhsa_exception_fp_ieee_underflow 0
		.amdhsa_exception_fp_ieee_inexact 0
		.amdhsa_exception_int_div_zero 0
	.end_amdhsa_kernel
	.section	.text._ZL23rocblas_gemvt_sn_kernelILb1ELi256ELi4Ei19rocblas_complex_numIdEPKS1_S1_EviiT4_lPKT3_lilS7_lilPT5_i,"axG",@progbits,_ZL23rocblas_gemvt_sn_kernelILb1ELi256ELi4Ei19rocblas_complex_numIdEPKS1_S1_EviiT4_lPKT3_lilS7_lilPT5_i,comdat
.Lfunc_end180:
	.size	_ZL23rocblas_gemvt_sn_kernelILb1ELi256ELi4Ei19rocblas_complex_numIdEPKS1_S1_EviiT4_lPKT3_lilS7_lilPT5_i, .Lfunc_end180-_ZL23rocblas_gemvt_sn_kernelILb1ELi256ELi4Ei19rocblas_complex_numIdEPKS1_S1_EviiT4_lPKT3_lilS7_lilPT5_i
                                        ; -- End function
	.set _ZL23rocblas_gemvt_sn_kernelILb1ELi256ELi4Ei19rocblas_complex_numIdEPKS1_S1_EviiT4_lPKT3_lilS7_lilPT5_i.num_vgpr, 122
	.set _ZL23rocblas_gemvt_sn_kernelILb1ELi256ELi4Ei19rocblas_complex_numIdEPKS1_S1_EviiT4_lPKT3_lilS7_lilPT5_i.num_agpr, 0
	.set _ZL23rocblas_gemvt_sn_kernelILb1ELi256ELi4Ei19rocblas_complex_numIdEPKS1_S1_EviiT4_lPKT3_lilS7_lilPT5_i.numbered_sgpr, 58
	.set _ZL23rocblas_gemvt_sn_kernelILb1ELi256ELi4Ei19rocblas_complex_numIdEPKS1_S1_EviiT4_lPKT3_lilS7_lilPT5_i.num_named_barrier, 0
	.set _ZL23rocblas_gemvt_sn_kernelILb1ELi256ELi4Ei19rocblas_complex_numIdEPKS1_S1_EviiT4_lPKT3_lilS7_lilPT5_i.private_seg_size, 80
	.set _ZL23rocblas_gemvt_sn_kernelILb1ELi256ELi4Ei19rocblas_complex_numIdEPKS1_S1_EviiT4_lPKT3_lilS7_lilPT5_i.uses_vcc, 1
	.set _ZL23rocblas_gemvt_sn_kernelILb1ELi256ELi4Ei19rocblas_complex_numIdEPKS1_S1_EviiT4_lPKT3_lilS7_lilPT5_i.uses_flat_scratch, 0
	.set _ZL23rocblas_gemvt_sn_kernelILb1ELi256ELi4Ei19rocblas_complex_numIdEPKS1_S1_EviiT4_lPKT3_lilS7_lilPT5_i.has_dyn_sized_stack, 0
	.set _ZL23rocblas_gemvt_sn_kernelILb1ELi256ELi4Ei19rocblas_complex_numIdEPKS1_S1_EviiT4_lPKT3_lilS7_lilPT5_i.has_recursion, 0
	.set _ZL23rocblas_gemvt_sn_kernelILb1ELi256ELi4Ei19rocblas_complex_numIdEPKS1_S1_EviiT4_lPKT3_lilS7_lilPT5_i.has_indirect_call, 0
	.section	.AMDGPU.csdata,"",@progbits
; Kernel info:
; codeLenInByte = 7984
; TotalNumSgprs: 60
; NumVgprs: 122
; ScratchSize: 80
; MemoryBound: 0
; FloatMode: 240
; IeeeMode: 1
; LDSByteSize: 512 bytes/workgroup (compile time only)
; SGPRBlocks: 0
; VGPRBlocks: 15
; NumSGPRsForWavesPerEU: 60
; NumVGPRsForWavesPerEU: 122
; Occupancy: 8
; WaveLimiterHint : 1
; COMPUTE_PGM_RSRC2:SCRATCH_EN: 1
; COMPUTE_PGM_RSRC2:USER_SGPR: 6
; COMPUTE_PGM_RSRC2:TRAP_HANDLER: 0
; COMPUTE_PGM_RSRC2:TGID_X_EN: 1
; COMPUTE_PGM_RSRC2:TGID_Y_EN: 0
; COMPUTE_PGM_RSRC2:TGID_Z_EN: 1
; COMPUTE_PGM_RSRC2:TIDIG_COMP_CNT: 0
	.section	.text._ZL23rocblas_gemvt_sn_kernelILb1ELi256ELi4El19rocblas_complex_numIdEPKS1_S1_EviiT4_lPKT3_lilS7_lilPT5_i,"axG",@progbits,_ZL23rocblas_gemvt_sn_kernelILb1ELi256ELi4El19rocblas_complex_numIdEPKS1_S1_EviiT4_lPKT3_lilS7_lilPT5_i,comdat
	.globl	_ZL23rocblas_gemvt_sn_kernelILb1ELi256ELi4El19rocblas_complex_numIdEPKS1_S1_EviiT4_lPKT3_lilS7_lilPT5_i ; -- Begin function _ZL23rocblas_gemvt_sn_kernelILb1ELi256ELi4El19rocblas_complex_numIdEPKS1_S1_EviiT4_lPKT3_lilS7_lilPT5_i
	.p2align	8
	.type	_ZL23rocblas_gemvt_sn_kernelILb1ELi256ELi4El19rocblas_complex_numIdEPKS1_S1_EviiT4_lPKT3_lilS7_lilPT5_i,@function
_ZL23rocblas_gemvt_sn_kernelILb1ELi256ELi4El19rocblas_complex_numIdEPKS1_S1_EviiT4_lPKT3_lilS7_lilPT5_i: ; @_ZL23rocblas_gemvt_sn_kernelILb1ELi256ELi4El19rocblas_complex_numIdEPKS1_S1_EviiT4_lPKT3_lilS7_lilPT5_i
; %bb.0:
	s_add_u32 s0, s0, s8
	s_load_dwordx8 s[8:15], s[4:5], 0x8
	s_addc_u32 s1, s1, 0
	s_load_dwordx4 s[24:27], s[4:5], 0x50
	s_mov_b32 s31, 0
	s_waitcnt lgkmcnt(0)
	s_mul_i32 s11, s11, s7
	s_mul_hi_u32 s16, s10, s7
	s_mul_i32 s10, s10, s7
	s_add_i32 s11, s16, s11
	s_lshl_b64 s[10:11], s[10:11], 4
	s_add_u32 s8, s8, s10
	s_addc_u32 s9, s9, s11
	s_load_dwordx4 s[16:19], s[8:9], 0x0
	s_clause 0x1
	s_load_dwordx2 s[28:29], s[4:5], 0x0
	s_load_dword s30, s[4:5], 0x68
	s_waitcnt lgkmcnt(0)
	v_cmp_neq_f64_e64 s8, s[16:17], 0
	v_cmp_neq_f64_e64 s9, s[18:19], 0
	s_ashr_i32 s40, s29, 31
	s_mul_hi_u32 s10, s29, s7
	s_mul_i32 s20, s40, s7
	s_mul_i32 s11, s29, s7
	s_add_i32 s20, s10, s20
	s_mul_hi_u32 s21, s11, s30
	s_mul_i32 s20, s20, s30
	s_mul_i32 s10, s11, s30
	s_add_i32 s11, s21, s20
	s_or_b32 s8, s8, s9
	s_mov_b32 s9, -1
	s_and_b32 vcc_lo, exec_lo, s8
	v_cmp_eq_u32_e64 s8, 0, v0
	s_cbranch_vccnz .LBB181_5
; %bb.1:
	s_cmp_gt_i32 s29, 0
	s_cselect_b32 s9, -1, 0
	s_and_b32 s8, s8, s9
	s_and_saveexec_b32 s22, s8
	s_cbranch_execz .LBB181_4
; %bb.2:
	s_mov_b32 s8, s7
	s_mov_b32 s7, 0
	v_mov_b32_e32 v1, 0
	s_lshl_b64 s[20:21], s[10:11], 4
	s_lshl_b64 s[34:35], s[6:7], 4
	s_mov_b32 s7, s8
	s_add_u32 s8, s20, s34
	s_addc_u32 s9, s21, s35
	s_add_u32 s8, s26, s8
	v_mov_b32_e32 v2, v1
	v_mov_b32_e32 v3, v1
	;; [unrolled: 1-line block ×3, first 2 shown]
	s_addc_u32 s9, s27, s9
	s_add_u32 s8, s8, 8
	s_addc_u32 s9, s9, 0
	s_lshl_b64 s[20:21], s[30:31], 4
	s_mov_b32 s23, s29
.LBB181_3:                              ; =>This Inner Loop Header: Depth=1
	s_add_i32 s23, s23, -1
	global_store_dwordx4 v1, v[1:4], s[8:9] offset:-8
	s_add_u32 s8, s8, s20
	s_addc_u32 s9, s9, s21
	s_cmp_eq_u32 s23, 0
	s_cbranch_scc0 .LBB181_3
.LBB181_4:
	s_or_b32 exec_lo, exec_lo, s22
	s_mov_b32 s9, 0
.LBB181_5:
	s_andn2_b32 vcc_lo, exec_lo, s9
	s_cbranch_vccnz .LBB181_77
; %bb.6:
	s_clause 0x3
	s_load_dword s34, s[4:5], 0x28
	s_load_dword s36, s[4:5], 0x48
	s_load_dwordx4 s[20:23], s[4:5], 0x30
	s_load_dwordx2 s[8:9], s[4:5], 0x40
	s_mul_i32 s4, s25, s7
	s_mul_hi_u32 s5, s24, s7
	s_mul_i32 s24, s24, s7
	s_add_i32 s25, s5, s4
	v_and_b32_e32 v43, 31, v0
	s_lshl_b64 s[24:25], s[24:25], 4
	v_cmp_gt_u32_e64 s4, 32, v0
	v_mbcnt_lo_u32_b32 v47, -1, 0
	v_lshrrev_b32_e32 v46, 1, v0
	v_mov_b32_e32 v40, 16
	v_mov_b32_e32 v41, 32
	;; [unrolled: 1-line block ×3, first 2 shown]
	s_waitcnt lgkmcnt(0)
	s_ashr_i32 s35, s34, 31
	s_ashr_i32 s37, s36, 31
	s_mul_i32 s5, s21, s7
	s_add_u32 s21, s22, s24
	s_addc_u32 s31, s23, s25
	s_lshl_b64 s[38:39], s[8:9], 4
	s_mul_hi_u32 s41, s20, s7
	s_add_u32 s33, s21, s38
	s_addc_u32 s44, s31, s39
	s_lshl_b64 s[8:9], s[10:11], 4
	s_mul_i32 s10, s20, s7
	s_add_u32 s45, s26, s8
	s_addc_u32 s46, s27, s9
	s_add_i32 s11, s41, s5
	v_cmp_gt_u32_e64 s5, 8, v0
	s_lshl_b64 s[20:21], s[10:11], 4
	s_add_u32 s7, s12, s20
	s_addc_u32 s8, s13, s21
	s_lshl_b64 s[14:15], s[14:15], 4
	s_add_u32 s7, s7, s14
	s_addc_u32 s8, s8, s15
	s_lshl_b32 s9, s6, 10
	s_ashr_i32 s10, s28, 31
	v_lshl_or_b32 v25, v0, 2, s9
	s_lshr_b32 s9, s40, 30
	s_lshr_b32 s10, s10, 30
	s_add_i32 s9, s29, s9
	s_add_i32 s10, s28, s10
	v_ashrrev_i32_e32 v26, 31, v25
	s_and_b32 s47, s9, -4
	s_and_b32 s9, s10, -4
	v_add_nc_u32_e32 v49, 4, v25
	s_sub_i32 s31, s28, s9
	v_lshlrev_b64 v[23:24], 4, v[25:26]
	v_or_b32_e32 v48, 1, v25
	v_or_b32_e32 v45, 2, v25
	v_add_nc_u32_e32 v50, s31, v25
	v_or_b32_e32 v44, 3, v25
	s_cmp_lt_i32 s47, 1
	v_add_co_u32 v21, vcc_lo, s7, v23
	v_add_co_ci_u32_e64 v22, null, s8, v24, vcc_lo
	s_cbranch_scc1 .LBB181_54
; %bb.7:
	v_cmp_gt_u32_e32 vcc_lo, 24, v47
	v_mad_i64_i32 v[5:6], null, s36, v45, 0
	v_mad_i64_i32 v[7:8], null, s36, v44, 0
	v_cndmask_b32_e64 v1, 0, 8, vcc_lo
	v_cmp_gt_u32_e32 vcc_lo, 28, v47
	s_cmp_gt_i32 s31, 0
	s_mov_b32 s7, 0
	v_lshlrev_b64 v[5:6], 4, v[5:6]
	v_add_lshl_u32 v52, v1, v47, 2
	v_cndmask_b32_e64 v2, 0, 4, vcc_lo
	v_cmp_gt_u32_e32 vcc_lo, 30, v47
	s_cselect_b32 s48, -1, 0
	s_lshl_b64 s[26:27], s[6:7], 4
	v_mov_b32_e32 v37, v22
	v_add_lshl_u32 v53, v2, v47, 2
	v_cndmask_b32_e64 v3, 0, 2, vcc_lo
	v_cmp_ne_u32_e32 vcc_lo, 31, v47
	v_mad_i64_i32 v[1:2], null, s36, v25, 0
	s_add_u32 s49, s45, s26
	v_add_lshl_u32 v54, v3, v47, 2
	v_add_co_ci_u32_e64 v4, null, 0, v47, vcc_lo
	s_addc_u32 s50, s46, s27
	s_add_u32 s26, s22, s38
	v_lshlrev_b64 v[1:2], 4, v[1:2]
	v_lshlrev_b32_e32 v55, 2, v4
	v_mad_i64_i32 v[3:4], null, s36, v48, 0
	s_addc_u32 s27, s23, s39
	s_add_u32 s26, s26, s24
	v_add_co_u32 v26, vcc_lo, s33, v1
	v_add_co_ci_u32_e64 v27, null, s44, v2, vcc_lo
	v_lshlrev_b64 v[3:4], 4, v[3:4]
	s_addc_u32 s27, s27, s25
	v_cmp_ge_i32_e64 s8, s28, v49
	v_cmp_ge_i32_e64 s9, s28, v50
	v_lshl_or_b32 v51, v47, 2, 64
	v_cmp_eq_u32_e64 s10, 0, v43
	v_add_co_u32 v28, vcc_lo, s33, v3
	v_add_co_ci_u32_e64 v29, null, s44, v4, vcc_lo
	v_lshlrev_b64 v[3:4], 4, v[7:8]
	v_add_co_u32 v30, vcc_lo, s33, v5
	v_add_co_ci_u32_e64 v31, null, s44, v6, vcc_lo
	v_lshlrev_b32_e32 v56, 4, v43
	v_add_co_u32 v32, vcc_lo, s33, v3
	v_add_co_ci_u32_e64 v33, null, s44, v4, vcc_lo
	v_add_co_u32 v34, vcc_lo, s26, v1
	v_and_b32_e32 v57, 0x70, v46
	v_cmp_eq_u32_e64 s11, 0, v0
	v_add_co_ci_u32_e64 v35, null, s27, v2, vcc_lo
	v_mov_b32_e32 v1, 0
	v_mov_b32_e32 v36, v21
	s_lshl_b64 s[26:27], s[36:37], 4
	s_lshl_b64 s[40:41], s[34:35], 6
	;; [unrolled: 1-line block ×3, first 2 shown]
	s_branch .LBB181_9
.LBB181_8:                              ;   in Loop: Header=BB181_9 Depth=1
	s_or_b32 exec_lo, exec_lo, s51
	v_add_co_u32 v36, vcc_lo, v36, s40
	v_add_co_ci_u32_e64 v37, null, s41, v37, vcc_lo
	s_add_i32 s7, s7, 4
	s_cmp_ge_i32 s7, s47
	s_cbranch_scc1 .LBB181_55
.LBB181_9:                              ; =>This Loop Header: Depth=1
                                        ;     Child Loop BB181_40 Depth 2
                                        ;     Child Loop BB181_42 Depth 2
                                        ; implicit-def: $vgpr17_vgpr18
                                        ; implicit-def: $vgpr19_vgpr20
                                        ; implicit-def: $vgpr13_vgpr14
                                        ; implicit-def: $vgpr15_vgpr16
                                        ; implicit-def: $vgpr9_vgpr10
                                        ; implicit-def: $vgpr11_vgpr12
                                        ; implicit-def: $vgpr7_vgpr8
                                        ; implicit-def: $vgpr5_vgpr6
	s_and_saveexec_b32 s51, s8
	s_xor_b32 s51, exec_lo, s51
	s_cbranch_execnz .LBB181_36
; %bb.10:                               ;   in Loop: Header=BB181_9 Depth=1
	s_andn2_saveexec_b32 s51, s51
	s_cbranch_execnz .LBB181_37
.LBB181_11:                             ;   in Loop: Header=BB181_9 Depth=1
	s_or_b32 exec_lo, exec_lo, s51
	s_and_saveexec_b32 s51, s4
	s_cbranch_execz .LBB181_13
.LBB181_12:                             ;   in Loop: Header=BB181_9 Depth=1
	v_mov_b32_e32 v2, v1
	v_mov_b32_e32 v3, v1
	;; [unrolled: 1-line block ×3, first 2 shown]
	ds_write_b128 v56, v[1:4]
.LBB181_13:                             ;   in Loop: Header=BB181_9 Depth=1
	s_or_b32 exec_lo, exec_lo, s51
	ds_bpermute_b32 v2, v51, v7
	ds_bpermute_b32 v3, v51, v8
	;; [unrolled: 1-line block ×4, first 2 shown]
	s_waitcnt lgkmcnt(0)
	s_waitcnt_vscnt null, 0x0
	s_barrier
	buffer_gl0_inv
	v_add_f64 v[2:3], v[7:8], v[2:3]
	v_add_f64 v[4:5], v[5:6], v[38:39]
	ds_bpermute_b32 v6, v52, v2
	ds_bpermute_b32 v7, v52, v3
	ds_bpermute_b32 v38, v52, v4
	ds_bpermute_b32 v39, v52, v5
	s_waitcnt lgkmcnt(2)
	v_add_f64 v[2:3], v[2:3], v[6:7]
	s_waitcnt lgkmcnt(0)
	v_add_f64 v[4:5], v[4:5], v[38:39]
	ds_bpermute_b32 v6, v53, v2
	ds_bpermute_b32 v7, v53, v3
	ds_bpermute_b32 v38, v53, v4
	ds_bpermute_b32 v39, v53, v5
	s_waitcnt lgkmcnt(2)
	v_add_f64 v[2:3], v[2:3], v[6:7]
	s_waitcnt lgkmcnt(0)
	v_add_f64 v[4:5], v[4:5], v[38:39]
	ds_bpermute_b32 v6, v54, v2
	ds_bpermute_b32 v7, v54, v3
	ds_bpermute_b32 v38, v54, v4
	ds_bpermute_b32 v39, v54, v5
	s_waitcnt lgkmcnt(2)
	v_add_f64 v[2:3], v[2:3], v[6:7]
	s_waitcnt lgkmcnt(0)
	v_add_f64 v[6:7], v[4:5], v[38:39]
	ds_bpermute_b32 v4, v55, v2
	ds_bpermute_b32 v5, v55, v3
	;; [unrolled: 1-line block ×4, first 2 shown]
	s_and_saveexec_b32 s51, s10
	s_cbranch_execz .LBB181_15
; %bb.14:                               ;   in Loop: Header=BB181_9 Depth=1
	s_waitcnt lgkmcnt(0)
	v_add_f64 v[6:7], v[6:7], v[38:39]
	v_add_f64 v[4:5], v[2:3], v[4:5]
	ds_write_b128 v57, v[4:7]
.LBB181_15:                             ;   in Loop: Header=BB181_9 Depth=1
	s_or_b32 exec_lo, exec_lo, s51
	v_mov_b32_e32 v7, 0
	s_waitcnt lgkmcnt(2)
	v_mov_b32_e32 v5, 0
	v_mov_b32_e32 v8, 0
	;; [unrolled: 1-line block ×3, first 2 shown]
	s_waitcnt lgkmcnt(0)
	s_barrier
	buffer_gl0_inv
	s_and_saveexec_b32 s51, s5
	s_cbranch_execnz .LBB181_43
; %bb.16:                               ;   in Loop: Header=BB181_9 Depth=1
	s_or_b32 exec_lo, exec_lo, s51
	s_and_saveexec_b32 s51, s4
	s_cbranch_execnz .LBB181_44
.LBB181_17:                             ;   in Loop: Header=BB181_9 Depth=1
	s_or_b32 exec_lo, exec_lo, s51
	s_and_saveexec_b32 s51, s4
	s_cbranch_execz .LBB181_19
.LBB181_18:                             ;   in Loop: Header=BB181_9 Depth=1
	v_mov_b32_e32 v2, v1
	v_mov_b32_e32 v3, v1
	;; [unrolled: 1-line block ×3, first 2 shown]
	ds_write_b128 v56, v[1:4]
.LBB181_19:                             ;   in Loop: Header=BB181_9 Depth=1
	s_or_b32 exec_lo, exec_lo, s51
	ds_bpermute_b32 v2, v51, v9
	ds_bpermute_b32 v3, v51, v10
	;; [unrolled: 1-line block ×4, first 2 shown]
	s_waitcnt lgkmcnt(0)
	s_barrier
	buffer_gl0_inv
	v_add_f64 v[2:3], v[9:10], v[2:3]
	v_add_f64 v[9:10], v[11:12], v[38:39]
	ds_bpermute_b32 v11, v52, v2
	ds_bpermute_b32 v12, v52, v3
	ds_bpermute_b32 v38, v52, v9
	ds_bpermute_b32 v39, v52, v10
	s_waitcnt lgkmcnt(2)
	v_add_f64 v[2:3], v[2:3], v[11:12]
	s_waitcnt lgkmcnt(0)
	v_add_f64 v[9:10], v[9:10], v[38:39]
	ds_bpermute_b32 v11, v53, v2
	ds_bpermute_b32 v12, v53, v3
	ds_bpermute_b32 v38, v53, v9
	ds_bpermute_b32 v39, v53, v10
	s_waitcnt lgkmcnt(2)
	v_add_f64 v[2:3], v[2:3], v[11:12]
	s_waitcnt lgkmcnt(0)
	;; [unrolled: 8-line block ×3, first 2 shown]
	v_add_f64 v[11:12], v[9:10], v[38:39]
	ds_bpermute_b32 v9, v55, v2
	ds_bpermute_b32 v10, v55, v3
	ds_bpermute_b32 v38, v55, v11
	ds_bpermute_b32 v39, v55, v12
	s_and_saveexec_b32 s51, s10
	s_cbranch_execz .LBB181_21
; %bb.20:                               ;   in Loop: Header=BB181_9 Depth=1
	s_waitcnt lgkmcnt(0)
	v_add_f64 v[11:12], v[11:12], v[38:39]
	v_add_f64 v[9:10], v[2:3], v[9:10]
	ds_write_b128 v57, v[9:12]
.LBB181_21:                             ;   in Loop: Header=BB181_9 Depth=1
	s_or_b32 exec_lo, exec_lo, s51
	v_mov_b32_e32 v11, 0
	s_waitcnt lgkmcnt(2)
	v_mov_b32_e32 v9, 0
	v_mov_b32_e32 v12, 0
	;; [unrolled: 1-line block ×3, first 2 shown]
	s_waitcnt lgkmcnt(0)
	s_barrier
	buffer_gl0_inv
	s_and_saveexec_b32 s51, s5
	s_cbranch_execnz .LBB181_45
; %bb.22:                               ;   in Loop: Header=BB181_9 Depth=1
	s_or_b32 exec_lo, exec_lo, s51
	s_and_saveexec_b32 s51, s4
	s_cbranch_execnz .LBB181_46
.LBB181_23:                             ;   in Loop: Header=BB181_9 Depth=1
	s_or_b32 exec_lo, exec_lo, s51
	s_and_saveexec_b32 s51, s4
	s_cbranch_execz .LBB181_25
.LBB181_24:                             ;   in Loop: Header=BB181_9 Depth=1
	v_mov_b32_e32 v2, v1
	v_mov_b32_e32 v3, v1
	;; [unrolled: 1-line block ×3, first 2 shown]
	ds_write_b128 v56, v[1:4]
.LBB181_25:                             ;   in Loop: Header=BB181_9 Depth=1
	s_or_b32 exec_lo, exec_lo, s51
	ds_bpermute_b32 v2, v51, v13
	ds_bpermute_b32 v3, v51, v14
	;; [unrolled: 1-line block ×4, first 2 shown]
	s_waitcnt lgkmcnt(0)
	s_barrier
	buffer_gl0_inv
	v_add_f64 v[2:3], v[13:14], v[2:3]
	v_add_f64 v[13:14], v[15:16], v[38:39]
	ds_bpermute_b32 v15, v52, v2
	ds_bpermute_b32 v16, v52, v3
	ds_bpermute_b32 v38, v52, v13
	ds_bpermute_b32 v39, v52, v14
	s_waitcnt lgkmcnt(2)
	v_add_f64 v[2:3], v[2:3], v[15:16]
	s_waitcnt lgkmcnt(0)
	v_add_f64 v[13:14], v[13:14], v[38:39]
	ds_bpermute_b32 v15, v53, v2
	ds_bpermute_b32 v16, v53, v3
	ds_bpermute_b32 v38, v53, v13
	ds_bpermute_b32 v39, v53, v14
	s_waitcnt lgkmcnt(2)
	v_add_f64 v[2:3], v[2:3], v[15:16]
	s_waitcnt lgkmcnt(0)
	v_add_f64 v[13:14], v[13:14], v[38:39]
	ds_bpermute_b32 v15, v54, v2
	ds_bpermute_b32 v16, v54, v3
	ds_bpermute_b32 v38, v54, v13
	ds_bpermute_b32 v39, v54, v14
	s_waitcnt lgkmcnt(2)
	v_add_f64 v[2:3], v[2:3], v[15:16]
	s_waitcnt lgkmcnt(0)
	v_add_f64 v[15:16], v[13:14], v[38:39]
	ds_bpermute_b32 v13, v55, v2
	ds_bpermute_b32 v14, v55, v3
	;; [unrolled: 1-line block ×4, first 2 shown]
	s_and_saveexec_b32 s51, s10
	s_cbranch_execz .LBB181_27
; %bb.26:                               ;   in Loop: Header=BB181_9 Depth=1
	s_waitcnt lgkmcnt(0)
	v_add_f64 v[15:16], v[15:16], v[38:39]
	v_add_f64 v[13:14], v[2:3], v[13:14]
	ds_write_b128 v57, v[13:16]
.LBB181_27:                             ;   in Loop: Header=BB181_9 Depth=1
	s_or_b32 exec_lo, exec_lo, s51
	v_mov_b32_e32 v15, 0
	s_waitcnt lgkmcnt(2)
	v_mov_b32_e32 v13, 0
	v_mov_b32_e32 v16, 0
	;; [unrolled: 1-line block ×3, first 2 shown]
	s_waitcnt lgkmcnt(0)
	s_barrier
	buffer_gl0_inv
	s_and_saveexec_b32 s51, s5
	s_cbranch_execnz .LBB181_47
; %bb.28:                               ;   in Loop: Header=BB181_9 Depth=1
	s_or_b32 exec_lo, exec_lo, s51
	s_and_saveexec_b32 s51, s4
	s_cbranch_execnz .LBB181_48
.LBB181_29:                             ;   in Loop: Header=BB181_9 Depth=1
	s_or_b32 exec_lo, exec_lo, s51
	s_and_saveexec_b32 s51, s4
	s_cbranch_execz .LBB181_31
.LBB181_30:                             ;   in Loop: Header=BB181_9 Depth=1
	v_mov_b32_e32 v2, v1
	v_mov_b32_e32 v3, v1
	;; [unrolled: 1-line block ×3, first 2 shown]
	ds_write_b128 v56, v[1:4]
.LBB181_31:                             ;   in Loop: Header=BB181_9 Depth=1
	s_or_b32 exec_lo, exec_lo, s51
	ds_bpermute_b32 v2, v51, v17
	ds_bpermute_b32 v3, v51, v18
	;; [unrolled: 1-line block ×4, first 2 shown]
	s_waitcnt lgkmcnt(0)
	s_barrier
	buffer_gl0_inv
	v_add_f64 v[2:3], v[17:18], v[2:3]
	v_add_f64 v[17:18], v[19:20], v[38:39]
	ds_bpermute_b32 v19, v52, v2
	ds_bpermute_b32 v20, v52, v3
	ds_bpermute_b32 v38, v52, v17
	ds_bpermute_b32 v39, v52, v18
	s_waitcnt lgkmcnt(2)
	v_add_f64 v[2:3], v[2:3], v[19:20]
	s_waitcnt lgkmcnt(0)
	v_add_f64 v[17:18], v[17:18], v[38:39]
	ds_bpermute_b32 v19, v53, v2
	ds_bpermute_b32 v20, v53, v3
	ds_bpermute_b32 v38, v53, v17
	ds_bpermute_b32 v39, v53, v18
	s_waitcnt lgkmcnt(2)
	v_add_f64 v[2:3], v[2:3], v[19:20]
	s_waitcnt lgkmcnt(0)
	;; [unrolled: 8-line block ×3, first 2 shown]
	v_add_f64 v[19:20], v[17:18], v[38:39]
	ds_bpermute_b32 v17, v55, v2
	ds_bpermute_b32 v18, v55, v3
	;; [unrolled: 1-line block ×4, first 2 shown]
	s_and_saveexec_b32 s51, s10
	s_cbranch_execz .LBB181_33
; %bb.32:                               ;   in Loop: Header=BB181_9 Depth=1
	s_waitcnt lgkmcnt(0)
	v_add_f64 v[19:20], v[19:20], v[38:39]
	v_add_f64 v[17:18], v[2:3], v[17:18]
	ds_write_b128 v57, v[17:20]
.LBB181_33:                             ;   in Loop: Header=BB181_9 Depth=1
	s_or_b32 exec_lo, exec_lo, s51
	v_mov_b32_e32 v19, 0
	s_waitcnt lgkmcnt(2)
	v_mov_b32_e32 v17, 0
	v_mov_b32_e32 v20, 0
	;; [unrolled: 1-line block ×3, first 2 shown]
	s_waitcnt lgkmcnt(0)
	s_barrier
	buffer_gl0_inv
	s_and_saveexec_b32 s51, s5
	s_cbranch_execnz .LBB181_49
; %bb.34:                               ;   in Loop: Header=BB181_9 Depth=1
	s_or_b32 exec_lo, exec_lo, s51
	s_and_saveexec_b32 s51, s4
	s_cbranch_execnz .LBB181_50
.LBB181_35:                             ;   in Loop: Header=BB181_9 Depth=1
	s_or_b32 exec_lo, exec_lo, s51
	s_and_saveexec_b32 s51, s11
	s_cbranch_execz .LBB181_8
	s_branch .LBB181_51
.LBB181_36:                             ;   in Loop: Header=BB181_9 Depth=1
	s_clause 0x2
	global_load_dwordx4 v[2:5], v[28:29], off
	global_load_dwordx4 v[6:9], v[30:31], off
	;; [unrolled: 1-line block ×3, first 2 shown]
	s_mul_i32 s53, s7, s35
	s_mul_hi_u32 s54, s7, s34
	s_or_b32 s55, s7, 1
	s_mul_i32 s52, s7, s34
	s_add_i32 s53, s54, s53
	s_mul_i32 s59, s55, s35
	s_mul_hi_u32 s60, s55, s34
	s_mul_i32 s54, s55, s34
	s_lshl_b64 s[52:53], s[52:53], 4
	s_add_i32 s55, s60, s59
	s_waitcnt lgkmcnt(0)
	v_add_co_u32 v18, vcc_lo, v21, s52
	s_lshl_b64 s[54:55], s[54:55], 4
	v_add_co_ci_u32_e64 v19, null, s53, v22, vcc_lo
	v_add_co_u32 v38, vcc_lo, v21, s54
	v_add_co_ci_u32_e64 v39, null, s55, v22, vcc_lo
	global_load_dwordx4 v[58:61], v[26:27], off
	global_load_dwordx4 v[14:17], v[18:19], off
	s_or_b32 s56, s7, 2
	global_load_dwordx4 v[62:65], v[38:39], off
	s_or_b32 s57, s7, 3
	s_mul_i32 s61, s56, s35
	s_mul_hi_u32 s62, s56, s34
	s_mul_i32 s56, s56, s34
	s_mul_i32 s63, s57, s35
	s_mul_hi_u32 s64, s57, s34
	s_mul_i32 s58, s57, s34
	s_add_i32 s57, s62, s61
	s_add_i32 s59, s64, s63
	s_lshl_b64 s[52:53], s[56:57], 4
	s_lshl_b64 s[54:55], s[58:59], 4
	v_add_co_u32 v102, vcc_lo, v21, s52
	v_add_co_ci_u32_e64 v103, null, s53, v22, vcc_lo
	v_add_co_u32 v106, vcc_lo, v21, s54
	v_add_co_ci_u32_e64 v107, null, s55, v22, vcc_lo
	s_clause 0x2
	global_load_dwordx4 v[66:69], v[18:19], off offset:16
	global_load_dwordx4 v[70:73], v[102:103], off
	global_load_dwordx4 v[74:77], v[106:107], off
	s_waitcnt vmcnt(8)
	buffer_store_dword v5, v40, s[0:3], 0 offen offset:12
	buffer_store_dword v4, v40, s[0:3], 0 offen offset:8
	;; [unrolled: 1-line block ×3, first 2 shown]
	buffer_store_dword v2, v40, s[0:3], 0 offen
	s_waitcnt vmcnt(7)
	buffer_store_dword v9, v41, s[0:3], 0 offen offset:12
	buffer_store_dword v8, v41, s[0:3], 0 offen offset:8
	;; [unrolled: 1-line block ×3, first 2 shown]
	buffer_store_dword v6, v41, s[0:3], 0 offen
	s_clause 0x6
	buffer_load_dword v110, off, s[0:3], 0 offset:16
	buffer_load_dword v113, off, s[0:3], 0 offset:28
	;; [unrolled: 1-line block ×7, first 2 shown]
	s_clause 0x2
	global_load_dwordx4 v[2:5], v[38:39], off offset:16
	global_load_dwordx4 v[6:9], v[102:103], off offset:16
	;; [unrolled: 1-line block ×3, first 2 shown]
	buffer_load_dword v116, off, s[0:3], 0 offset:40
	s_clause 0x4
	global_load_dwordx4 v[82:85], v[18:19], off offset:32
	global_load_dwordx4 v[86:89], v[38:39], off offset:32
	;; [unrolled: 1-line block ×5, first 2 shown]
	s_waitcnt vmcnt(22)
	buffer_store_dword v13, v42, s[0:3], 0 offen offset:12
	buffer_store_dword v12, v42, s[0:3], 0 offen offset:8
	;; [unrolled: 1-line block ×3, first 2 shown]
	s_clause 0x1
	buffer_load_dword v19, off, s[0:3], 0 offset:60
	buffer_load_dword v18, off, s[0:3], 0 offset:56
	buffer_store_dword v10, v42, s[0:3], 0 offen
	s_clause 0x1
	buffer_load_dword v118, off, s[0:3], 0 offset:48
	buffer_load_dword v119, off, s[0:3], 0 offset:52
	s_clause 0x2
	global_load_dwordx4 v[10:13], v[38:39], off offset:48
	global_load_dwordx4 v[102:105], v[102:103], off offset:48
	;; [unrolled: 1-line block ×3, first 2 shown]
	s_waitcnt vmcnt(28)
	buffer_store_dword v61, off, s[0:3], 0 offset:12
	buffer_store_dword v60, off, s[0:3], 0 offset:8
	;; [unrolled: 1-line block ×3, first 2 shown]
	buffer_store_dword v58, off, s[0:3], 0
	s_waitcnt vmcnt(27)
	v_mul_f64 v[38:39], v[60:61], v[16:17]
	v_mul_f64 v[16:17], v[58:59], v[16:17]
	s_waitcnt vmcnt(26)
	v_mul_f64 v[120:121], v[60:61], v[64:65]
	v_mul_f64 v[64:65], v[58:59], v[64:65]
	;; [unrolled: 3-line block ×3, first 2 shown]
	s_waitcnt vmcnt(23)
	v_mul_f64 v[124:125], v[60:61], v[76:77]
	v_fma_f64 v[38:39], v[58:59], v[14:15], v[38:39]
	v_fma_f64 v[14:15], v[60:61], v[14:15], -v[16:17]
	v_mul_f64 v[16:17], v[58:59], v[76:77]
	v_fma_f64 v[76:77], v[58:59], v[62:63], v[120:121]
	v_fma_f64 v[62:63], v[60:61], v[62:63], -v[64:65]
	v_fma_f64 v[120:121], v[58:59], v[70:71], v[122:123]
	v_fma_f64 v[70:71], v[60:61], v[70:71], -v[72:73]
	v_fma_f64 v[122:123], v[58:59], v[74:75], v[124:125]
	v_add_f64 v[38:39], v[38:39], 0
	v_add_f64 v[14:15], v[14:15], 0
	v_fma_f64 v[16:17], v[60:61], v[74:75], -v[16:17]
	v_add_f64 v[76:77], v[76:77], 0
	v_add_f64 v[62:63], v[62:63], 0
	v_add_f64 v[70:71], v[70:71], 0
	v_add_f64 v[16:17], v[16:17], 0
	s_waitcnt vmcnt(17)
	v_mul_f64 v[64:65], v[112:113], v[68:69]
	s_waitcnt vmcnt(16)
	v_mul_f64 v[68:69], v[110:111], v[68:69]
	;; [unrolled: 2-line block ×3, first 2 shown]
	v_mul_f64 v[4:5], v[110:111], v[4:5]
	s_waitcnt vmcnt(14)
	v_mul_f64 v[74:75], v[112:113], v[8:9]
	v_mul_f64 v[8:9], v[110:111], v[8:9]
	s_waitcnt vmcnt(13)
	v_mul_f64 v[124:125], v[112:113], v[80:81]
	v_fma_f64 v[64:65], v[110:111], v[66:67], v[64:65]
	v_fma_f64 v[66:67], v[112:113], v[66:67], -v[68:69]
	v_mul_f64 v[68:69], v[110:111], v[80:81]
	s_waitcnt vmcnt(11)
	v_mul_f64 v[80:81], v[116:117], v[84:85]
	v_fma_f64 v[72:73], v[110:111], v[2:3], v[72:73]
	v_fma_f64 v[2:3], v[112:113], v[2:3], -v[4:5]
	;; [unrolled: 5-line block ×3, first 2 shown]
	v_mul_f64 v[8:9], v[114:115], v[88:89]
	s_waitcnt vmcnt(9)
	v_mul_f64 v[88:89], v[116:117], v[92:93]
	v_fma_f64 v[110:111], v[110:111], v[78:79], v[124:125]
	v_mul_f64 v[92:93], v[114:115], v[92:93]
	v_add_f64 v[38:39], v[38:39], v[64:65]
	v_add_f64 v[14:15], v[14:15], v[66:67]
	v_fma_f64 v[68:69], v[112:113], v[78:79], -v[68:69]
	s_waitcnt vmcnt(8)
	v_mul_f64 v[78:79], v[116:117], v[96:97]
	v_mul_f64 v[96:97], v[114:115], v[96:97]
	v_add_f64 v[112:113], v[120:121], 0
	v_add_f64 v[120:121], v[122:123], 0
	s_waitcnt vmcnt(5)
	v_mul_f64 v[122:123], v[18:19], v[100:101]
	v_fma_f64 v[80:81], v[114:115], v[82:83], v[80:81]
	v_fma_f64 v[4:5], v[116:117], v[82:83], -v[4:5]
	s_waitcnt vmcnt(3)
	v_mul_f64 v[82:83], v[118:119], v[100:101]
	s_waitcnt vmcnt(2)
	v_mul_f64 v[100:101], v[18:19], v[12:13]
	v_fma_f64 v[84:85], v[114:115], v[86:87], v[84:85]
	v_fma_f64 v[8:9], v[116:117], v[86:87], -v[8:9]
	v_mul_f64 v[12:13], v[118:119], v[12:13]
	s_waitcnt vmcnt(1)
	v_mul_f64 v[86:87], v[18:19], v[104:105]
	v_fma_f64 v[88:89], v[114:115], v[90:91], v[88:89]
	v_fma_f64 v[90:91], v[116:117], v[90:91], -v[92:93]
	v_mul_f64 v[92:93], v[118:119], v[104:105]
	s_waitcnt vmcnt(0)
	v_mul_f64 v[104:105], v[18:19], v[108:109]
	v_mul_f64 v[108:109], v[118:119], v[108:109]
	v_add_f64 v[64:65], v[76:77], v[72:73]
	v_add_f64 v[2:3], v[62:63], v[2:3]
	;; [unrolled: 1-line block ×4, first 2 shown]
	v_fma_f64 v[78:79], v[114:115], v[94:95], v[78:79]
	v_fma_f64 v[94:95], v[116:117], v[94:95], -v[96:97]
	v_add_f64 v[62:63], v[112:113], v[74:75]
	v_add_f64 v[66:67], v[120:121], v[110:111]
	v_fma_f64 v[68:69], v[118:119], v[98:99], v[122:123]
	v_add_f64 v[38:39], v[38:39], v[80:81]
	v_add_f64 v[4:5], v[14:15], v[4:5]
	v_fma_f64 v[70:71], v[18:19], v[98:99], -v[82:83]
	v_fma_f64 v[72:73], v[118:119], v[10:11], v[100:101]
	v_fma_f64 v[11:12], v[18:19], v[10:11], -v[12:13]
	v_fma_f64 v[74:75], v[118:119], v[102:103], v[86:87]
	;; [unrolled: 2-line block ×3, first 2 shown]
	v_fma_f64 v[19:20], v[18:19], v[106:107], -v[108:109]
	v_add_f64 v[13:14], v[64:65], v[84:85]
	v_add_f64 v[2:3], v[2:3], v[8:9]
	;; [unrolled: 1-line block ×14, first 2 shown]
	s_andn2_saveexec_b32 s51, s51
	s_cbranch_execz .LBB181_11
.LBB181_37:                             ;   in Loop: Header=BB181_9 Depth=1
	s_waitcnt lgkmcnt(0)
	v_mov_b32_e32 v17, 0
	v_mov_b32_e32 v19, 0
	;; [unrolled: 1-line block ×16, first 2 shown]
	s_and_saveexec_b32 s52, s9
	s_cbranch_execz .LBB181_53
; %bb.38:                               ;   in Loop: Header=BB181_9 Depth=1
	s_andn2_b32 vcc_lo, exec_lo, s48
	s_cbranch_vccnz .LBB181_52
; %bb.39:                               ;   in Loop: Header=BB181_9 Depth=1
	v_mov_b32_e32 v2, v34
	v_mov_b32_e32 v3, v35
	s_mov_b32 s53, 0
	s_mov_b32 s54, s31
	.p2align	6
.LBB181_40:                             ;   Parent Loop BB181_9 Depth=1
                                        ; =>  This Inner Loop Header: Depth=2
	global_load_dwordx4 v[4:7], v[2:3], off
	v_add_co_u32 v2, vcc_lo, v2, s26
	v_mov_b32_e32 v8, s53
	v_add_co_ci_u32_e64 v3, null, s27, v3, vcc_lo
	s_add_i32 s54, s54, -1
	s_add_i32 s53, s53, 16
	s_cmp_eq_u32 s54, 0
	s_waitcnt vmcnt(0)
	buffer_store_dword v7, v8, s[0:3], 0 offen offset:12
	buffer_store_dword v6, v8, s[0:3], 0 offen offset:8
	buffer_store_dword v5, v8, s[0:3], 0 offen offset:4
	buffer_store_dword v4, v8, s[0:3], 0 offen
	s_cbranch_scc0 .LBB181_40
; %bb.41:                               ;   in Loop: Header=BB181_9 Depth=1
	v_mov_b32_e32 v5, 0
	v_mov_b32_e32 v7, 0
	v_mov_b32_e32 v11, 0
	v_mov_b32_e32 v9, 0
	v_mov_b32_e32 v15, 0
	v_mov_b32_e32 v13, 0
	v_mov_b32_e32 v19, 0
	v_mov_b32_e32 v17, 0
	v_mov_b32_e32 v2, v36
	v_mov_b32_e32 v6, 0
	v_mov_b32_e32 v8, 0
	v_mov_b32_e32 v12, 0
	v_mov_b32_e32 v10, 0
	v_mov_b32_e32 v16, 0
	v_mov_b32_e32 v14, 0
	v_mov_b32_e32 v20, 0
	v_mov_b32_e32 v18, 0
	v_mov_b32_e32 v3, v37
	s_mov_b32 s53, 0
	s_mov_b32 s54, s31
.LBB181_42:                             ;   Parent Loop BB181_9 Depth=1
                                        ; =>  This Inner Loop Header: Depth=2
	v_add_co_u32 v38, vcc_lo, v2, s42
	v_add_co_ci_u32_e64 v39, null, s43, v3, vcc_lo
	v_mov_b32_e32 v4, s53
	v_add_co_u32 v66, vcc_lo, v38, s42
	v_add_co_ci_u32_e64 v67, null, s43, v39, vcc_lo
	global_load_dwordx4 v[58:61], v[2:3], off
	v_add_co_u32 v70, vcc_lo, v66, s42
	v_add_co_ci_u32_e64 v71, null, s43, v67, vcc_lo
	s_clause 0x3
	buffer_load_dword v74, v4, s[0:3], 0 offen
	buffer_load_dword v75, v4, s[0:3], 0 offen offset:4
	buffer_load_dword v76, v4, s[0:3], 0 offen offset:8
	;; [unrolled: 1-line block ×3, first 2 shown]
	s_clause 0x2
	global_load_dwordx4 v[62:65], v[38:39], off
	global_load_dwordx4 v[66:69], v[66:67], off
	;; [unrolled: 1-line block ×3, first 2 shown]
	v_add_co_u32 v2, vcc_lo, v2, 16
	v_add_co_ci_u32_e64 v3, null, 0, v3, vcc_lo
	s_add_i32 s54, s54, -1
	s_add_i32 s53, s53, 16
	s_cmp_lg_u32 s54, 0
	s_waitcnt vmcnt(3)
	v_mul_f64 v[38:39], v[76:77], v[60:61]
	v_mul_f64 v[60:61], v[74:75], v[60:61]
	s_waitcnt vmcnt(2)
	v_mul_f64 v[78:79], v[76:77], v[64:65]
	v_mul_f64 v[64:65], v[74:75], v[64:65]
	;; [unrolled: 3-line block ×4, first 2 shown]
	v_fma_f64 v[38:39], v[74:75], v[58:59], v[38:39]
	v_fma_f64 v[58:59], v[76:77], v[58:59], -v[60:61]
	v_fma_f64 v[60:61], v[74:75], v[62:63], v[78:79]
	v_fma_f64 v[62:63], v[76:77], v[62:63], -v[64:65]
	;; [unrolled: 2-line block ×4, first 2 shown]
	v_add_f64 v[7:8], v[7:8], v[38:39]
	v_add_f64 v[5:6], v[5:6], v[58:59]
	;; [unrolled: 1-line block ×8, first 2 shown]
	s_cbranch_scc1 .LBB181_42
	s_branch .LBB181_53
.LBB181_43:                             ;   in Loop: Header=BB181_9 Depth=1
	ds_read_b128 v[5:8], v56
	s_or_b32 exec_lo, exec_lo, s51
	s_and_saveexec_b32 s51, s4
	s_cbranch_execz .LBB181_17
.LBB181_44:                             ;   in Loop: Header=BB181_9 Depth=1
	s_waitcnt lgkmcnt(0)
	ds_bpermute_b32 v2, v53, v5
	ds_bpermute_b32 v3, v53, v6
	ds_bpermute_b32 v38, v53, v7
	ds_bpermute_b32 v39, v53, v8
	s_waitcnt lgkmcnt(2)
	v_add_f64 v[2:3], v[5:6], v[2:3]
	s_waitcnt lgkmcnt(0)
	v_add_f64 v[4:5], v[7:8], v[38:39]
	ds_bpermute_b32 v6, v54, v2
	ds_bpermute_b32 v7, v54, v3
	ds_bpermute_b32 v38, v54, v4
	ds_bpermute_b32 v39, v54, v5
	s_waitcnt lgkmcnt(2)
	v_add_f64 v[2:3], v[2:3], v[6:7]
	s_waitcnt lgkmcnt(0)
	v_add_f64 v[7:8], v[4:5], v[38:39]
	;; [unrolled: 8-line block ×3, first 2 shown]
	s_or_b32 exec_lo, exec_lo, s51
	s_and_saveexec_b32 s51, s4
	s_cbranch_execnz .LBB181_18
	s_branch .LBB181_19
.LBB181_45:                             ;   in Loop: Header=BB181_9 Depth=1
	ds_read_b128 v[9:12], v56
	s_or_b32 exec_lo, exec_lo, s51
	s_and_saveexec_b32 s51, s4
	s_cbranch_execz .LBB181_23
.LBB181_46:                             ;   in Loop: Header=BB181_9 Depth=1
	s_waitcnt lgkmcnt(0)
	ds_bpermute_b32 v2, v53, v9
	ds_bpermute_b32 v3, v53, v10
	ds_bpermute_b32 v38, v53, v11
	ds_bpermute_b32 v39, v53, v12
	s_waitcnt lgkmcnt(2)
	v_add_f64 v[2:3], v[9:10], v[2:3]
	s_waitcnt lgkmcnt(0)
	v_add_f64 v[9:10], v[11:12], v[38:39]
	ds_bpermute_b32 v11, v54, v2
	ds_bpermute_b32 v12, v54, v3
	ds_bpermute_b32 v38, v54, v9
	ds_bpermute_b32 v39, v54, v10
	s_waitcnt lgkmcnt(2)
	v_add_f64 v[2:3], v[2:3], v[11:12]
	s_waitcnt lgkmcnt(0)
	v_add_f64 v[11:12], v[9:10], v[38:39]
	;; [unrolled: 8-line block ×3, first 2 shown]
	s_or_b32 exec_lo, exec_lo, s51
	s_and_saveexec_b32 s51, s4
	s_cbranch_execnz .LBB181_24
	s_branch .LBB181_25
.LBB181_47:                             ;   in Loop: Header=BB181_9 Depth=1
	ds_read_b128 v[13:16], v56
	s_or_b32 exec_lo, exec_lo, s51
	s_and_saveexec_b32 s51, s4
	s_cbranch_execz .LBB181_29
.LBB181_48:                             ;   in Loop: Header=BB181_9 Depth=1
	s_waitcnt lgkmcnt(0)
	ds_bpermute_b32 v2, v53, v13
	ds_bpermute_b32 v3, v53, v14
	ds_bpermute_b32 v38, v53, v15
	ds_bpermute_b32 v39, v53, v16
	s_waitcnt lgkmcnt(2)
	v_add_f64 v[2:3], v[13:14], v[2:3]
	s_waitcnt lgkmcnt(0)
	v_add_f64 v[13:14], v[15:16], v[38:39]
	ds_bpermute_b32 v15, v54, v2
	ds_bpermute_b32 v16, v54, v3
	ds_bpermute_b32 v38, v54, v13
	ds_bpermute_b32 v39, v54, v14
	s_waitcnt lgkmcnt(2)
	v_add_f64 v[2:3], v[2:3], v[15:16]
	s_waitcnt lgkmcnt(0)
	v_add_f64 v[15:16], v[13:14], v[38:39]
	;; [unrolled: 8-line block ×3, first 2 shown]
	s_or_b32 exec_lo, exec_lo, s51
	s_and_saveexec_b32 s51, s4
	s_cbranch_execnz .LBB181_30
	s_branch .LBB181_31
.LBB181_49:                             ;   in Loop: Header=BB181_9 Depth=1
	ds_read_b128 v[17:20], v56
	s_or_b32 exec_lo, exec_lo, s51
	s_and_saveexec_b32 s51, s4
	s_cbranch_execz .LBB181_35
.LBB181_50:                             ;   in Loop: Header=BB181_9 Depth=1
	s_waitcnt lgkmcnt(0)
	ds_bpermute_b32 v2, v53, v17
	ds_bpermute_b32 v3, v53, v18
	ds_bpermute_b32 v38, v53, v19
	ds_bpermute_b32 v39, v53, v20
	s_waitcnt lgkmcnt(2)
	v_add_f64 v[2:3], v[17:18], v[2:3]
	s_waitcnt lgkmcnt(0)
	v_add_f64 v[17:18], v[19:20], v[38:39]
	ds_bpermute_b32 v19, v54, v2
	ds_bpermute_b32 v20, v54, v3
	ds_bpermute_b32 v38, v54, v17
	ds_bpermute_b32 v39, v54, v18
	s_waitcnt lgkmcnt(2)
	v_add_f64 v[2:3], v[2:3], v[19:20]
	s_waitcnt lgkmcnt(0)
	v_add_f64 v[19:20], v[17:18], v[38:39]
	;; [unrolled: 8-line block ×3, first 2 shown]
	s_or_b32 exec_lo, exec_lo, s51
	s_and_saveexec_b32 s51, s11
	s_cbranch_execz .LBB181_8
.LBB181_51:                             ;   in Loop: Header=BB181_9 Depth=1
	v_mul_f64 v[2:3], s[18:19], v[7:8]
	v_mul_f64 v[7:8], s[16:17], v[7:8]
	;; [unrolled: 1-line block ×6, first 2 shown]
	s_waitcnt lgkmcnt(0)
	v_mul_f64 v[60:61], s[18:19], v[19:20]
	v_mul_f64 v[19:20], s[16:17], v[19:20]
	s_mul_hi_u32 s53, s7, s30
	s_mul_i32 s52, s7, s30
	s_lshl_b64 s[52:53], s[52:53], 4
	s_add_u32 s52, s49, s52
	s_addc_u32 s53, s50, s53
	s_or_b32 s54, s7, 1
	s_mul_hi_u32 s55, s54, s30
	s_mul_i32 s54, s54, s30
	s_lshl_b64 s[54:55], s[54:55], 4
	s_add_u32 s54, s49, s54
	v_fma_f64 v[2:3], s[16:17], v[5:6], -v[2:3]
	v_fma_f64 v[4:5], s[18:19], v[5:6], v[7:8]
	v_fma_f64 v[6:7], s[16:17], v[9:10], -v[38:39]
	v_fma_f64 v[8:9], s[18:19], v[9:10], v[11:12]
	;; [unrolled: 2-line block ×4, first 2 shown]
	s_addc_u32 s55, s50, s55
	s_or_b32 s56, s7, 2
	s_mul_hi_u32 s57, s56, s30
	s_mul_i32 s56, s56, s30
	s_lshl_b64 s[56:57], s[56:57], 4
	s_add_u32 s56, s49, s56
	s_addc_u32 s57, s50, s57
	s_or_b32 s58, s7, 3
	s_mul_hi_u32 s59, s58, s30
	s_mul_i32 s58, s58, s30
	s_lshl_b64 s[58:59], s[58:59], 4
	s_add_u32 s58, s49, s58
	s_addc_u32 s59, s50, s59
	global_store_dwordx4 v1, v[2:5], s[52:53]
	global_store_dwordx4 v1, v[6:9], s[54:55]
	;; [unrolled: 1-line block ×4, first 2 shown]
	s_branch .LBB181_8
.LBB181_52:                             ;   in Loop: Header=BB181_9 Depth=1
	v_mov_b32_e32 v17, 0
	v_mov_b32_e32 v19, 0
	;; [unrolled: 1-line block ×16, first 2 shown]
.LBB181_53:                             ;   in Loop: Header=BB181_9 Depth=1
	s_or_b32 exec_lo, exec_lo, s52
	s_or_b32 exec_lo, exec_lo, s51
	s_and_saveexec_b32 s51, s4
	s_cbranch_execnz .LBB181_12
	s_branch .LBB181_13
.LBB181_54:
	s_mov_b32 s7, 0
.LBB181_55:
	s_cmp_ge_i32 s7, s29
	s_cbranch_scc1 .LBB181_77
; %bb.56:
	v_cmp_gt_u32_e64 s5, 24, v47
	v_mad_i64_i32 v[7:8], null, s36, v45, 0
	v_cmp_gt_u32_e64 s4, 32, v0
	v_cmp_gt_u32_e64 s8, 8, v0
	v_cndmask_b32_e64 v1, 0, 8, s5
	v_cmp_gt_u32_e64 s5, 28, v47
	s_mov_b32 s10, s6
	v_cmp_eq_u32_e64 s6, 0, v0
	s_cmp_gt_i32 s31, 0
	v_add_lshl_u32 v28, v1, v47, 2
	v_cndmask_b32_e64 v2, 0, 4, s5
	v_cmp_gt_u32_e64 s5, 30, v47
	s_mov_b32 s11, 0
	v_mad_i64_i32 v[11:12], null, s36, v44, 0
	v_add_lshl_u32 v29, v2, v47, 2
	v_cndmask_b32_e64 v3, 0, 2, s5
	v_cmp_ne_u32_e64 s5, 31, v47
	v_mad_i64_i32 v[1:2], null, s36, v25, 0
	v_cmp_ge_i32_e32 vcc_lo, s28, v49
	v_add_lshl_u32 v30, v3, v47, 2
	v_add_co_ci_u32_e64 v4, null, 0, v47, s5
	v_cmp_ge_i32_e64 s9, s28, v50
	s_cselect_b32 s28, -1, 0
	v_lshlrev_b64 v[0:1], 4, v[1:2]
	v_lshlrev_b32_e32 v31, 2, v4
	v_mad_i64_i32 v[3:4], null, s36, v48, 0
	s_lshl_b64 s[10:11], s[10:11], 4
	v_lshlrev_b64 v[9:10], 4, v[7:8]
	s_add_u32 s26, s45, s10
	v_add_co_u32 v5, s10, s33, v0
	v_add_co_ci_u32_e64 v6, null, s44, v1, s10
	v_lshlrev_b64 v[2:3], 4, v[3:4]
	s_addc_u32 s27, s46, s11
	s_and_b32 s28, s28, s9
	s_add_u32 s9, s22, s38
	s_mul_hi_u32 s11, s34, s7
	v_lshlrev_b32_e32 v26, 4, v43
	v_add_co_u32 v7, s10, s33, v2
	v_add_co_ci_u32_e64 v8, null, s44, v3, s10
	v_add_co_u32 v9, s10, s33, v9
	v_lshlrev_b64 v[2:3], 4, v[11:12]
	v_add_co_ci_u32_e64 v10, null, s44, v10, s10
	s_addc_u32 s10, s23, s39
	s_add_u32 s24, s9, s24
	s_mul_i32 s9, s35, s7
	s_addc_u32 s25, s10, s25
	s_add_i32 s11, s11, s9
	s_mul_i32 s10, s34, s7
	v_add_co_u32 v11, s9, s33, v2
	s_lshl_b64 s[22:23], s[10:11], 4
	s_lshl_b64 s[10:11], s[36:37], 4
	v_add_co_ci_u32_e64 v12, null, s44, v3, s9
	s_add_u32 s9, s20, s22
	s_addc_u32 s20, s21, s23
	s_add_u32 s9, s9, s14
	s_addc_u32 s14, s20, s15
	;; [unrolled: 2-line block ×3, first 2 shown]
	v_add_co_u32 v2, s9, s9, v23
	v_add_co_ci_u32_e64 v3, null, s12, v24, s9
	v_add_co_u32 v13, s9, s24, v0
	v_add_co_ci_u32_e64 v14, null, s25, v1, s9
	v_add_co_u32 v15, s9, v2, 8
	v_lshl_or_b32 v27, v47, 2, 64
	v_cmp_eq_u32_e64 s5, 0, v43
	v_and_b32_e32 v25, 0x70, v46
	v_add_co_ci_u32_e64 v16, null, 0, v3, s9
	v_mov_b32_e32 v0, 0
	s_lshl_b64 s[12:13], s[34:35], 4
	s_branch .LBB181_58
.LBB181_57:                             ;   in Loop: Header=BB181_58 Depth=1
	s_or_b32 exec_lo, exec_lo, s9
	v_add_co_u32 v15, s9, v15, s12
	v_add_co_ci_u32_e64 v16, null, s13, v16, s9
	s_add_i32 s7, s7, 1
	s_cmp_lt_i32 s7, s29
	s_cbranch_scc0 .LBB181_77
.LBB181_58:                             ; =>This Loop Header: Depth=1
                                        ;     Child Loop BB181_70 Depth 2
                                        ;     Child Loop BB181_72 Depth 2
                                        ; implicit-def: $vgpr17_vgpr18
                                        ; implicit-def: $vgpr19_vgpr20
	s_and_saveexec_b32 s9, vcc_lo
	s_xor_b32 s14, exec_lo, s9
	s_cbranch_execnz .LBB181_67
; %bb.59:                               ;   in Loop: Header=BB181_58 Depth=1
	s_andn2_saveexec_b32 s14, s14
	s_cbranch_execnz .LBB181_68
.LBB181_60:                             ;   in Loop: Header=BB181_58 Depth=1
	s_or_b32 exec_lo, exec_lo, s14
	s_and_saveexec_b32 s9, s4
	s_cbranch_execz .LBB181_62
.LBB181_61:                             ;   in Loop: Header=BB181_58 Depth=1
	s_waitcnt lgkmcnt(0)
	v_mov_b32_e32 v1, v0
	v_mov_b32_e32 v2, v0
	;; [unrolled: 1-line block ×3, first 2 shown]
	ds_write_b128 v26, v[0:3]
.LBB181_62:                             ;   in Loop: Header=BB181_58 Depth=1
	s_or_b32 exec_lo, exec_lo, s9
	s_waitcnt lgkmcnt(0)
	ds_bpermute_b32 v1, v27, v17
	ds_bpermute_b32 v2, v27, v18
	;; [unrolled: 1-line block ×4, first 2 shown]
	s_waitcnt lgkmcnt(0)
	s_waitcnt_vscnt null, 0x0
	s_barrier
	buffer_gl0_inv
	v_add_f64 v[1:2], v[17:18], v[1:2]
	v_add_f64 v[3:4], v[19:20], v[3:4]
	ds_bpermute_b32 v17, v28, v1
	ds_bpermute_b32 v18, v28, v2
	ds_bpermute_b32 v19, v28, v3
	ds_bpermute_b32 v20, v28, v4
	s_waitcnt lgkmcnt(2)
	v_add_f64 v[1:2], v[1:2], v[17:18]
	s_waitcnt lgkmcnt(0)
	v_add_f64 v[3:4], v[3:4], v[19:20]
	ds_bpermute_b32 v17, v29, v1
	ds_bpermute_b32 v18, v29, v2
	ds_bpermute_b32 v19, v29, v3
	ds_bpermute_b32 v20, v29, v4
	s_waitcnt lgkmcnt(2)
	v_add_f64 v[1:2], v[1:2], v[17:18]
	s_waitcnt lgkmcnt(0)
	v_add_f64 v[3:4], v[3:4], v[19:20]
	ds_bpermute_b32 v17, v30, v1
	ds_bpermute_b32 v18, v30, v2
	ds_bpermute_b32 v19, v30, v3
	ds_bpermute_b32 v20, v30, v4
	s_waitcnt lgkmcnt(2)
	v_add_f64 v[1:2], v[1:2], v[17:18]
	s_waitcnt lgkmcnt(0)
	v_add_f64 v[17:18], v[3:4], v[19:20]
	ds_bpermute_b32 v3, v31, v1
	ds_bpermute_b32 v4, v31, v2
	;; [unrolled: 1-line block ×4, first 2 shown]
	s_and_saveexec_b32 s9, s5
	s_cbranch_execz .LBB181_64
; %bb.63:                               ;   in Loop: Header=BB181_58 Depth=1
	s_waitcnt lgkmcnt(0)
	v_add_f64 v[19:20], v[17:18], v[19:20]
	v_add_f64 v[17:18], v[1:2], v[3:4]
	ds_write_b128 v25, v[17:20]
.LBB181_64:                             ;   in Loop: Header=BB181_58 Depth=1
	s_or_b32 exec_lo, exec_lo, s9
	s_waitcnt lgkmcnt(2)
	v_mov_b32_e32 v3, 0
	v_mov_b32_e32 v1, 0
	;; [unrolled: 1-line block ×4, first 2 shown]
	s_waitcnt lgkmcnt(0)
	s_barrier
	buffer_gl0_inv
	s_and_saveexec_b32 s9, s8
	s_cbranch_execnz .LBB181_74
; %bb.65:                               ;   in Loop: Header=BB181_58 Depth=1
	s_or_b32 exec_lo, exec_lo, s9
	s_and_saveexec_b32 s9, s4
	s_cbranch_execnz .LBB181_75
.LBB181_66:                             ;   in Loop: Header=BB181_58 Depth=1
	s_or_b32 exec_lo, exec_lo, s9
	s_and_saveexec_b32 s9, s6
	s_cbranch_execz .LBB181_57
	s_branch .LBB181_76
.LBB181_67:                             ;   in Loop: Header=BB181_58 Depth=1
	s_waitcnt lgkmcnt(0)
	global_load_dwordx4 v[1:4], v[7:8], off
	s_waitcnt lgkmcnt(0)
	s_clause 0x1
	global_load_dwordx4 v[17:20], v[9:10], off
	global_load_dwordx4 v[32:35], v[11:12], off
	s_mul_i32 s9, s7, s35
	s_mul_hi_u32 s15, s7, s34
	s_mul_i32 s20, s7, s34
	s_add_i32 s21, s15, s9
	s_lshl_b64 s[20:21], s[20:21], 4
	v_add_co_u32 v23, s9, v21, s20
	v_add_co_ci_u32_e64 v24, null, s21, v22, s9
	global_load_dwordx4 v[36:39], v[5:6], off
	s_clause 0x1
	global_load_dwordx4 v[43:46], v[23:24], off
	global_load_dwordx4 v[47:50], v[23:24], off offset:16
	s_waitcnt vmcnt(5)
	buffer_store_dword v4, v40, s[0:3], 0 offen offset:12
	buffer_store_dword v3, v40, s[0:3], 0 offen offset:8
	;; [unrolled: 1-line block ×3, first 2 shown]
	buffer_store_dword v1, v40, s[0:3], 0 offen
	s_waitcnt vmcnt(4)
	buffer_store_dword v20, v41, s[0:3], 0 offen offset:12
	buffer_store_dword v19, v41, s[0:3], 0 offen offset:8
	;; [unrolled: 1-line block ×3, first 2 shown]
	buffer_store_dword v17, v41, s[0:3], 0 offen
	s_clause 0x7
	buffer_load_dword v51, off, s[0:3], 0 offset:16
	buffer_load_dword v54, off, s[0:3], 0 offset:28
	buffer_load_dword v55, off, s[0:3], 0 offset:32
	buffer_load_dword v56, off, s[0:3], 0 offset:36
	buffer_load_dword v57, off, s[0:3], 0 offset:40
	buffer_load_dword v53, off, s[0:3], 0 offset:24
	buffer_load_dword v52, off, s[0:3], 0 offset:20
	buffer_load_dword v58, off, s[0:3], 0 offset:44
	s_clause 0x1
	global_load_dwordx4 v[1:4], v[23:24], off offset:32
	global_load_dwordx4 v[17:20], v[23:24], off offset:48
	s_waitcnt vmcnt(13)
	buffer_store_dword v35, v42, s[0:3], 0 offen offset:12
	buffer_store_dword v34, v42, s[0:3], 0 offen offset:8
	;; [unrolled: 1-line block ×3, first 2 shown]
	buffer_store_dword v32, v42, s[0:3], 0 offen
	s_clause 0x3
	buffer_load_dword v23, off, s[0:3], 0 offset:48
	buffer_load_dword v33, off, s[0:3], 0 offset:60
	;; [unrolled: 1-line block ×4, first 2 shown]
	s_waitcnt vmcnt(16)
	buffer_store_dword v39, off, s[0:3], 0 offset:12
	buffer_store_dword v38, off, s[0:3], 0 offset:8
	;; [unrolled: 1-line block ×3, first 2 shown]
	buffer_store_dword v36, off, s[0:3], 0
	s_waitcnt vmcnt(15)
	v_mul_f64 v[34:35], v[45:46], v[38:39]
	v_mul_f64 v[45:46], v[45:46], v[36:37]
	v_fma_f64 v[34:35], v[43:44], v[36:37], v[34:35]
	v_fma_f64 v[43:44], v[43:44], v[38:39], -v[45:46]
	v_add_f64 v[34:35], v[34:35], 0
	v_add_f64 v[43:44], v[43:44], 0
	s_waitcnt vmcnt(8)
	v_mul_f64 v[45:46], v[49:50], v[53:54]
	s_waitcnt vmcnt(7)
	v_mul_f64 v[49:50], v[49:50], v[51:52]
	;; [unrolled: 2-line block ×3, first 2 shown]
	v_mul_f64 v[3:4], v[3:4], v[55:56]
	v_fma_f64 v[45:46], v[47:48], v[51:52], v[45:46]
	v_fma_f64 v[47:48], v[47:48], v[53:54], -v[49:50]
	s_waitcnt vmcnt(1)
	v_mul_f64 v[49:50], v[19:20], v[32:33]
	s_waitcnt vmcnt(0)
	v_mul_f64 v[19:20], v[19:20], v[23:24]
	v_fma_f64 v[51:52], v[1:2], v[55:56], v[59:60]
	v_fma_f64 v[1:2], v[1:2], v[57:58], -v[3:4]
	v_add_f64 v[3:4], v[34:35], v[45:46]
	v_add_f64 v[34:35], v[43:44], v[47:48]
	v_fma_f64 v[23:24], v[17:18], v[23:24], v[49:50]
	v_fma_f64 v[19:20], v[17:18], v[32:33], -v[19:20]
	v_add_f64 v[3:4], v[3:4], v[51:52]
	v_add_f64 v[1:2], v[34:35], v[1:2]
	;; [unrolled: 1-line block ×4, first 2 shown]
	s_andn2_saveexec_b32 s14, s14
	s_cbranch_execz .LBB181_60
.LBB181_68:                             ;   in Loop: Header=BB181_58 Depth=1
	s_waitcnt lgkmcnt(0)
	v_mov_b32_e32 v17, 0
	v_mov_b32_e32 v19, 0
	v_mov_b32_e32 v18, 0
	v_mov_b32_e32 v20, 0
	s_and_saveexec_b32 s15, s28
	s_cbranch_execz .LBB181_73
; %bb.69:                               ;   in Loop: Header=BB181_58 Depth=1
	v_mov_b32_e32 v1, v13
	v_mov_b32_e32 v2, v14
	s_mov_b32 s20, 0
	s_mov_b32 s21, s31
	.p2align	6
.LBB181_70:                             ;   Parent Loop BB181_58 Depth=1
                                        ; =>  This Inner Loop Header: Depth=2
	global_load_dwordx4 v[17:20], v[1:2], off
	v_add_co_u32 v1, s9, v1, s10
	v_mov_b32_e32 v3, s20
	v_add_co_ci_u32_e64 v2, null, s11, v2, s9
	s_add_i32 s21, s21, -1
	s_add_i32 s20, s20, 16
	s_cmp_eq_u32 s21, 0
	s_waitcnt vmcnt(0)
	buffer_store_dword v20, v3, s[0:3], 0 offen offset:12
	buffer_store_dword v19, v3, s[0:3], 0 offen offset:8
	buffer_store_dword v18, v3, s[0:3], 0 offen offset:4
	buffer_store_dword v17, v3, s[0:3], 0 offen
	s_cbranch_scc0 .LBB181_70
; %bb.71:                               ;   in Loop: Header=BB181_58 Depth=1
	v_mov_b32_e32 v17, 0
	v_mov_b32_e32 v19, 0
	;; [unrolled: 1-line block ×6, first 2 shown]
	s_mov_b32 s20, 0
	s_mov_b32 s21, s31
	.p2align	6
.LBB181_72:                             ;   Parent Loop BB181_58 Depth=1
                                        ; =>  This Inner Loop Header: Depth=2
	v_mov_b32_e32 v4, s20
	global_load_dwordx4 v[32:35], v[1:2], off offset:-8
	v_add_co_u32 v1, s9, v1, 16
	v_add_co_ci_u32_e64 v2, null, 0, v2, s9
	s_clause 0x3
	buffer_load_dword v3, v4, s[0:3], 0 offen
	buffer_load_dword v23, v4, s[0:3], 0 offen offset:8
	buffer_load_dword v24, v4, s[0:3], 0 offen offset:12
	;; [unrolled: 1-line block ×3, first 2 shown]
	s_add_i32 s21, s21, -1
	s_add_i32 s20, s20, 16
	s_cmp_lg_u32 s21, 0
	s_waitcnt vmcnt(1)
	v_mul_f64 v[36:37], v[34:35], v[23:24]
	s_waitcnt vmcnt(0)
	v_mul_f64 v[34:35], v[34:35], v[3:4]
	v_fma_f64 v[3:4], v[32:33], v[3:4], v[36:37]
	v_fma_f64 v[23:24], v[32:33], v[23:24], -v[34:35]
	v_add_f64 v[17:18], v[17:18], v[3:4]
	v_add_f64 v[19:20], v[19:20], v[23:24]
	s_cbranch_scc1 .LBB181_72
.LBB181_73:                             ;   in Loop: Header=BB181_58 Depth=1
	s_or_b32 exec_lo, exec_lo, s15
	s_or_b32 exec_lo, exec_lo, s14
	s_and_saveexec_b32 s9, s4
	s_cbranch_execnz .LBB181_61
	s_branch .LBB181_62
.LBB181_74:                             ;   in Loop: Header=BB181_58 Depth=1
	ds_read_b128 v[1:4], v26
	s_or_b32 exec_lo, exec_lo, s9
	s_and_saveexec_b32 s9, s4
	s_cbranch_execz .LBB181_66
.LBB181_75:                             ;   in Loop: Header=BB181_58 Depth=1
	s_waitcnt lgkmcnt(0)
	ds_bpermute_b32 v17, v29, v1
	ds_bpermute_b32 v18, v29, v2
	ds_bpermute_b32 v19, v29, v3
	ds_bpermute_b32 v20, v29, v4
	s_waitcnt lgkmcnt(2)
	v_add_f64 v[1:2], v[1:2], v[17:18]
	s_waitcnt lgkmcnt(0)
	v_add_f64 v[3:4], v[3:4], v[19:20]
	ds_bpermute_b32 v17, v30, v1
	ds_bpermute_b32 v18, v30, v2
	ds_bpermute_b32 v19, v30, v3
	ds_bpermute_b32 v20, v30, v4
	s_waitcnt lgkmcnt(2)
	v_add_f64 v[1:2], v[1:2], v[17:18]
	s_waitcnt lgkmcnt(0)
	v_add_f64 v[3:4], v[3:4], v[19:20]
	;; [unrolled: 8-line block ×3, first 2 shown]
	s_or_b32 exec_lo, exec_lo, s9
	s_and_saveexec_b32 s9, s6
	s_cbranch_execz .LBB181_57
.LBB181_76:                             ;   in Loop: Header=BB181_58 Depth=1
	s_waitcnt lgkmcnt(0)
	v_mul_f64 v[17:18], s[18:19], v[3:4]
	v_mul_f64 v[3:4], s[16:17], v[3:4]
	s_mul_hi_u32 s15, s7, s30
	s_mul_i32 s14, s7, s30
	s_lshl_b64 s[14:15], s[14:15], 4
	s_add_u32 s14, s26, s14
	s_addc_u32 s15, s27, s15
	v_fma_f64 v[17:18], s[16:17], v[1:2], -v[17:18]
	v_fma_f64 v[19:20], s[18:19], v[1:2], v[3:4]
	global_store_dwordx4 v0, v[17:20], s[14:15]
	s_branch .LBB181_57
.LBB181_77:
	s_endpgm
	.section	.rodata,"a",@progbits
	.p2align	6, 0x0
	.amdhsa_kernel _ZL23rocblas_gemvt_sn_kernelILb1ELi256ELi4El19rocblas_complex_numIdEPKS1_S1_EviiT4_lPKT3_lilS7_lilPT5_i
		.amdhsa_group_segment_fixed_size 512
		.amdhsa_private_segment_fixed_size 80
		.amdhsa_kernarg_size 360
		.amdhsa_user_sgpr_count 6
		.amdhsa_user_sgpr_private_segment_buffer 1
		.amdhsa_user_sgpr_dispatch_ptr 0
		.amdhsa_user_sgpr_queue_ptr 0
		.amdhsa_user_sgpr_kernarg_segment_ptr 1
		.amdhsa_user_sgpr_dispatch_id 0
		.amdhsa_user_sgpr_flat_scratch_init 0
		.amdhsa_user_sgpr_private_segment_size 0
		.amdhsa_wavefront_size32 1
		.amdhsa_uses_dynamic_stack 0
		.amdhsa_system_sgpr_private_segment_wavefront_offset 1
		.amdhsa_system_sgpr_workgroup_id_x 1
		.amdhsa_system_sgpr_workgroup_id_y 0
		.amdhsa_system_sgpr_workgroup_id_z 1
		.amdhsa_system_sgpr_workgroup_info 0
		.amdhsa_system_vgpr_workitem_id 0
		.amdhsa_next_free_vgpr 126
		.amdhsa_next_free_sgpr 65
		.amdhsa_reserve_vcc 1
		.amdhsa_reserve_flat_scratch 0
		.amdhsa_float_round_mode_32 0
		.amdhsa_float_round_mode_16_64 0
		.amdhsa_float_denorm_mode_32 3
		.amdhsa_float_denorm_mode_16_64 3
		.amdhsa_dx10_clamp 1
		.amdhsa_ieee_mode 1
		.amdhsa_fp16_overflow 0
		.amdhsa_workgroup_processor_mode 1
		.amdhsa_memory_ordered 1
		.amdhsa_forward_progress 1
		.amdhsa_shared_vgpr_count 0
		.amdhsa_exception_fp_ieee_invalid_op 0
		.amdhsa_exception_fp_denorm_src 0
		.amdhsa_exception_fp_ieee_div_zero 0
		.amdhsa_exception_fp_ieee_overflow 0
		.amdhsa_exception_fp_ieee_underflow 0
		.amdhsa_exception_fp_ieee_inexact 0
		.amdhsa_exception_int_div_zero 0
	.end_amdhsa_kernel
	.section	.text._ZL23rocblas_gemvt_sn_kernelILb1ELi256ELi4El19rocblas_complex_numIdEPKS1_S1_EviiT4_lPKT3_lilS7_lilPT5_i,"axG",@progbits,_ZL23rocblas_gemvt_sn_kernelILb1ELi256ELi4El19rocblas_complex_numIdEPKS1_S1_EviiT4_lPKT3_lilS7_lilPT5_i,comdat
.Lfunc_end181:
	.size	_ZL23rocblas_gemvt_sn_kernelILb1ELi256ELi4El19rocblas_complex_numIdEPKS1_S1_EviiT4_lPKT3_lilS7_lilPT5_i, .Lfunc_end181-_ZL23rocblas_gemvt_sn_kernelILb1ELi256ELi4El19rocblas_complex_numIdEPKS1_S1_EviiT4_lPKT3_lilS7_lilPT5_i
                                        ; -- End function
	.set _ZL23rocblas_gemvt_sn_kernelILb1ELi256ELi4El19rocblas_complex_numIdEPKS1_S1_EviiT4_lPKT3_lilS7_lilPT5_i.num_vgpr, 126
	.set _ZL23rocblas_gemvt_sn_kernelILb1ELi256ELi4El19rocblas_complex_numIdEPKS1_S1_EviiT4_lPKT3_lilS7_lilPT5_i.num_agpr, 0
	.set _ZL23rocblas_gemvt_sn_kernelILb1ELi256ELi4El19rocblas_complex_numIdEPKS1_S1_EviiT4_lPKT3_lilS7_lilPT5_i.numbered_sgpr, 65
	.set _ZL23rocblas_gemvt_sn_kernelILb1ELi256ELi4El19rocblas_complex_numIdEPKS1_S1_EviiT4_lPKT3_lilS7_lilPT5_i.num_named_barrier, 0
	.set _ZL23rocblas_gemvt_sn_kernelILb1ELi256ELi4El19rocblas_complex_numIdEPKS1_S1_EviiT4_lPKT3_lilS7_lilPT5_i.private_seg_size, 80
	.set _ZL23rocblas_gemvt_sn_kernelILb1ELi256ELi4El19rocblas_complex_numIdEPKS1_S1_EviiT4_lPKT3_lilS7_lilPT5_i.uses_vcc, 1
	.set _ZL23rocblas_gemvt_sn_kernelILb1ELi256ELi4El19rocblas_complex_numIdEPKS1_S1_EviiT4_lPKT3_lilS7_lilPT5_i.uses_flat_scratch, 0
	.set _ZL23rocblas_gemvt_sn_kernelILb1ELi256ELi4El19rocblas_complex_numIdEPKS1_S1_EviiT4_lPKT3_lilS7_lilPT5_i.has_dyn_sized_stack, 0
	.set _ZL23rocblas_gemvt_sn_kernelILb1ELi256ELi4El19rocblas_complex_numIdEPKS1_S1_EviiT4_lPKT3_lilS7_lilPT5_i.has_recursion, 0
	.set _ZL23rocblas_gemvt_sn_kernelILb1ELi256ELi4El19rocblas_complex_numIdEPKS1_S1_EviiT4_lPKT3_lilS7_lilPT5_i.has_indirect_call, 0
	.section	.AMDGPU.csdata,"",@progbits
; Kernel info:
; codeLenInByte = 7984
; TotalNumSgprs: 67
; NumVgprs: 126
; ScratchSize: 80
; MemoryBound: 0
; FloatMode: 240
; IeeeMode: 1
; LDSByteSize: 512 bytes/workgroup (compile time only)
; SGPRBlocks: 0
; VGPRBlocks: 15
; NumSGPRsForWavesPerEU: 67
; NumVGPRsForWavesPerEU: 126
; Occupancy: 8
; WaveLimiterHint : 1
; COMPUTE_PGM_RSRC2:SCRATCH_EN: 1
; COMPUTE_PGM_RSRC2:USER_SGPR: 6
; COMPUTE_PGM_RSRC2:TRAP_HANDLER: 0
; COMPUTE_PGM_RSRC2:TGID_X_EN: 1
; COMPUTE_PGM_RSRC2:TGID_Y_EN: 0
; COMPUTE_PGM_RSRC2:TGID_Z_EN: 1
; COMPUTE_PGM_RSRC2:TIDIG_COMP_CNT: 0
	.section	.text._ZL23rocblas_gemvt_sn_kernelILb1ELi256ELi4Ei19rocblas_complex_numIdES1_S1_EviiT4_lPKT3_lilS5_lilPT5_i,"axG",@progbits,_ZL23rocblas_gemvt_sn_kernelILb1ELi256ELi4Ei19rocblas_complex_numIdES1_S1_EviiT4_lPKT3_lilS5_lilPT5_i,comdat
	.globl	_ZL23rocblas_gemvt_sn_kernelILb1ELi256ELi4Ei19rocblas_complex_numIdES1_S1_EviiT4_lPKT3_lilS5_lilPT5_i ; -- Begin function _ZL23rocblas_gemvt_sn_kernelILb1ELi256ELi4Ei19rocblas_complex_numIdES1_S1_EviiT4_lPKT3_lilS5_lilPT5_i
	.p2align	8
	.type	_ZL23rocblas_gemvt_sn_kernelILb1ELi256ELi4Ei19rocblas_complex_numIdES1_S1_EviiT4_lPKT3_lilS5_lilPT5_i,@function
_ZL23rocblas_gemvt_sn_kernelILb1ELi256ELi4Ei19rocblas_complex_numIdES1_S1_EviiT4_lPKT3_lilS5_lilPT5_i: ; @_ZL23rocblas_gemvt_sn_kernelILb1ELi256ELi4Ei19rocblas_complex_numIdES1_S1_EviiT4_lPKT3_lilS5_lilPT5_i
; %bb.0:
	s_clause 0x2
	s_load_dwordx4 s[12:15], s[4:5], 0x8
	s_load_dwordx2 s[24:25], s[4:5], 0x0
	s_load_dword s26, s[4:5], 0x70
	s_add_u32 s0, s0, s8
	s_load_dwordx4 s[20:23], s[4:5], 0x58
	s_addc_u32 s1, s1, 0
	s_mov_b32 s27, 0
	s_waitcnt lgkmcnt(0)
	v_cmp_neq_f64_e64 s8, s[12:13], 0
	v_cmp_neq_f64_e64 s9, s[14:15], 0
	s_ashr_i32 s30, s25, 31
	s_mul_hi_u32 s10, s25, s7
	s_mul_i32 s16, s30, s7
	s_mul_i32 s11, s25, s7
	s_add_i32 s10, s10, s16
	s_mul_hi_u32 s17, s11, s26
	s_mul_i32 s10, s10, s26
	s_mul_i32 s28, s11, s26
	s_add_i32 s29, s17, s10
	s_or_b32 s8, s8, s9
	s_mov_b32 s9, -1
	s_and_b32 vcc_lo, exec_lo, s8
	v_cmp_eq_u32_e64 s8, 0, v0
	s_cbranch_vccnz .LBB182_5
; %bb.1:
	s_cmp_gt_i32 s25, 0
	s_cselect_b32 s9, -1, 0
	s_and_b32 s8, s8, s9
	s_and_saveexec_b32 s16, s8
	s_cbranch_execz .LBB182_4
; %bb.2:
	s_mov_b32 s8, s7
	s_mov_b32 s7, 0
	v_mov_b32_e32 v1, 0
	s_lshl_b64 s[10:11], s[28:29], 4
	s_lshl_b64 s[18:19], s[6:7], 4
	s_mov_b32 s7, s8
	s_add_u32 s8, s10, s18
	s_addc_u32 s9, s11, s19
	s_add_u32 s8, s22, s8
	v_mov_b32_e32 v2, v1
	v_mov_b32_e32 v3, v1
	;; [unrolled: 1-line block ×3, first 2 shown]
	s_addc_u32 s9, s23, s9
	s_add_u32 s8, s8, 8
	s_addc_u32 s9, s9, 0
	s_lshl_b64 s[10:11], s[26:27], 4
	s_mov_b32 s17, s25
.LBB182_3:                              ; =>This Inner Loop Header: Depth=1
	s_add_i32 s17, s17, -1
	global_store_dwordx4 v1, v[1:4], s[8:9] offset:-8
	s_add_u32 s8, s8, s10
	s_addc_u32 s9, s9, s11
	s_cmp_eq_u32 s17, 0
	s_cbranch_scc0 .LBB182_3
.LBB182_4:
	s_or_b32 exec_lo, exec_lo, s16
	s_mov_b32 s9, 0
.LBB182_5:
	s_andn2_b32 vcc_lo, exec_lo, s9
	s_cbranch_vccnz .LBB182_77
; %bb.6:
	s_clause 0x4
	s_load_dwordx4 s[8:11], s[4:5], 0x38
	s_load_dwordx2 s[34:35], s[4:5], 0x48
	s_load_dwordx4 s[16:19], s[4:5], 0x20
	s_load_dword s27, s[4:5], 0x30
	s_load_dword s33, s[4:5], 0x50
	s_mul_i32 s5, s21, s7
	s_mul_hi_u32 s21, s20, s7
	s_mul_i32 s4, s20, s7
	s_add_i32 s5, s21, s5
	v_and_b32_e32 v22, 31, v0
	s_lshl_b64 s[20:21], s[4:5], 4
	v_cmp_gt_u32_e64 s4, 32, v0
	v_mbcnt_lo_u32_b32 v41, -1, 0
	v_lshrrev_b32_e32 v42, 1, v0
	v_mov_b32_e32 v36, 16
	v_mov_b32_e32 v37, 32
	;; [unrolled: 1-line block ×3, first 2 shown]
	s_waitcnt lgkmcnt(0)
	s_add_u32 s5, s10, s20
	s_addc_u32 s20, s11, s21
	s_lshl_b64 s[10:11], s[34:35], 4
	s_mul_i32 s9, s9, s7
	s_add_u32 s38, s5, s10
	s_addc_u32 s39, s20, s11
	s_lshl_b64 s[20:21], s[28:29], 4
	s_mul_hi_u32 s31, s8, s7
	s_add_u32 s11, s22, s20
	s_mul_i32 s8, s8, s7
	s_addc_u32 s42, s23, s21
	s_add_i32 s9, s31, s9
	v_cmp_gt_u32_e64 s5, 8, v0
	s_lshl_b64 s[20:21], s[8:9], 4
	s_add_u32 s7, s16, s20
	s_addc_u32 s8, s17, s21
	s_lshl_b64 s[18:19], s[18:19], 4
	s_add_u32 s7, s7, s18
	s_addc_u32 s8, s8, s19
	s_lshl_b32 s9, s6, 10
	s_lshr_b32 s10, s30, 30
	v_lshl_or_b32 v1, v0, 2, s9
	s_ashr_i32 s9, s24, 31
	s_add_i32 s10, s25, s10
	s_lshr_b32 s9, s9, 30
	s_and_b32 s43, s10, -4
	v_ashrrev_i32_e32 v2, 31, v1
	s_add_i32 s9, s24, s9
	v_mul_lo_u32 v21, s33, v1
	s_and_b32 s9, s9, -4
	v_add_nc_u32_e32 v43, 4, v1
	v_lshlrev_b64 v[23:24], 4, v[1:2]
	s_sub_i32 s40, s24, s9
	s_cmp_lt_i32 s43, 1
	v_add_nc_u32_e32 v44, s40, v1
	v_add_co_u32 v38, vcc_lo, s7, v23
	v_add_co_ci_u32_e64 v39, null, s8, v24, vcc_lo
	s_cbranch_scc1 .LBB182_54
; %bb.7:
	v_cmp_gt_u32_e32 vcc_lo, 24, v41
	v_mul_lo_u32 v25, s33, v1
	s_cmp_gt_i32 s40, 0
	v_cmp_ge_i32_e64 s7, s24, v43
	s_cselect_b32 s44, -1, 0
	v_cndmask_b32_e64 v2, 0, 8, vcc_lo
	v_cmp_gt_u32_e32 vcc_lo, 28, v41
	s_lshl_b32 s45, s27, 2
	s_lshl_b32 s46, s27, 1
	v_ashrrev_i32_e32 v26, 31, v25
	v_add_lshl_u32 v46, v2, v41, 2
	v_cndmask_b32_e64 v3, 0, 4, vcc_lo
	v_cmp_gt_u32_e32 vcc_lo, 30, v41
	s_add_u32 s22, s20, s18
	v_lshlrev_b64 v[5:6], 4, v[25:26]
	s_addc_u32 s28, s21, s19
	v_add_lshl_u32 v47, v3, v41, 2
	v_cndmask_b32_e64 v1, 0, 2, vcc_lo
	v_cmp_ne_u32_e32 vcc_lo, 31, v41
	s_add_u32 s22, s16, s22
	s_addc_u32 s28, s17, s28
	v_cmp_ge_i32_e64 s8, s24, v44
	v_add_lshl_u32 v48, v1, v41, 2
	v_add_nc_u32_e32 v1, s33, v25
	v_add_co_ci_u32_e64 v4, null, 0, v41, vcc_lo
	v_add_co_u32 v26, vcc_lo, s38, v5
	v_add_nc_u32_e32 v3, s33, v1
	v_ashrrev_i32_e32 v2, 31, v1
	v_lshlrev_b32_e32 v49, 2, v4
	v_add_co_ci_u32_e64 v27, null, s39, v6, vcc_lo
	v_add_nc_u32_e32 v7, s33, v3
	v_lshlrev_b64 v[1:2], 4, v[1:2]
	v_ashrrev_i32_e32 v4, 31, v3
	v_lshl_or_b32 v45, v41, 2, 64
	v_cmp_eq_u32_e64 s9, 0, v22
	v_ashrrev_i32_e32 v8, 31, v7
	v_lshlrev_b32_e32 v50, 4, v22
	v_lshlrev_b64 v[3:4], 4, v[3:4]
	v_add_co_u32 v28, vcc_lo, s38, v1
	v_add_co_ci_u32_e64 v29, null, s39, v2, vcc_lo
	v_lshlrev_b64 v[1:2], 4, v[7:8]
	v_add_co_u32 v30, vcc_lo, s38, v3
	v_add_co_ci_u32_e64 v31, null, s39, v4, vcc_lo
	v_and_b32_e32 v51, 0x70, v42
	v_add_co_u32 v32, vcc_lo, s38, v1
	v_add_co_ci_u32_e64 v33, null, s39, v2, vcc_lo
	v_add_co_u32 v1, vcc_lo, s22, v23
	v_add_co_ci_u32_e64 v2, null, s28, v24, vcc_lo
	v_cmp_eq_u32_e64 s10, 0, v0
	v_add_co_u32 v52, vcc_lo, v1, 8
	v_add_co_ci_u32_e64 v53, null, 0, v2, vcc_lo
	v_mov_b32_e32 v1, 0
	s_mov_b32 s23, 0
	s_mul_i32 s47, s27, 3
	s_mov_b32 s28, s23
	s_mov_b32 s48, s27
	s_mov_b32 s41, 0
	s_branch .LBB182_9
.LBB182_8:                              ;   in Loop: Header=BB182_9 Depth=1
	s_or_b32 exec_lo, exec_lo, s29
	s_add_i32 s41, s41, 4
	s_add_i32 s48, s48, s45
	;; [unrolled: 1-line block ×5, first 2 shown]
	s_cmp_ge_i32 s41, s43
	s_cbranch_scc1 .LBB182_55
.LBB182_9:                              ; =>This Loop Header: Depth=1
                                        ;     Child Loop BB182_40 Depth 2
                                        ;     Child Loop BB182_42 Depth 2
                                        ; implicit-def: $vgpr17_vgpr18
                                        ; implicit-def: $vgpr19_vgpr20
                                        ; implicit-def: $vgpr13_vgpr14
                                        ; implicit-def: $vgpr15_vgpr16
                                        ; implicit-def: $vgpr9_vgpr10
                                        ; implicit-def: $vgpr11_vgpr12
                                        ; implicit-def: $vgpr7_vgpr8
                                        ; implicit-def: $vgpr5_vgpr6
	s_and_saveexec_b32 s22, s7
	s_xor_b32 s22, exec_lo, s22
	s_cbranch_execnz .LBB182_36
; %bb.10:                               ;   in Loop: Header=BB182_9 Depth=1
	s_andn2_saveexec_b32 s22, s22
	s_cbranch_execnz .LBB182_37
.LBB182_11:                             ;   in Loop: Header=BB182_9 Depth=1
	s_or_b32 exec_lo, exec_lo, s22
	s_and_saveexec_b32 s22, s4
	s_cbranch_execz .LBB182_13
.LBB182_12:                             ;   in Loop: Header=BB182_9 Depth=1
	v_mov_b32_e32 v2, v1
	v_mov_b32_e32 v3, v1
	;; [unrolled: 1-line block ×3, first 2 shown]
	ds_write_b128 v50, v[1:4]
.LBB182_13:                             ;   in Loop: Header=BB182_9 Depth=1
	s_or_b32 exec_lo, exec_lo, s22
	ds_bpermute_b32 v2, v45, v7
	ds_bpermute_b32 v3, v45, v8
	;; [unrolled: 1-line block ×4, first 2 shown]
	s_waitcnt lgkmcnt(0)
	s_waitcnt_vscnt null, 0x0
	s_barrier
	buffer_gl0_inv
	v_add_f64 v[2:3], v[7:8], v[2:3]
	v_add_f64 v[4:5], v[5:6], v[34:35]
	ds_bpermute_b32 v6, v46, v2
	ds_bpermute_b32 v7, v46, v3
	ds_bpermute_b32 v34, v46, v4
	ds_bpermute_b32 v35, v46, v5
	s_waitcnt lgkmcnt(2)
	v_add_f64 v[2:3], v[2:3], v[6:7]
	s_waitcnt lgkmcnt(0)
	v_add_f64 v[4:5], v[4:5], v[34:35]
	ds_bpermute_b32 v6, v47, v2
	ds_bpermute_b32 v7, v47, v3
	ds_bpermute_b32 v34, v47, v4
	ds_bpermute_b32 v35, v47, v5
	s_waitcnt lgkmcnt(2)
	v_add_f64 v[2:3], v[2:3], v[6:7]
	s_waitcnt lgkmcnt(0)
	;; [unrolled: 8-line block ×3, first 2 shown]
	v_add_f64 v[6:7], v[4:5], v[34:35]
	ds_bpermute_b32 v4, v49, v2
	ds_bpermute_b32 v5, v49, v3
	;; [unrolled: 1-line block ×4, first 2 shown]
	s_and_saveexec_b32 s22, s9
	s_cbranch_execz .LBB182_15
; %bb.14:                               ;   in Loop: Header=BB182_9 Depth=1
	s_waitcnt lgkmcnt(0)
	v_add_f64 v[6:7], v[6:7], v[34:35]
	v_add_f64 v[4:5], v[2:3], v[4:5]
	ds_write_b128 v51, v[4:7]
.LBB182_15:                             ;   in Loop: Header=BB182_9 Depth=1
	s_or_b32 exec_lo, exec_lo, s22
	v_mov_b32_e32 v7, 0
	s_waitcnt lgkmcnt(2)
	v_mov_b32_e32 v5, 0
	v_mov_b32_e32 v8, 0
	;; [unrolled: 1-line block ×3, first 2 shown]
	s_waitcnt lgkmcnt(0)
	s_barrier
	buffer_gl0_inv
	s_and_saveexec_b32 s22, s5
	s_cbranch_execnz .LBB182_43
; %bb.16:                               ;   in Loop: Header=BB182_9 Depth=1
	s_or_b32 exec_lo, exec_lo, s22
	s_and_saveexec_b32 s22, s4
	s_cbranch_execnz .LBB182_44
.LBB182_17:                             ;   in Loop: Header=BB182_9 Depth=1
	s_or_b32 exec_lo, exec_lo, s22
	s_and_saveexec_b32 s22, s4
	s_cbranch_execz .LBB182_19
.LBB182_18:                             ;   in Loop: Header=BB182_9 Depth=1
	v_mov_b32_e32 v2, v1
	v_mov_b32_e32 v3, v1
	;; [unrolled: 1-line block ×3, first 2 shown]
	ds_write_b128 v50, v[1:4]
.LBB182_19:                             ;   in Loop: Header=BB182_9 Depth=1
	s_or_b32 exec_lo, exec_lo, s22
	ds_bpermute_b32 v2, v45, v9
	ds_bpermute_b32 v3, v45, v10
	;; [unrolled: 1-line block ×4, first 2 shown]
	s_waitcnt lgkmcnt(0)
	s_barrier
	buffer_gl0_inv
	v_add_f64 v[2:3], v[9:10], v[2:3]
	v_add_f64 v[9:10], v[11:12], v[34:35]
	ds_bpermute_b32 v11, v46, v2
	ds_bpermute_b32 v12, v46, v3
	ds_bpermute_b32 v34, v46, v9
	ds_bpermute_b32 v35, v46, v10
	s_waitcnt lgkmcnt(2)
	v_add_f64 v[2:3], v[2:3], v[11:12]
	s_waitcnt lgkmcnt(0)
	v_add_f64 v[9:10], v[9:10], v[34:35]
	ds_bpermute_b32 v11, v47, v2
	ds_bpermute_b32 v12, v47, v3
	ds_bpermute_b32 v34, v47, v9
	ds_bpermute_b32 v35, v47, v10
	s_waitcnt lgkmcnt(2)
	v_add_f64 v[2:3], v[2:3], v[11:12]
	s_waitcnt lgkmcnt(0)
	;; [unrolled: 8-line block ×3, first 2 shown]
	v_add_f64 v[11:12], v[9:10], v[34:35]
	ds_bpermute_b32 v9, v49, v2
	ds_bpermute_b32 v10, v49, v3
	;; [unrolled: 1-line block ×4, first 2 shown]
	s_and_saveexec_b32 s22, s9
	s_cbranch_execz .LBB182_21
; %bb.20:                               ;   in Loop: Header=BB182_9 Depth=1
	s_waitcnt lgkmcnt(0)
	v_add_f64 v[11:12], v[11:12], v[34:35]
	v_add_f64 v[9:10], v[2:3], v[9:10]
	ds_write_b128 v51, v[9:12]
.LBB182_21:                             ;   in Loop: Header=BB182_9 Depth=1
	s_or_b32 exec_lo, exec_lo, s22
	v_mov_b32_e32 v11, 0
	s_waitcnt lgkmcnt(2)
	v_mov_b32_e32 v9, 0
	v_mov_b32_e32 v12, 0
	;; [unrolled: 1-line block ×3, first 2 shown]
	s_waitcnt lgkmcnt(0)
	s_barrier
	buffer_gl0_inv
	s_and_saveexec_b32 s22, s5
	s_cbranch_execnz .LBB182_45
; %bb.22:                               ;   in Loop: Header=BB182_9 Depth=1
	s_or_b32 exec_lo, exec_lo, s22
	s_and_saveexec_b32 s22, s4
	s_cbranch_execnz .LBB182_46
.LBB182_23:                             ;   in Loop: Header=BB182_9 Depth=1
	s_or_b32 exec_lo, exec_lo, s22
	s_and_saveexec_b32 s22, s4
	s_cbranch_execz .LBB182_25
.LBB182_24:                             ;   in Loop: Header=BB182_9 Depth=1
	v_mov_b32_e32 v2, v1
	v_mov_b32_e32 v3, v1
	;; [unrolled: 1-line block ×3, first 2 shown]
	ds_write_b128 v50, v[1:4]
.LBB182_25:                             ;   in Loop: Header=BB182_9 Depth=1
	s_or_b32 exec_lo, exec_lo, s22
	ds_bpermute_b32 v2, v45, v13
	ds_bpermute_b32 v3, v45, v14
	ds_bpermute_b32 v34, v45, v15
	ds_bpermute_b32 v35, v45, v16
	s_waitcnt lgkmcnt(0)
	s_barrier
	buffer_gl0_inv
	v_add_f64 v[2:3], v[13:14], v[2:3]
	v_add_f64 v[13:14], v[15:16], v[34:35]
	ds_bpermute_b32 v15, v46, v2
	ds_bpermute_b32 v16, v46, v3
	ds_bpermute_b32 v34, v46, v13
	ds_bpermute_b32 v35, v46, v14
	s_waitcnt lgkmcnt(2)
	v_add_f64 v[2:3], v[2:3], v[15:16]
	s_waitcnt lgkmcnt(0)
	v_add_f64 v[13:14], v[13:14], v[34:35]
	ds_bpermute_b32 v15, v47, v2
	ds_bpermute_b32 v16, v47, v3
	ds_bpermute_b32 v34, v47, v13
	ds_bpermute_b32 v35, v47, v14
	s_waitcnt lgkmcnt(2)
	v_add_f64 v[2:3], v[2:3], v[15:16]
	s_waitcnt lgkmcnt(0)
	;; [unrolled: 8-line block ×3, first 2 shown]
	v_add_f64 v[15:16], v[13:14], v[34:35]
	ds_bpermute_b32 v13, v49, v2
	ds_bpermute_b32 v14, v49, v3
	;; [unrolled: 1-line block ×4, first 2 shown]
	s_and_saveexec_b32 s22, s9
	s_cbranch_execz .LBB182_27
; %bb.26:                               ;   in Loop: Header=BB182_9 Depth=1
	s_waitcnt lgkmcnt(0)
	v_add_f64 v[15:16], v[15:16], v[34:35]
	v_add_f64 v[13:14], v[2:3], v[13:14]
	ds_write_b128 v51, v[13:16]
.LBB182_27:                             ;   in Loop: Header=BB182_9 Depth=1
	s_or_b32 exec_lo, exec_lo, s22
	v_mov_b32_e32 v15, 0
	s_waitcnt lgkmcnt(2)
	v_mov_b32_e32 v13, 0
	v_mov_b32_e32 v16, 0
	;; [unrolled: 1-line block ×3, first 2 shown]
	s_waitcnt lgkmcnt(0)
	s_barrier
	buffer_gl0_inv
	s_and_saveexec_b32 s22, s5
	s_cbranch_execnz .LBB182_47
; %bb.28:                               ;   in Loop: Header=BB182_9 Depth=1
	s_or_b32 exec_lo, exec_lo, s22
	s_and_saveexec_b32 s22, s4
	s_cbranch_execnz .LBB182_48
.LBB182_29:                             ;   in Loop: Header=BB182_9 Depth=1
	s_or_b32 exec_lo, exec_lo, s22
	s_and_saveexec_b32 s22, s4
	s_cbranch_execz .LBB182_31
.LBB182_30:                             ;   in Loop: Header=BB182_9 Depth=1
	v_mov_b32_e32 v2, v1
	v_mov_b32_e32 v3, v1
	;; [unrolled: 1-line block ×3, first 2 shown]
	ds_write_b128 v50, v[1:4]
.LBB182_31:                             ;   in Loop: Header=BB182_9 Depth=1
	s_or_b32 exec_lo, exec_lo, s22
	ds_bpermute_b32 v2, v45, v17
	ds_bpermute_b32 v3, v45, v18
	ds_bpermute_b32 v34, v45, v19
	ds_bpermute_b32 v35, v45, v20
	s_waitcnt lgkmcnt(0)
	s_barrier
	buffer_gl0_inv
	v_add_f64 v[2:3], v[17:18], v[2:3]
	v_add_f64 v[17:18], v[19:20], v[34:35]
	ds_bpermute_b32 v19, v46, v2
	ds_bpermute_b32 v20, v46, v3
	ds_bpermute_b32 v34, v46, v17
	ds_bpermute_b32 v35, v46, v18
	s_waitcnt lgkmcnt(2)
	v_add_f64 v[2:3], v[2:3], v[19:20]
	s_waitcnt lgkmcnt(0)
	v_add_f64 v[17:18], v[17:18], v[34:35]
	ds_bpermute_b32 v19, v47, v2
	ds_bpermute_b32 v20, v47, v3
	ds_bpermute_b32 v34, v47, v17
	ds_bpermute_b32 v35, v47, v18
	s_waitcnt lgkmcnt(2)
	v_add_f64 v[2:3], v[2:3], v[19:20]
	s_waitcnt lgkmcnt(0)
	;; [unrolled: 8-line block ×3, first 2 shown]
	v_add_f64 v[19:20], v[17:18], v[34:35]
	ds_bpermute_b32 v17, v49, v2
	ds_bpermute_b32 v18, v49, v3
	;; [unrolled: 1-line block ×4, first 2 shown]
	s_and_saveexec_b32 s22, s9
	s_cbranch_execz .LBB182_33
; %bb.32:                               ;   in Loop: Header=BB182_9 Depth=1
	s_waitcnt lgkmcnt(0)
	v_add_f64 v[19:20], v[19:20], v[34:35]
	v_add_f64 v[17:18], v[2:3], v[17:18]
	ds_write_b128 v51, v[17:20]
.LBB182_33:                             ;   in Loop: Header=BB182_9 Depth=1
	s_or_b32 exec_lo, exec_lo, s22
	v_mov_b32_e32 v19, 0
	s_waitcnt lgkmcnt(2)
	v_mov_b32_e32 v17, 0
	v_mov_b32_e32 v20, 0
	v_mov_b32_e32 v18, 0
	s_waitcnt lgkmcnt(0)
	s_barrier
	buffer_gl0_inv
	s_and_saveexec_b32 s22, s5
	s_cbranch_execnz .LBB182_49
; %bb.34:                               ;   in Loop: Header=BB182_9 Depth=1
	s_or_b32 exec_lo, exec_lo, s22
	s_and_saveexec_b32 s22, s4
	s_cbranch_execnz .LBB182_50
.LBB182_35:                             ;   in Loop: Header=BB182_9 Depth=1
	s_or_b32 exec_lo, exec_lo, s22
	s_and_saveexec_b32 s29, s10
	s_cbranch_execz .LBB182_8
	s_branch .LBB182_51
.LBB182_36:                             ;   in Loop: Header=BB182_9 Depth=1
	s_clause 0x2
	global_load_dwordx4 v[2:5], v[28:29], off
	global_load_dwordx4 v[6:9], v[30:31], off
	;; [unrolled: 1-line block ×3, first 2 shown]
	s_mul_i32 s30, s41, s27
	global_load_dwordx4 v[54:57], v[26:27], off
	s_ashr_i32 s31, s30, 31
	s_add_i32 s34, s30, s27
	s_lshl_b64 s[30:31], s[30:31], 4
	s_ashr_i32 s35, s34, 31
	s_add_i32 s36, s34, s27
	s_lshl_b64 s[34:35], s[34:35], 4
	s_waitcnt lgkmcnt(0)
	v_add_co_u32 v18, vcc_lo, v38, s30
	v_add_co_ci_u32_e64 v19, null, s31, v39, vcc_lo
	v_add_co_u32 v34, vcc_lo, v38, s34
	v_add_co_ci_u32_e64 v35, null, s35, v39, vcc_lo
	global_load_dwordx4 v[14:17], v[18:19], off
	s_ashr_i32 s37, s36, 31
	s_add_i32 s30, s36, s27
	global_load_dwordx4 v[58:61], v[34:35], off
	s_lshl_b64 s[36:37], s[36:37], 4
	s_ashr_i32 s31, s30, 31
	v_add_co_u32 v98, vcc_lo, v38, s36
	s_lshl_b64 s[30:31], s[30:31], 4
	v_add_co_ci_u32_e64 v99, null, s37, v39, vcc_lo
	v_add_co_u32 v102, vcc_lo, v38, s30
	v_add_co_ci_u32_e64 v103, null, s31, v39, vcc_lo
	s_clause 0x2
	global_load_dwordx4 v[62:65], v[18:19], off offset:16
	global_load_dwordx4 v[66:69], v[98:99], off
	global_load_dwordx4 v[70:73], v[102:103], off
	s_waitcnt vmcnt(8)
	buffer_store_dword v5, v36, s[0:3], 0 offen offset:12
	buffer_store_dword v4, v36, s[0:3], 0 offen offset:8
	;; [unrolled: 1-line block ×3, first 2 shown]
	buffer_store_dword v2, v36, s[0:3], 0 offen
	s_waitcnt vmcnt(7)
	buffer_store_dword v9, v37, s[0:3], 0 offen offset:12
	buffer_store_dword v8, v37, s[0:3], 0 offen offset:8
	;; [unrolled: 1-line block ×3, first 2 shown]
	buffer_store_dword v6, v37, s[0:3], 0 offen
	s_clause 0x6
	buffer_load_dword v106, off, s[0:3], 0 offset:16
	buffer_load_dword v109, off, s[0:3], 0 offset:28
	;; [unrolled: 1-line block ×7, first 2 shown]
	s_clause 0x2
	global_load_dwordx4 v[2:5], v[34:35], off offset:16
	global_load_dwordx4 v[6:9], v[98:99], off offset:16
	;; [unrolled: 1-line block ×3, first 2 shown]
	buffer_load_dword v112, off, s[0:3], 0 offset:40
	s_clause 0x4
	global_load_dwordx4 v[78:81], v[18:19], off offset:32
	global_load_dwordx4 v[82:85], v[34:35], off offset:32
	;; [unrolled: 1-line block ×5, first 2 shown]
	s_waitcnt vmcnt(22)
	buffer_store_dword v13, v40, s[0:3], 0 offen offset:12
	buffer_store_dword v12, v40, s[0:3], 0 offen offset:8
	;; [unrolled: 1-line block ×3, first 2 shown]
	s_clause 0x1
	buffer_load_dword v19, off, s[0:3], 0 offset:60
	buffer_load_dword v18, off, s[0:3], 0 offset:56
	buffer_store_dword v10, v40, s[0:3], 0 offen
	s_clause 0x1
	buffer_load_dword v114, off, s[0:3], 0 offset:48
	buffer_load_dword v115, off, s[0:3], 0 offset:52
	s_clause 0x2
	global_load_dwordx4 v[10:13], v[34:35], off offset:48
	global_load_dwordx4 v[98:101], v[98:99], off offset:48
	global_load_dwordx4 v[102:105], v[102:103], off offset:48
	s_waitcnt vmcnt(28)
	buffer_store_dword v57, off, s[0:3], 0 offset:12
	buffer_store_dword v56, off, s[0:3], 0 offset:8
	;; [unrolled: 1-line block ×3, first 2 shown]
	buffer_store_dword v54, off, s[0:3], 0
	s_waitcnt vmcnt(27)
	v_mul_f64 v[34:35], v[56:57], v[16:17]
	v_mul_f64 v[16:17], v[54:55], v[16:17]
	s_waitcnt vmcnt(26)
	v_mul_f64 v[116:117], v[56:57], v[60:61]
	v_mul_f64 v[60:61], v[54:55], v[60:61]
	;; [unrolled: 3-line block ×3, first 2 shown]
	s_waitcnt vmcnt(23)
	v_mul_f64 v[120:121], v[56:57], v[72:73]
	v_fma_f64 v[34:35], v[54:55], v[14:15], v[34:35]
	v_fma_f64 v[14:15], v[56:57], v[14:15], -v[16:17]
	v_mul_f64 v[16:17], v[54:55], v[72:73]
	v_fma_f64 v[72:73], v[54:55], v[58:59], v[116:117]
	v_fma_f64 v[58:59], v[56:57], v[58:59], -v[60:61]
	v_fma_f64 v[116:117], v[54:55], v[66:67], v[118:119]
	v_fma_f64 v[66:67], v[56:57], v[66:67], -v[68:69]
	v_fma_f64 v[118:119], v[54:55], v[70:71], v[120:121]
	v_add_f64 v[34:35], v[34:35], 0
	v_add_f64 v[14:15], v[14:15], 0
	v_fma_f64 v[16:17], v[56:57], v[70:71], -v[16:17]
	v_add_f64 v[72:73], v[72:73], 0
	v_add_f64 v[58:59], v[58:59], 0
	;; [unrolled: 1-line block ×4, first 2 shown]
	s_waitcnt vmcnt(17)
	v_mul_f64 v[60:61], v[108:109], v[64:65]
	s_waitcnt vmcnt(16)
	v_mul_f64 v[64:65], v[106:107], v[64:65]
	;; [unrolled: 2-line block ×3, first 2 shown]
	v_mul_f64 v[4:5], v[106:107], v[4:5]
	s_waitcnt vmcnt(14)
	v_mul_f64 v[70:71], v[108:109], v[8:9]
	v_mul_f64 v[8:9], v[106:107], v[8:9]
	s_waitcnt vmcnt(13)
	v_mul_f64 v[120:121], v[108:109], v[76:77]
	v_fma_f64 v[60:61], v[106:107], v[62:63], v[60:61]
	v_fma_f64 v[62:63], v[108:109], v[62:63], -v[64:65]
	v_mul_f64 v[64:65], v[106:107], v[76:77]
	s_waitcnt vmcnt(11)
	v_mul_f64 v[76:77], v[112:113], v[80:81]
	v_fma_f64 v[68:69], v[106:107], v[2:3], v[68:69]
	v_fma_f64 v[2:3], v[108:109], v[2:3], -v[4:5]
	;; [unrolled: 5-line block ×3, first 2 shown]
	v_mul_f64 v[8:9], v[110:111], v[84:85]
	s_waitcnt vmcnt(9)
	v_mul_f64 v[84:85], v[112:113], v[88:89]
	v_fma_f64 v[106:107], v[106:107], v[74:75], v[120:121]
	v_mul_f64 v[88:89], v[110:111], v[88:89]
	v_add_f64 v[34:35], v[34:35], v[60:61]
	v_add_f64 v[14:15], v[14:15], v[62:63]
	v_fma_f64 v[64:65], v[108:109], v[74:75], -v[64:65]
	s_waitcnt vmcnt(8)
	v_mul_f64 v[74:75], v[112:113], v[92:93]
	v_mul_f64 v[92:93], v[110:111], v[92:93]
	v_add_f64 v[108:109], v[116:117], 0
	v_add_f64 v[116:117], v[118:119], 0
	s_waitcnt vmcnt(5)
	v_mul_f64 v[118:119], v[18:19], v[96:97]
	v_fma_f64 v[76:77], v[110:111], v[78:79], v[76:77]
	v_fma_f64 v[4:5], v[112:113], v[78:79], -v[4:5]
	s_waitcnt vmcnt(3)
	v_mul_f64 v[78:79], v[114:115], v[96:97]
	s_waitcnt vmcnt(2)
	v_mul_f64 v[96:97], v[18:19], v[12:13]
	v_fma_f64 v[80:81], v[110:111], v[82:83], v[80:81]
	v_fma_f64 v[8:9], v[112:113], v[82:83], -v[8:9]
	v_mul_f64 v[12:13], v[114:115], v[12:13]
	s_waitcnt vmcnt(1)
	v_mul_f64 v[82:83], v[18:19], v[100:101]
	v_fma_f64 v[84:85], v[110:111], v[86:87], v[84:85]
	v_fma_f64 v[86:87], v[112:113], v[86:87], -v[88:89]
	v_mul_f64 v[88:89], v[114:115], v[100:101]
	s_waitcnt vmcnt(0)
	v_mul_f64 v[100:101], v[18:19], v[104:105]
	v_mul_f64 v[104:105], v[114:115], v[104:105]
	v_add_f64 v[60:61], v[72:73], v[68:69]
	v_add_f64 v[2:3], v[58:59], v[2:3]
	;; [unrolled: 1-line block ×4, first 2 shown]
	v_fma_f64 v[74:75], v[110:111], v[90:91], v[74:75]
	v_fma_f64 v[90:91], v[112:113], v[90:91], -v[92:93]
	v_add_f64 v[58:59], v[108:109], v[70:71]
	v_add_f64 v[62:63], v[116:117], v[106:107]
	v_fma_f64 v[64:65], v[114:115], v[94:95], v[118:119]
	v_add_f64 v[34:35], v[34:35], v[76:77]
	v_add_f64 v[4:5], v[14:15], v[4:5]
	v_fma_f64 v[66:67], v[18:19], v[94:95], -v[78:79]
	v_fma_f64 v[68:69], v[114:115], v[10:11], v[96:97]
	v_fma_f64 v[11:12], v[18:19], v[10:11], -v[12:13]
	v_fma_f64 v[70:71], v[114:115], v[98:99], v[82:83]
	;; [unrolled: 2-line block ×3, first 2 shown]
	v_fma_f64 v[19:20], v[18:19], v[102:103], -v[104:105]
	v_add_f64 v[13:14], v[60:61], v[80:81]
	v_add_f64 v[2:3], v[2:3], v[8:9]
	;; [unrolled: 1-line block ×14, first 2 shown]
	s_andn2_saveexec_b32 s22, s22
	s_cbranch_execz .LBB182_11
.LBB182_37:                             ;   in Loop: Header=BB182_9 Depth=1
	s_waitcnt lgkmcnt(0)
	v_mov_b32_e32 v17, 0
	v_mov_b32_e32 v19, 0
	v_mov_b32_e32 v13, 0
	v_mov_b32_e32 v15, 0
	v_mov_b32_e32 v9, 0
	v_mov_b32_e32 v11, 0
	v_mov_b32_e32 v7, 0
	v_mov_b32_e32 v5, 0
	v_mov_b32_e32 v18, 0
	v_mov_b32_e32 v20, 0
	v_mov_b32_e32 v14, 0
	v_mov_b32_e32 v16, 0
	v_mov_b32_e32 v10, 0
	v_mov_b32_e32 v12, 0
	v_mov_b32_e32 v8, 0
	v_mov_b32_e32 v6, 0
	s_and_saveexec_b32 s49, s8
	s_cbranch_execz .LBB182_53
; %bb.38:                               ;   in Loop: Header=BB182_9 Depth=1
	s_andn2_b32 vcc_lo, exec_lo, s44
	s_cbranch_vccnz .LBB182_52
; %bb.39:                               ;   in Loop: Header=BB182_9 Depth=1
	v_mov_b32_e32 v2, v25
	s_mov_b32 s29, 0
	s_mov_b32 s30, s40
	.p2align	6
.LBB182_40:                             ;   Parent Loop BB182_9 Depth=1
                                        ; =>  This Inner Loop Header: Depth=2
	v_ashrrev_i32_e32 v3, 31, v2
	v_mov_b32_e32 v7, s29
	s_add_i32 s30, s30, -1
	s_add_i32 s29, s29, 16
	s_cmp_eq_u32 s30, 0
	v_lshlrev_b64 v[3:4], 4, v[2:3]
	v_add_nc_u32_e32 v2, s33, v2
	v_add_co_u32 v3, vcc_lo, s38, v3
	v_add_co_ci_u32_e64 v4, null, s39, v4, vcc_lo
	global_load_dwordx4 v[3:6], v[3:4], off
	s_waitcnt vmcnt(0)
	buffer_store_dword v6, v7, s[0:3], 0 offen offset:12
	buffer_store_dword v5, v7, s[0:3], 0 offen offset:8
	;; [unrolled: 1-line block ×3, first 2 shown]
	buffer_store_dword v3, v7, s[0:3], 0 offen
	s_cbranch_scc0 .LBB182_40
; %bb.41:                               ;   in Loop: Header=BB182_9 Depth=1
	s_ashr_i32 s29, s28, 31
	v_mov_b32_e32 v5, 0
	s_lshl_b64 s[30:31], s[28:29], 4
	v_mov_b32_e32 v7, 0
	v_add_co_u32 v2, vcc_lo, v52, s30
	v_mov_b32_e32 v11, 0
	v_mov_b32_e32 v9, 0
	;; [unrolled: 1-line block ×6, first 2 shown]
	v_add_co_ci_u32_e64 v3, null, s31, v53, vcc_lo
	v_mov_b32_e32 v6, 0
	v_mov_b32_e32 v8, 0
	;; [unrolled: 1-line block ×8, first 2 shown]
	s_mov_b32 s29, 0
	s_mov_b32 s30, s47
	;; [unrolled: 1-line block ×5, first 2 shown]
.LBB182_42:                             ;   Parent Loop BB182_9 Depth=1
                                        ; =>  This Inner Loop Header: Depth=2
	s_ashr_i32 s37, s36, 31
	s_ashr_i32 s35, s34, 31
	s_lshl_b64 s[52:53], s[36:37], 4
	s_ashr_i32 s31, s30, 31
	s_lshl_b64 s[54:55], s[34:35], 4
	v_add_co_u32 v34, vcc_lo, v38, s52
	s_lshl_b64 s[56:57], s[30:31], 4
	v_add_co_ci_u32_e64 v35, null, s53, v39, vcc_lo
	v_add_co_u32 v62, vcc_lo, v38, s54
	v_mov_b32_e32 v4, s29
	v_add_co_ci_u32_e64 v63, null, s55, v39, vcc_lo
	v_add_co_u32 v66, vcc_lo, v38, s56
	v_add_co_ci_u32_e64 v67, null, s57, v39, vcc_lo
	global_load_dwordx4 v[54:57], v[2:3], off offset:-8
	s_clause 0x3
	buffer_load_dword v70, v4, s[0:3], 0 offen
	buffer_load_dword v72, v4, s[0:3], 0 offen offset:8
	buffer_load_dword v73, v4, s[0:3], 0 offen offset:12
	;; [unrolled: 1-line block ×3, first 2 shown]
	s_clause 0x2
	global_load_dwordx4 v[58:61], v[34:35], off
	global_load_dwordx4 v[62:65], v[62:63], off
	;; [unrolled: 1-line block ×3, first 2 shown]
	v_add_co_u32 v2, vcc_lo, v2, 16
	v_add_co_ci_u32_e64 v3, null, 0, v3, vcc_lo
	s_add_i32 s50, s50, -1
	s_add_i32 s29, s29, 16
	s_add_i32 s36, s36, 1
	;; [unrolled: 1-line block ×4, first 2 shown]
	s_cmp_lg_u32 s50, 0
	s_waitcnt vmcnt(4)
	v_mul_f64 v[34:35], v[72:73], v[56:57]
	s_waitcnt vmcnt(3)
	v_mul_f64 v[56:57], v[70:71], v[56:57]
	;; [unrolled: 2-line block ×3, first 2 shown]
	v_mul_f64 v[60:61], v[70:71], v[60:61]
	s_waitcnt vmcnt(1)
	v_mul_f64 v[76:77], v[72:73], v[64:65]
	v_mul_f64 v[64:65], v[70:71], v[64:65]
	s_waitcnt vmcnt(0)
	v_mul_f64 v[78:79], v[72:73], v[68:69]
	v_mul_f64 v[68:69], v[70:71], v[68:69]
	v_fma_f64 v[34:35], v[70:71], v[54:55], v[34:35]
	v_fma_f64 v[54:55], v[72:73], v[54:55], -v[56:57]
	v_fma_f64 v[56:57], v[70:71], v[58:59], v[74:75]
	v_fma_f64 v[58:59], v[72:73], v[58:59], -v[60:61]
	;; [unrolled: 2-line block ×4, first 2 shown]
	v_add_f64 v[7:8], v[7:8], v[34:35]
	v_add_f64 v[5:6], v[5:6], v[54:55]
	;; [unrolled: 1-line block ×8, first 2 shown]
	s_cbranch_scc1 .LBB182_42
	s_branch .LBB182_53
.LBB182_43:                             ;   in Loop: Header=BB182_9 Depth=1
	ds_read_b128 v[5:8], v50
	s_or_b32 exec_lo, exec_lo, s22
	s_and_saveexec_b32 s22, s4
	s_cbranch_execz .LBB182_17
.LBB182_44:                             ;   in Loop: Header=BB182_9 Depth=1
	s_waitcnt lgkmcnt(0)
	ds_bpermute_b32 v2, v47, v5
	ds_bpermute_b32 v3, v47, v6
	ds_bpermute_b32 v34, v47, v7
	ds_bpermute_b32 v35, v47, v8
	s_waitcnt lgkmcnt(2)
	v_add_f64 v[2:3], v[5:6], v[2:3]
	s_waitcnt lgkmcnt(0)
	v_add_f64 v[4:5], v[7:8], v[34:35]
	ds_bpermute_b32 v6, v48, v2
	ds_bpermute_b32 v7, v48, v3
	ds_bpermute_b32 v34, v48, v4
	ds_bpermute_b32 v35, v48, v5
	s_waitcnt lgkmcnt(2)
	v_add_f64 v[2:3], v[2:3], v[6:7]
	s_waitcnt lgkmcnt(0)
	v_add_f64 v[7:8], v[4:5], v[34:35]
	;; [unrolled: 8-line block ×3, first 2 shown]
	s_or_b32 exec_lo, exec_lo, s22
	s_and_saveexec_b32 s22, s4
	s_cbranch_execnz .LBB182_18
	s_branch .LBB182_19
.LBB182_45:                             ;   in Loop: Header=BB182_9 Depth=1
	ds_read_b128 v[9:12], v50
	s_or_b32 exec_lo, exec_lo, s22
	s_and_saveexec_b32 s22, s4
	s_cbranch_execz .LBB182_23
.LBB182_46:                             ;   in Loop: Header=BB182_9 Depth=1
	s_waitcnt lgkmcnt(0)
	ds_bpermute_b32 v2, v47, v9
	ds_bpermute_b32 v3, v47, v10
	ds_bpermute_b32 v34, v47, v11
	ds_bpermute_b32 v35, v47, v12
	s_waitcnt lgkmcnt(2)
	v_add_f64 v[2:3], v[9:10], v[2:3]
	s_waitcnt lgkmcnt(0)
	v_add_f64 v[9:10], v[11:12], v[34:35]
	ds_bpermute_b32 v11, v48, v2
	ds_bpermute_b32 v12, v48, v3
	ds_bpermute_b32 v34, v48, v9
	ds_bpermute_b32 v35, v48, v10
	s_waitcnt lgkmcnt(2)
	v_add_f64 v[2:3], v[2:3], v[11:12]
	s_waitcnt lgkmcnt(0)
	v_add_f64 v[11:12], v[9:10], v[34:35]
	;; [unrolled: 8-line block ×3, first 2 shown]
	s_or_b32 exec_lo, exec_lo, s22
	s_and_saveexec_b32 s22, s4
	s_cbranch_execnz .LBB182_24
	s_branch .LBB182_25
.LBB182_47:                             ;   in Loop: Header=BB182_9 Depth=1
	ds_read_b128 v[13:16], v50
	s_or_b32 exec_lo, exec_lo, s22
	s_and_saveexec_b32 s22, s4
	s_cbranch_execz .LBB182_29
.LBB182_48:                             ;   in Loop: Header=BB182_9 Depth=1
	s_waitcnt lgkmcnt(0)
	ds_bpermute_b32 v2, v47, v13
	ds_bpermute_b32 v3, v47, v14
	ds_bpermute_b32 v34, v47, v15
	ds_bpermute_b32 v35, v47, v16
	s_waitcnt lgkmcnt(2)
	v_add_f64 v[2:3], v[13:14], v[2:3]
	s_waitcnt lgkmcnt(0)
	v_add_f64 v[13:14], v[15:16], v[34:35]
	ds_bpermute_b32 v15, v48, v2
	ds_bpermute_b32 v16, v48, v3
	ds_bpermute_b32 v34, v48, v13
	ds_bpermute_b32 v35, v48, v14
	s_waitcnt lgkmcnt(2)
	v_add_f64 v[2:3], v[2:3], v[15:16]
	s_waitcnt lgkmcnt(0)
	v_add_f64 v[15:16], v[13:14], v[34:35]
	;; [unrolled: 8-line block ×3, first 2 shown]
	s_or_b32 exec_lo, exec_lo, s22
	s_and_saveexec_b32 s22, s4
	s_cbranch_execnz .LBB182_30
	s_branch .LBB182_31
.LBB182_49:                             ;   in Loop: Header=BB182_9 Depth=1
	ds_read_b128 v[17:20], v50
	s_or_b32 exec_lo, exec_lo, s22
	s_and_saveexec_b32 s22, s4
	s_cbranch_execz .LBB182_35
.LBB182_50:                             ;   in Loop: Header=BB182_9 Depth=1
	s_waitcnt lgkmcnt(0)
	ds_bpermute_b32 v2, v47, v17
	ds_bpermute_b32 v3, v47, v18
	ds_bpermute_b32 v34, v47, v19
	ds_bpermute_b32 v35, v47, v20
	s_waitcnt lgkmcnt(2)
	v_add_f64 v[2:3], v[17:18], v[2:3]
	s_waitcnt lgkmcnt(0)
	v_add_f64 v[17:18], v[19:20], v[34:35]
	ds_bpermute_b32 v19, v48, v2
	ds_bpermute_b32 v20, v48, v3
	ds_bpermute_b32 v34, v48, v17
	ds_bpermute_b32 v35, v48, v18
	s_waitcnt lgkmcnt(2)
	v_add_f64 v[2:3], v[2:3], v[19:20]
	s_waitcnt lgkmcnt(0)
	v_add_f64 v[19:20], v[17:18], v[34:35]
	;; [unrolled: 8-line block ×3, first 2 shown]
	s_or_b32 exec_lo, exec_lo, s22
	s_and_saveexec_b32 s29, s10
	s_cbranch_execz .LBB182_8
.LBB182_51:                             ;   in Loop: Header=BB182_9 Depth=1
	v_mul_f64 v[2:3], s[14:15], v[7:8]
	v_mul_f64 v[7:8], s[12:13], v[7:8]
	;; [unrolled: 1-line block ×6, first 2 shown]
	s_waitcnt lgkmcnt(0)
	v_mul_f64 v[56:57], s[14:15], v[19:20]
	v_mul_f64 v[19:20], s[12:13], v[19:20]
	s_mul_i32 s22, s41, s26
	s_add_i32 s22, s22, s6
	s_lshl_b64 s[30:31], s[22:23], 4
	s_add_u32 s30, s11, s30
	s_addc_u32 s31, s42, s31
	s_add_i32 s22, s22, s26
	s_lshl_b64 s[34:35], s[22:23], 4
	s_add_u32 s34, s11, s34
	s_addc_u32 s35, s42, s35
	v_fma_f64 v[2:3], s[12:13], v[5:6], -v[2:3]
	v_fma_f64 v[4:5], s[14:15], v[5:6], v[7:8]
	v_fma_f64 v[6:7], s[12:13], v[9:10], -v[34:35]
	v_fma_f64 v[8:9], s[14:15], v[9:10], v[11:12]
	;; [unrolled: 2-line block ×4, first 2 shown]
	s_add_i32 s22, s22, s26
	s_lshl_b64 s[36:37], s[22:23], 4
	s_add_u32 s36, s11, s36
	s_addc_u32 s37, s42, s37
	s_add_i32 s22, s22, s26
	s_lshl_b64 s[50:51], s[22:23], 4
	s_add_u32 s50, s11, s50
	s_addc_u32 s51, s42, s51
	global_store_dwordx4 v1, v[2:5], s[30:31]
	global_store_dwordx4 v1, v[6:9], s[34:35]
	;; [unrolled: 1-line block ×4, first 2 shown]
	s_branch .LBB182_8
.LBB182_52:                             ;   in Loop: Header=BB182_9 Depth=1
	v_mov_b32_e32 v17, 0
	v_mov_b32_e32 v19, 0
	;; [unrolled: 1-line block ×16, first 2 shown]
.LBB182_53:                             ;   in Loop: Header=BB182_9 Depth=1
	s_or_b32 exec_lo, exec_lo, s49
	s_or_b32 exec_lo, exec_lo, s22
	s_and_saveexec_b32 s22, s4
	s_cbranch_execnz .LBB182_12
	s_branch .LBB182_13
.LBB182_54:
	s_mov_b32 s41, 0
.LBB182_55:
	s_cmp_ge_i32 s41, s25
	s_cbranch_scc1 .LBB182_77
; %bb.56:
	v_cmp_gt_u32_e64 s5, 24, v41
	s_waitcnt lgkmcnt(0)
	v_lshlrev_b32_e32 v17, 4, v22
	v_cmp_gt_u32_e64 s4, 32, v0
	v_cmp_gt_u32_e64 s8, 8, v0
	v_cmp_eq_u32_e64 s9, 0, v0
	v_cndmask_b32_e64 v1, 0, 8, s5
	v_cmp_gt_u32_e64 s5, 28, v41
	s_cmp_gt_i32 s40, 0
	s_mov_b32 s7, 0
	v_cmp_ge_i32_e32 vcc_lo, s24, v43
	v_add_lshl_u32 v19, v1, v41, 2
	v_cndmask_b32_e64 v2, 0, 4, s5
	v_cmp_gt_u32_e64 s5, 30, v41
	v_add_nc_u32_e32 v1, s33, v21
	v_cmp_ge_i32_e64 s10, s24, v44
	s_cselect_b32 s24, -1, 0
	v_add_lshl_u32 v20, v2, v41, 2
	v_cndmask_b32_e64 v3, 0, 2, s5
	v_cmp_ne_u32_e64 s5, 31, v41
	v_ashrrev_i32_e32 v2, 31, v1
	v_add_nc_u32_e32 v0, s33, v1
	s_lshl_b64 s[22:23], s[6:7], 4
	v_add_lshl_u32 v25, v3, v41, 2
	v_add_co_ci_u32_e64 v4, null, 0, v41, s5
	v_cmp_eq_u32_e64 s5, 0, v22
	v_ashrrev_i32_e32 v22, 31, v21
	v_lshlrev_b64 v[7:8], 4, v[1:2]
	v_lshlrev_b32_e32 v26, 2, v4
	v_ashrrev_i32_e32 v1, 31, v0
	s_add_u32 s7, s11, s22
	v_lshlrev_b64 v[3:4], 4, v[21:22]
	s_addc_u32 s22, s42, s23
	s_and_b32 s23, s24, s10
	v_lshlrev_b64 v[1:2], 4, v[0:1]
	v_lshl_or_b32 v18, v41, 2, 64
	v_and_b32_e32 v27, 0x70, v42
	v_add_co_u32 v5, s6, s38, v3
	v_add_nc_u32_e32 v3, s33, v0
	v_add_co_ci_u32_e64 v6, null, s39, v4, s6
	v_add_co_u32 v7, s6, s38, v7
	v_ashrrev_i32_e32 v4, 31, v3
	v_add_co_ci_u32_e64 v8, null, s39, v8, s6
	v_add_co_u32 v9, s6, s38, v1
	v_add_co_ci_u32_e64 v10, null, s39, v2, s6
	s_add_u32 s6, s20, s18
	v_lshlrev_b64 v[0:1], 4, v[3:4]
	s_addc_u32 s10, s21, s19
	s_add_u32 s6, s16, s6
	s_addc_u32 s10, s17, s10
	v_add_co_u32 v2, s6, s6, v23
	v_add_co_ci_u32_e64 v3, null, s10, v24, s6
	v_add_co_u32 v11, s6, s38, v0
	v_add_co_ci_u32_e64 v12, null, s39, v1, s6
	;; [unrolled: 2-line block ×3, first 2 shown]
	v_mov_b32_e32 v0, 0
	s_mul_i32 s10, s41, s27
	s_branch .LBB182_58
.LBB182_57:                             ;   in Loop: Header=BB182_58 Depth=1
	s_or_b32 exec_lo, exec_lo, s6
	s_add_i32 s41, s41, 1
	s_add_i32 s10, s10, s27
	s_cmp_lt_i32 s41, s25
	s_cbranch_scc0 .LBB182_77
.LBB182_58:                             ; =>This Loop Header: Depth=1
                                        ;     Child Loop BB182_70 Depth 2
                                        ;     Child Loop BB182_72 Depth 2
                                        ; implicit-def: $vgpr13_vgpr14
                                        ; implicit-def: $vgpr15_vgpr16
	s_and_saveexec_b32 s6, vcc_lo
	s_xor_b32 s11, exec_lo, s6
	s_cbranch_execnz .LBB182_67
; %bb.59:                               ;   in Loop: Header=BB182_58 Depth=1
	s_andn2_saveexec_b32 s16, s11
	s_cbranch_execnz .LBB182_68
.LBB182_60:                             ;   in Loop: Header=BB182_58 Depth=1
	s_or_b32 exec_lo, exec_lo, s16
	s_and_saveexec_b32 s6, s4
	s_cbranch_execz .LBB182_62
.LBB182_61:                             ;   in Loop: Header=BB182_58 Depth=1
	s_waitcnt lgkmcnt(0)
	v_mov_b32_e32 v1, v0
	v_mov_b32_e32 v2, v0
	;; [unrolled: 1-line block ×3, first 2 shown]
	ds_write_b128 v17, v[0:3]
.LBB182_62:                             ;   in Loop: Header=BB182_58 Depth=1
	s_or_b32 exec_lo, exec_lo, s6
	s_waitcnt lgkmcnt(0)
	ds_bpermute_b32 v1, v18, v13
	ds_bpermute_b32 v2, v18, v14
	;; [unrolled: 1-line block ×4, first 2 shown]
	s_waitcnt lgkmcnt(0)
	s_waitcnt_vscnt null, 0x0
	s_barrier
	buffer_gl0_inv
	v_add_f64 v[1:2], v[13:14], v[1:2]
	v_add_f64 v[3:4], v[15:16], v[3:4]
	ds_bpermute_b32 v13, v19, v1
	ds_bpermute_b32 v14, v19, v2
	ds_bpermute_b32 v15, v19, v3
	ds_bpermute_b32 v16, v19, v4
	s_waitcnt lgkmcnt(2)
	v_add_f64 v[1:2], v[1:2], v[13:14]
	s_waitcnt lgkmcnt(0)
	v_add_f64 v[3:4], v[3:4], v[15:16]
	ds_bpermute_b32 v13, v20, v1
	ds_bpermute_b32 v14, v20, v2
	ds_bpermute_b32 v15, v20, v3
	ds_bpermute_b32 v16, v20, v4
	s_waitcnt lgkmcnt(2)
	v_add_f64 v[1:2], v[1:2], v[13:14]
	s_waitcnt lgkmcnt(0)
	;; [unrolled: 8-line block ×3, first 2 shown]
	v_add_f64 v[13:14], v[3:4], v[15:16]
	ds_bpermute_b32 v3, v26, v1
	ds_bpermute_b32 v4, v26, v2
	;; [unrolled: 1-line block ×4, first 2 shown]
	s_and_saveexec_b32 s6, s5
	s_cbranch_execz .LBB182_64
; %bb.63:                               ;   in Loop: Header=BB182_58 Depth=1
	s_waitcnt lgkmcnt(0)
	v_add_f64 v[15:16], v[13:14], v[15:16]
	v_add_f64 v[13:14], v[1:2], v[3:4]
	ds_write_b128 v27, v[13:16]
.LBB182_64:                             ;   in Loop: Header=BB182_58 Depth=1
	s_or_b32 exec_lo, exec_lo, s6
	s_waitcnt lgkmcnt(2)
	v_mov_b32_e32 v3, 0
	v_mov_b32_e32 v1, 0
	;; [unrolled: 1-line block ×4, first 2 shown]
	s_waitcnt lgkmcnt(0)
	s_barrier
	buffer_gl0_inv
	s_and_saveexec_b32 s6, s8
	s_cbranch_execnz .LBB182_74
; %bb.65:                               ;   in Loop: Header=BB182_58 Depth=1
	s_or_b32 exec_lo, exec_lo, s6
	s_and_saveexec_b32 s6, s4
	s_cbranch_execnz .LBB182_75
.LBB182_66:                             ;   in Loop: Header=BB182_58 Depth=1
	s_or_b32 exec_lo, exec_lo, s6
	s_and_saveexec_b32 s6, s9
	s_cbranch_execz .LBB182_57
	s_branch .LBB182_76
.LBB182_67:                             ;   in Loop: Header=BB182_58 Depth=1
	s_waitcnt lgkmcnt(0)
	s_clause 0x2
	global_load_dwordx4 v[1:4], v[7:8], off
	global_load_dwordx4 v[13:16], v[9:10], off
	;; [unrolled: 1-line block ×3, first 2 shown]
	s_mul_i32 s16, s41, s27
	s_ashr_i32 s17, s16, 31
	s_lshl_b64 s[16:17], s[16:17], 4
	v_add_co_u32 v49, s6, v38, s16
	v_add_co_ci_u32_e64 v50, null, s17, v39, s6
	global_load_dwordx4 v[32:35], v[5:6], off
	s_clause 0x1
	global_load_dwordx4 v[41:44], v[49:50], off
	global_load_dwordx4 v[45:48], v[49:50], off offset:16
	s_waitcnt vmcnt(5)
	buffer_store_dword v4, v36, s[0:3], 0 offen offset:12
	buffer_store_dword v3, v36, s[0:3], 0 offen offset:8
	;; [unrolled: 1-line block ×3, first 2 shown]
	buffer_store_dword v1, v36, s[0:3], 0 offen
	s_waitcnt vmcnt(4)
	buffer_store_dword v16, v37, s[0:3], 0 offen offset:12
	buffer_store_dword v15, v37, s[0:3], 0 offen offset:8
	;; [unrolled: 1-line block ×3, first 2 shown]
	buffer_store_dword v13, v37, s[0:3], 0 offen
	s_clause 0x7
	buffer_load_dword v51, off, s[0:3], 0 offset:16
	buffer_load_dword v54, off, s[0:3], 0 offset:28
	;; [unrolled: 1-line block ×8, first 2 shown]
	s_clause 0x1
	global_load_dwordx4 v[1:4], v[49:50], off offset:32
	global_load_dwordx4 v[13:16], v[49:50], off offset:48
	s_waitcnt vmcnt(13)
	buffer_store_dword v31, v40, s[0:3], 0 offen offset:12
	buffer_store_dword v30, v40, s[0:3], 0 offen offset:8
	;; [unrolled: 1-line block ×3, first 2 shown]
	buffer_store_dword v28, v40, s[0:3], 0 offen
	s_clause 0x3
	buffer_load_dword v28, off, s[0:3], 0 offset:48
	buffer_load_dword v31, off, s[0:3], 0 offset:60
	;; [unrolled: 1-line block ×4, first 2 shown]
	s_waitcnt vmcnt(16)
	buffer_store_dword v35, off, s[0:3], 0 offset:12
	buffer_store_dword v34, off, s[0:3], 0 offset:8
	;; [unrolled: 1-line block ×3, first 2 shown]
	buffer_store_dword v32, off, s[0:3], 0
	s_waitcnt vmcnt(15)
	v_mul_f64 v[49:50], v[43:44], v[34:35]
	v_mul_f64 v[43:44], v[43:44], v[32:33]
	v_fma_f64 v[49:50], v[41:42], v[32:33], v[49:50]
	v_fma_f64 v[41:42], v[41:42], v[34:35], -v[43:44]
	v_add_f64 v[49:50], v[49:50], 0
	v_add_f64 v[41:42], v[41:42], 0
	s_waitcnt vmcnt(8)
	v_mul_f64 v[43:44], v[47:48], v[53:54]
	s_waitcnt vmcnt(7)
	v_mul_f64 v[47:48], v[47:48], v[51:52]
	;; [unrolled: 2-line block ×3, first 2 shown]
	v_mul_f64 v[3:4], v[3:4], v[55:56]
	v_fma_f64 v[43:44], v[45:46], v[51:52], v[43:44]
	v_fma_f64 v[45:46], v[45:46], v[53:54], -v[47:48]
	s_waitcnt vmcnt(1)
	v_mul_f64 v[47:48], v[15:16], v[30:31]
	s_waitcnt vmcnt(0)
	v_mul_f64 v[15:16], v[15:16], v[28:29]
	v_fma_f64 v[51:52], v[1:2], v[55:56], v[59:60]
	v_fma_f64 v[1:2], v[1:2], v[57:58], -v[3:4]
	v_add_f64 v[3:4], v[49:50], v[43:44]
	v_add_f64 v[41:42], v[41:42], v[45:46]
	v_fma_f64 v[28:29], v[13:14], v[28:29], v[47:48]
	v_fma_f64 v[15:16], v[13:14], v[30:31], -v[15:16]
	v_add_f64 v[3:4], v[3:4], v[51:52]
	v_add_f64 v[1:2], v[41:42], v[1:2]
	v_add_f64 v[13:14], v[3:4], v[28:29]
	v_add_f64 v[15:16], v[1:2], v[15:16]
	s_andn2_saveexec_b32 s16, s11
	s_cbranch_execz .LBB182_60
.LBB182_68:                             ;   in Loop: Header=BB182_58 Depth=1
	v_mov_b32_e32 v13, 0
	v_mov_b32_e32 v15, 0
	v_mov_b32_e32 v14, 0
	v_mov_b32_e32 v16, 0
	s_and_saveexec_b32 s17, s23
	s_cbranch_execz .LBB182_73
; %bb.69:                               ;   in Loop: Header=BB182_58 Depth=1
	s_waitcnt lgkmcnt(0)
	v_mov_b32_e32 v1, v21
	s_mov_b32 s11, 0
	s_mov_b32 s18, s40
	.p2align	6
.LBB182_70:                             ;   Parent Loop BB182_58 Depth=1
                                        ; =>  This Inner Loop Header: Depth=2
	v_ashrrev_i32_e32 v2, 31, v1
	s_add_i32 s18, s18, -1
	v_lshlrev_b64 v[2:3], 4, v[1:2]
	v_add_nc_u32_e32 v1, s33, v1
	v_add_co_u32 v2, s6, s38, v2
	v_add_co_ci_u32_e64 v3, null, s39, v3, s6
	global_load_dwordx4 v[13:16], v[2:3], off
	v_mov_b32_e32 v2, s11
	s_add_i32 s11, s11, 16
	s_cmp_eq_u32 s18, 0
	s_waitcnt vmcnt(0)
	buffer_store_dword v16, v2, s[0:3], 0 offen offset:12
	buffer_store_dword v15, v2, s[0:3], 0 offen offset:8
	buffer_store_dword v14, v2, s[0:3], 0 offen offset:4
	buffer_store_dword v13, v2, s[0:3], 0 offen
	s_cbranch_scc0 .LBB182_70
; %bb.71:                               ;   in Loop: Header=BB182_58 Depth=1
	s_ashr_i32 s11, s10, 31
	v_mov_b32_e32 v13, 0
	s_lshl_b64 s[18:19], s[10:11], 4
	v_mov_b32_e32 v15, 0
	v_add_co_u32 v1, s6, v22, s18
	v_mov_b32_e32 v14, 0
	v_mov_b32_e32 v16, 0
	v_add_co_ci_u32_e64 v2, null, s19, v23, s6
	s_mov_b32 s11, 0
	s_mov_b32 s18, s40
	.p2align	6
.LBB182_72:                             ;   Parent Loop BB182_58 Depth=1
                                        ; =>  This Inner Loop Header: Depth=2
	v_mov_b32_e32 v4, s11
	global_load_dwordx4 v[28:31], v[1:2], off offset:-8
	v_add_co_u32 v1, s6, v1, 16
	v_add_co_ci_u32_e64 v2, null, 0, v2, s6
	s_clause 0x3
	buffer_load_dword v3, v4, s[0:3], 0 offen
	buffer_load_dword v32, v4, s[0:3], 0 offen offset:8
	buffer_load_dword v33, v4, s[0:3], 0 offen offset:12
	;; [unrolled: 1-line block ×3, first 2 shown]
	s_add_i32 s18, s18, -1
	s_add_i32 s11, s11, 16
	s_cmp_lg_u32 s18, 0
	s_waitcnt vmcnt(1)
	v_mul_f64 v[34:35], v[30:31], v[32:33]
	s_waitcnt vmcnt(0)
	v_mul_f64 v[30:31], v[30:31], v[3:4]
	v_fma_f64 v[3:4], v[28:29], v[3:4], v[34:35]
	v_fma_f64 v[28:29], v[28:29], v[32:33], -v[30:31]
	v_add_f64 v[13:14], v[13:14], v[3:4]
	v_add_f64 v[15:16], v[15:16], v[28:29]
	s_cbranch_scc1 .LBB182_72
.LBB182_73:                             ;   in Loop: Header=BB182_58 Depth=1
	s_or_b32 exec_lo, exec_lo, s17
	s_or_b32 exec_lo, exec_lo, s16
	s_and_saveexec_b32 s6, s4
	s_cbranch_execnz .LBB182_61
	s_branch .LBB182_62
.LBB182_74:                             ;   in Loop: Header=BB182_58 Depth=1
	ds_read_b128 v[1:4], v17
	s_or_b32 exec_lo, exec_lo, s6
	s_and_saveexec_b32 s6, s4
	s_cbranch_execz .LBB182_66
.LBB182_75:                             ;   in Loop: Header=BB182_58 Depth=1
	s_waitcnt lgkmcnt(0)
	ds_bpermute_b32 v13, v20, v1
	ds_bpermute_b32 v14, v20, v2
	ds_bpermute_b32 v15, v20, v3
	ds_bpermute_b32 v16, v20, v4
	s_waitcnt lgkmcnt(2)
	v_add_f64 v[1:2], v[1:2], v[13:14]
	s_waitcnt lgkmcnt(0)
	v_add_f64 v[3:4], v[3:4], v[15:16]
	ds_bpermute_b32 v13, v25, v1
	ds_bpermute_b32 v14, v25, v2
	ds_bpermute_b32 v15, v25, v3
	ds_bpermute_b32 v16, v25, v4
	s_waitcnt lgkmcnt(2)
	v_add_f64 v[1:2], v[1:2], v[13:14]
	s_waitcnt lgkmcnt(0)
	v_add_f64 v[3:4], v[3:4], v[15:16]
	;; [unrolled: 8-line block ×3, first 2 shown]
	s_or_b32 exec_lo, exec_lo, s6
	s_and_saveexec_b32 s6, s9
	s_cbranch_execz .LBB182_57
.LBB182_76:                             ;   in Loop: Header=BB182_58 Depth=1
	s_waitcnt lgkmcnt(0)
	v_mul_f64 v[13:14], s[14:15], v[3:4]
	v_mul_f64 v[3:4], s[12:13], v[3:4]
	s_mul_hi_u32 s17, s41, s26
	s_mul_i32 s16, s41, s26
	s_lshl_b64 s[16:17], s[16:17], 4
	s_add_u32 s16, s7, s16
	s_addc_u32 s17, s22, s17
	v_fma_f64 v[13:14], s[12:13], v[1:2], -v[13:14]
	v_fma_f64 v[15:16], s[14:15], v[1:2], v[3:4]
	global_store_dwordx4 v0, v[13:16], s[16:17]
	s_branch .LBB182_57
.LBB182_77:
	s_endpgm
	.section	.rodata,"a",@progbits
	.p2align	6, 0x0
	.amdhsa_kernel _ZL23rocblas_gemvt_sn_kernelILb1ELi256ELi4Ei19rocblas_complex_numIdES1_S1_EviiT4_lPKT3_lilS5_lilPT5_i
		.amdhsa_group_segment_fixed_size 512
		.amdhsa_private_segment_fixed_size 80
		.amdhsa_kernarg_size 368
		.amdhsa_user_sgpr_count 6
		.amdhsa_user_sgpr_private_segment_buffer 1
		.amdhsa_user_sgpr_dispatch_ptr 0
		.amdhsa_user_sgpr_queue_ptr 0
		.amdhsa_user_sgpr_kernarg_segment_ptr 1
		.amdhsa_user_sgpr_dispatch_id 0
		.amdhsa_user_sgpr_flat_scratch_init 0
		.amdhsa_user_sgpr_private_segment_size 0
		.amdhsa_wavefront_size32 1
		.amdhsa_uses_dynamic_stack 0
		.amdhsa_system_sgpr_private_segment_wavefront_offset 1
		.amdhsa_system_sgpr_workgroup_id_x 1
		.amdhsa_system_sgpr_workgroup_id_y 0
		.amdhsa_system_sgpr_workgroup_id_z 1
		.amdhsa_system_sgpr_workgroup_info 0
		.amdhsa_system_vgpr_workitem_id 0
		.amdhsa_next_free_vgpr 122
		.amdhsa_next_free_sgpr 58
		.amdhsa_reserve_vcc 1
		.amdhsa_reserve_flat_scratch 0
		.amdhsa_float_round_mode_32 0
		.amdhsa_float_round_mode_16_64 0
		.amdhsa_float_denorm_mode_32 3
		.amdhsa_float_denorm_mode_16_64 3
		.amdhsa_dx10_clamp 1
		.amdhsa_ieee_mode 1
		.amdhsa_fp16_overflow 0
		.amdhsa_workgroup_processor_mode 1
		.amdhsa_memory_ordered 1
		.amdhsa_forward_progress 1
		.amdhsa_shared_vgpr_count 0
		.amdhsa_exception_fp_ieee_invalid_op 0
		.amdhsa_exception_fp_denorm_src 0
		.amdhsa_exception_fp_ieee_div_zero 0
		.amdhsa_exception_fp_ieee_overflow 0
		.amdhsa_exception_fp_ieee_underflow 0
		.amdhsa_exception_fp_ieee_inexact 0
		.amdhsa_exception_int_div_zero 0
	.end_amdhsa_kernel
	.section	.text._ZL23rocblas_gemvt_sn_kernelILb1ELi256ELi4Ei19rocblas_complex_numIdES1_S1_EviiT4_lPKT3_lilS5_lilPT5_i,"axG",@progbits,_ZL23rocblas_gemvt_sn_kernelILb1ELi256ELi4Ei19rocblas_complex_numIdES1_S1_EviiT4_lPKT3_lilS5_lilPT5_i,comdat
.Lfunc_end182:
	.size	_ZL23rocblas_gemvt_sn_kernelILb1ELi256ELi4Ei19rocblas_complex_numIdES1_S1_EviiT4_lPKT3_lilS5_lilPT5_i, .Lfunc_end182-_ZL23rocblas_gemvt_sn_kernelILb1ELi256ELi4Ei19rocblas_complex_numIdES1_S1_EviiT4_lPKT3_lilS5_lilPT5_i
                                        ; -- End function
	.set _ZL23rocblas_gemvt_sn_kernelILb1ELi256ELi4Ei19rocblas_complex_numIdES1_S1_EviiT4_lPKT3_lilS5_lilPT5_i.num_vgpr, 122
	.set _ZL23rocblas_gemvt_sn_kernelILb1ELi256ELi4Ei19rocblas_complex_numIdES1_S1_EviiT4_lPKT3_lilS5_lilPT5_i.num_agpr, 0
	.set _ZL23rocblas_gemvt_sn_kernelILb1ELi256ELi4Ei19rocblas_complex_numIdES1_S1_EviiT4_lPKT3_lilS5_lilPT5_i.numbered_sgpr, 58
	.set _ZL23rocblas_gemvt_sn_kernelILb1ELi256ELi4Ei19rocblas_complex_numIdES1_S1_EviiT4_lPKT3_lilS5_lilPT5_i.num_named_barrier, 0
	.set _ZL23rocblas_gemvt_sn_kernelILb1ELi256ELi4Ei19rocblas_complex_numIdES1_S1_EviiT4_lPKT3_lilS5_lilPT5_i.private_seg_size, 80
	.set _ZL23rocblas_gemvt_sn_kernelILb1ELi256ELi4Ei19rocblas_complex_numIdES1_S1_EviiT4_lPKT3_lilS5_lilPT5_i.uses_vcc, 1
	.set _ZL23rocblas_gemvt_sn_kernelILb1ELi256ELi4Ei19rocblas_complex_numIdES1_S1_EviiT4_lPKT3_lilS5_lilPT5_i.uses_flat_scratch, 0
	.set _ZL23rocblas_gemvt_sn_kernelILb1ELi256ELi4Ei19rocblas_complex_numIdES1_S1_EviiT4_lPKT3_lilS5_lilPT5_i.has_dyn_sized_stack, 0
	.set _ZL23rocblas_gemvt_sn_kernelILb1ELi256ELi4Ei19rocblas_complex_numIdES1_S1_EviiT4_lPKT3_lilS5_lilPT5_i.has_recursion, 0
	.set _ZL23rocblas_gemvt_sn_kernelILb1ELi256ELi4Ei19rocblas_complex_numIdES1_S1_EviiT4_lPKT3_lilS5_lilPT5_i.has_indirect_call, 0
	.section	.AMDGPU.csdata,"",@progbits
; Kernel info:
; codeLenInByte = 7984
; TotalNumSgprs: 60
; NumVgprs: 122
; ScratchSize: 80
; MemoryBound: 0
; FloatMode: 240
; IeeeMode: 1
; LDSByteSize: 512 bytes/workgroup (compile time only)
; SGPRBlocks: 0
; VGPRBlocks: 15
; NumSGPRsForWavesPerEU: 60
; NumVGPRsForWavesPerEU: 122
; Occupancy: 8
; WaveLimiterHint : 1
; COMPUTE_PGM_RSRC2:SCRATCH_EN: 1
; COMPUTE_PGM_RSRC2:USER_SGPR: 6
; COMPUTE_PGM_RSRC2:TRAP_HANDLER: 0
; COMPUTE_PGM_RSRC2:TGID_X_EN: 1
; COMPUTE_PGM_RSRC2:TGID_Y_EN: 0
; COMPUTE_PGM_RSRC2:TGID_Z_EN: 1
; COMPUTE_PGM_RSRC2:TIDIG_COMP_CNT: 0
	.section	.text._ZL23rocblas_gemvt_sn_kernelILb1ELi256ELi4El19rocblas_complex_numIdES1_S1_EviiT4_lPKT3_lilS5_lilPT5_i,"axG",@progbits,_ZL23rocblas_gemvt_sn_kernelILb1ELi256ELi4El19rocblas_complex_numIdES1_S1_EviiT4_lPKT3_lilS5_lilPT5_i,comdat
	.globl	_ZL23rocblas_gemvt_sn_kernelILb1ELi256ELi4El19rocblas_complex_numIdES1_S1_EviiT4_lPKT3_lilS5_lilPT5_i ; -- Begin function _ZL23rocblas_gemvt_sn_kernelILb1ELi256ELi4El19rocblas_complex_numIdES1_S1_EviiT4_lPKT3_lilS5_lilPT5_i
	.p2align	8
	.type	_ZL23rocblas_gemvt_sn_kernelILb1ELi256ELi4El19rocblas_complex_numIdES1_S1_EviiT4_lPKT3_lilS5_lilPT5_i,@function
_ZL23rocblas_gemvt_sn_kernelILb1ELi256ELi4El19rocblas_complex_numIdES1_S1_EviiT4_lPKT3_lilS5_lilPT5_i: ; @_ZL23rocblas_gemvt_sn_kernelILb1ELi256ELi4El19rocblas_complex_numIdES1_S1_EviiT4_lPKT3_lilS5_lilPT5_i
; %bb.0:
	s_clause 0x2
	s_load_dwordx4 s[12:15], s[4:5], 0x8
	s_load_dwordx2 s[28:29], s[4:5], 0x0
	s_load_dword s30, s[4:5], 0x70
	s_add_u32 s0, s0, s8
	s_load_dwordx4 s[24:27], s[4:5], 0x58
	s_addc_u32 s1, s1, 0
	s_mov_b32 s31, 0
	s_waitcnt lgkmcnt(0)
	v_cmp_neq_f64_e64 s8, s[12:13], 0
	v_cmp_neq_f64_e64 s9, s[14:15], 0
	s_ashr_i32 s40, s29, 31
	s_mul_hi_u32 s10, s29, s7
	s_mul_i32 s16, s40, s7
	s_mul_i32 s11, s29, s7
	s_add_i32 s16, s10, s16
	s_mul_hi_u32 s17, s11, s30
	s_mul_i32 s16, s16, s30
	s_mul_i32 s10, s11, s30
	s_add_i32 s11, s17, s16
	s_or_b32 s8, s8, s9
	s_mov_b32 s9, -1
	s_and_b32 vcc_lo, exec_lo, s8
	v_cmp_eq_u32_e64 s8, 0, v0
	s_cbranch_vccnz .LBB183_5
; %bb.1:
	s_cmp_gt_i32 s29, 0
	s_cselect_b32 s9, -1, 0
	s_and_b32 s8, s8, s9
	s_and_saveexec_b32 s18, s8
	s_cbranch_execz .LBB183_4
; %bb.2:
	s_mov_b32 s8, s7
	s_mov_b32 s7, 0
	v_mov_b32_e32 v1, 0
	s_lshl_b64 s[16:17], s[10:11], 4
	s_lshl_b64 s[20:21], s[6:7], 4
	s_mov_b32 s7, s8
	s_add_u32 s8, s16, s20
	s_addc_u32 s9, s17, s21
	s_add_u32 s8, s26, s8
	v_mov_b32_e32 v2, v1
	v_mov_b32_e32 v3, v1
	;; [unrolled: 1-line block ×3, first 2 shown]
	s_addc_u32 s9, s27, s9
	s_add_u32 s8, s8, 8
	s_addc_u32 s9, s9, 0
	s_lshl_b64 s[16:17], s[30:31], 4
	s_mov_b32 s19, s29
.LBB183_3:                              ; =>This Inner Loop Header: Depth=1
	s_add_i32 s19, s19, -1
	global_store_dwordx4 v1, v[1:4], s[8:9] offset:-8
	s_add_u32 s8, s8, s16
	s_addc_u32 s9, s9, s17
	s_cmp_eq_u32 s19, 0
	s_cbranch_scc0 .LBB183_3
.LBB183_4:
	s_or_b32 exec_lo, exec_lo, s18
	s_mov_b32 s9, 0
.LBB183_5:
	s_andn2_b32 vcc_lo, exec_lo, s9
	s_cbranch_vccnz .LBB183_77
; %bb.6:
	s_clause 0x4
	s_load_dword s34, s[4:5], 0x30
	s_load_dword s36, s[4:5], 0x50
	s_load_dwordx4 s[20:23], s[4:5], 0x38
	s_load_dwordx2 s[8:9], s[4:5], 0x48
	s_load_dwordx4 s[16:19], s[4:5], 0x20
	s_mul_i32 s5, s25, s7
	s_mul_hi_u32 s25, s24, s7
	s_mul_i32 s4, s24, s7
	s_add_i32 s5, s25, s5
	v_and_b32_e32 v43, 31, v0
	s_lshl_b64 s[24:25], s[4:5], 4
	v_mbcnt_lo_u32_b32 v47, -1, 0
	v_lshrrev_b32_e32 v46, 1, v0
	v_mov_b32_e32 v40, 16
	v_mov_b32_e32 v41, 32
	;; [unrolled: 1-line block ×3, first 2 shown]
	s_waitcnt lgkmcnt(0)
	s_ashr_i32 s35, s34, 31
	s_ashr_i32 s37, s36, 31
	s_add_u32 s4, s22, s24
	s_addc_u32 s5, s23, s25
	s_lshl_b64 s[38:39], s[8:9], 4
	s_mul_i32 s21, s21, s7
	s_add_u32 s33, s4, s38
	s_addc_u32 s44, s5, s39
	s_lshl_b64 s[4:5], s[10:11], 4
	s_mul_hi_u32 s9, s20, s7
	s_add_u32 s45, s26, s4
	s_mul_i32 s8, s20, s7
	s_addc_u32 s46, s27, s5
	s_add_i32 s9, s9, s21
	v_cmp_gt_u32_e64 s4, 32, v0
	s_lshl_b64 s[20:21], s[8:9], 4
	v_cmp_gt_u32_e64 s5, 8, v0
	s_add_u32 s7, s16, s20
	s_addc_u32 s8, s17, s21
	s_lshl_b64 s[18:19], s[18:19], 4
	s_add_u32 s7, s7, s18
	s_addc_u32 s8, s8, s19
	s_lshl_b32 s9, s6, 10
	s_lshr_b32 s10, s40, 30
	v_lshl_or_b32 v25, v0, 2, s9
	s_ashr_i32 s9, s28, 31
	s_add_i32 s10, s29, s10
	s_lshr_b32 s9, s9, 30
	s_and_b32 s47, s10, -4
	v_ashrrev_i32_e32 v26, 31, v25
	s_add_i32 s9, s28, s9
	v_add_nc_u32_e32 v49, 4, v25
	s_and_b32 s9, s9, -4
	v_or_b32_e32 v48, 1, v25
	v_lshlrev_b64 v[23:24], 4, v[25:26]
	s_sub_i32 s31, s28, s9
	v_or_b32_e32 v45, 2, v25
	v_add_nc_u32_e32 v50, s31, v25
	v_or_b32_e32 v44, 3, v25
	s_cmp_lt_i32 s47, 1
	v_add_co_u32 v21, vcc_lo, s7, v23
	v_add_co_ci_u32_e64 v22, null, s8, v24, vcc_lo
	s_cbranch_scc1 .LBB183_54
; %bb.7:
	v_cmp_gt_u32_e32 vcc_lo, 24, v47
	v_mad_i64_i32 v[5:6], null, s36, v45, 0
	v_mad_i64_i32 v[7:8], null, s36, v44, 0
	v_cndmask_b32_e64 v1, 0, 8, vcc_lo
	v_cmp_gt_u32_e32 vcc_lo, 28, v47
	s_cmp_gt_i32 s31, 0
	s_mov_b32 s7, 0
	v_lshlrev_b64 v[5:6], 4, v[5:6]
	v_add_lshl_u32 v52, v1, v47, 2
	v_cndmask_b32_e64 v2, 0, 4, vcc_lo
	v_cmp_gt_u32_e32 vcc_lo, 30, v47
	s_cselect_b32 s48, -1, 0
	s_lshl_b64 s[26:27], s[6:7], 4
	v_mov_b32_e32 v37, v22
	v_add_lshl_u32 v53, v2, v47, 2
	v_cndmask_b32_e64 v3, 0, 2, vcc_lo
	v_cmp_ne_u32_e32 vcc_lo, 31, v47
	v_mad_i64_i32 v[1:2], null, s36, v25, 0
	s_add_u32 s49, s45, s26
	v_add_lshl_u32 v54, v3, v47, 2
	v_add_co_ci_u32_e64 v4, null, 0, v47, vcc_lo
	s_addc_u32 s50, s46, s27
	s_add_u32 s26, s22, s38
	v_lshlrev_b64 v[1:2], 4, v[1:2]
	v_lshlrev_b32_e32 v55, 2, v4
	v_mad_i64_i32 v[3:4], null, s36, v48, 0
	s_addc_u32 s27, s23, s39
	s_add_u32 s26, s26, s24
	v_add_co_u32 v26, vcc_lo, s33, v1
	v_add_co_ci_u32_e64 v27, null, s44, v2, vcc_lo
	v_lshlrev_b64 v[3:4], 4, v[3:4]
	s_addc_u32 s27, s27, s25
	v_cmp_ge_i32_e64 s8, s28, v49
	v_cmp_ge_i32_e64 s9, s28, v50
	v_lshl_or_b32 v51, v47, 2, 64
	v_cmp_eq_u32_e64 s10, 0, v43
	v_add_co_u32 v28, vcc_lo, s33, v3
	v_add_co_ci_u32_e64 v29, null, s44, v4, vcc_lo
	v_lshlrev_b64 v[3:4], 4, v[7:8]
	v_add_co_u32 v30, vcc_lo, s33, v5
	v_add_co_ci_u32_e64 v31, null, s44, v6, vcc_lo
	v_lshlrev_b32_e32 v56, 4, v43
	v_add_co_u32 v32, vcc_lo, s33, v3
	v_add_co_ci_u32_e64 v33, null, s44, v4, vcc_lo
	v_add_co_u32 v34, vcc_lo, s26, v1
	v_and_b32_e32 v57, 0x70, v46
	v_cmp_eq_u32_e64 s11, 0, v0
	v_add_co_ci_u32_e64 v35, null, s27, v2, vcc_lo
	v_mov_b32_e32 v1, 0
	v_mov_b32_e32 v36, v21
	s_lshl_b64 s[26:27], s[36:37], 4
	s_lshl_b64 s[40:41], s[34:35], 6
	;; [unrolled: 1-line block ×3, first 2 shown]
	s_branch .LBB183_9
.LBB183_8:                              ;   in Loop: Header=BB183_9 Depth=1
	s_or_b32 exec_lo, exec_lo, s51
	v_add_co_u32 v36, vcc_lo, v36, s40
	v_add_co_ci_u32_e64 v37, null, s41, v37, vcc_lo
	s_add_i32 s7, s7, 4
	s_cmp_ge_i32 s7, s47
	s_cbranch_scc1 .LBB183_55
.LBB183_9:                              ; =>This Loop Header: Depth=1
                                        ;     Child Loop BB183_40 Depth 2
                                        ;     Child Loop BB183_42 Depth 2
                                        ; implicit-def: $vgpr17_vgpr18
                                        ; implicit-def: $vgpr19_vgpr20
                                        ; implicit-def: $vgpr13_vgpr14
                                        ; implicit-def: $vgpr15_vgpr16
                                        ; implicit-def: $vgpr9_vgpr10
                                        ; implicit-def: $vgpr11_vgpr12
                                        ; implicit-def: $vgpr7_vgpr8
                                        ; implicit-def: $vgpr5_vgpr6
	s_and_saveexec_b32 s51, s8
	s_xor_b32 s51, exec_lo, s51
	s_cbranch_execnz .LBB183_36
; %bb.10:                               ;   in Loop: Header=BB183_9 Depth=1
	s_andn2_saveexec_b32 s51, s51
	s_cbranch_execnz .LBB183_37
.LBB183_11:                             ;   in Loop: Header=BB183_9 Depth=1
	s_or_b32 exec_lo, exec_lo, s51
	s_and_saveexec_b32 s51, s4
	s_cbranch_execz .LBB183_13
.LBB183_12:                             ;   in Loop: Header=BB183_9 Depth=1
	v_mov_b32_e32 v2, v1
	v_mov_b32_e32 v3, v1
	;; [unrolled: 1-line block ×3, first 2 shown]
	ds_write_b128 v56, v[1:4]
.LBB183_13:                             ;   in Loop: Header=BB183_9 Depth=1
	s_or_b32 exec_lo, exec_lo, s51
	ds_bpermute_b32 v2, v51, v7
	ds_bpermute_b32 v3, v51, v8
	ds_bpermute_b32 v38, v51, v5
	ds_bpermute_b32 v39, v51, v6
	s_waitcnt lgkmcnt(0)
	s_waitcnt_vscnt null, 0x0
	s_barrier
	buffer_gl0_inv
	v_add_f64 v[2:3], v[7:8], v[2:3]
	v_add_f64 v[4:5], v[5:6], v[38:39]
	ds_bpermute_b32 v6, v52, v2
	ds_bpermute_b32 v7, v52, v3
	ds_bpermute_b32 v38, v52, v4
	ds_bpermute_b32 v39, v52, v5
	s_waitcnt lgkmcnt(2)
	v_add_f64 v[2:3], v[2:3], v[6:7]
	s_waitcnt lgkmcnt(0)
	v_add_f64 v[4:5], v[4:5], v[38:39]
	ds_bpermute_b32 v6, v53, v2
	ds_bpermute_b32 v7, v53, v3
	ds_bpermute_b32 v38, v53, v4
	ds_bpermute_b32 v39, v53, v5
	s_waitcnt lgkmcnt(2)
	v_add_f64 v[2:3], v[2:3], v[6:7]
	s_waitcnt lgkmcnt(0)
	;; [unrolled: 8-line block ×3, first 2 shown]
	v_add_f64 v[6:7], v[4:5], v[38:39]
	ds_bpermute_b32 v4, v55, v2
	ds_bpermute_b32 v5, v55, v3
	;; [unrolled: 1-line block ×4, first 2 shown]
	s_and_saveexec_b32 s51, s10
	s_cbranch_execz .LBB183_15
; %bb.14:                               ;   in Loop: Header=BB183_9 Depth=1
	s_waitcnt lgkmcnt(0)
	v_add_f64 v[6:7], v[6:7], v[38:39]
	v_add_f64 v[4:5], v[2:3], v[4:5]
	ds_write_b128 v57, v[4:7]
.LBB183_15:                             ;   in Loop: Header=BB183_9 Depth=1
	s_or_b32 exec_lo, exec_lo, s51
	v_mov_b32_e32 v7, 0
	s_waitcnt lgkmcnt(2)
	v_mov_b32_e32 v5, 0
	v_mov_b32_e32 v8, 0
	;; [unrolled: 1-line block ×3, first 2 shown]
	s_waitcnt lgkmcnt(0)
	s_barrier
	buffer_gl0_inv
	s_and_saveexec_b32 s51, s5
	s_cbranch_execnz .LBB183_43
; %bb.16:                               ;   in Loop: Header=BB183_9 Depth=1
	s_or_b32 exec_lo, exec_lo, s51
	s_and_saveexec_b32 s51, s4
	s_cbranch_execnz .LBB183_44
.LBB183_17:                             ;   in Loop: Header=BB183_9 Depth=1
	s_or_b32 exec_lo, exec_lo, s51
	s_and_saveexec_b32 s51, s4
	s_cbranch_execz .LBB183_19
.LBB183_18:                             ;   in Loop: Header=BB183_9 Depth=1
	v_mov_b32_e32 v2, v1
	v_mov_b32_e32 v3, v1
	;; [unrolled: 1-line block ×3, first 2 shown]
	ds_write_b128 v56, v[1:4]
.LBB183_19:                             ;   in Loop: Header=BB183_9 Depth=1
	s_or_b32 exec_lo, exec_lo, s51
	ds_bpermute_b32 v2, v51, v9
	ds_bpermute_b32 v3, v51, v10
	;; [unrolled: 1-line block ×4, first 2 shown]
	s_waitcnt lgkmcnt(0)
	s_barrier
	buffer_gl0_inv
	v_add_f64 v[2:3], v[9:10], v[2:3]
	v_add_f64 v[9:10], v[11:12], v[38:39]
	ds_bpermute_b32 v11, v52, v2
	ds_bpermute_b32 v12, v52, v3
	ds_bpermute_b32 v38, v52, v9
	ds_bpermute_b32 v39, v52, v10
	s_waitcnt lgkmcnt(2)
	v_add_f64 v[2:3], v[2:3], v[11:12]
	s_waitcnt lgkmcnt(0)
	v_add_f64 v[9:10], v[9:10], v[38:39]
	ds_bpermute_b32 v11, v53, v2
	ds_bpermute_b32 v12, v53, v3
	ds_bpermute_b32 v38, v53, v9
	ds_bpermute_b32 v39, v53, v10
	s_waitcnt lgkmcnt(2)
	v_add_f64 v[2:3], v[2:3], v[11:12]
	s_waitcnt lgkmcnt(0)
	;; [unrolled: 8-line block ×3, first 2 shown]
	v_add_f64 v[11:12], v[9:10], v[38:39]
	ds_bpermute_b32 v9, v55, v2
	ds_bpermute_b32 v10, v55, v3
	ds_bpermute_b32 v38, v55, v11
	ds_bpermute_b32 v39, v55, v12
	s_and_saveexec_b32 s51, s10
	s_cbranch_execz .LBB183_21
; %bb.20:                               ;   in Loop: Header=BB183_9 Depth=1
	s_waitcnt lgkmcnt(0)
	v_add_f64 v[11:12], v[11:12], v[38:39]
	v_add_f64 v[9:10], v[2:3], v[9:10]
	ds_write_b128 v57, v[9:12]
.LBB183_21:                             ;   in Loop: Header=BB183_9 Depth=1
	s_or_b32 exec_lo, exec_lo, s51
	v_mov_b32_e32 v11, 0
	s_waitcnt lgkmcnt(2)
	v_mov_b32_e32 v9, 0
	v_mov_b32_e32 v12, 0
	;; [unrolled: 1-line block ×3, first 2 shown]
	s_waitcnt lgkmcnt(0)
	s_barrier
	buffer_gl0_inv
	s_and_saveexec_b32 s51, s5
	s_cbranch_execnz .LBB183_45
; %bb.22:                               ;   in Loop: Header=BB183_9 Depth=1
	s_or_b32 exec_lo, exec_lo, s51
	s_and_saveexec_b32 s51, s4
	s_cbranch_execnz .LBB183_46
.LBB183_23:                             ;   in Loop: Header=BB183_9 Depth=1
	s_or_b32 exec_lo, exec_lo, s51
	s_and_saveexec_b32 s51, s4
	s_cbranch_execz .LBB183_25
.LBB183_24:                             ;   in Loop: Header=BB183_9 Depth=1
	v_mov_b32_e32 v2, v1
	v_mov_b32_e32 v3, v1
	;; [unrolled: 1-line block ×3, first 2 shown]
	ds_write_b128 v56, v[1:4]
.LBB183_25:                             ;   in Loop: Header=BB183_9 Depth=1
	s_or_b32 exec_lo, exec_lo, s51
	ds_bpermute_b32 v2, v51, v13
	ds_bpermute_b32 v3, v51, v14
	;; [unrolled: 1-line block ×4, first 2 shown]
	s_waitcnt lgkmcnt(0)
	s_barrier
	buffer_gl0_inv
	v_add_f64 v[2:3], v[13:14], v[2:3]
	v_add_f64 v[13:14], v[15:16], v[38:39]
	ds_bpermute_b32 v15, v52, v2
	ds_bpermute_b32 v16, v52, v3
	ds_bpermute_b32 v38, v52, v13
	ds_bpermute_b32 v39, v52, v14
	s_waitcnt lgkmcnt(2)
	v_add_f64 v[2:3], v[2:3], v[15:16]
	s_waitcnt lgkmcnt(0)
	v_add_f64 v[13:14], v[13:14], v[38:39]
	ds_bpermute_b32 v15, v53, v2
	ds_bpermute_b32 v16, v53, v3
	ds_bpermute_b32 v38, v53, v13
	ds_bpermute_b32 v39, v53, v14
	s_waitcnt lgkmcnt(2)
	v_add_f64 v[2:3], v[2:3], v[15:16]
	s_waitcnt lgkmcnt(0)
	;; [unrolled: 8-line block ×3, first 2 shown]
	v_add_f64 v[15:16], v[13:14], v[38:39]
	ds_bpermute_b32 v13, v55, v2
	ds_bpermute_b32 v14, v55, v3
	;; [unrolled: 1-line block ×4, first 2 shown]
	s_and_saveexec_b32 s51, s10
	s_cbranch_execz .LBB183_27
; %bb.26:                               ;   in Loop: Header=BB183_9 Depth=1
	s_waitcnt lgkmcnt(0)
	v_add_f64 v[15:16], v[15:16], v[38:39]
	v_add_f64 v[13:14], v[2:3], v[13:14]
	ds_write_b128 v57, v[13:16]
.LBB183_27:                             ;   in Loop: Header=BB183_9 Depth=1
	s_or_b32 exec_lo, exec_lo, s51
	v_mov_b32_e32 v15, 0
	s_waitcnt lgkmcnt(2)
	v_mov_b32_e32 v13, 0
	v_mov_b32_e32 v16, 0
	;; [unrolled: 1-line block ×3, first 2 shown]
	s_waitcnt lgkmcnt(0)
	s_barrier
	buffer_gl0_inv
	s_and_saveexec_b32 s51, s5
	s_cbranch_execnz .LBB183_47
; %bb.28:                               ;   in Loop: Header=BB183_9 Depth=1
	s_or_b32 exec_lo, exec_lo, s51
	s_and_saveexec_b32 s51, s4
	s_cbranch_execnz .LBB183_48
.LBB183_29:                             ;   in Loop: Header=BB183_9 Depth=1
	s_or_b32 exec_lo, exec_lo, s51
	s_and_saveexec_b32 s51, s4
	s_cbranch_execz .LBB183_31
.LBB183_30:                             ;   in Loop: Header=BB183_9 Depth=1
	v_mov_b32_e32 v2, v1
	v_mov_b32_e32 v3, v1
	;; [unrolled: 1-line block ×3, first 2 shown]
	ds_write_b128 v56, v[1:4]
.LBB183_31:                             ;   in Loop: Header=BB183_9 Depth=1
	s_or_b32 exec_lo, exec_lo, s51
	ds_bpermute_b32 v2, v51, v17
	ds_bpermute_b32 v3, v51, v18
	;; [unrolled: 1-line block ×4, first 2 shown]
	s_waitcnt lgkmcnt(0)
	s_barrier
	buffer_gl0_inv
	v_add_f64 v[2:3], v[17:18], v[2:3]
	v_add_f64 v[17:18], v[19:20], v[38:39]
	ds_bpermute_b32 v19, v52, v2
	ds_bpermute_b32 v20, v52, v3
	ds_bpermute_b32 v38, v52, v17
	ds_bpermute_b32 v39, v52, v18
	s_waitcnt lgkmcnt(2)
	v_add_f64 v[2:3], v[2:3], v[19:20]
	s_waitcnt lgkmcnt(0)
	v_add_f64 v[17:18], v[17:18], v[38:39]
	ds_bpermute_b32 v19, v53, v2
	ds_bpermute_b32 v20, v53, v3
	ds_bpermute_b32 v38, v53, v17
	ds_bpermute_b32 v39, v53, v18
	s_waitcnt lgkmcnt(2)
	v_add_f64 v[2:3], v[2:3], v[19:20]
	s_waitcnt lgkmcnt(0)
	;; [unrolled: 8-line block ×3, first 2 shown]
	v_add_f64 v[19:20], v[17:18], v[38:39]
	ds_bpermute_b32 v17, v55, v2
	ds_bpermute_b32 v18, v55, v3
	;; [unrolled: 1-line block ×4, first 2 shown]
	s_and_saveexec_b32 s51, s10
	s_cbranch_execz .LBB183_33
; %bb.32:                               ;   in Loop: Header=BB183_9 Depth=1
	s_waitcnt lgkmcnt(0)
	v_add_f64 v[19:20], v[19:20], v[38:39]
	v_add_f64 v[17:18], v[2:3], v[17:18]
	ds_write_b128 v57, v[17:20]
.LBB183_33:                             ;   in Loop: Header=BB183_9 Depth=1
	s_or_b32 exec_lo, exec_lo, s51
	v_mov_b32_e32 v19, 0
	s_waitcnt lgkmcnt(2)
	v_mov_b32_e32 v17, 0
	v_mov_b32_e32 v20, 0
	;; [unrolled: 1-line block ×3, first 2 shown]
	s_waitcnt lgkmcnt(0)
	s_barrier
	buffer_gl0_inv
	s_and_saveexec_b32 s51, s5
	s_cbranch_execnz .LBB183_49
; %bb.34:                               ;   in Loop: Header=BB183_9 Depth=1
	s_or_b32 exec_lo, exec_lo, s51
	s_and_saveexec_b32 s51, s4
	s_cbranch_execnz .LBB183_50
.LBB183_35:                             ;   in Loop: Header=BB183_9 Depth=1
	s_or_b32 exec_lo, exec_lo, s51
	s_and_saveexec_b32 s51, s11
	s_cbranch_execz .LBB183_8
	s_branch .LBB183_51
.LBB183_36:                             ;   in Loop: Header=BB183_9 Depth=1
	s_clause 0x2
	global_load_dwordx4 v[2:5], v[28:29], off
	global_load_dwordx4 v[6:9], v[30:31], off
	global_load_dwordx4 v[10:13], v[32:33], off
	s_mul_i32 s53, s7, s35
	s_mul_hi_u32 s54, s7, s34
	s_or_b32 s55, s7, 1
	s_mul_i32 s52, s7, s34
	s_add_i32 s53, s54, s53
	s_mul_i32 s59, s55, s35
	s_mul_hi_u32 s60, s55, s34
	s_mul_i32 s54, s55, s34
	s_lshl_b64 s[52:53], s[52:53], 4
	s_add_i32 s55, s60, s59
	s_waitcnt lgkmcnt(0)
	v_add_co_u32 v18, vcc_lo, v21, s52
	s_lshl_b64 s[54:55], s[54:55], 4
	v_add_co_ci_u32_e64 v19, null, s53, v22, vcc_lo
	v_add_co_u32 v38, vcc_lo, v21, s54
	v_add_co_ci_u32_e64 v39, null, s55, v22, vcc_lo
	global_load_dwordx4 v[58:61], v[26:27], off
	global_load_dwordx4 v[14:17], v[18:19], off
	s_or_b32 s56, s7, 2
	global_load_dwordx4 v[62:65], v[38:39], off
	s_or_b32 s57, s7, 3
	s_mul_i32 s61, s56, s35
	s_mul_hi_u32 s62, s56, s34
	s_mul_i32 s56, s56, s34
	s_mul_i32 s63, s57, s35
	s_mul_hi_u32 s64, s57, s34
	s_mul_i32 s58, s57, s34
	s_add_i32 s57, s62, s61
	s_add_i32 s59, s64, s63
	s_lshl_b64 s[52:53], s[56:57], 4
	s_lshl_b64 s[54:55], s[58:59], 4
	v_add_co_u32 v102, vcc_lo, v21, s52
	v_add_co_ci_u32_e64 v103, null, s53, v22, vcc_lo
	v_add_co_u32 v106, vcc_lo, v21, s54
	v_add_co_ci_u32_e64 v107, null, s55, v22, vcc_lo
	s_clause 0x2
	global_load_dwordx4 v[66:69], v[18:19], off offset:16
	global_load_dwordx4 v[70:73], v[102:103], off
	global_load_dwordx4 v[74:77], v[106:107], off
	s_waitcnt vmcnt(8)
	buffer_store_dword v5, v40, s[0:3], 0 offen offset:12
	buffer_store_dword v4, v40, s[0:3], 0 offen offset:8
	;; [unrolled: 1-line block ×3, first 2 shown]
	buffer_store_dword v2, v40, s[0:3], 0 offen
	s_waitcnt vmcnt(7)
	buffer_store_dword v9, v41, s[0:3], 0 offen offset:12
	buffer_store_dword v8, v41, s[0:3], 0 offen offset:8
	;; [unrolled: 1-line block ×3, first 2 shown]
	buffer_store_dword v6, v41, s[0:3], 0 offen
	s_clause 0x6
	buffer_load_dword v110, off, s[0:3], 0 offset:16
	buffer_load_dword v113, off, s[0:3], 0 offset:28
	;; [unrolled: 1-line block ×7, first 2 shown]
	s_clause 0x2
	global_load_dwordx4 v[2:5], v[38:39], off offset:16
	global_load_dwordx4 v[6:9], v[102:103], off offset:16
	;; [unrolled: 1-line block ×3, first 2 shown]
	buffer_load_dword v116, off, s[0:3], 0 offset:40
	s_clause 0x4
	global_load_dwordx4 v[82:85], v[18:19], off offset:32
	global_load_dwordx4 v[86:89], v[38:39], off offset:32
	;; [unrolled: 1-line block ×5, first 2 shown]
	s_waitcnt vmcnt(22)
	buffer_store_dword v13, v42, s[0:3], 0 offen offset:12
	buffer_store_dword v12, v42, s[0:3], 0 offen offset:8
	;; [unrolled: 1-line block ×3, first 2 shown]
	s_clause 0x1
	buffer_load_dword v19, off, s[0:3], 0 offset:60
	buffer_load_dword v18, off, s[0:3], 0 offset:56
	buffer_store_dword v10, v42, s[0:3], 0 offen
	s_clause 0x1
	buffer_load_dword v118, off, s[0:3], 0 offset:48
	buffer_load_dword v119, off, s[0:3], 0 offset:52
	s_clause 0x2
	global_load_dwordx4 v[10:13], v[38:39], off offset:48
	global_load_dwordx4 v[102:105], v[102:103], off offset:48
	;; [unrolled: 1-line block ×3, first 2 shown]
	s_waitcnt vmcnt(28)
	buffer_store_dword v61, off, s[0:3], 0 offset:12
	buffer_store_dword v60, off, s[0:3], 0 offset:8
	;; [unrolled: 1-line block ×3, first 2 shown]
	buffer_store_dword v58, off, s[0:3], 0
	s_waitcnt vmcnt(27)
	v_mul_f64 v[38:39], v[60:61], v[16:17]
	v_mul_f64 v[16:17], v[58:59], v[16:17]
	s_waitcnt vmcnt(26)
	v_mul_f64 v[120:121], v[60:61], v[64:65]
	v_mul_f64 v[64:65], v[58:59], v[64:65]
	;; [unrolled: 3-line block ×3, first 2 shown]
	s_waitcnt vmcnt(23)
	v_mul_f64 v[124:125], v[60:61], v[76:77]
	v_fma_f64 v[38:39], v[58:59], v[14:15], v[38:39]
	v_fma_f64 v[14:15], v[60:61], v[14:15], -v[16:17]
	v_mul_f64 v[16:17], v[58:59], v[76:77]
	v_fma_f64 v[76:77], v[58:59], v[62:63], v[120:121]
	v_fma_f64 v[62:63], v[60:61], v[62:63], -v[64:65]
	v_fma_f64 v[120:121], v[58:59], v[70:71], v[122:123]
	v_fma_f64 v[70:71], v[60:61], v[70:71], -v[72:73]
	v_fma_f64 v[122:123], v[58:59], v[74:75], v[124:125]
	v_add_f64 v[38:39], v[38:39], 0
	v_add_f64 v[14:15], v[14:15], 0
	v_fma_f64 v[16:17], v[60:61], v[74:75], -v[16:17]
	v_add_f64 v[76:77], v[76:77], 0
	v_add_f64 v[62:63], v[62:63], 0
	;; [unrolled: 1-line block ×4, first 2 shown]
	s_waitcnt vmcnt(17)
	v_mul_f64 v[64:65], v[112:113], v[68:69]
	s_waitcnt vmcnt(16)
	v_mul_f64 v[68:69], v[110:111], v[68:69]
	;; [unrolled: 2-line block ×3, first 2 shown]
	v_mul_f64 v[4:5], v[110:111], v[4:5]
	s_waitcnt vmcnt(14)
	v_mul_f64 v[74:75], v[112:113], v[8:9]
	v_mul_f64 v[8:9], v[110:111], v[8:9]
	s_waitcnt vmcnt(13)
	v_mul_f64 v[124:125], v[112:113], v[80:81]
	v_fma_f64 v[64:65], v[110:111], v[66:67], v[64:65]
	v_fma_f64 v[66:67], v[112:113], v[66:67], -v[68:69]
	v_mul_f64 v[68:69], v[110:111], v[80:81]
	s_waitcnt vmcnt(11)
	v_mul_f64 v[80:81], v[116:117], v[84:85]
	v_fma_f64 v[72:73], v[110:111], v[2:3], v[72:73]
	v_fma_f64 v[2:3], v[112:113], v[2:3], -v[4:5]
	;; [unrolled: 5-line block ×3, first 2 shown]
	v_mul_f64 v[8:9], v[114:115], v[88:89]
	s_waitcnt vmcnt(9)
	v_mul_f64 v[88:89], v[116:117], v[92:93]
	v_fma_f64 v[110:111], v[110:111], v[78:79], v[124:125]
	v_mul_f64 v[92:93], v[114:115], v[92:93]
	v_add_f64 v[38:39], v[38:39], v[64:65]
	v_add_f64 v[14:15], v[14:15], v[66:67]
	v_fma_f64 v[68:69], v[112:113], v[78:79], -v[68:69]
	s_waitcnt vmcnt(8)
	v_mul_f64 v[78:79], v[116:117], v[96:97]
	v_mul_f64 v[96:97], v[114:115], v[96:97]
	v_add_f64 v[112:113], v[120:121], 0
	v_add_f64 v[120:121], v[122:123], 0
	s_waitcnt vmcnt(5)
	v_mul_f64 v[122:123], v[18:19], v[100:101]
	v_fma_f64 v[80:81], v[114:115], v[82:83], v[80:81]
	v_fma_f64 v[4:5], v[116:117], v[82:83], -v[4:5]
	s_waitcnt vmcnt(3)
	v_mul_f64 v[82:83], v[118:119], v[100:101]
	s_waitcnt vmcnt(2)
	v_mul_f64 v[100:101], v[18:19], v[12:13]
	v_fma_f64 v[84:85], v[114:115], v[86:87], v[84:85]
	v_fma_f64 v[8:9], v[116:117], v[86:87], -v[8:9]
	v_mul_f64 v[12:13], v[118:119], v[12:13]
	s_waitcnt vmcnt(1)
	v_mul_f64 v[86:87], v[18:19], v[104:105]
	v_fma_f64 v[88:89], v[114:115], v[90:91], v[88:89]
	v_fma_f64 v[90:91], v[116:117], v[90:91], -v[92:93]
	v_mul_f64 v[92:93], v[118:119], v[104:105]
	s_waitcnt vmcnt(0)
	v_mul_f64 v[104:105], v[18:19], v[108:109]
	v_mul_f64 v[108:109], v[118:119], v[108:109]
	v_add_f64 v[64:65], v[76:77], v[72:73]
	v_add_f64 v[2:3], v[62:63], v[2:3]
	;; [unrolled: 1-line block ×4, first 2 shown]
	v_fma_f64 v[78:79], v[114:115], v[94:95], v[78:79]
	v_fma_f64 v[94:95], v[116:117], v[94:95], -v[96:97]
	v_add_f64 v[62:63], v[112:113], v[74:75]
	v_add_f64 v[66:67], v[120:121], v[110:111]
	v_fma_f64 v[68:69], v[118:119], v[98:99], v[122:123]
	v_add_f64 v[38:39], v[38:39], v[80:81]
	v_add_f64 v[4:5], v[14:15], v[4:5]
	v_fma_f64 v[70:71], v[18:19], v[98:99], -v[82:83]
	v_fma_f64 v[72:73], v[118:119], v[10:11], v[100:101]
	v_fma_f64 v[11:12], v[18:19], v[10:11], -v[12:13]
	v_fma_f64 v[74:75], v[118:119], v[102:103], v[86:87]
	;; [unrolled: 2-line block ×3, first 2 shown]
	v_fma_f64 v[19:20], v[18:19], v[106:107], -v[108:109]
	v_add_f64 v[13:14], v[64:65], v[84:85]
	v_add_f64 v[2:3], v[2:3], v[8:9]
	;; [unrolled: 1-line block ×14, first 2 shown]
	s_andn2_saveexec_b32 s51, s51
	s_cbranch_execz .LBB183_11
.LBB183_37:                             ;   in Loop: Header=BB183_9 Depth=1
	s_waitcnt lgkmcnt(0)
	v_mov_b32_e32 v17, 0
	v_mov_b32_e32 v19, 0
	;; [unrolled: 1-line block ×16, first 2 shown]
	s_and_saveexec_b32 s52, s9
	s_cbranch_execz .LBB183_53
; %bb.38:                               ;   in Loop: Header=BB183_9 Depth=1
	s_andn2_b32 vcc_lo, exec_lo, s48
	s_cbranch_vccnz .LBB183_52
; %bb.39:                               ;   in Loop: Header=BB183_9 Depth=1
	v_mov_b32_e32 v2, v34
	v_mov_b32_e32 v3, v35
	s_mov_b32 s53, 0
	s_mov_b32 s54, s31
	.p2align	6
.LBB183_40:                             ;   Parent Loop BB183_9 Depth=1
                                        ; =>  This Inner Loop Header: Depth=2
	global_load_dwordx4 v[4:7], v[2:3], off
	v_add_co_u32 v2, vcc_lo, v2, s26
	v_mov_b32_e32 v8, s53
	v_add_co_ci_u32_e64 v3, null, s27, v3, vcc_lo
	s_add_i32 s54, s54, -1
	s_add_i32 s53, s53, 16
	s_cmp_eq_u32 s54, 0
	s_waitcnt vmcnt(0)
	buffer_store_dword v7, v8, s[0:3], 0 offen offset:12
	buffer_store_dword v6, v8, s[0:3], 0 offen offset:8
	;; [unrolled: 1-line block ×3, first 2 shown]
	buffer_store_dword v4, v8, s[0:3], 0 offen
	s_cbranch_scc0 .LBB183_40
; %bb.41:                               ;   in Loop: Header=BB183_9 Depth=1
	v_mov_b32_e32 v5, 0
	v_mov_b32_e32 v7, 0
	;; [unrolled: 1-line block ×18, first 2 shown]
	s_mov_b32 s53, 0
	s_mov_b32 s54, s31
.LBB183_42:                             ;   Parent Loop BB183_9 Depth=1
                                        ; =>  This Inner Loop Header: Depth=2
	v_add_co_u32 v38, vcc_lo, v2, s42
	v_add_co_ci_u32_e64 v39, null, s43, v3, vcc_lo
	v_mov_b32_e32 v4, s53
	v_add_co_u32 v66, vcc_lo, v38, s42
	v_add_co_ci_u32_e64 v67, null, s43, v39, vcc_lo
	global_load_dwordx4 v[58:61], v[2:3], off
	v_add_co_u32 v70, vcc_lo, v66, s42
	v_add_co_ci_u32_e64 v71, null, s43, v67, vcc_lo
	s_clause 0x3
	buffer_load_dword v74, v4, s[0:3], 0 offen
	buffer_load_dword v75, v4, s[0:3], 0 offen offset:4
	buffer_load_dword v76, v4, s[0:3], 0 offen offset:8
	;; [unrolled: 1-line block ×3, first 2 shown]
	s_clause 0x2
	global_load_dwordx4 v[62:65], v[38:39], off
	global_load_dwordx4 v[66:69], v[66:67], off
	;; [unrolled: 1-line block ×3, first 2 shown]
	v_add_co_u32 v2, vcc_lo, v2, 16
	v_add_co_ci_u32_e64 v3, null, 0, v3, vcc_lo
	s_add_i32 s54, s54, -1
	s_add_i32 s53, s53, 16
	s_cmp_lg_u32 s54, 0
	s_waitcnt vmcnt(3)
	v_mul_f64 v[38:39], v[76:77], v[60:61]
	v_mul_f64 v[60:61], v[74:75], v[60:61]
	s_waitcnt vmcnt(2)
	v_mul_f64 v[78:79], v[76:77], v[64:65]
	v_mul_f64 v[64:65], v[74:75], v[64:65]
	;; [unrolled: 3-line block ×4, first 2 shown]
	v_fma_f64 v[38:39], v[74:75], v[58:59], v[38:39]
	v_fma_f64 v[58:59], v[76:77], v[58:59], -v[60:61]
	v_fma_f64 v[60:61], v[74:75], v[62:63], v[78:79]
	v_fma_f64 v[62:63], v[76:77], v[62:63], -v[64:65]
	;; [unrolled: 2-line block ×4, first 2 shown]
	v_add_f64 v[7:8], v[7:8], v[38:39]
	v_add_f64 v[5:6], v[5:6], v[58:59]
	;; [unrolled: 1-line block ×8, first 2 shown]
	s_cbranch_scc1 .LBB183_42
	s_branch .LBB183_53
.LBB183_43:                             ;   in Loop: Header=BB183_9 Depth=1
	ds_read_b128 v[5:8], v56
	s_or_b32 exec_lo, exec_lo, s51
	s_and_saveexec_b32 s51, s4
	s_cbranch_execz .LBB183_17
.LBB183_44:                             ;   in Loop: Header=BB183_9 Depth=1
	s_waitcnt lgkmcnt(0)
	ds_bpermute_b32 v2, v53, v5
	ds_bpermute_b32 v3, v53, v6
	ds_bpermute_b32 v38, v53, v7
	ds_bpermute_b32 v39, v53, v8
	s_waitcnt lgkmcnt(2)
	v_add_f64 v[2:3], v[5:6], v[2:3]
	s_waitcnt lgkmcnt(0)
	v_add_f64 v[4:5], v[7:8], v[38:39]
	ds_bpermute_b32 v6, v54, v2
	ds_bpermute_b32 v7, v54, v3
	ds_bpermute_b32 v38, v54, v4
	ds_bpermute_b32 v39, v54, v5
	s_waitcnt lgkmcnt(2)
	v_add_f64 v[2:3], v[2:3], v[6:7]
	s_waitcnt lgkmcnt(0)
	v_add_f64 v[7:8], v[4:5], v[38:39]
	;; [unrolled: 8-line block ×3, first 2 shown]
	s_or_b32 exec_lo, exec_lo, s51
	s_and_saveexec_b32 s51, s4
	s_cbranch_execnz .LBB183_18
	s_branch .LBB183_19
.LBB183_45:                             ;   in Loop: Header=BB183_9 Depth=1
	ds_read_b128 v[9:12], v56
	s_or_b32 exec_lo, exec_lo, s51
	s_and_saveexec_b32 s51, s4
	s_cbranch_execz .LBB183_23
.LBB183_46:                             ;   in Loop: Header=BB183_9 Depth=1
	s_waitcnt lgkmcnt(0)
	ds_bpermute_b32 v2, v53, v9
	ds_bpermute_b32 v3, v53, v10
	ds_bpermute_b32 v38, v53, v11
	ds_bpermute_b32 v39, v53, v12
	s_waitcnt lgkmcnt(2)
	v_add_f64 v[2:3], v[9:10], v[2:3]
	s_waitcnt lgkmcnt(0)
	v_add_f64 v[9:10], v[11:12], v[38:39]
	ds_bpermute_b32 v11, v54, v2
	ds_bpermute_b32 v12, v54, v3
	ds_bpermute_b32 v38, v54, v9
	ds_bpermute_b32 v39, v54, v10
	s_waitcnt lgkmcnt(2)
	v_add_f64 v[2:3], v[2:3], v[11:12]
	s_waitcnt lgkmcnt(0)
	v_add_f64 v[11:12], v[9:10], v[38:39]
	ds_bpermute_b32 v9, v55, v2
	ds_bpermute_b32 v10, v55, v3
	ds_bpermute_b32 v38, v55, v11
	ds_bpermute_b32 v39, v55, v12
	s_waitcnt lgkmcnt(2)
	v_add_f64 v[9:10], v[2:3], v[9:10]
	s_waitcnt lgkmcnt(0)
	v_add_f64 v[11:12], v[11:12], v[38:39]
	s_or_b32 exec_lo, exec_lo, s51
	s_and_saveexec_b32 s51, s4
	s_cbranch_execnz .LBB183_24
	s_branch .LBB183_25
.LBB183_47:                             ;   in Loop: Header=BB183_9 Depth=1
	ds_read_b128 v[13:16], v56
	s_or_b32 exec_lo, exec_lo, s51
	s_and_saveexec_b32 s51, s4
	s_cbranch_execz .LBB183_29
.LBB183_48:                             ;   in Loop: Header=BB183_9 Depth=1
	s_waitcnt lgkmcnt(0)
	ds_bpermute_b32 v2, v53, v13
	ds_bpermute_b32 v3, v53, v14
	ds_bpermute_b32 v38, v53, v15
	ds_bpermute_b32 v39, v53, v16
	s_waitcnt lgkmcnt(2)
	v_add_f64 v[2:3], v[13:14], v[2:3]
	s_waitcnt lgkmcnt(0)
	v_add_f64 v[13:14], v[15:16], v[38:39]
	ds_bpermute_b32 v15, v54, v2
	ds_bpermute_b32 v16, v54, v3
	ds_bpermute_b32 v38, v54, v13
	ds_bpermute_b32 v39, v54, v14
	s_waitcnt lgkmcnt(2)
	v_add_f64 v[2:3], v[2:3], v[15:16]
	s_waitcnt lgkmcnt(0)
	v_add_f64 v[15:16], v[13:14], v[38:39]
	;; [unrolled: 8-line block ×3, first 2 shown]
	s_or_b32 exec_lo, exec_lo, s51
	s_and_saveexec_b32 s51, s4
	s_cbranch_execnz .LBB183_30
	s_branch .LBB183_31
.LBB183_49:                             ;   in Loop: Header=BB183_9 Depth=1
	ds_read_b128 v[17:20], v56
	s_or_b32 exec_lo, exec_lo, s51
	s_and_saveexec_b32 s51, s4
	s_cbranch_execz .LBB183_35
.LBB183_50:                             ;   in Loop: Header=BB183_9 Depth=1
	s_waitcnt lgkmcnt(0)
	ds_bpermute_b32 v2, v53, v17
	ds_bpermute_b32 v3, v53, v18
	ds_bpermute_b32 v38, v53, v19
	ds_bpermute_b32 v39, v53, v20
	s_waitcnt lgkmcnt(2)
	v_add_f64 v[2:3], v[17:18], v[2:3]
	s_waitcnt lgkmcnt(0)
	v_add_f64 v[17:18], v[19:20], v[38:39]
	ds_bpermute_b32 v19, v54, v2
	ds_bpermute_b32 v20, v54, v3
	ds_bpermute_b32 v38, v54, v17
	ds_bpermute_b32 v39, v54, v18
	s_waitcnt lgkmcnt(2)
	v_add_f64 v[2:3], v[2:3], v[19:20]
	s_waitcnt lgkmcnt(0)
	v_add_f64 v[19:20], v[17:18], v[38:39]
	;; [unrolled: 8-line block ×3, first 2 shown]
	s_or_b32 exec_lo, exec_lo, s51
	s_and_saveexec_b32 s51, s11
	s_cbranch_execz .LBB183_8
.LBB183_51:                             ;   in Loop: Header=BB183_9 Depth=1
	v_mul_f64 v[2:3], s[14:15], v[7:8]
	v_mul_f64 v[7:8], s[12:13], v[7:8]
	;; [unrolled: 1-line block ×6, first 2 shown]
	s_waitcnt lgkmcnt(0)
	v_mul_f64 v[60:61], s[14:15], v[19:20]
	v_mul_f64 v[19:20], s[12:13], v[19:20]
	s_mul_hi_u32 s53, s7, s30
	s_mul_i32 s52, s7, s30
	s_lshl_b64 s[52:53], s[52:53], 4
	s_add_u32 s52, s49, s52
	s_addc_u32 s53, s50, s53
	s_or_b32 s54, s7, 1
	s_mul_hi_u32 s55, s54, s30
	s_mul_i32 s54, s54, s30
	s_lshl_b64 s[54:55], s[54:55], 4
	s_add_u32 s54, s49, s54
	v_fma_f64 v[2:3], s[12:13], v[5:6], -v[2:3]
	v_fma_f64 v[4:5], s[14:15], v[5:6], v[7:8]
	v_fma_f64 v[6:7], s[12:13], v[9:10], -v[38:39]
	v_fma_f64 v[8:9], s[14:15], v[9:10], v[11:12]
	;; [unrolled: 2-line block ×4, first 2 shown]
	s_addc_u32 s55, s50, s55
	s_or_b32 s56, s7, 2
	s_mul_hi_u32 s57, s56, s30
	s_mul_i32 s56, s56, s30
	s_lshl_b64 s[56:57], s[56:57], 4
	s_add_u32 s56, s49, s56
	s_addc_u32 s57, s50, s57
	s_or_b32 s58, s7, 3
	s_mul_hi_u32 s59, s58, s30
	s_mul_i32 s58, s58, s30
	s_lshl_b64 s[58:59], s[58:59], 4
	s_add_u32 s58, s49, s58
	s_addc_u32 s59, s50, s59
	global_store_dwordx4 v1, v[2:5], s[52:53]
	global_store_dwordx4 v1, v[6:9], s[54:55]
	;; [unrolled: 1-line block ×4, first 2 shown]
	s_branch .LBB183_8
.LBB183_52:                             ;   in Loop: Header=BB183_9 Depth=1
	v_mov_b32_e32 v17, 0
	v_mov_b32_e32 v19, 0
	;; [unrolled: 1-line block ×16, first 2 shown]
.LBB183_53:                             ;   in Loop: Header=BB183_9 Depth=1
	s_or_b32 exec_lo, exec_lo, s52
	s_or_b32 exec_lo, exec_lo, s51
	s_and_saveexec_b32 s51, s4
	s_cbranch_execnz .LBB183_12
	s_branch .LBB183_13
.LBB183_54:
	s_mov_b32 s7, 0
.LBB183_55:
	s_cmp_ge_i32 s7, s29
	s_cbranch_scc1 .LBB183_77
; %bb.56:
	v_cmp_gt_u32_e64 s5, 24, v47
	v_mad_i64_i32 v[7:8], null, s36, v45, 0
	v_cmp_gt_u32_e64 s4, 32, v0
	v_cmp_gt_u32_e64 s8, 8, v0
	v_cndmask_b32_e64 v1, 0, 8, s5
	v_cmp_gt_u32_e64 s5, 28, v47
	s_mov_b32 s10, s6
	v_cmp_eq_u32_e64 s6, 0, v0
	s_cmp_gt_i32 s31, 0
	v_add_lshl_u32 v28, v1, v47, 2
	v_cndmask_b32_e64 v2, 0, 4, s5
	v_cmp_gt_u32_e64 s5, 30, v47
	s_mov_b32 s11, 0
	v_mad_i64_i32 v[11:12], null, s36, v44, 0
	v_add_lshl_u32 v29, v2, v47, 2
	v_cndmask_b32_e64 v3, 0, 2, s5
	v_cmp_ne_u32_e64 s5, 31, v47
	v_mad_i64_i32 v[1:2], null, s36, v25, 0
	v_cmp_ge_i32_e32 vcc_lo, s28, v49
	v_add_lshl_u32 v30, v3, v47, 2
	v_add_co_ci_u32_e64 v4, null, 0, v47, s5
	v_cmp_ge_i32_e64 s9, s28, v50
	s_cselect_b32 s28, -1, 0
	v_lshlrev_b64 v[0:1], 4, v[1:2]
	v_lshlrev_b32_e32 v31, 2, v4
	v_mad_i64_i32 v[3:4], null, s36, v48, 0
	s_lshl_b64 s[10:11], s[10:11], 4
	v_lshlrev_b64 v[9:10], 4, v[7:8]
	s_add_u32 s26, s45, s10
	v_add_co_u32 v5, s10, s33, v0
	v_add_co_ci_u32_e64 v6, null, s44, v1, s10
	v_lshlrev_b64 v[2:3], 4, v[3:4]
	s_addc_u32 s27, s46, s11
	s_and_b32 s28, s28, s9
	s_add_u32 s9, s22, s38
	s_mul_hi_u32 s11, s34, s7
	v_lshlrev_b32_e32 v26, 4, v43
	v_add_co_u32 v7, s10, s33, v2
	v_add_co_ci_u32_e64 v8, null, s44, v3, s10
	v_add_co_u32 v9, s10, s33, v9
	v_lshlrev_b64 v[2:3], 4, v[11:12]
	v_add_co_ci_u32_e64 v10, null, s44, v10, s10
	s_addc_u32 s10, s23, s39
	s_add_u32 s24, s9, s24
	s_mul_i32 s9, s35, s7
	s_addc_u32 s25, s10, s25
	s_add_i32 s11, s11, s9
	s_mul_i32 s10, s34, s7
	v_add_co_u32 v11, s9, s33, v2
	s_lshl_b64 s[22:23], s[10:11], 4
	s_lshl_b64 s[10:11], s[36:37], 4
	v_add_co_ci_u32_e64 v12, null, s44, v3, s9
	s_add_u32 s9, s20, s22
	s_addc_u32 s20, s21, s23
	s_add_u32 s9, s9, s18
	s_addc_u32 s18, s20, s19
	;; [unrolled: 2-line block ×3, first 2 shown]
	v_add_co_u32 v2, s9, s9, v23
	v_add_co_ci_u32_e64 v3, null, s16, v24, s9
	v_add_co_u32 v13, s9, s24, v0
	v_add_co_ci_u32_e64 v14, null, s25, v1, s9
	v_add_co_u32 v15, s9, v2, 8
	v_lshl_or_b32 v27, v47, 2, 64
	v_cmp_eq_u32_e64 s5, 0, v43
	v_and_b32_e32 v25, 0x70, v46
	v_add_co_ci_u32_e64 v16, null, 0, v3, s9
	v_mov_b32_e32 v0, 0
	s_lshl_b64 s[16:17], s[34:35], 4
	s_branch .LBB183_58
.LBB183_57:                             ;   in Loop: Header=BB183_58 Depth=1
	s_or_b32 exec_lo, exec_lo, s9
	v_add_co_u32 v15, s9, v15, s16
	v_add_co_ci_u32_e64 v16, null, s17, v16, s9
	s_add_i32 s7, s7, 1
	s_cmp_lt_i32 s7, s29
	s_cbranch_scc0 .LBB183_77
.LBB183_58:                             ; =>This Loop Header: Depth=1
                                        ;     Child Loop BB183_70 Depth 2
                                        ;     Child Loop BB183_72 Depth 2
                                        ; implicit-def: $vgpr17_vgpr18
                                        ; implicit-def: $vgpr19_vgpr20
	s_and_saveexec_b32 s9, vcc_lo
	s_xor_b32 s18, exec_lo, s9
	s_cbranch_execnz .LBB183_67
; %bb.59:                               ;   in Loop: Header=BB183_58 Depth=1
	s_andn2_saveexec_b32 s18, s18
	s_cbranch_execnz .LBB183_68
.LBB183_60:                             ;   in Loop: Header=BB183_58 Depth=1
	s_or_b32 exec_lo, exec_lo, s18
	s_and_saveexec_b32 s9, s4
	s_cbranch_execz .LBB183_62
.LBB183_61:                             ;   in Loop: Header=BB183_58 Depth=1
	s_waitcnt lgkmcnt(0)
	v_mov_b32_e32 v1, v0
	v_mov_b32_e32 v2, v0
	;; [unrolled: 1-line block ×3, first 2 shown]
	ds_write_b128 v26, v[0:3]
.LBB183_62:                             ;   in Loop: Header=BB183_58 Depth=1
	s_or_b32 exec_lo, exec_lo, s9
	s_waitcnt lgkmcnt(0)
	ds_bpermute_b32 v1, v27, v17
	ds_bpermute_b32 v2, v27, v18
	;; [unrolled: 1-line block ×4, first 2 shown]
	s_waitcnt lgkmcnt(0)
	s_waitcnt_vscnt null, 0x0
	s_barrier
	buffer_gl0_inv
	v_add_f64 v[1:2], v[17:18], v[1:2]
	v_add_f64 v[3:4], v[19:20], v[3:4]
	ds_bpermute_b32 v17, v28, v1
	ds_bpermute_b32 v18, v28, v2
	ds_bpermute_b32 v19, v28, v3
	ds_bpermute_b32 v20, v28, v4
	s_waitcnt lgkmcnt(2)
	v_add_f64 v[1:2], v[1:2], v[17:18]
	s_waitcnt lgkmcnt(0)
	v_add_f64 v[3:4], v[3:4], v[19:20]
	ds_bpermute_b32 v17, v29, v1
	ds_bpermute_b32 v18, v29, v2
	ds_bpermute_b32 v19, v29, v3
	ds_bpermute_b32 v20, v29, v4
	s_waitcnt lgkmcnt(2)
	v_add_f64 v[1:2], v[1:2], v[17:18]
	s_waitcnt lgkmcnt(0)
	;; [unrolled: 8-line block ×3, first 2 shown]
	v_add_f64 v[17:18], v[3:4], v[19:20]
	ds_bpermute_b32 v3, v31, v1
	ds_bpermute_b32 v4, v31, v2
	;; [unrolled: 1-line block ×4, first 2 shown]
	s_and_saveexec_b32 s9, s5
	s_cbranch_execz .LBB183_64
; %bb.63:                               ;   in Loop: Header=BB183_58 Depth=1
	s_waitcnt lgkmcnt(0)
	v_add_f64 v[19:20], v[17:18], v[19:20]
	v_add_f64 v[17:18], v[1:2], v[3:4]
	ds_write_b128 v25, v[17:20]
.LBB183_64:                             ;   in Loop: Header=BB183_58 Depth=1
	s_or_b32 exec_lo, exec_lo, s9
	s_waitcnt lgkmcnt(2)
	v_mov_b32_e32 v3, 0
	v_mov_b32_e32 v1, 0
	;; [unrolled: 1-line block ×4, first 2 shown]
	s_waitcnt lgkmcnt(0)
	s_barrier
	buffer_gl0_inv
	s_and_saveexec_b32 s9, s8
	s_cbranch_execnz .LBB183_74
; %bb.65:                               ;   in Loop: Header=BB183_58 Depth=1
	s_or_b32 exec_lo, exec_lo, s9
	s_and_saveexec_b32 s9, s4
	s_cbranch_execnz .LBB183_75
.LBB183_66:                             ;   in Loop: Header=BB183_58 Depth=1
	s_or_b32 exec_lo, exec_lo, s9
	s_and_saveexec_b32 s9, s6
	s_cbranch_execz .LBB183_57
	s_branch .LBB183_76
.LBB183_67:                             ;   in Loop: Header=BB183_58 Depth=1
	s_waitcnt lgkmcnt(0)
	global_load_dwordx4 v[1:4], v[7:8], off
	s_waitcnt lgkmcnt(0)
	s_clause 0x1
	global_load_dwordx4 v[17:20], v[9:10], off
	global_load_dwordx4 v[32:35], v[11:12], off
	s_mul_i32 s9, s7, s35
	s_mul_hi_u32 s19, s7, s34
	s_mul_i32 s20, s7, s34
	s_add_i32 s21, s19, s9
	s_lshl_b64 s[20:21], s[20:21], 4
	v_add_co_u32 v23, s9, v21, s20
	v_add_co_ci_u32_e64 v24, null, s21, v22, s9
	global_load_dwordx4 v[36:39], v[5:6], off
	s_clause 0x1
	global_load_dwordx4 v[43:46], v[23:24], off
	global_load_dwordx4 v[47:50], v[23:24], off offset:16
	s_waitcnt vmcnt(5)
	buffer_store_dword v4, v40, s[0:3], 0 offen offset:12
	buffer_store_dword v3, v40, s[0:3], 0 offen offset:8
	;; [unrolled: 1-line block ×3, first 2 shown]
	buffer_store_dword v1, v40, s[0:3], 0 offen
	s_waitcnt vmcnt(4)
	buffer_store_dword v20, v41, s[0:3], 0 offen offset:12
	buffer_store_dword v19, v41, s[0:3], 0 offen offset:8
	buffer_store_dword v18, v41, s[0:3], 0 offen offset:4
	buffer_store_dword v17, v41, s[0:3], 0 offen
	s_clause 0x7
	buffer_load_dword v51, off, s[0:3], 0 offset:16
	buffer_load_dword v54, off, s[0:3], 0 offset:28
	;; [unrolled: 1-line block ×8, first 2 shown]
	s_clause 0x1
	global_load_dwordx4 v[1:4], v[23:24], off offset:32
	global_load_dwordx4 v[17:20], v[23:24], off offset:48
	s_waitcnt vmcnt(13)
	buffer_store_dword v35, v42, s[0:3], 0 offen offset:12
	buffer_store_dword v34, v42, s[0:3], 0 offen offset:8
	;; [unrolled: 1-line block ×3, first 2 shown]
	buffer_store_dword v32, v42, s[0:3], 0 offen
	s_clause 0x3
	buffer_load_dword v23, off, s[0:3], 0 offset:48
	buffer_load_dword v33, off, s[0:3], 0 offset:60
	;; [unrolled: 1-line block ×4, first 2 shown]
	s_waitcnt vmcnt(16)
	buffer_store_dword v39, off, s[0:3], 0 offset:12
	buffer_store_dword v38, off, s[0:3], 0 offset:8
	;; [unrolled: 1-line block ×3, first 2 shown]
	buffer_store_dword v36, off, s[0:3], 0
	s_waitcnt vmcnt(15)
	v_mul_f64 v[34:35], v[45:46], v[38:39]
	v_mul_f64 v[45:46], v[45:46], v[36:37]
	v_fma_f64 v[34:35], v[43:44], v[36:37], v[34:35]
	v_fma_f64 v[43:44], v[43:44], v[38:39], -v[45:46]
	v_add_f64 v[34:35], v[34:35], 0
	v_add_f64 v[43:44], v[43:44], 0
	s_waitcnt vmcnt(8)
	v_mul_f64 v[45:46], v[49:50], v[53:54]
	s_waitcnt vmcnt(7)
	v_mul_f64 v[49:50], v[49:50], v[51:52]
	;; [unrolled: 2-line block ×3, first 2 shown]
	v_mul_f64 v[3:4], v[3:4], v[55:56]
	v_fma_f64 v[45:46], v[47:48], v[51:52], v[45:46]
	v_fma_f64 v[47:48], v[47:48], v[53:54], -v[49:50]
	s_waitcnt vmcnt(1)
	v_mul_f64 v[49:50], v[19:20], v[32:33]
	s_waitcnt vmcnt(0)
	v_mul_f64 v[19:20], v[19:20], v[23:24]
	v_fma_f64 v[51:52], v[1:2], v[55:56], v[59:60]
	v_fma_f64 v[1:2], v[1:2], v[57:58], -v[3:4]
	v_add_f64 v[3:4], v[34:35], v[45:46]
	v_add_f64 v[34:35], v[43:44], v[47:48]
	v_fma_f64 v[23:24], v[17:18], v[23:24], v[49:50]
	v_fma_f64 v[19:20], v[17:18], v[32:33], -v[19:20]
	v_add_f64 v[3:4], v[3:4], v[51:52]
	v_add_f64 v[1:2], v[34:35], v[1:2]
	;; [unrolled: 1-line block ×4, first 2 shown]
	s_andn2_saveexec_b32 s18, s18
	s_cbranch_execz .LBB183_60
.LBB183_68:                             ;   in Loop: Header=BB183_58 Depth=1
	s_waitcnt lgkmcnt(0)
	v_mov_b32_e32 v17, 0
	v_mov_b32_e32 v19, 0
	;; [unrolled: 1-line block ×4, first 2 shown]
	s_and_saveexec_b32 s19, s28
	s_cbranch_execz .LBB183_73
; %bb.69:                               ;   in Loop: Header=BB183_58 Depth=1
	v_mov_b32_e32 v1, v13
	v_mov_b32_e32 v2, v14
	s_mov_b32 s20, 0
	s_mov_b32 s21, s31
	.p2align	6
.LBB183_70:                             ;   Parent Loop BB183_58 Depth=1
                                        ; =>  This Inner Loop Header: Depth=2
	global_load_dwordx4 v[17:20], v[1:2], off
	v_add_co_u32 v1, s9, v1, s10
	v_mov_b32_e32 v3, s20
	v_add_co_ci_u32_e64 v2, null, s11, v2, s9
	s_add_i32 s21, s21, -1
	s_add_i32 s20, s20, 16
	s_cmp_eq_u32 s21, 0
	s_waitcnt vmcnt(0)
	buffer_store_dword v20, v3, s[0:3], 0 offen offset:12
	buffer_store_dword v19, v3, s[0:3], 0 offen offset:8
	;; [unrolled: 1-line block ×3, first 2 shown]
	buffer_store_dword v17, v3, s[0:3], 0 offen
	s_cbranch_scc0 .LBB183_70
; %bb.71:                               ;   in Loop: Header=BB183_58 Depth=1
	v_mov_b32_e32 v17, 0
	v_mov_b32_e32 v19, 0
	;; [unrolled: 1-line block ×6, first 2 shown]
	s_mov_b32 s20, 0
	s_mov_b32 s21, s31
	.p2align	6
.LBB183_72:                             ;   Parent Loop BB183_58 Depth=1
                                        ; =>  This Inner Loop Header: Depth=2
	v_mov_b32_e32 v4, s20
	global_load_dwordx4 v[32:35], v[1:2], off offset:-8
	v_add_co_u32 v1, s9, v1, 16
	v_add_co_ci_u32_e64 v2, null, 0, v2, s9
	s_clause 0x3
	buffer_load_dword v3, v4, s[0:3], 0 offen
	buffer_load_dword v23, v4, s[0:3], 0 offen offset:8
	buffer_load_dword v24, v4, s[0:3], 0 offen offset:12
	;; [unrolled: 1-line block ×3, first 2 shown]
	s_add_i32 s21, s21, -1
	s_add_i32 s20, s20, 16
	s_cmp_lg_u32 s21, 0
	s_waitcnt vmcnt(1)
	v_mul_f64 v[36:37], v[34:35], v[23:24]
	s_waitcnt vmcnt(0)
	v_mul_f64 v[34:35], v[34:35], v[3:4]
	v_fma_f64 v[3:4], v[32:33], v[3:4], v[36:37]
	v_fma_f64 v[23:24], v[32:33], v[23:24], -v[34:35]
	v_add_f64 v[17:18], v[17:18], v[3:4]
	v_add_f64 v[19:20], v[19:20], v[23:24]
	s_cbranch_scc1 .LBB183_72
.LBB183_73:                             ;   in Loop: Header=BB183_58 Depth=1
	s_or_b32 exec_lo, exec_lo, s19
	s_or_b32 exec_lo, exec_lo, s18
	s_and_saveexec_b32 s9, s4
	s_cbranch_execnz .LBB183_61
	s_branch .LBB183_62
.LBB183_74:                             ;   in Loop: Header=BB183_58 Depth=1
	ds_read_b128 v[1:4], v26
	s_or_b32 exec_lo, exec_lo, s9
	s_and_saveexec_b32 s9, s4
	s_cbranch_execz .LBB183_66
.LBB183_75:                             ;   in Loop: Header=BB183_58 Depth=1
	s_waitcnt lgkmcnt(0)
	ds_bpermute_b32 v17, v29, v1
	ds_bpermute_b32 v18, v29, v2
	ds_bpermute_b32 v19, v29, v3
	ds_bpermute_b32 v20, v29, v4
	s_waitcnt lgkmcnt(2)
	v_add_f64 v[1:2], v[1:2], v[17:18]
	s_waitcnt lgkmcnt(0)
	v_add_f64 v[3:4], v[3:4], v[19:20]
	ds_bpermute_b32 v17, v30, v1
	ds_bpermute_b32 v18, v30, v2
	ds_bpermute_b32 v19, v30, v3
	ds_bpermute_b32 v20, v30, v4
	s_waitcnt lgkmcnt(2)
	v_add_f64 v[1:2], v[1:2], v[17:18]
	s_waitcnt lgkmcnt(0)
	v_add_f64 v[3:4], v[3:4], v[19:20]
	ds_bpermute_b32 v17, v31, v1
	ds_bpermute_b32 v18, v31, v2
	ds_bpermute_b32 v19, v31, v3
	ds_bpermute_b32 v20, v31, v4
	s_waitcnt lgkmcnt(2)
	v_add_f64 v[1:2], v[1:2], v[17:18]
	s_waitcnt lgkmcnt(0)
	v_add_f64 v[3:4], v[3:4], v[19:20]
	s_or_b32 exec_lo, exec_lo, s9
	s_and_saveexec_b32 s9, s6
	s_cbranch_execz .LBB183_57
.LBB183_76:                             ;   in Loop: Header=BB183_58 Depth=1
	s_waitcnt lgkmcnt(0)
	v_mul_f64 v[17:18], s[14:15], v[3:4]
	v_mul_f64 v[3:4], s[12:13], v[3:4]
	s_mul_hi_u32 s19, s7, s30
	s_mul_i32 s18, s7, s30
	s_lshl_b64 s[18:19], s[18:19], 4
	s_add_u32 s18, s26, s18
	s_addc_u32 s19, s27, s19
	v_fma_f64 v[17:18], s[12:13], v[1:2], -v[17:18]
	v_fma_f64 v[19:20], s[14:15], v[1:2], v[3:4]
	global_store_dwordx4 v0, v[17:20], s[18:19]
	s_branch .LBB183_57
.LBB183_77:
	s_endpgm
	.section	.rodata,"a",@progbits
	.p2align	6, 0x0
	.amdhsa_kernel _ZL23rocblas_gemvt_sn_kernelILb1ELi256ELi4El19rocblas_complex_numIdES1_S1_EviiT4_lPKT3_lilS5_lilPT5_i
		.amdhsa_group_segment_fixed_size 512
		.amdhsa_private_segment_fixed_size 80
		.amdhsa_kernarg_size 368
		.amdhsa_user_sgpr_count 6
		.amdhsa_user_sgpr_private_segment_buffer 1
		.amdhsa_user_sgpr_dispatch_ptr 0
		.amdhsa_user_sgpr_queue_ptr 0
		.amdhsa_user_sgpr_kernarg_segment_ptr 1
		.amdhsa_user_sgpr_dispatch_id 0
		.amdhsa_user_sgpr_flat_scratch_init 0
		.amdhsa_user_sgpr_private_segment_size 0
		.amdhsa_wavefront_size32 1
		.amdhsa_uses_dynamic_stack 0
		.amdhsa_system_sgpr_private_segment_wavefront_offset 1
		.amdhsa_system_sgpr_workgroup_id_x 1
		.amdhsa_system_sgpr_workgroup_id_y 0
		.amdhsa_system_sgpr_workgroup_id_z 1
		.amdhsa_system_sgpr_workgroup_info 0
		.amdhsa_system_vgpr_workitem_id 0
		.amdhsa_next_free_vgpr 126
		.amdhsa_next_free_sgpr 65
		.amdhsa_reserve_vcc 1
		.amdhsa_reserve_flat_scratch 0
		.amdhsa_float_round_mode_32 0
		.amdhsa_float_round_mode_16_64 0
		.amdhsa_float_denorm_mode_32 3
		.amdhsa_float_denorm_mode_16_64 3
		.amdhsa_dx10_clamp 1
		.amdhsa_ieee_mode 1
		.amdhsa_fp16_overflow 0
		.amdhsa_workgroup_processor_mode 1
		.amdhsa_memory_ordered 1
		.amdhsa_forward_progress 1
		.amdhsa_shared_vgpr_count 0
		.amdhsa_exception_fp_ieee_invalid_op 0
		.amdhsa_exception_fp_denorm_src 0
		.amdhsa_exception_fp_ieee_div_zero 0
		.amdhsa_exception_fp_ieee_overflow 0
		.amdhsa_exception_fp_ieee_underflow 0
		.amdhsa_exception_fp_ieee_inexact 0
		.amdhsa_exception_int_div_zero 0
	.end_amdhsa_kernel
	.section	.text._ZL23rocblas_gemvt_sn_kernelILb1ELi256ELi4El19rocblas_complex_numIdES1_S1_EviiT4_lPKT3_lilS5_lilPT5_i,"axG",@progbits,_ZL23rocblas_gemvt_sn_kernelILb1ELi256ELi4El19rocblas_complex_numIdES1_S1_EviiT4_lPKT3_lilS5_lilPT5_i,comdat
.Lfunc_end183:
	.size	_ZL23rocblas_gemvt_sn_kernelILb1ELi256ELi4El19rocblas_complex_numIdES1_S1_EviiT4_lPKT3_lilS5_lilPT5_i, .Lfunc_end183-_ZL23rocblas_gemvt_sn_kernelILb1ELi256ELi4El19rocblas_complex_numIdES1_S1_EviiT4_lPKT3_lilS5_lilPT5_i
                                        ; -- End function
	.set _ZL23rocblas_gemvt_sn_kernelILb1ELi256ELi4El19rocblas_complex_numIdES1_S1_EviiT4_lPKT3_lilS5_lilPT5_i.num_vgpr, 126
	.set _ZL23rocblas_gemvt_sn_kernelILb1ELi256ELi4El19rocblas_complex_numIdES1_S1_EviiT4_lPKT3_lilS5_lilPT5_i.num_agpr, 0
	.set _ZL23rocblas_gemvt_sn_kernelILb1ELi256ELi4El19rocblas_complex_numIdES1_S1_EviiT4_lPKT3_lilS5_lilPT5_i.numbered_sgpr, 65
	.set _ZL23rocblas_gemvt_sn_kernelILb1ELi256ELi4El19rocblas_complex_numIdES1_S1_EviiT4_lPKT3_lilS5_lilPT5_i.num_named_barrier, 0
	.set _ZL23rocblas_gemvt_sn_kernelILb1ELi256ELi4El19rocblas_complex_numIdES1_S1_EviiT4_lPKT3_lilS5_lilPT5_i.private_seg_size, 80
	.set _ZL23rocblas_gemvt_sn_kernelILb1ELi256ELi4El19rocblas_complex_numIdES1_S1_EviiT4_lPKT3_lilS5_lilPT5_i.uses_vcc, 1
	.set _ZL23rocblas_gemvt_sn_kernelILb1ELi256ELi4El19rocblas_complex_numIdES1_S1_EviiT4_lPKT3_lilS5_lilPT5_i.uses_flat_scratch, 0
	.set _ZL23rocblas_gemvt_sn_kernelILb1ELi256ELi4El19rocblas_complex_numIdES1_S1_EviiT4_lPKT3_lilS5_lilPT5_i.has_dyn_sized_stack, 0
	.set _ZL23rocblas_gemvt_sn_kernelILb1ELi256ELi4El19rocblas_complex_numIdES1_S1_EviiT4_lPKT3_lilS5_lilPT5_i.has_recursion, 0
	.set _ZL23rocblas_gemvt_sn_kernelILb1ELi256ELi4El19rocblas_complex_numIdES1_S1_EviiT4_lPKT3_lilS5_lilPT5_i.has_indirect_call, 0
	.section	.AMDGPU.csdata,"",@progbits
; Kernel info:
; codeLenInByte = 7920
; TotalNumSgprs: 67
; NumVgprs: 126
; ScratchSize: 80
; MemoryBound: 0
; FloatMode: 240
; IeeeMode: 1
; LDSByteSize: 512 bytes/workgroup (compile time only)
; SGPRBlocks: 0
; VGPRBlocks: 15
; NumSGPRsForWavesPerEU: 67
; NumVGPRsForWavesPerEU: 126
; Occupancy: 8
; WaveLimiterHint : 1
; COMPUTE_PGM_RSRC2:SCRATCH_EN: 1
; COMPUTE_PGM_RSRC2:USER_SGPR: 6
; COMPUTE_PGM_RSRC2:TRAP_HANDLER: 0
; COMPUTE_PGM_RSRC2:TGID_X_EN: 1
; COMPUTE_PGM_RSRC2:TGID_Y_EN: 0
; COMPUTE_PGM_RSRC2:TGID_Z_EN: 1
; COMPUTE_PGM_RSRC2:TIDIG_COMP_CNT: 0
	.section	.text._ZL20rocblas_gemvt_kernelILb1ELi256E19rocblas_complex_numIdEPKS1_S1_EviiT2_lPKT1_lilS7_lilS4_lPT3_lili,"axG",@progbits,_ZL20rocblas_gemvt_kernelILb1ELi256E19rocblas_complex_numIdEPKS1_S1_EviiT2_lPKT1_lilS7_lilS4_lPT3_lili,comdat
	.globl	_ZL20rocblas_gemvt_kernelILb1ELi256E19rocblas_complex_numIdEPKS1_S1_EviiT2_lPKT1_lilS7_lilS4_lPT3_lili ; -- Begin function _ZL20rocblas_gemvt_kernelILb1ELi256E19rocblas_complex_numIdEPKS1_S1_EviiT2_lPKT1_lilS7_lilS4_lPT3_lili
	.p2align	8
	.type	_ZL20rocblas_gemvt_kernelILb1ELi256E19rocblas_complex_numIdEPKS1_S1_EviiT2_lPKT1_lilS7_lilS4_lPT3_lili,@function
_ZL20rocblas_gemvt_kernelILb1ELi256E19rocblas_complex_numIdEPKS1_S1_EviiT2_lPKT1_lilS7_lilS4_lPT3_lili: ; @_ZL20rocblas_gemvt_kernelILb1ELi256E19rocblas_complex_numIdEPKS1_S1_EviiT2_lPKT1_lilS7_lilS4_lPT3_lili
; %bb.0:
	s_clause 0x1
	s_load_dwordx8 s[8:15], s[4:5], 0x8
	s_load_dwordx8 s[16:23], s[4:5], 0x50
	s_waitcnt lgkmcnt(0)
	s_mul_i32 s1, s11, s7
	s_mul_hi_u32 s2, s10, s7
	s_mul_i32 s0, s10, s7
	s_add_i32 s1, s2, s1
	s_lshl_b64 s[0:1], s[0:1], 4
	s_add_u32 s0, s8, s0
	s_addc_u32 s1, s9, s1
	s_load_dwordx4 s[8:11], s[0:1], 0x0
	s_mul_i32 s0, s21, s7
	s_mul_hi_u32 s1, s20, s7
	s_add_i32 s1, s1, s0
	s_mul_i32 s0, s20, s7
	s_lshl_b64 s[0:1], s[0:1], 4
	s_add_u32 s0, s18, s0
	s_addc_u32 s1, s19, s1
	s_load_dwordx4 s[24:27], s[0:1], 0x0
	s_mov_b32 s1, -1
	s_waitcnt lgkmcnt(0)
	v_cmp_neq_f64_e64 s2, s[8:9], 0
	v_cmp_neq_f64_e64 s3, s[10:11], 0
	s_or_b32 s0, s2, s3
	s_and_b32 vcc_lo, exec_lo, s0
	s_cbranch_vccnz .LBB184_2
; %bb.1:
	v_cmp_neq_f64_e64 s1, s[24:25], 1.0
	v_cmp_neq_f64_e64 s2, s[26:27], 0
	s_or_b32 s1, s1, s2
.LBB184_2:
	s_andn2_b32 vcc_lo, exec_lo, s1
	s_cbranch_vccnz .LBB184_39
; %bb.3:
	s_clause 0x2
	s_load_dwordx2 s[2:3], s[4:5], 0x80
	s_load_dwordx2 s[18:19], s[4:5], 0x70
	s_load_dword s33, s[4:5], 0x78
	s_xor_b32 s20, s0, -1
	s_mov_b32 s34, 0
	s_waitcnt lgkmcnt(0)
	s_mul_i32 s1, s3, s7
	s_mul_hi_u32 s3, s2, s7
	s_mul_i32 s0, s2, s7
	s_add_i32 s1, s3, s1
	s_lshl_b64 s[0:1], s[0:1], 4
	s_add_u32 s21, s22, s0
	s_addc_u32 s1, s23, s1
	s_lshl_b64 s[2:3], s[18:19], 4
	v_cmp_eq_u32_e64 s0, 0, v0
	s_add_u32 s30, s21, s2
	s_addc_u32 s31, s1, s3
	s_andn2_b32 vcc_lo, exec_lo, s20
	s_cbranch_vccnz .LBB184_7
; %bb.4:
	s_mov_b32 s1, 0
                                        ; implicit-def: $vgpr3_vgpr4
                                        ; implicit-def: $sgpr2_sgpr3
	s_and_saveexec_b32 s18, s0
	s_cbranch_execz .LBB184_8
; %bb.5:
	v_cmp_neq_f64_e64 s0, s[24:25], 0
	v_cmp_neq_f64_e64 s2, s[26:27], 0
	s_mul_hi_i32 s3, s33, s6
	s_or_b32 s0, s0, s2
	s_mul_i32 s2, s33, s6
	s_andn2_b32 vcc_lo, exec_lo, s0
	s_cbranch_vccnz .LBB184_9
; %bb.6:
	s_lshl_b64 s[20:21], s[2:3], 4
	s_add_u32 s20, s30, s20
	s_addc_u32 s21, s31, s21
	s_load_dwordx4 s[20:23], s[20:21], 0x0
	s_waitcnt lgkmcnt(0)
	v_mul_f64 v[1:2], s[26:27], s[22:23]
	v_mul_f64 v[3:4], s[24:25], s[22:23]
	v_fma_f64 v[1:2], s[24:25], s[20:21], -v[1:2]
	v_fma_f64 v[3:4], s[26:27], s[20:21], v[3:4]
	s_branch .LBB184_10
.LBB184_7:
                                        ; implicit-def: $vgpr3_vgpr4
                                        ; implicit-def: $sgpr2_sgpr3
	s_cbranch_execnz .LBB184_11
	s_branch .LBB184_37
.LBB184_8:
	s_or_b32 exec_lo, exec_lo, s18
	s_and_b32 vcc_lo, exec_lo, s1
	s_cbranch_vccnz .LBB184_11
	s_branch .LBB184_37
.LBB184_9:
	v_mov_b32_e32 v3, 0
	v_mov_b32_e32 v1, 0
	;; [unrolled: 1-line block ×4, first 2 shown]
.LBB184_10:
	s_mov_b32 s34, exec_lo
	s_or_b32 exec_lo, exec_lo, s18
	s_and_b32 vcc_lo, exec_lo, s1
	s_cbranch_vccz .LBB184_37
.LBB184_11:
	s_clause 0x4
	s_load_dwordx4 s[0:3], s[4:5], 0x30
	s_load_dword s35, s[4:5], 0x0
	s_load_dword s20, s[4:5], 0x28
	s_load_dwordx2 s[18:19], s[4:5], 0x40
	s_load_dword s4, s[4:5], 0x48
	v_mov_b32_e32 v3, 0
	v_mov_b32_e32 v4, 0
	s_mul_i32 s17, s17, s7
	s_mul_hi_u32 s21, s16, s7
	s_mul_i32 s16, s16, s7
	s_add_i32 s17, s21, s17
	s_mov_b32 s36, 0
	s_waitcnt lgkmcnt(0)
	s_mul_hi_u32 s5, s0, s7
	v_cmp_gt_i32_e32 vcc_lo, s35, v0
	s_mul_i32 s22, s0, s7
	s_ashr_i32 s0, s35, 31
	s_mul_i32 s1, s1, s7
	s_lshr_b32 s0, s0, 24
	v_cndmask_b32_e32 v1, 0, v0, vcc_lo
	s_add_i32 s0, s35, s0
	s_add_i32 s23, s5, s1
	s_and_b32 s0, s0, 0xffffff00
	s_mul_hi_i32 s21, s20, s6
	v_lshlrev_b32_e32 v9, 4, v1
	v_mov_b32_e32 v1, v3
	v_mov_b32_e32 v2, v4
	s_cmpk_lt_i32 s35, 0x100
	s_mul_i32 s20, s20, s6
	s_cbranch_scc1 .LBB184_14
; %bb.12:
	s_lshl_b64 s[28:29], s[20:21], 4
	s_lshl_b64 s[38:39], s[22:23], 4
	s_ashr_i32 s5, s4, 31
	v_mad_i64_i32 v[1:2], null, s4, v0, 0
	s_add_u32 s1, s28, s38
	s_addc_u32 s7, s29, s39
	s_lshl_b64 s[28:29], s[14:15], 4
	v_mov_b32_e32 v3, 0
	s_add_u32 s1, s1, s28
	s_addc_u32 s7, s7, s29
	s_add_u32 s1, s12, s1
	s_addc_u32 s7, s13, s7
	v_add_co_u32 v5, s1, s1, v9
	s_lshl_b64 s[38:39], s[18:19], 4
	v_lshlrev_b64 v[1:2], 4, v[1:2]
	s_lshl_b64 s[28:29], s[16:17], 4
	v_add_co_ci_u32_e64 v6, null, s7, 0, s1
	s_add_u32 s1, s2, s38
	s_addc_u32 s7, s3, s39
	s_add_u32 s1, s1, s28
	s_addc_u32 s7, s7, s29
	v_add_co_u32 v1, vcc_lo, s1, v1
	v_add_co_ci_u32_e64 v2, null, s7, v2, vcc_lo
	v_mov_b32_e32 v4, 0
	v_add_co_u32 v5, vcc_lo, v5, 8
	v_add_co_ci_u32_e64 v6, null, 0, v6, vcc_lo
	v_add_co_u32 v7, vcc_lo, v1, 8
	v_add_co_ci_u32_e64 v8, null, 0, v2, vcc_lo
	v_mov_b32_e32 v1, v3
	v_mov_b32_e32 v2, v4
	s_lshl_b64 s[28:29], s[4:5], 12
	.p2align	6
.LBB184_13:                             ; =>This Inner Loop Header: Depth=1
	global_load_dwordx4 v[10:13], v[5:6], off offset:-8
	global_load_dwordx4 v[14:17], v[7:8], off offset:-8
	v_add_co_u32 v5, vcc_lo, 0x1000, v5
	v_add_co_ci_u32_e64 v6, null, 0, v6, vcc_lo
	v_add_co_u32 v7, vcc_lo, v7, s28
	v_add_co_ci_u32_e64 v8, null, s29, v8, vcc_lo
	s_addk_i32 s36, 0x100
	s_cmp_ge_i32 s36, s0
	s_waitcnt vmcnt(0)
	v_mul_f64 v[18:19], v[12:13], v[16:17]
	v_mul_f64 v[12:13], v[12:13], v[14:15]
	v_fma_f64 v[14:15], v[10:11], v[14:15], v[18:19]
	v_fma_f64 v[10:11], v[10:11], v[16:17], -v[12:13]
	v_add_f64 v[1:2], v[1:2], v[14:15]
	v_add_f64 v[3:4], v[3:4], v[10:11]
	s_cbranch_scc0 .LBB184_13
.LBB184_14:
	v_add_nc_u32_e32 v5, s0, v0
	s_mov_b32 s5, exec_lo
	v_cmpx_gt_i32_e64 s35, v5
	s_cbranch_execz .LBB184_16
; %bb.15:
	s_lshl_b64 s[22:23], s[22:23], 4
	v_mad_i64_i32 v[5:6], null, s4, v5, 0
	s_add_u32 s1, s12, s22
	s_addc_u32 s7, s13, s23
	s_lshl_b64 s[12:13], s[14:15], 4
	s_add_u32 s1, s1, s12
	s_addc_u32 s7, s7, s13
	s_lshl_b64 s[12:13], s[16:17], 4
	v_add_co_u32 v7, s1, s1, v9
	s_lshl_b64 s[14:15], s[20:21], 4
	s_add_u32 s12, s2, s12
	v_add_co_ci_u32_e64 v8, null, s7, 0, s1
	v_lshlrev_b64 v[5:6], 4, v[5:6]
	s_addc_u32 s13, s3, s13
	s_lshl_b64 s[2:3], s[18:19], 4
	v_add_co_u32 v7, vcc_lo, v7, s14
	s_add_u32 s2, s12, s2
	s_addc_u32 s3, s13, s3
	s_ashr_i32 s1, s0, 31
	v_add_co_ci_u32_e64 v8, null, s15, v8, vcc_lo
	s_lshl_b64 s[0:1], s[0:1], 4
	v_add_co_u32 v5, vcc_lo, s2, v5
	v_add_co_ci_u32_e64 v6, null, s3, v6, vcc_lo
	v_add_co_u32 v9, vcc_lo, v7, s0
	v_add_co_ci_u32_e64 v10, null, s1, v8, vcc_lo
	global_load_dwordx4 v[5:8], v[5:6], off
	global_load_dwordx4 v[9:12], v[9:10], off
	s_waitcnt vmcnt(0)
	v_mul_f64 v[13:14], v[11:12], v[7:8]
	v_mul_f64 v[11:12], v[11:12], v[5:6]
	v_fma_f64 v[5:6], v[9:10], v[5:6], v[13:14]
	v_fma_f64 v[7:8], v[9:10], v[7:8], -v[11:12]
	v_add_f64 v[1:2], v[1:2], v[5:6]
	v_add_f64 v[3:4], v[3:4], v[7:8]
.LBB184_16:
	s_or_b32 exec_lo, exec_lo, s5
	v_lshlrev_b32_e32 v5, 4, v0
	s_mov_b32 s0, exec_lo
	ds_write_b128 v5, v[1:4]
	s_waitcnt lgkmcnt(0)
	s_barrier
	buffer_gl0_inv
	v_cmpx_gt_u32_e32 0x80, v0
	s_cbranch_execz .LBB184_18
; %bb.17:
	ds_read_b128 v[1:4], v5 offset:2048
	ds_read_b128 v[6:9], v5
	s_waitcnt lgkmcnt(0)
	v_add_f64 v[1:2], v[1:2], v[6:7]
	v_add_f64 v[3:4], v[3:4], v[8:9]
	ds_write_b128 v5, v[1:4]
.LBB184_18:
	s_or_b32 exec_lo, exec_lo, s0
	s_mov_b32 s0, exec_lo
	s_waitcnt lgkmcnt(0)
	s_barrier
	buffer_gl0_inv
	v_cmpx_gt_u32_e32 64, v0
	s_cbranch_execz .LBB184_20
; %bb.19:
	ds_read_b128 v[1:4], v5 offset:1024
	ds_read_b128 v[6:9], v5
	s_waitcnt lgkmcnt(0)
	v_add_f64 v[1:2], v[1:2], v[6:7]
	v_add_f64 v[3:4], v[3:4], v[8:9]
	ds_write_b128 v5, v[1:4]
.LBB184_20:
	s_or_b32 exec_lo, exec_lo, s0
	s_mov_b32 s0, exec_lo
	;; [unrolled: 15-line block ×6, first 2 shown]
	s_waitcnt lgkmcnt(0)
	s_barrier
	buffer_gl0_inv
	v_cmpx_gt_u32_e32 2, v0
	s_cbranch_execz .LBB184_30
; %bb.29:
	ds_read_b128 v[1:4], v5
	ds_read_b128 v[6:9], v5 offset:32
	s_waitcnt lgkmcnt(0)
	v_add_f64 v[1:2], v[6:7], v[1:2]
	v_add_f64 v[3:4], v[8:9], v[3:4]
	ds_write_b128 v5, v[1:4]
.LBB184_30:
	s_or_b32 exec_lo, exec_lo, s0
	v_cmp_eq_u32_e32 vcc_lo, 0, v0
	s_waitcnt lgkmcnt(0)
	s_barrier
	buffer_gl0_inv
	s_and_saveexec_b32 s0, vcc_lo
	s_cbranch_execz .LBB184_32
; %bb.31:
	v_mov_b32_e32 v8, 0
	ds_read_b128 v[0:3], v8
	ds_read_b128 v[4:7], v8 offset:16
	s_waitcnt lgkmcnt(0)
	v_add_f64 v[0:1], v[4:5], v[0:1]
	v_add_f64 v[2:3], v[6:7], v[2:3]
	ds_write_b128 v8, v[0:3]
.LBB184_32:
	s_or_b32 exec_lo, exec_lo, s0
	s_waitcnt lgkmcnt(0)
	s_barrier
	buffer_gl0_inv
                                        ; implicit-def: $vgpr3_vgpr4
                                        ; implicit-def: $sgpr2_sgpr3
	s_and_saveexec_b32 s0, vcc_lo
	s_cbranch_execz .LBB184_36
; %bb.33:
	v_mov_b32_e32 v0, 0
	v_cmp_neq_f64_e64 s1, s[24:25], 0
	v_cmp_neq_f64_e64 s2, s[26:27], 0
	s_mul_hi_i32 s3, s33, s6
	ds_read_b128 v[3:6], v0
	s_or_b32 s1, s1, s2
	s_waitcnt lgkmcnt(0)
	v_mul_f64 v[0:1], s[10:11], v[5:6]
	v_mul_f64 v[5:6], s[8:9], v[5:6]
	s_andn2_b32 vcc_lo, exec_lo, s1
	s_mul_i32 s2, s33, s6
	v_fma_f64 v[1:2], s[8:9], v[3:4], -v[0:1]
	v_fma_f64 v[3:4], s[10:11], v[3:4], v[5:6]
	s_cbranch_vccnz .LBB184_35
; %bb.34:
	s_lshl_b64 s[4:5], s[2:3], 4
	s_add_u32 s4, s30, s4
	s_addc_u32 s5, s31, s5
	s_load_dwordx4 s[4:7], s[4:5], 0x0
	s_waitcnt lgkmcnt(0)
	v_mul_f64 v[5:6], s[26:27], s[6:7]
	v_mul_f64 v[7:8], s[24:25], s[6:7]
	v_fma_f64 v[5:6], s[24:25], s[4:5], -v[5:6]
	v_fma_f64 v[7:8], s[26:27], s[4:5], v[7:8]
	v_add_f64 v[1:2], v[1:2], v[5:6]
	v_add_f64 v[3:4], v[3:4], v[7:8]
.LBB184_35:
	s_or_b32 s34, s34, exec_lo
.LBB184_36:
	s_or_b32 exec_lo, exec_lo, s0
.LBB184_37:
	s_and_saveexec_b32 s0, s34
	s_cbranch_execz .LBB184_39
; %bb.38:
	s_lshl_b64 s[0:1], s[2:3], 4
	v_mov_b32_e32 v0, 0
	s_add_u32 s0, s30, s0
	s_addc_u32 s1, s31, s1
	global_store_dwordx4 v0, v[1:4], s[0:1]
.LBB184_39:
	s_endpgm
	.section	.rodata,"a",@progbits
	.p2align	6, 0x0
	.amdhsa_kernel _ZL20rocblas_gemvt_kernelILb1ELi256E19rocblas_complex_numIdEPKS1_S1_EviiT2_lPKT1_lilS7_lilS4_lPT3_lili
		.amdhsa_group_segment_fixed_size 4096
		.amdhsa_private_segment_fixed_size 0
		.amdhsa_kernarg_size 140
		.amdhsa_user_sgpr_count 6
		.amdhsa_user_sgpr_private_segment_buffer 1
		.amdhsa_user_sgpr_dispatch_ptr 0
		.amdhsa_user_sgpr_queue_ptr 0
		.amdhsa_user_sgpr_kernarg_segment_ptr 1
		.amdhsa_user_sgpr_dispatch_id 0
		.amdhsa_user_sgpr_flat_scratch_init 0
		.amdhsa_user_sgpr_private_segment_size 0
		.amdhsa_wavefront_size32 1
		.amdhsa_uses_dynamic_stack 0
		.amdhsa_system_sgpr_private_segment_wavefront_offset 0
		.amdhsa_system_sgpr_workgroup_id_x 1
		.amdhsa_system_sgpr_workgroup_id_y 0
		.amdhsa_system_sgpr_workgroup_id_z 1
		.amdhsa_system_sgpr_workgroup_info 0
		.amdhsa_system_vgpr_workitem_id 0
		.amdhsa_next_free_vgpr 20
		.amdhsa_next_free_sgpr 40
		.amdhsa_reserve_vcc 1
		.amdhsa_reserve_flat_scratch 0
		.amdhsa_float_round_mode_32 0
		.amdhsa_float_round_mode_16_64 0
		.amdhsa_float_denorm_mode_32 3
		.amdhsa_float_denorm_mode_16_64 3
		.amdhsa_dx10_clamp 1
		.amdhsa_ieee_mode 1
		.amdhsa_fp16_overflow 0
		.amdhsa_workgroup_processor_mode 1
		.amdhsa_memory_ordered 1
		.amdhsa_forward_progress 1
		.amdhsa_shared_vgpr_count 0
		.amdhsa_exception_fp_ieee_invalid_op 0
		.amdhsa_exception_fp_denorm_src 0
		.amdhsa_exception_fp_ieee_div_zero 0
		.amdhsa_exception_fp_ieee_overflow 0
		.amdhsa_exception_fp_ieee_underflow 0
		.amdhsa_exception_fp_ieee_inexact 0
		.amdhsa_exception_int_div_zero 0
	.end_amdhsa_kernel
	.section	.text._ZL20rocblas_gemvt_kernelILb1ELi256E19rocblas_complex_numIdEPKS1_S1_EviiT2_lPKT1_lilS7_lilS4_lPT3_lili,"axG",@progbits,_ZL20rocblas_gemvt_kernelILb1ELi256E19rocblas_complex_numIdEPKS1_S1_EviiT2_lPKT1_lilS7_lilS4_lPT3_lili,comdat
.Lfunc_end184:
	.size	_ZL20rocblas_gemvt_kernelILb1ELi256E19rocblas_complex_numIdEPKS1_S1_EviiT2_lPKT1_lilS7_lilS4_lPT3_lili, .Lfunc_end184-_ZL20rocblas_gemvt_kernelILb1ELi256E19rocblas_complex_numIdEPKS1_S1_EviiT2_lPKT1_lilS7_lilS4_lPT3_lili
                                        ; -- End function
	.set _ZL20rocblas_gemvt_kernelILb1ELi256E19rocblas_complex_numIdEPKS1_S1_EviiT2_lPKT1_lilS7_lilS4_lPT3_lili.num_vgpr, 20
	.set _ZL20rocblas_gemvt_kernelILb1ELi256E19rocblas_complex_numIdEPKS1_S1_EviiT2_lPKT1_lilS7_lilS4_lPT3_lili.num_agpr, 0
	.set _ZL20rocblas_gemvt_kernelILb1ELi256E19rocblas_complex_numIdEPKS1_S1_EviiT2_lPKT1_lilS7_lilS4_lPT3_lili.numbered_sgpr, 40
	.set _ZL20rocblas_gemvt_kernelILb1ELi256E19rocblas_complex_numIdEPKS1_S1_EviiT2_lPKT1_lilS7_lilS4_lPT3_lili.num_named_barrier, 0
	.set _ZL20rocblas_gemvt_kernelILb1ELi256E19rocblas_complex_numIdEPKS1_S1_EviiT2_lPKT1_lilS7_lilS4_lPT3_lili.private_seg_size, 0
	.set _ZL20rocblas_gemvt_kernelILb1ELi256E19rocblas_complex_numIdEPKS1_S1_EviiT2_lPKT1_lilS7_lilS4_lPT3_lili.uses_vcc, 1
	.set _ZL20rocblas_gemvt_kernelILb1ELi256E19rocblas_complex_numIdEPKS1_S1_EviiT2_lPKT1_lilS7_lilS4_lPT3_lili.uses_flat_scratch, 0
	.set _ZL20rocblas_gemvt_kernelILb1ELi256E19rocblas_complex_numIdEPKS1_S1_EviiT2_lPKT1_lilS7_lilS4_lPT3_lili.has_dyn_sized_stack, 0
	.set _ZL20rocblas_gemvt_kernelILb1ELi256E19rocblas_complex_numIdEPKS1_S1_EviiT2_lPKT1_lilS7_lilS4_lPT3_lili.has_recursion, 0
	.set _ZL20rocblas_gemvt_kernelILb1ELi256E19rocblas_complex_numIdEPKS1_S1_EviiT2_lPKT1_lilS7_lilS4_lPT3_lili.has_indirect_call, 0
	.section	.AMDGPU.csdata,"",@progbits
; Kernel info:
; codeLenInByte = 1968
; TotalNumSgprs: 42
; NumVgprs: 20
; ScratchSize: 0
; MemoryBound: 0
; FloatMode: 240
; IeeeMode: 1
; LDSByteSize: 4096 bytes/workgroup (compile time only)
; SGPRBlocks: 0
; VGPRBlocks: 2
; NumSGPRsForWavesPerEU: 42
; NumVGPRsForWavesPerEU: 20
; Occupancy: 16
; WaveLimiterHint : 1
; COMPUTE_PGM_RSRC2:SCRATCH_EN: 0
; COMPUTE_PGM_RSRC2:USER_SGPR: 6
; COMPUTE_PGM_RSRC2:TRAP_HANDLER: 0
; COMPUTE_PGM_RSRC2:TGID_X_EN: 1
; COMPUTE_PGM_RSRC2:TGID_Y_EN: 0
; COMPUTE_PGM_RSRC2:TGID_Z_EN: 1
; COMPUTE_PGM_RSRC2:TIDIG_COMP_CNT: 0
	.section	.text._ZL20rocblas_gemvt_kernelILb1ELi256E19rocblas_complex_numIdES1_S1_EviiT2_lPKT1_lilS5_lilS2_lPT3_lili,"axG",@progbits,_ZL20rocblas_gemvt_kernelILb1ELi256E19rocblas_complex_numIdES1_S1_EviiT2_lPKT1_lilS5_lilS2_lPT3_lili,comdat
	.globl	_ZL20rocblas_gemvt_kernelILb1ELi256E19rocblas_complex_numIdES1_S1_EviiT2_lPKT1_lilS5_lilS2_lPT3_lili ; -- Begin function _ZL20rocblas_gemvt_kernelILb1ELi256E19rocblas_complex_numIdES1_S1_EviiT2_lPKT1_lilS5_lilS2_lPT3_lili
	.p2align	8
	.type	_ZL20rocblas_gemvt_kernelILb1ELi256E19rocblas_complex_numIdES1_S1_EviiT2_lPKT1_lilS5_lilS2_lPT3_lili,@function
_ZL20rocblas_gemvt_kernelILb1ELi256E19rocblas_complex_numIdES1_S1_EviiT2_lPKT1_lilS5_lilS2_lPT3_lili: ; @_ZL20rocblas_gemvt_kernelILb1ELi256E19rocblas_complex_numIdES1_S1_EviiT2_lPKT1_lilS5_lilS2_lPT3_lili
; %bb.0:
	s_clause 0x2
	s_load_dwordx4 s[12:15], s[4:5], 0x8
	s_load_dwordx4 s[8:11], s[4:5], 0x58
	s_load_dwordx2 s[20:21], s[4:5], 0x68
	s_waitcnt lgkmcnt(0)
	v_cmp_neq_f64_e64 s0, s[12:13], 0
	v_cmp_neq_f64_e64 s1, s[14:15], 0
	s_or_b32 s0, s0, s1
	s_mov_b32 s1, -1
	s_and_b32 vcc_lo, exec_lo, s0
	s_cbranch_vccnz .LBB185_2
; %bb.1:
	v_cmp_neq_f64_e64 s1, s[10:11], 1.0
	v_cmp_neq_f64_e64 s2, s[20:21], 0
	s_or_b32 s1, s1, s2
.LBB185_2:
	s_andn2_b32 vcc_lo, exec_lo, s1
	s_cbranch_vccnz .LBB185_39
; %bb.3:
	s_clause 0x2
	s_load_dwordx2 s[2:3], s[4:5], 0x90
	s_load_dwordx4 s[16:19], s[4:5], 0x78
	s_load_dword s33, s[4:5], 0x88
	s_xor_b32 s22, s0, -1
	s_mov_b32 s34, 0
	s_waitcnt lgkmcnt(0)
	s_mul_i32 s1, s3, s7
	s_mul_hi_u32 s3, s2, s7
	s_mul_i32 s0, s2, s7
	s_add_i32 s1, s3, s1
	s_lshl_b64 s[0:1], s[0:1], 4
	s_add_u32 s16, s16, s0
	s_addc_u32 s1, s17, s1
	s_lshl_b64 s[2:3], s[18:19], 4
	v_cmp_eq_u32_e64 s0, 0, v0
	s_add_u32 s30, s16, s2
	s_addc_u32 s31, s1, s3
	s_andn2_b32 vcc_lo, exec_lo, s22
	s_cbranch_vccnz .LBB185_7
; %bb.4:
	s_mov_b32 s1, 0
                                        ; implicit-def: $vgpr3_vgpr4
                                        ; implicit-def: $sgpr2_sgpr3
	s_and_saveexec_b32 s16, s0
	s_cbranch_execz .LBB185_8
; %bb.5:
	v_cmp_neq_f64_e64 s0, s[10:11], 0
	v_cmp_neq_f64_e64 s2, s[20:21], 0
	s_mul_hi_i32 s3, s33, s6
	s_or_b32 s0, s0, s2
	s_mul_i32 s2, s33, s6
	s_andn2_b32 vcc_lo, exec_lo, s0
	s_cbranch_vccnz .LBB185_9
; %bb.6:
	s_lshl_b64 s[18:19], s[2:3], 4
	s_add_u32 s18, s30, s18
	s_addc_u32 s19, s31, s19
	s_load_dwordx4 s[24:27], s[18:19], 0x0
	s_waitcnt lgkmcnt(0)
	v_mul_f64 v[1:2], s[20:21], s[26:27]
	v_mul_f64 v[3:4], s[10:11], s[26:27]
	v_fma_f64 v[1:2], s[10:11], s[24:25], -v[1:2]
	v_fma_f64 v[3:4], s[20:21], s[24:25], v[3:4]
	s_branch .LBB185_10
.LBB185_7:
                                        ; implicit-def: $vgpr3_vgpr4
                                        ; implicit-def: $sgpr2_sgpr3
	s_cbranch_execnz .LBB185_11
	s_branch .LBB185_37
.LBB185_8:
	s_or_b32 exec_lo, exec_lo, s16
	s_and_b32 vcc_lo, exec_lo, s1
	s_cbranch_vccnz .LBB185_11
	s_branch .LBB185_37
.LBB185_9:
	v_mov_b32_e32 v3, 0
	v_mov_b32_e32 v1, 0
	;; [unrolled: 1-line block ×4, first 2 shown]
.LBB185_10:
	s_mov_b32 s34, exec_lo
	s_or_b32 exec_lo, exec_lo, s16
	s_and_b32 vcc_lo, exec_lo, s1
	s_cbranch_vccz .LBB185_37
.LBB185_11:
	s_clause 0x5
	s_load_dwordx4 s[0:3], s[4:5], 0x38
	s_load_dword s35, s[4:5], 0x0
	s_load_dword s24, s[4:5], 0x30
	s_load_dwordx4 s[16:19], s[4:5], 0x20
	s_load_dwordx2 s[22:23], s[4:5], 0x48
	s_load_dword s4, s[4:5], 0x50
	v_mov_b32_e32 v3, 0
	v_mov_b32_e32 v4, 0
	s_mul_i32 s9, s9, s7
	s_mul_hi_u32 s25, s8, s7
	s_mul_i32 s8, s8, s7
	s_add_i32 s9, s25, s9
	s_mov_b32 s36, 0
	s_waitcnt lgkmcnt(0)
	s_mul_hi_u32 s5, s0, s7
	v_cmp_gt_i32_e32 vcc_lo, s35, v0
	s_mul_i32 s26, s0, s7
	s_ashr_i32 s0, s35, 31
	s_mul_i32 s1, s1, s7
	s_lshr_b32 s0, s0, 24
	v_cndmask_b32_e32 v1, 0, v0, vcc_lo
	s_add_i32 s0, s35, s0
	s_add_i32 s27, s5, s1
	s_and_b32 s0, s0, 0xffffff00
	s_mul_hi_i32 s25, s24, s6
	v_lshlrev_b32_e32 v9, 4, v1
	v_mov_b32_e32 v1, v3
	v_mov_b32_e32 v2, v4
	s_cmpk_lt_i32 s35, 0x100
	s_mul_i32 s24, s24, s6
	s_cbranch_scc1 .LBB185_14
; %bb.12:
	s_lshl_b64 s[28:29], s[24:25], 4
	s_lshl_b64 s[38:39], s[26:27], 4
	s_ashr_i32 s5, s4, 31
	v_mad_i64_i32 v[1:2], null, s4, v0, 0
	s_add_u32 s1, s28, s38
	s_addc_u32 s7, s29, s39
	s_lshl_b64 s[28:29], s[18:19], 4
	v_mov_b32_e32 v3, 0
	s_add_u32 s1, s1, s28
	s_addc_u32 s7, s7, s29
	s_add_u32 s1, s16, s1
	s_addc_u32 s7, s17, s7
	v_add_co_u32 v5, s1, s1, v9
	s_lshl_b64 s[38:39], s[22:23], 4
	v_lshlrev_b64 v[1:2], 4, v[1:2]
	s_lshl_b64 s[28:29], s[8:9], 4
	v_add_co_ci_u32_e64 v6, null, s7, 0, s1
	s_add_u32 s1, s2, s38
	s_addc_u32 s7, s3, s39
	s_add_u32 s1, s1, s28
	s_addc_u32 s7, s7, s29
	v_add_co_u32 v1, vcc_lo, s1, v1
	v_add_co_ci_u32_e64 v2, null, s7, v2, vcc_lo
	v_mov_b32_e32 v4, 0
	v_add_co_u32 v5, vcc_lo, v5, 8
	v_add_co_ci_u32_e64 v6, null, 0, v6, vcc_lo
	v_add_co_u32 v7, vcc_lo, v1, 8
	v_add_co_ci_u32_e64 v8, null, 0, v2, vcc_lo
	v_mov_b32_e32 v1, v3
	v_mov_b32_e32 v2, v4
	s_lshl_b64 s[28:29], s[4:5], 12
	.p2align	6
.LBB185_13:                             ; =>This Inner Loop Header: Depth=1
	global_load_dwordx4 v[10:13], v[5:6], off offset:-8
	global_load_dwordx4 v[14:17], v[7:8], off offset:-8
	v_add_co_u32 v5, vcc_lo, 0x1000, v5
	v_add_co_ci_u32_e64 v6, null, 0, v6, vcc_lo
	v_add_co_u32 v7, vcc_lo, v7, s28
	v_add_co_ci_u32_e64 v8, null, s29, v8, vcc_lo
	s_addk_i32 s36, 0x100
	s_cmp_ge_i32 s36, s0
	s_waitcnt vmcnt(0)
	v_mul_f64 v[18:19], v[12:13], v[16:17]
	v_mul_f64 v[12:13], v[12:13], v[14:15]
	v_fma_f64 v[14:15], v[10:11], v[14:15], v[18:19]
	v_fma_f64 v[10:11], v[10:11], v[16:17], -v[12:13]
	v_add_f64 v[1:2], v[1:2], v[14:15]
	v_add_f64 v[3:4], v[3:4], v[10:11]
	s_cbranch_scc0 .LBB185_13
.LBB185_14:
	v_add_nc_u32_e32 v5, s0, v0
	s_mov_b32 s5, exec_lo
	v_cmpx_gt_i32_e64 s35, v5
	s_cbranch_execz .LBB185_16
; %bb.15:
	s_lshl_b64 s[26:27], s[26:27], 4
	v_mad_i64_i32 v[5:6], null, s4, v5, 0
	s_add_u32 s1, s16, s26
	s_addc_u32 s7, s17, s27
	s_lshl_b64 s[16:17], s[18:19], 4
	s_add_u32 s1, s1, s16
	s_addc_u32 s7, s7, s17
	s_lshl_b64 s[8:9], s[8:9], 4
	v_add_co_u32 v7, s1, s1, v9
	s_lshl_b64 s[16:17], s[24:25], 4
	s_add_u32 s8, s2, s8
	v_add_co_ci_u32_e64 v8, null, s7, 0, s1
	v_lshlrev_b64 v[5:6], 4, v[5:6]
	s_addc_u32 s9, s3, s9
	s_lshl_b64 s[2:3], s[22:23], 4
	v_add_co_u32 v7, vcc_lo, v7, s16
	s_add_u32 s2, s8, s2
	s_addc_u32 s3, s9, s3
	s_ashr_i32 s1, s0, 31
	v_add_co_ci_u32_e64 v8, null, s17, v8, vcc_lo
	s_lshl_b64 s[0:1], s[0:1], 4
	v_add_co_u32 v5, vcc_lo, s2, v5
	v_add_co_ci_u32_e64 v6, null, s3, v6, vcc_lo
	v_add_co_u32 v9, vcc_lo, v7, s0
	v_add_co_ci_u32_e64 v10, null, s1, v8, vcc_lo
	global_load_dwordx4 v[5:8], v[5:6], off
	global_load_dwordx4 v[9:12], v[9:10], off
	s_waitcnt vmcnt(0)
	v_mul_f64 v[13:14], v[11:12], v[7:8]
	v_mul_f64 v[11:12], v[11:12], v[5:6]
	v_fma_f64 v[5:6], v[9:10], v[5:6], v[13:14]
	v_fma_f64 v[7:8], v[9:10], v[7:8], -v[11:12]
	v_add_f64 v[1:2], v[1:2], v[5:6]
	v_add_f64 v[3:4], v[3:4], v[7:8]
.LBB185_16:
	s_or_b32 exec_lo, exec_lo, s5
	v_lshlrev_b32_e32 v5, 4, v0
	s_mov_b32 s0, exec_lo
	ds_write_b128 v5, v[1:4]
	s_waitcnt lgkmcnt(0)
	s_barrier
	buffer_gl0_inv
	v_cmpx_gt_u32_e32 0x80, v0
	s_cbranch_execz .LBB185_18
; %bb.17:
	ds_read_b128 v[1:4], v5 offset:2048
	ds_read_b128 v[6:9], v5
	s_waitcnt lgkmcnt(0)
	v_add_f64 v[1:2], v[1:2], v[6:7]
	v_add_f64 v[3:4], v[3:4], v[8:9]
	ds_write_b128 v5, v[1:4]
.LBB185_18:
	s_or_b32 exec_lo, exec_lo, s0
	s_mov_b32 s0, exec_lo
	s_waitcnt lgkmcnt(0)
	s_barrier
	buffer_gl0_inv
	v_cmpx_gt_u32_e32 64, v0
	s_cbranch_execz .LBB185_20
; %bb.19:
	ds_read_b128 v[1:4], v5 offset:1024
	ds_read_b128 v[6:9], v5
	s_waitcnt lgkmcnt(0)
	v_add_f64 v[1:2], v[1:2], v[6:7]
	v_add_f64 v[3:4], v[3:4], v[8:9]
	ds_write_b128 v5, v[1:4]
.LBB185_20:
	s_or_b32 exec_lo, exec_lo, s0
	s_mov_b32 s0, exec_lo
	;; [unrolled: 15-line block ×6, first 2 shown]
	s_waitcnt lgkmcnt(0)
	s_barrier
	buffer_gl0_inv
	v_cmpx_gt_u32_e32 2, v0
	s_cbranch_execz .LBB185_30
; %bb.29:
	ds_read_b128 v[1:4], v5
	ds_read_b128 v[6:9], v5 offset:32
	s_waitcnt lgkmcnt(0)
	v_add_f64 v[1:2], v[6:7], v[1:2]
	v_add_f64 v[3:4], v[8:9], v[3:4]
	ds_write_b128 v5, v[1:4]
.LBB185_30:
	s_or_b32 exec_lo, exec_lo, s0
	v_cmp_eq_u32_e32 vcc_lo, 0, v0
	s_waitcnt lgkmcnt(0)
	s_barrier
	buffer_gl0_inv
	s_and_saveexec_b32 s0, vcc_lo
	s_cbranch_execz .LBB185_32
; %bb.31:
	v_mov_b32_e32 v8, 0
	ds_read_b128 v[0:3], v8
	ds_read_b128 v[4:7], v8 offset:16
	s_waitcnt lgkmcnt(0)
	v_add_f64 v[0:1], v[4:5], v[0:1]
	v_add_f64 v[2:3], v[6:7], v[2:3]
	ds_write_b128 v8, v[0:3]
.LBB185_32:
	s_or_b32 exec_lo, exec_lo, s0
	s_waitcnt lgkmcnt(0)
	s_barrier
	buffer_gl0_inv
                                        ; implicit-def: $vgpr3_vgpr4
                                        ; implicit-def: $sgpr2_sgpr3
	s_and_saveexec_b32 s0, vcc_lo
	s_cbranch_execz .LBB185_36
; %bb.33:
	v_mov_b32_e32 v0, 0
	v_cmp_neq_f64_e64 s1, s[10:11], 0
	v_cmp_neq_f64_e64 s2, s[20:21], 0
	s_mul_hi_i32 s3, s33, s6
	ds_read_b128 v[3:6], v0
	s_or_b32 s1, s1, s2
	s_waitcnt lgkmcnt(0)
	v_mul_f64 v[0:1], s[14:15], v[5:6]
	v_mul_f64 v[5:6], s[12:13], v[5:6]
	s_andn2_b32 vcc_lo, exec_lo, s1
	s_mul_i32 s2, s33, s6
	v_fma_f64 v[1:2], s[12:13], v[3:4], -v[0:1]
	v_fma_f64 v[3:4], s[14:15], v[3:4], v[5:6]
	s_cbranch_vccnz .LBB185_35
; %bb.34:
	s_lshl_b64 s[4:5], s[2:3], 4
	s_add_u32 s4, s30, s4
	s_addc_u32 s5, s31, s5
	s_load_dwordx4 s[4:7], s[4:5], 0x0
	s_waitcnt lgkmcnt(0)
	v_mul_f64 v[5:6], s[20:21], s[6:7]
	v_mul_f64 v[7:8], s[10:11], s[6:7]
	v_fma_f64 v[5:6], s[10:11], s[4:5], -v[5:6]
	v_fma_f64 v[7:8], s[20:21], s[4:5], v[7:8]
	v_add_f64 v[1:2], v[1:2], v[5:6]
	v_add_f64 v[3:4], v[3:4], v[7:8]
.LBB185_35:
	s_or_b32 s34, s34, exec_lo
.LBB185_36:
	s_or_b32 exec_lo, exec_lo, s0
.LBB185_37:
	s_and_saveexec_b32 s0, s34
	s_cbranch_execz .LBB185_39
; %bb.38:
	s_lshl_b64 s[0:1], s[2:3], 4
	v_mov_b32_e32 v0, 0
	s_add_u32 s0, s30, s0
	s_addc_u32 s1, s31, s1
	global_store_dwordx4 v0, v[1:4], s[0:1]
.LBB185_39:
	s_endpgm
	.section	.rodata,"a",@progbits
	.p2align	6, 0x0
	.amdhsa_kernel _ZL20rocblas_gemvt_kernelILb1ELi256E19rocblas_complex_numIdES1_S1_EviiT2_lPKT1_lilS5_lilS2_lPT3_lili
		.amdhsa_group_segment_fixed_size 4096
		.amdhsa_private_segment_fixed_size 0
		.amdhsa_kernarg_size 156
		.amdhsa_user_sgpr_count 6
		.amdhsa_user_sgpr_private_segment_buffer 1
		.amdhsa_user_sgpr_dispatch_ptr 0
		.amdhsa_user_sgpr_queue_ptr 0
		.amdhsa_user_sgpr_kernarg_segment_ptr 1
		.amdhsa_user_sgpr_dispatch_id 0
		.amdhsa_user_sgpr_flat_scratch_init 0
		.amdhsa_user_sgpr_private_segment_size 0
		.amdhsa_wavefront_size32 1
		.amdhsa_uses_dynamic_stack 0
		.amdhsa_system_sgpr_private_segment_wavefront_offset 0
		.amdhsa_system_sgpr_workgroup_id_x 1
		.amdhsa_system_sgpr_workgroup_id_y 0
		.amdhsa_system_sgpr_workgroup_id_z 1
		.amdhsa_system_sgpr_workgroup_info 0
		.amdhsa_system_vgpr_workitem_id 0
		.amdhsa_next_free_vgpr 20
		.amdhsa_next_free_sgpr 40
		.amdhsa_reserve_vcc 1
		.amdhsa_reserve_flat_scratch 0
		.amdhsa_float_round_mode_32 0
		.amdhsa_float_round_mode_16_64 0
		.amdhsa_float_denorm_mode_32 3
		.amdhsa_float_denorm_mode_16_64 3
		.amdhsa_dx10_clamp 1
		.amdhsa_ieee_mode 1
		.amdhsa_fp16_overflow 0
		.amdhsa_workgroup_processor_mode 1
		.amdhsa_memory_ordered 1
		.amdhsa_forward_progress 1
		.amdhsa_shared_vgpr_count 0
		.amdhsa_exception_fp_ieee_invalid_op 0
		.amdhsa_exception_fp_denorm_src 0
		.amdhsa_exception_fp_ieee_div_zero 0
		.amdhsa_exception_fp_ieee_overflow 0
		.amdhsa_exception_fp_ieee_underflow 0
		.amdhsa_exception_fp_ieee_inexact 0
		.amdhsa_exception_int_div_zero 0
	.end_amdhsa_kernel
	.section	.text._ZL20rocblas_gemvt_kernelILb1ELi256E19rocblas_complex_numIdES1_S1_EviiT2_lPKT1_lilS5_lilS2_lPT3_lili,"axG",@progbits,_ZL20rocblas_gemvt_kernelILb1ELi256E19rocblas_complex_numIdES1_S1_EviiT2_lPKT1_lilS5_lilS2_lPT3_lili,comdat
.Lfunc_end185:
	.size	_ZL20rocblas_gemvt_kernelILb1ELi256E19rocblas_complex_numIdES1_S1_EviiT2_lPKT1_lilS5_lilS2_lPT3_lili, .Lfunc_end185-_ZL20rocblas_gemvt_kernelILb1ELi256E19rocblas_complex_numIdES1_S1_EviiT2_lPKT1_lilS5_lilS2_lPT3_lili
                                        ; -- End function
	.set _ZL20rocblas_gemvt_kernelILb1ELi256E19rocblas_complex_numIdES1_S1_EviiT2_lPKT1_lilS5_lilS2_lPT3_lili.num_vgpr, 20
	.set _ZL20rocblas_gemvt_kernelILb1ELi256E19rocblas_complex_numIdES1_S1_EviiT2_lPKT1_lilS5_lilS2_lPT3_lili.num_agpr, 0
	.set _ZL20rocblas_gemvt_kernelILb1ELi256E19rocblas_complex_numIdES1_S1_EviiT2_lPKT1_lilS5_lilS2_lPT3_lili.numbered_sgpr, 40
	.set _ZL20rocblas_gemvt_kernelILb1ELi256E19rocblas_complex_numIdES1_S1_EviiT2_lPKT1_lilS5_lilS2_lPT3_lili.num_named_barrier, 0
	.set _ZL20rocblas_gemvt_kernelILb1ELi256E19rocblas_complex_numIdES1_S1_EviiT2_lPKT1_lilS5_lilS2_lPT3_lili.private_seg_size, 0
	.set _ZL20rocblas_gemvt_kernelILb1ELi256E19rocblas_complex_numIdES1_S1_EviiT2_lPKT1_lilS5_lilS2_lPT3_lili.uses_vcc, 1
	.set _ZL20rocblas_gemvt_kernelILb1ELi256E19rocblas_complex_numIdES1_S1_EviiT2_lPKT1_lilS5_lilS2_lPT3_lili.uses_flat_scratch, 0
	.set _ZL20rocblas_gemvt_kernelILb1ELi256E19rocblas_complex_numIdES1_S1_EviiT2_lPKT1_lilS5_lilS2_lPT3_lili.has_dyn_sized_stack, 0
	.set _ZL20rocblas_gemvt_kernelILb1ELi256E19rocblas_complex_numIdES1_S1_EviiT2_lPKT1_lilS5_lilS2_lPT3_lili.has_recursion, 0
	.set _ZL20rocblas_gemvt_kernelILb1ELi256E19rocblas_complex_numIdES1_S1_EviiT2_lPKT1_lilS5_lilS2_lPT3_lili.has_indirect_call, 0
	.section	.AMDGPU.csdata,"",@progbits
; Kernel info:
; codeLenInByte = 1904
; TotalNumSgprs: 42
; NumVgprs: 20
; ScratchSize: 0
; MemoryBound: 0
; FloatMode: 240
; IeeeMode: 1
; LDSByteSize: 4096 bytes/workgroup (compile time only)
; SGPRBlocks: 0
; VGPRBlocks: 2
; NumSGPRsForWavesPerEU: 42
; NumVGPRsForWavesPerEU: 20
; Occupancy: 16
; WaveLimiterHint : 1
; COMPUTE_PGM_RSRC2:SCRATCH_EN: 0
; COMPUTE_PGM_RSRC2:USER_SGPR: 6
; COMPUTE_PGM_RSRC2:TRAP_HANDLER: 0
; COMPUTE_PGM_RSRC2:TGID_X_EN: 1
; COMPUTE_PGM_RSRC2:TGID_Y_EN: 0
; COMPUTE_PGM_RSRC2:TGID_Z_EN: 1
; COMPUTE_PGM_RSRC2:TIDIG_COMP_CNT: 0
	.section	.text._ZL32rocblas_gemvt_warp_reduce_kernelILb1ELi1024Ei19rocblas_complex_numIdEPKS1_S1_EviiT3_lPKT2_lT1_lS7_lS8_lS4_lPT4_lS8_li,"axG",@progbits,_ZL32rocblas_gemvt_warp_reduce_kernelILb1ELi1024Ei19rocblas_complex_numIdEPKS1_S1_EviiT3_lPKT2_lT1_lS7_lS8_lS4_lPT4_lS8_li,comdat
	.globl	_ZL32rocblas_gemvt_warp_reduce_kernelILb1ELi1024Ei19rocblas_complex_numIdEPKS1_S1_EviiT3_lPKT2_lT1_lS7_lS8_lS4_lPT4_lS8_li ; -- Begin function _ZL32rocblas_gemvt_warp_reduce_kernelILb1ELi1024Ei19rocblas_complex_numIdEPKS1_S1_EviiT3_lPKT2_lT1_lS7_lS8_lS4_lPT4_lS8_li
	.p2align	8
	.type	_ZL32rocblas_gemvt_warp_reduce_kernelILb1ELi1024Ei19rocblas_complex_numIdEPKS1_S1_EviiT3_lPKT2_lT1_lS7_lS8_lS4_lPT4_lS8_li,@function
_ZL32rocblas_gemvt_warp_reduce_kernelILb1ELi1024Ei19rocblas_complex_numIdEPKS1_S1_EviiT3_lPKT2_lT1_lS7_lS8_lS4_lPT4_lS8_li: ; @_ZL32rocblas_gemvt_warp_reduce_kernelILb1ELi1024Ei19rocblas_complex_numIdEPKS1_S1_EviiT3_lPKT2_lT1_lS7_lS8_lS4_lPT4_lS8_li
; %bb.0:
	s_clause 0x1
	s_load_dwordx8 s[8:15], s[4:5], 0x8
	s_load_dwordx8 s[16:23], s[4:5], 0x50
	s_waitcnt lgkmcnt(0)
	s_mul_i32 s1, s11, s7
	s_mul_hi_u32 s2, s10, s7
	s_mul_i32 s0, s10, s7
	s_add_i32 s1, s2, s1
	s_lshl_b64 s[0:1], s[0:1], 4
	s_add_u32 s0, s8, s0
	s_addc_u32 s1, s9, s1
	s_load_dwordx4 s[8:11], s[0:1], 0x0
	s_mul_i32 s0, s21, s7
	s_mul_hi_u32 s1, s20, s7
	s_add_i32 s1, s1, s0
	s_mul_i32 s0, s20, s7
	s_lshl_b64 s[0:1], s[0:1], 4
	s_add_u32 s0, s18, s0
	s_addc_u32 s1, s19, s1
	s_load_dwordx4 s[24:27], s[0:1], 0x0
	s_mov_b32 s1, -1
	s_waitcnt lgkmcnt(0)
	v_cmp_neq_f64_e64 s2, s[8:9], 0
	v_cmp_neq_f64_e64 s3, s[10:11], 0
	s_or_b32 s0, s2, s3
	s_and_b32 vcc_lo, exec_lo, s0
	s_cbranch_vccnz .LBB186_2
; %bb.1:
	v_cmp_neq_f64_e64 s1, s[24:25], 1.0
	v_cmp_neq_f64_e64 s2, s[26:27], 0
	s_or_b32 s1, s1, s2
.LBB186_2:
	s_andn2_b32 vcc_lo, exec_lo, s1
	s_cbranch_vccnz .LBB186_32
; %bb.3:
	s_clause 0x2
	s_load_dwordx2 s[2:3], s[4:5], 0x80
	s_load_dwordx2 s[18:19], s[4:5], 0x70
	s_load_dword s20, s[4:5], 0x78
	s_xor_b32 s21, s0, -1
	s_waitcnt lgkmcnt(0)
	s_mul_i32 s1, s3, s7
	s_mul_hi_u32 s3, s2, s7
	s_mul_i32 s0, s2, s7
	s_add_i32 s1, s3, s1
	s_lshl_b64 s[0:1], s[0:1], 4
	s_add_u32 s22, s22, s0
	s_addc_u32 s1, s23, s1
	s_lshl_b64 s[2:3], s[18:19], 4
	v_cmp_eq_u32_e64 s0, 0, v0
	s_add_u32 s18, s22, s2
	s_addc_u32 s19, s1, s3
	s_andn2_b32 vcc_lo, exec_lo, s21
	s_mov_b32 s21, 0
	s_cbranch_vccnz .LBB186_7
; %bb.4:
	s_mov_b32 s1, 0
                                        ; implicit-def: $vgpr3_vgpr4
                                        ; implicit-def: $sgpr2_sgpr3
	s_and_saveexec_b32 s22, s0
	s_cbranch_execz .LBB186_8
; %bb.5:
	v_cmp_neq_f64_e64 s0, s[24:25], 0
	v_cmp_neq_f64_e64 s2, s[26:27], 0
	s_or_b32 s0, s0, s2
	s_mul_i32 s2, s20, s6
	s_andn2_b32 vcc_lo, exec_lo, s0
	s_ashr_i32 s3, s2, 31
	s_cbranch_vccnz .LBB186_9
; %bb.6:
	s_lshl_b64 s[28:29], s[2:3], 4
	s_add_u32 s28, s18, s28
	s_addc_u32 s29, s19, s29
	s_load_dwordx4 s[28:31], s[28:29], 0x0
	s_waitcnt lgkmcnt(0)
	v_mul_f64 v[1:2], s[26:27], s[30:31]
	v_mul_f64 v[3:4], s[24:25], s[30:31]
	v_fma_f64 v[1:2], s[24:25], s[28:29], -v[1:2]
	v_fma_f64 v[3:4], s[26:27], s[28:29], v[3:4]
	s_branch .LBB186_10
.LBB186_7:
                                        ; implicit-def: $vgpr3_vgpr4
                                        ; implicit-def: $sgpr2_sgpr3
	s_cbranch_execnz .LBB186_11
	s_branch .LBB186_30
.LBB186_8:
	s_or_b32 exec_lo, exec_lo, s22
	s_and_b32 vcc_lo, exec_lo, s1
	s_cbranch_vccnz .LBB186_11
	s_branch .LBB186_30
.LBB186_9:
	v_mov_b32_e32 v3, 0
	v_mov_b32_e32 v1, 0
	;; [unrolled: 1-line block ×4, first 2 shown]
.LBB186_10:
	s_mov_b32 s21, exec_lo
	s_or_b32 exec_lo, exec_lo, s22
	s_and_b32 vcc_lo, exec_lo, s1
	s_cbranch_vccz .LBB186_30
.LBB186_11:
	s_clause 0x4
	s_load_dwordx4 s[0:3], s[4:5], 0x30
	s_load_dwordx2 s[30:31], s[4:5], 0x40
	s_load_dword s28, s[4:5], 0x0
	s_load_dword s29, s[4:5], 0x28
	;; [unrolled: 1-line block ×3, first 2 shown]
	s_mul_i32 s17, s17, s7
	s_mul_hi_u32 s23, s16, s7
	s_mul_i32 s16, s16, s7
	s_add_i32 s17, s23, s17
	v_mov_b32_e32 v1, 0
	s_lshl_b64 s[4:5], s[16:17], 4
	v_mov_b32_e32 v3, 0
	v_mov_b32_e32 v2, 0
	;; [unrolled: 1-line block ×3, first 2 shown]
	s_waitcnt lgkmcnt(0)
	s_add_u32 s4, s2, s4
	s_addc_u32 s5, s3, s5
	v_cmp_gt_i32_e32 vcc_lo, s28, v0
	s_lshl_b64 s[2:3], s[30:31], 4
	s_mul_i32 s17, s1, s7
	s_add_u32 s1, s4, s2
	s_addc_u32 s23, s5, s3
	v_cndmask_b32_e32 v5, 0, v0, vcc_lo
	s_ashr_i32 s2, s28, 31
	s_mul_hi_u32 s3, s0, s7
	s_lshr_b32 s2, s2, 22
	s_mul_i32 s4, s29, s6
	v_lshlrev_b32_e32 v9, 4, v5
	s_add_i32 s2, s28, s2
	s_mul_i32 s16, s0, s7
	s_and_b32 s2, s2, 0xfffffc00
	s_add_i32 s17, s3, s17
	s_mov_b32 s7, 0
	s_ashr_i32 s5, s4, 31
	s_mov_b32 s3, exec_lo
	v_cmpx_gt_i32_e64 s2, v0
	s_cbranch_execz .LBB186_15
; %bb.12:
	s_lshl_b64 s[30:31], s[16:17], 4
	s_lshl_b64 s[34:35], s[14:15], 4
	s_lshl_b32 s29, s22, 10
	s_add_u32 s0, s30, s34
	s_addc_u32 s33, s31, s35
	s_lshl_b64 s[30:31], s[4:5], 4
	v_mul_lo_u32 v5, v0, s22
	s_add_u32 s0, s0, s30
	s_addc_u32 s30, s33, s31
	s_add_u32 s0, s12, s0
	s_addc_u32 s30, s13, s30
	v_add_co_u32 v1, s0, s0, v9
	v_add_co_ci_u32_e64 v2, null, s30, 0, s0
	v_mov_b32_e32 v3, 0
	v_add_co_u32 v7, vcc_lo, v1, 8
	v_add_co_ci_u32_e64 v8, null, 0, v2, vcc_lo
	v_mov_b32_e32 v1, 0
	v_mov_b32_e32 v2, 0
	v_mov_b32_e32 v4, 0
	v_mov_b32_e32 v10, v0
	s_inst_prefetch 0x1
	.p2align	6
.LBB186_13:                             ; =>This Inner Loop Header: Depth=1
	v_ashrrev_i32_e32 v6, 31, v5
	v_add_nc_u32_e32 v10, 0x400, v10
	v_lshlrev_b64 v[11:12], 4, v[5:6]
	v_cmp_le_i32_e64 s0, s2, v10
	v_add_nc_u32_e32 v5, s29, v5
	s_or_b32 s7, s0, s7
	v_add_co_u32 v15, vcc_lo, s1, v11
	v_add_co_ci_u32_e64 v16, null, s23, v12, vcc_lo
	global_load_dwordx4 v[11:14], v[7:8], off offset:-8
	global_load_dwordx4 v[15:18], v[15:16], off
	v_add_co_u32 v7, vcc_lo, 0x4000, v7
	v_add_co_ci_u32_e64 v8, null, 0, v8, vcc_lo
	s_waitcnt vmcnt(0)
	v_mul_f64 v[19:20], v[13:14], v[17:18]
	v_mul_f64 v[13:14], v[13:14], v[15:16]
	v_fma_f64 v[15:16], v[11:12], v[15:16], v[19:20]
	v_fma_f64 v[11:12], v[11:12], v[17:18], -v[13:14]
	v_add_f64 v[3:4], v[3:4], v[15:16]
	v_add_f64 v[1:2], v[1:2], v[11:12]
	s_andn2_b32 exec_lo, exec_lo, s7
	s_cbranch_execnz .LBB186_13
; %bb.14:
	s_inst_prefetch 0x2
	s_or_b32 exec_lo, exec_lo, s7
.LBB186_15:
	s_or_b32 exec_lo, exec_lo, s3
	v_or_b32_e32 v5, s2, v0
	s_mov_b32 s0, exec_lo
	v_cmpx_gt_i32_e64 s28, v5
	s_cbranch_execz .LBB186_17
; %bb.16:
	s_lshl_b64 s[16:17], s[16:17], 4
	v_mul_lo_u32 v5, s22, v5
	s_add_u32 s3, s12, s16
	s_addc_u32 s7, s13, s17
	s_lshl_b64 s[12:13], s[14:15], 4
	s_add_u32 s3, s3, s12
	s_addc_u32 s7, s7, s13
	v_add_co_u32 v7, s3, s3, v9
	v_ashrrev_i32_e32 v6, 31, v5
	v_add_co_ci_u32_e64 v8, null, s7, 0, s3
	s_lshl_b64 s[4:5], s[4:5], 4
	s_ashr_i32 s3, s2, 31
	v_add_co_u32 v7, vcc_lo, v7, s4
	v_lshlrev_b64 v[5:6], 4, v[5:6]
	v_add_co_ci_u32_e64 v8, null, s5, v8, vcc_lo
	s_lshl_b64 s[2:3], s[2:3], 4
	v_add_co_u32 v7, vcc_lo, v7, s2
	v_add_co_ci_u32_e64 v8, null, s3, v8, vcc_lo
	v_add_co_u32 v9, vcc_lo, s1, v5
	v_add_co_ci_u32_e64 v10, null, s23, v6, vcc_lo
	global_load_dwordx4 v[5:8], v[7:8], off
	global_load_dwordx4 v[9:12], v[9:10], off
	s_waitcnt vmcnt(0)
	v_mul_f64 v[13:14], v[7:8], v[11:12]
	v_mul_f64 v[7:8], v[7:8], v[9:10]
	v_fma_f64 v[9:10], v[5:6], v[9:10], v[13:14]
	v_fma_f64 v[5:6], v[5:6], v[11:12], -v[7:8]
	v_add_f64 v[3:4], v[3:4], v[9:10]
	v_add_f64 v[1:2], v[1:2], v[5:6]
.LBB186_17:
	s_or_b32 exec_lo, exec_lo, s0
	v_and_b32_e32 v15, 31, v0
	v_cmp_gt_u32_e32 vcc_lo, 32, v0
	v_lshlrev_b32_e32 v12, 4, v15
	s_and_saveexec_b32 s0, vcc_lo
	s_cbranch_execz .LBB186_19
; %bb.18:
	v_mov_b32_e32 v5, 0
	v_mov_b32_e32 v6, v5
	v_mov_b32_e32 v7, v5
	v_mov_b32_e32 v8, v5
	ds_write_b128 v12, v[5:8]
.LBB186_19:
	s_or_b32 exec_lo, exec_lo, s0
	v_mbcnt_lo_u32_b32 v14, -1, 0
	s_mov_b32 s1, exec_lo
	s_waitcnt lgkmcnt(0)
	s_barrier
	buffer_gl0_inv
	v_lshl_or_b32 v9, v14, 2, 64
	v_cmp_gt_u32_e64 s0, 24, v14
	ds_bpermute_b32 v5, v9, v3
	ds_bpermute_b32 v6, v9, v4
	;; [unrolled: 1-line block ×4, first 2 shown]
	s_waitcnt lgkmcnt(2)
	v_add_f64 v[3:4], v[3:4], v[5:6]
	v_cndmask_b32_e64 v5, 0, 8, s0
	s_waitcnt lgkmcnt(0)
	v_add_f64 v[1:2], v[1:2], v[7:8]
	v_cmp_gt_u32_e64 s0, 28, v14
	v_add_lshl_u32 v10, v5, v14, 2
	ds_bpermute_b32 v5, v10, v3
	ds_bpermute_b32 v6, v10, v4
	;; [unrolled: 1-line block ×4, first 2 shown]
	s_waitcnt lgkmcnt(2)
	v_add_f64 v[3:4], v[3:4], v[5:6]
	v_cndmask_b32_e64 v5, 0, 4, s0
	s_waitcnt lgkmcnt(0)
	v_add_f64 v[1:2], v[1:2], v[7:8]
	v_cmp_gt_u32_e64 s0, 30, v14
	v_add_lshl_u32 v11, v5, v14, 2
	ds_bpermute_b32 v5, v11, v3
	ds_bpermute_b32 v6, v11, v4
	;; [unrolled: 1-line block ×4, first 2 shown]
	s_waitcnt lgkmcnt(2)
	v_add_f64 v[3:4], v[3:4], v[5:6]
	s_waitcnt lgkmcnt(0)
	v_add_f64 v[5:6], v[1:2], v[7:8]
	v_cndmask_b32_e64 v1, 0, 2, s0
	v_cmp_ne_u32_e64 s0, 31, v14
	v_add_lshl_u32 v13, v1, v14, 2
	ds_bpermute_b32 v1, v13, v3
	ds_bpermute_b32 v2, v13, v4
	;; [unrolled: 1-line block ×4, first 2 shown]
	s_waitcnt lgkmcnt(2)
	v_add_f64 v[1:2], v[3:4], v[1:2]
	s_waitcnt lgkmcnt(0)
	v_add_f64 v[3:4], v[5:6], v[7:8]
	v_add_co_ci_u32_e64 v5, null, 0, v14, s0
	v_lshlrev_b32_e32 v14, 2, v5
	ds_bpermute_b32 v5, v14, v1
	ds_bpermute_b32 v6, v14, v2
	;; [unrolled: 1-line block ×4, first 2 shown]
	v_cmpx_eq_u32_e32 0, v15
	s_cbranch_execz .LBB186_21
; %bb.20:
	s_waitcnt lgkmcnt(0)
	v_add_f64 v[3:4], v[3:4], v[7:8]
	v_add_f64 v[1:2], v[1:2], v[5:6]
	v_lshrrev_b32_e32 v5, 1, v0
	v_and_b32_e32 v5, 0x1f0, v5
	ds_write_b128 v5, v[1:4]
.LBB186_21:
	s_or_b32 exec_lo, exec_lo, s1
	s_waitcnt lgkmcnt(0)
	v_mov_b32_e32 v7, 0
	v_mov_b32_e32 v5, 0
	;; [unrolled: 1-line block ×4, first 2 shown]
	s_barrier
	buffer_gl0_inv
	s_and_saveexec_b32 s0, vcc_lo
; %bb.22:
	ds_read_b128 v[5:8], v12
; %bb.23:
	s_or_b32 exec_lo, exec_lo, s0
	s_and_saveexec_b32 s0, vcc_lo
	s_cbranch_execz .LBB186_25
; %bb.24:
	s_waitcnt lgkmcnt(0)
	ds_bpermute_b32 v1, v9, v5
	ds_bpermute_b32 v2, v9, v6
	ds_bpermute_b32 v3, v9, v7
	ds_bpermute_b32 v4, v9, v8
	s_waitcnt lgkmcnt(2)
	v_add_f64 v[1:2], v[5:6], v[1:2]
	s_waitcnt lgkmcnt(0)
	v_add_f64 v[3:4], v[7:8], v[3:4]
	ds_bpermute_b32 v5, v10, v1
	ds_bpermute_b32 v6, v10, v2
	ds_bpermute_b32 v7, v10, v3
	ds_bpermute_b32 v8, v10, v4
	s_waitcnt lgkmcnt(2)
	v_add_f64 v[1:2], v[1:2], v[5:6]
	s_waitcnt lgkmcnt(0)
	v_add_f64 v[3:4], v[3:4], v[7:8]
	ds_bpermute_b32 v5, v11, v1
	ds_bpermute_b32 v6, v11, v2
	ds_bpermute_b32 v7, v11, v3
	ds_bpermute_b32 v8, v11, v4
	s_waitcnt lgkmcnt(2)
	v_add_f64 v[1:2], v[1:2], v[5:6]
	s_waitcnt lgkmcnt(0)
	v_add_f64 v[3:4], v[3:4], v[7:8]
	ds_bpermute_b32 v5, v13, v1
	ds_bpermute_b32 v6, v13, v2
	ds_bpermute_b32 v7, v13, v3
	ds_bpermute_b32 v8, v13, v4
	s_waitcnt lgkmcnt(2)
	v_add_f64 v[1:2], v[1:2], v[5:6]
	s_waitcnt lgkmcnt(0)
	v_add_f64 v[3:4], v[3:4], v[7:8]
	ds_bpermute_b32 v5, v14, v1
	ds_bpermute_b32 v6, v14, v2
	ds_bpermute_b32 v7, v14, v3
	ds_bpermute_b32 v8, v14, v4
	s_waitcnt lgkmcnt(2)
	v_add_f64 v[5:6], v[1:2], v[5:6]
	s_waitcnt lgkmcnt(0)
	v_add_f64 v[7:8], v[3:4], v[7:8]
.LBB186_25:
	s_or_b32 exec_lo, exec_lo, s0
	s_mov_b32 s0, exec_lo
                                        ; implicit-def: $vgpr3_vgpr4
                                        ; implicit-def: $sgpr2_sgpr3
	v_cmpx_eq_u32_e32 0, v0
	s_cbranch_execz .LBB186_29
; %bb.26:
	s_waitcnt lgkmcnt(0)
	v_mul_f64 v[0:1], s[10:11], v[7:8]
	v_mul_f64 v[3:4], s[8:9], v[7:8]
	v_cmp_neq_f64_e64 s1, s[24:25], 0
	v_cmp_neq_f64_e64 s2, s[26:27], 0
	v_fma_f64 v[1:2], s[8:9], v[5:6], -v[0:1]
	v_fma_f64 v[3:4], s[10:11], v[5:6], v[3:4]
	s_or_b32 s1, s1, s2
	s_mul_i32 s2, s20, s6
	s_andn2_b32 vcc_lo, exec_lo, s1
	s_ashr_i32 s3, s2, 31
	s_cbranch_vccnz .LBB186_28
; %bb.27:
	s_lshl_b64 s[4:5], s[2:3], 4
	s_add_u32 s4, s18, s4
	s_addc_u32 s5, s19, s5
	s_load_dwordx4 s[4:7], s[4:5], 0x0
	s_waitcnt lgkmcnt(0)
	v_mul_f64 v[5:6], s[26:27], s[6:7]
	v_mul_f64 v[7:8], s[24:25], s[6:7]
	v_fma_f64 v[5:6], s[24:25], s[4:5], -v[5:6]
	v_fma_f64 v[7:8], s[26:27], s[4:5], v[7:8]
	v_add_f64 v[1:2], v[1:2], v[5:6]
	v_add_f64 v[3:4], v[3:4], v[7:8]
.LBB186_28:
	s_or_b32 s21, s21, exec_lo
.LBB186_29:
	s_or_b32 exec_lo, exec_lo, s0
.LBB186_30:
	s_and_saveexec_b32 s0, s21
	s_cbranch_execz .LBB186_32
; %bb.31:
	s_lshl_b64 s[0:1], s[2:3], 4
	v_mov_b32_e32 v0, 0
	s_add_u32 s0, s18, s0
	s_addc_u32 s1, s19, s1
	global_store_dwordx4 v0, v[1:4], s[0:1]
.LBB186_32:
	s_endpgm
	.section	.rodata,"a",@progbits
	.p2align	6, 0x0
	.amdhsa_kernel _ZL32rocblas_gemvt_warp_reduce_kernelILb1ELi1024Ei19rocblas_complex_numIdEPKS1_S1_EviiT3_lPKT2_lT1_lS7_lS8_lS4_lPT4_lS8_li
		.amdhsa_group_segment_fixed_size 512
		.amdhsa_private_segment_fixed_size 0
		.amdhsa_kernarg_size 140
		.amdhsa_user_sgpr_count 6
		.amdhsa_user_sgpr_private_segment_buffer 1
		.amdhsa_user_sgpr_dispatch_ptr 0
		.amdhsa_user_sgpr_queue_ptr 0
		.amdhsa_user_sgpr_kernarg_segment_ptr 1
		.amdhsa_user_sgpr_dispatch_id 0
		.amdhsa_user_sgpr_flat_scratch_init 0
		.amdhsa_user_sgpr_private_segment_size 0
		.amdhsa_wavefront_size32 1
		.amdhsa_uses_dynamic_stack 0
		.amdhsa_system_sgpr_private_segment_wavefront_offset 0
		.amdhsa_system_sgpr_workgroup_id_x 1
		.amdhsa_system_sgpr_workgroup_id_y 0
		.amdhsa_system_sgpr_workgroup_id_z 1
		.amdhsa_system_sgpr_workgroup_info 0
		.amdhsa_system_vgpr_workitem_id 0
		.amdhsa_next_free_vgpr 21
		.amdhsa_next_free_sgpr 36
		.amdhsa_reserve_vcc 1
		.amdhsa_reserve_flat_scratch 0
		.amdhsa_float_round_mode_32 0
		.amdhsa_float_round_mode_16_64 0
		.amdhsa_float_denorm_mode_32 3
		.amdhsa_float_denorm_mode_16_64 3
		.amdhsa_dx10_clamp 1
		.amdhsa_ieee_mode 1
		.amdhsa_fp16_overflow 0
		.amdhsa_workgroup_processor_mode 1
		.amdhsa_memory_ordered 1
		.amdhsa_forward_progress 1
		.amdhsa_shared_vgpr_count 0
		.amdhsa_exception_fp_ieee_invalid_op 0
		.amdhsa_exception_fp_denorm_src 0
		.amdhsa_exception_fp_ieee_div_zero 0
		.amdhsa_exception_fp_ieee_overflow 0
		.amdhsa_exception_fp_ieee_underflow 0
		.amdhsa_exception_fp_ieee_inexact 0
		.amdhsa_exception_int_div_zero 0
	.end_amdhsa_kernel
	.section	.text._ZL32rocblas_gemvt_warp_reduce_kernelILb1ELi1024Ei19rocblas_complex_numIdEPKS1_S1_EviiT3_lPKT2_lT1_lS7_lS8_lS4_lPT4_lS8_li,"axG",@progbits,_ZL32rocblas_gemvt_warp_reduce_kernelILb1ELi1024Ei19rocblas_complex_numIdEPKS1_S1_EviiT3_lPKT2_lT1_lS7_lS8_lS4_lPT4_lS8_li,comdat
.Lfunc_end186:
	.size	_ZL32rocblas_gemvt_warp_reduce_kernelILb1ELi1024Ei19rocblas_complex_numIdEPKS1_S1_EviiT3_lPKT2_lT1_lS7_lS8_lS4_lPT4_lS8_li, .Lfunc_end186-_ZL32rocblas_gemvt_warp_reduce_kernelILb1ELi1024Ei19rocblas_complex_numIdEPKS1_S1_EviiT3_lPKT2_lT1_lS7_lS8_lS4_lPT4_lS8_li
                                        ; -- End function
	.set _ZL32rocblas_gemvt_warp_reduce_kernelILb1ELi1024Ei19rocblas_complex_numIdEPKS1_S1_EviiT3_lPKT2_lT1_lS7_lS8_lS4_lPT4_lS8_li.num_vgpr, 21
	.set _ZL32rocblas_gemvt_warp_reduce_kernelILb1ELi1024Ei19rocblas_complex_numIdEPKS1_S1_EviiT3_lPKT2_lT1_lS7_lS8_lS4_lPT4_lS8_li.num_agpr, 0
	.set _ZL32rocblas_gemvt_warp_reduce_kernelILb1ELi1024Ei19rocblas_complex_numIdEPKS1_S1_EviiT3_lPKT2_lT1_lS7_lS8_lS4_lPT4_lS8_li.numbered_sgpr, 36
	.set _ZL32rocblas_gemvt_warp_reduce_kernelILb1ELi1024Ei19rocblas_complex_numIdEPKS1_S1_EviiT3_lPKT2_lT1_lS7_lS8_lS4_lPT4_lS8_li.num_named_barrier, 0
	.set _ZL32rocblas_gemvt_warp_reduce_kernelILb1ELi1024Ei19rocblas_complex_numIdEPKS1_S1_EviiT3_lPKT2_lT1_lS7_lS8_lS4_lPT4_lS8_li.private_seg_size, 0
	.set _ZL32rocblas_gemvt_warp_reduce_kernelILb1ELi1024Ei19rocblas_complex_numIdEPKS1_S1_EviiT3_lPKT2_lT1_lS7_lS8_lS4_lPT4_lS8_li.uses_vcc, 1
	.set _ZL32rocblas_gemvt_warp_reduce_kernelILb1ELi1024Ei19rocblas_complex_numIdEPKS1_S1_EviiT3_lPKT2_lT1_lS7_lS8_lS4_lPT4_lS8_li.uses_flat_scratch, 0
	.set _ZL32rocblas_gemvt_warp_reduce_kernelILb1ELi1024Ei19rocblas_complex_numIdEPKS1_S1_EviiT3_lPKT2_lT1_lS7_lS8_lS4_lPT4_lS8_li.has_dyn_sized_stack, 0
	.set _ZL32rocblas_gemvt_warp_reduce_kernelILb1ELi1024Ei19rocblas_complex_numIdEPKS1_S1_EviiT3_lPKT2_lT1_lS7_lS8_lS4_lPT4_lS8_li.has_recursion, 0
	.set _ZL32rocblas_gemvt_warp_reduce_kernelILb1ELi1024Ei19rocblas_complex_numIdEPKS1_S1_EviiT3_lPKT2_lT1_lS7_lS8_lS4_lPT4_lS8_li.has_indirect_call, 0
	.section	.AMDGPU.csdata,"",@progbits
; Kernel info:
; codeLenInByte = 2104
; TotalNumSgprs: 38
; NumVgprs: 21
; ScratchSize: 0
; MemoryBound: 0
; FloatMode: 240
; IeeeMode: 1
; LDSByteSize: 512 bytes/workgroup (compile time only)
; SGPRBlocks: 0
; VGPRBlocks: 2
; NumSGPRsForWavesPerEU: 38
; NumVGPRsForWavesPerEU: 21
; Occupancy: 16
; WaveLimiterHint : 1
; COMPUTE_PGM_RSRC2:SCRATCH_EN: 0
; COMPUTE_PGM_RSRC2:USER_SGPR: 6
; COMPUTE_PGM_RSRC2:TRAP_HANDLER: 0
; COMPUTE_PGM_RSRC2:TGID_X_EN: 1
; COMPUTE_PGM_RSRC2:TGID_Y_EN: 0
; COMPUTE_PGM_RSRC2:TGID_Z_EN: 1
; COMPUTE_PGM_RSRC2:TIDIG_COMP_CNT: 0
	.section	.text._ZL32rocblas_gemvt_warp_reduce_kernelILb1ELi1024El19rocblas_complex_numIdEPKS1_S1_EviiT3_lPKT2_lT1_lS7_lS8_lS4_lPT4_lS8_li,"axG",@progbits,_ZL32rocblas_gemvt_warp_reduce_kernelILb1ELi1024El19rocblas_complex_numIdEPKS1_S1_EviiT3_lPKT2_lT1_lS7_lS8_lS4_lPT4_lS8_li,comdat
	.globl	_ZL32rocblas_gemvt_warp_reduce_kernelILb1ELi1024El19rocblas_complex_numIdEPKS1_S1_EviiT3_lPKT2_lT1_lS7_lS8_lS4_lPT4_lS8_li ; -- Begin function _ZL32rocblas_gemvt_warp_reduce_kernelILb1ELi1024El19rocblas_complex_numIdEPKS1_S1_EviiT3_lPKT2_lT1_lS7_lS8_lS4_lPT4_lS8_li
	.p2align	8
	.type	_ZL32rocblas_gemvt_warp_reduce_kernelILb1ELi1024El19rocblas_complex_numIdEPKS1_S1_EviiT3_lPKT2_lT1_lS7_lS8_lS4_lPT4_lS8_li,@function
_ZL32rocblas_gemvt_warp_reduce_kernelILb1ELi1024El19rocblas_complex_numIdEPKS1_S1_EviiT3_lPKT2_lT1_lS7_lS8_lS4_lPT4_lS8_li: ; @_ZL32rocblas_gemvt_warp_reduce_kernelILb1ELi1024El19rocblas_complex_numIdEPKS1_S1_EviiT3_lPKT2_lT1_lS7_lS8_lS4_lPT4_lS8_li
; %bb.0:
	s_clause 0x1
	s_load_dwordx16 s[36:51], s[4:5], 0x8
	s_load_dwordx16 s[8:23], s[4:5], 0x48
	s_waitcnt lgkmcnt(0)
	s_mul_i32 s1, s39, s7
	s_mul_hi_u32 s2, s38, s7
	s_mul_i32 s0, s38, s7
	s_add_i32 s1, s2, s1
	s_lshl_b64 s[0:1], s[0:1], 4
	s_add_u32 s0, s36, s0
	s_addc_u32 s1, s37, s1
	s_load_dwordx4 s[24:27], s[0:1], 0x0
	s_mul_i32 s0, s15, s7
	s_mul_hi_u32 s1, s14, s7
	s_add_i32 s1, s1, s0
	s_mul_i32 s0, s14, s7
	s_lshl_b64 s[0:1], s[0:1], 4
	s_add_u32 s0, s12, s0
	s_addc_u32 s1, s13, s1
	s_load_dwordx4 s[12:15], s[0:1], 0x0
	s_mov_b32 s1, -1
	s_waitcnt lgkmcnt(0)
	v_cmp_neq_f64_e64 s2, s[24:25], 0
	v_cmp_neq_f64_e64 s3, s[26:27], 0
	s_or_b32 s0, s2, s3
	s_and_b32 vcc_lo, exec_lo, s0
	s_cbranch_vccnz .LBB187_2
; %bb.1:
	v_cmp_neq_f64_e64 s1, s[12:13], 1.0
	v_cmp_neq_f64_e64 s2, s[14:15], 0
	s_or_b32 s1, s1, s2
.LBB187_2:
	s_andn2_b32 vcc_lo, exec_lo, s1
	s_cbranch_vccnz .LBB187_32
; %bb.3:
	s_mul_i32 s1, s23, s7
	s_mul_hi_u32 s3, s22, s7
	s_mul_i32 s2, s22, s7
	s_add_i32 s3, s3, s1
	s_xor_b32 s23, s0, -1
	s_lshl_b64 s[2:3], s[2:3], 4
	s_add_u32 s0, s16, s2
	s_addc_u32 s16, s17, s3
	s_lshl_b64 s[2:3], s[18:19], 4
	s_add_u32 s1, s0, s2
	v_cmp_eq_u32_e64 s0, 0, v0
	s_addc_u32 s22, s16, s3
	s_andn2_b32 vcc_lo, exec_lo, s23
	s_mov_b32 s23, 0
	s_cbranch_vccnz .LBB187_7
; %bb.4:
	s_mov_b32 s16, 0
                                        ; implicit-def: $vgpr3_vgpr4
                                        ; implicit-def: $sgpr2_sgpr3
	s_and_saveexec_b32 s17, s0
	s_cbranch_execz .LBB187_8
; %bb.5:
	v_cmp_neq_f64_e64 s0, s[12:13], 0
	v_cmp_neq_f64_e64 s2, s[14:15], 0
	s_mul_hi_u32 s3, s20, s6
	s_or_b32 s0, s0, s2
	s_ashr_i32 s2, s6, 31
	s_andn2_b32 vcc_lo, exec_lo, s0
	s_mul_i32 s2, s20, s2
	s_add_i32 s2, s3, s2
	s_mul_i32 s3, s21, s6
	s_add_i32 s3, s2, s3
	s_mul_i32 s2, s20, s6
	s_cbranch_vccnz .LBB187_9
; %bb.6:
	s_lshl_b64 s[18:19], s[2:3], 4
	s_add_u32 s18, s1, s18
	s_addc_u32 s19, s22, s19
	s_load_dwordx4 s[28:31], s[18:19], 0x0
	s_waitcnt lgkmcnt(0)
	v_mul_f64 v[1:2], s[14:15], s[30:31]
	v_mul_f64 v[3:4], s[12:13], s[30:31]
	v_fma_f64 v[1:2], s[12:13], s[28:29], -v[1:2]
	v_fma_f64 v[3:4], s[14:15], s[28:29], v[3:4]
	s_branch .LBB187_10
.LBB187_7:
                                        ; implicit-def: $vgpr3_vgpr4
                                        ; implicit-def: $sgpr2_sgpr3
	s_cbranch_execnz .LBB187_11
	s_branch .LBB187_30
.LBB187_8:
	s_or_b32 exec_lo, exec_lo, s17
	s_and_b32 vcc_lo, exec_lo, s16
	s_cbranch_vccnz .LBB187_11
	s_branch .LBB187_30
.LBB187_9:
	v_mov_b32_e32 v3, 0
	v_mov_b32_e32 v1, 0
	;; [unrolled: 1-line block ×4, first 2 shown]
.LBB187_10:
	s_mov_b32 s23, exec_lo
	s_or_b32 exec_lo, exec_lo, s17
	s_and_b32 vcc_lo, exec_lo, s16
	s_cbranch_vccz .LBB187_30
.LBB187_11:
	s_load_dword s5, s[4:5], 0x0
	s_mul_i32 s0, s11, s7
	s_mul_hi_u32 s3, s10, s7
	s_mul_i32 s2, s10, s7
	s_add_i32 s3, s3, s0
	s_mul_i32 s4, s47, s7
	s_mul_hi_u32 s11, s46, s7
	s_mul_i32 s10, s46, s7
	s_ashr_i32 s7, s6, 31
	s_mul_hi_u32 s16, s44, s6
	v_mov_b32_e32 v1, 0
	v_mov_b32_e32 v3, 0
	s_mul_i32 s18, s44, s7
	v_mov_b32_e32 v2, 0
	v_mov_b32_e32 v4, 0
	s_mul_i32 s17, s45, s6
	s_add_i32 s11, s11, s4
	s_mov_b32 s29, 0
	s_mov_b32 s28, exec_lo
	s_waitcnt lgkmcnt(0)
	v_cmp_gt_i32_e32 vcc_lo, s5, v0
	s_ashr_i32 s0, s5, 31
	s_lshr_b32 s0, s0, 22
	s_add_i32 s0, s5, s0
	v_cndmask_b32_e32 v5, 0, v0, vcc_lo
	s_and_b32 s4, s0, 0xfffffc00
	s_add_i32 s0, s16, s18
	s_mul_i32 s16, s44, s6
	s_add_i32 s17, s0, s17
	v_lshlrev_b32_e32 v9, 4, v5
	v_cmpx_gt_i32_e64 s4, v0
	s_cbranch_execz .LBB187_15
; %bb.12:
	v_mad_u64_u32 v[1:2], null, s8, v0, 0
	s_lshl_b64 s[18:19], s[50:51], 4
	s_lshl_b64 s[30:31], s[2:3], 4
	s_add_u32 s0, s48, s18
	s_addc_u32 s18, s49, s19
	s_add_u32 s0, s0, s30
	s_addc_u32 s33, s18, s31
	v_mad_u64_u32 v[2:3], null, s9, v0, v[2:3]
	s_lshl_b64 s[30:31], s[16:17], 4
	s_lshl_b64 s[34:35], s[10:11], 4
	;; [unrolled: 1-line block ×3, first 2 shown]
	s_add_u32 s34, s30, s34
	s_addc_u32 s35, s31, s35
	s_lshl_b64 s[30:31], s[42:43], 4
	v_lshlrev_b64 v[1:2], 4, v[1:2]
	s_add_u32 s30, s34, s30
	s_addc_u32 s31, s35, s31
	s_add_u32 s30, s40, s30
	s_addc_u32 s31, s41, s31
	v_mov_b32_e32 v10, v0
	v_add_co_u32 v1, vcc_lo, s0, v1
	v_add_co_ci_u32_e64 v2, null, s33, v2, vcc_lo
	v_add_co_u32 v3, s0, s30, v9
	v_add_co_ci_u32_e64 v4, null, s31, 0, s0
	v_add_co_u32 v5, vcc_lo, v1, 8
	v_add_co_ci_u32_e64 v6, null, 0, v2, vcc_lo
	v_add_co_u32 v7, vcc_lo, v3, 8
	v_add_co_ci_u32_e64 v8, null, 0, v4, vcc_lo
	v_mov_b32_e32 v1, 0
	v_mov_b32_e32 v3, 0
	;; [unrolled: 1-line block ×4, first 2 shown]
	.p2align	6
.LBB187_13:                             ; =>This Inner Loop Header: Depth=1
	global_load_dwordx4 v[11:14], v[7:8], off offset:-8
	global_load_dwordx4 v[15:18], v[5:6], off offset:-8
	v_add_nc_u32_e32 v10, 0x400, v10
	v_add_co_u32 v5, vcc_lo, v5, s18
	v_add_co_ci_u32_e64 v6, null, s19, v6, vcc_lo
	v_cmp_le_i32_e32 vcc_lo, s4, v10
	v_add_co_u32 v7, s0, 0x4000, v7
	v_add_co_ci_u32_e64 v8, null, 0, v8, s0
	s_or_b32 s29, vcc_lo, s29
	s_waitcnt vmcnt(0)
	v_mul_f64 v[19:20], v[13:14], v[17:18]
	v_mul_f64 v[13:14], v[13:14], v[15:16]
	v_fma_f64 v[15:16], v[11:12], v[15:16], v[19:20]
	v_fma_f64 v[11:12], v[11:12], v[17:18], -v[13:14]
	v_add_f64 v[3:4], v[3:4], v[15:16]
	v_add_f64 v[1:2], v[1:2], v[11:12]
	s_andn2_b32 exec_lo, exec_lo, s29
	s_cbranch_execnz .LBB187_13
; %bb.14:
	s_or_b32 exec_lo, exec_lo, s29
.LBB187_15:
	s_or_b32 exec_lo, exec_lo, s28
	v_or_b32_e32 v5, s4, v0
	s_mov_b32 s0, exec_lo
	v_cmpx_gt_i32_e64 s5, v5
	s_cbranch_execz .LBB187_17
; %bb.16:
	v_ashrrev_i32_e32 v6, 31, v5
	s_lshl_b64 s[10:11], s[10:11], 4
	v_mul_lo_u32 v7, s9, v5
	s_add_u32 s5, s40, s10
	s_addc_u32 s18, s41, s11
	v_mul_lo_u32 v8, s8, v6
	v_mad_u64_u32 v[5:6], null, s8, v5, 0
	s_lshl_b64 s[10:11], s[42:43], 4
	s_add_u32 s5, s5, s10
	s_addc_u32 s18, s18, s11
	s_lshl_b64 s[2:3], s[2:3], 4
	v_add_co_u32 v9, s5, s5, v9
	s_lshl_b64 s[10:11], s[16:17], 4
	v_add3_u32 v6, v6, v8, v7
	s_add_u32 s16, s48, s2
	v_add_co_ci_u32_e64 v10, null, s18, 0, s5
	s_addc_u32 s17, s49, s3
	s_lshl_b64 s[2:3], s[50:51], 4
	v_add_co_u32 v7, vcc_lo, v9, s10
	s_add_u32 s8, s16, s2
	s_addc_u32 s9, s17, s3
	s_ashr_i32 s5, s4, 31
	v_lshlrev_b64 v[5:6], 4, v[5:6]
	v_add_co_ci_u32_e64 v8, null, s11, v10, vcc_lo
	s_lshl_b64 s[2:3], s[4:5], 4
	v_add_co_u32 v7, vcc_lo, v7, s2
	v_add_co_ci_u32_e64 v8, null, s3, v8, vcc_lo
	v_add_co_u32 v9, vcc_lo, s8, v5
	v_add_co_ci_u32_e64 v10, null, s9, v6, vcc_lo
	global_load_dwordx4 v[5:8], v[7:8], off
	global_load_dwordx4 v[9:12], v[9:10], off
	s_waitcnt vmcnt(0)
	v_mul_f64 v[13:14], v[7:8], v[11:12]
	v_mul_f64 v[7:8], v[7:8], v[9:10]
	v_fma_f64 v[9:10], v[5:6], v[9:10], v[13:14]
	v_fma_f64 v[5:6], v[5:6], v[11:12], -v[7:8]
	v_add_f64 v[3:4], v[3:4], v[9:10]
	v_add_f64 v[1:2], v[1:2], v[5:6]
.LBB187_17:
	s_or_b32 exec_lo, exec_lo, s0
	v_and_b32_e32 v15, 31, v0
	v_cmp_gt_u32_e32 vcc_lo, 32, v0
	v_lshlrev_b32_e32 v12, 4, v15
	s_and_saveexec_b32 s0, vcc_lo
	s_cbranch_execz .LBB187_19
; %bb.18:
	v_mov_b32_e32 v5, 0
	v_mov_b32_e32 v6, v5
	;; [unrolled: 1-line block ×4, first 2 shown]
	ds_write_b128 v12, v[5:8]
.LBB187_19:
	s_or_b32 exec_lo, exec_lo, s0
	v_mbcnt_lo_u32_b32 v14, -1, 0
	s_mov_b32 s2, exec_lo
	s_waitcnt lgkmcnt(0)
	s_barrier
	buffer_gl0_inv
	v_lshl_or_b32 v9, v14, 2, 64
	v_cmp_gt_u32_e64 s0, 24, v14
	ds_bpermute_b32 v5, v9, v3
	ds_bpermute_b32 v6, v9, v4
	;; [unrolled: 1-line block ×4, first 2 shown]
	s_waitcnt lgkmcnt(2)
	v_add_f64 v[3:4], v[3:4], v[5:6]
	v_cndmask_b32_e64 v5, 0, 8, s0
	s_waitcnt lgkmcnt(0)
	v_add_f64 v[1:2], v[1:2], v[7:8]
	v_cmp_gt_u32_e64 s0, 28, v14
	v_add_lshl_u32 v10, v5, v14, 2
	ds_bpermute_b32 v5, v10, v3
	ds_bpermute_b32 v6, v10, v4
	;; [unrolled: 1-line block ×4, first 2 shown]
	s_waitcnt lgkmcnt(2)
	v_add_f64 v[3:4], v[3:4], v[5:6]
	v_cndmask_b32_e64 v5, 0, 4, s0
	s_waitcnt lgkmcnt(0)
	v_add_f64 v[1:2], v[1:2], v[7:8]
	v_cmp_gt_u32_e64 s0, 30, v14
	v_add_lshl_u32 v11, v5, v14, 2
	ds_bpermute_b32 v5, v11, v3
	ds_bpermute_b32 v6, v11, v4
	;; [unrolled: 1-line block ×4, first 2 shown]
	s_waitcnt lgkmcnt(2)
	v_add_f64 v[3:4], v[3:4], v[5:6]
	s_waitcnt lgkmcnt(0)
	v_add_f64 v[5:6], v[1:2], v[7:8]
	v_cndmask_b32_e64 v1, 0, 2, s0
	v_cmp_ne_u32_e64 s0, 31, v14
	v_add_lshl_u32 v13, v1, v14, 2
	ds_bpermute_b32 v1, v13, v3
	ds_bpermute_b32 v2, v13, v4
	;; [unrolled: 1-line block ×4, first 2 shown]
	s_waitcnt lgkmcnt(2)
	v_add_f64 v[1:2], v[3:4], v[1:2]
	s_waitcnt lgkmcnt(0)
	v_add_f64 v[3:4], v[5:6], v[7:8]
	v_add_co_ci_u32_e64 v5, null, 0, v14, s0
	v_lshlrev_b32_e32 v14, 2, v5
	ds_bpermute_b32 v5, v14, v1
	ds_bpermute_b32 v6, v14, v2
	;; [unrolled: 1-line block ×4, first 2 shown]
	v_cmpx_eq_u32_e32 0, v15
	s_cbranch_execz .LBB187_21
; %bb.20:
	s_waitcnt lgkmcnt(0)
	v_add_f64 v[3:4], v[3:4], v[7:8]
	v_add_f64 v[1:2], v[1:2], v[5:6]
	v_lshrrev_b32_e32 v5, 1, v0
	v_and_b32_e32 v5, 0x1f0, v5
	ds_write_b128 v5, v[1:4]
.LBB187_21:
	s_or_b32 exec_lo, exec_lo, s2
	s_waitcnt lgkmcnt(0)
	v_mov_b32_e32 v7, 0
	v_mov_b32_e32 v5, 0
	;; [unrolled: 1-line block ×4, first 2 shown]
	s_barrier
	buffer_gl0_inv
	s_and_saveexec_b32 s0, vcc_lo
; %bb.22:
	ds_read_b128 v[5:8], v12
; %bb.23:
	s_or_b32 exec_lo, exec_lo, s0
	s_and_saveexec_b32 s0, vcc_lo
	s_cbranch_execz .LBB187_25
; %bb.24:
	s_waitcnt lgkmcnt(0)
	ds_bpermute_b32 v1, v9, v5
	ds_bpermute_b32 v2, v9, v6
	ds_bpermute_b32 v3, v9, v7
	ds_bpermute_b32 v4, v9, v8
	s_waitcnt lgkmcnt(2)
	v_add_f64 v[1:2], v[5:6], v[1:2]
	s_waitcnt lgkmcnt(0)
	v_add_f64 v[3:4], v[7:8], v[3:4]
	ds_bpermute_b32 v5, v10, v1
	ds_bpermute_b32 v6, v10, v2
	ds_bpermute_b32 v7, v10, v3
	ds_bpermute_b32 v8, v10, v4
	s_waitcnt lgkmcnt(2)
	v_add_f64 v[1:2], v[1:2], v[5:6]
	s_waitcnt lgkmcnt(0)
	v_add_f64 v[3:4], v[3:4], v[7:8]
	;; [unrolled: 8-line block ×5, first 2 shown]
.LBB187_25:
	s_or_b32 exec_lo, exec_lo, s0
	s_mov_b32 s0, exec_lo
                                        ; implicit-def: $vgpr3_vgpr4
                                        ; implicit-def: $sgpr2_sgpr3
	v_cmpx_eq_u32_e32 0, v0
	s_cbranch_execz .LBB187_29
; %bb.26:
	s_waitcnt lgkmcnt(0)
	v_mul_f64 v[0:1], s[26:27], v[7:8]
	v_mul_f64 v[3:4], s[24:25], v[7:8]
	v_cmp_neq_f64_e64 s2, s[12:13], 0
	v_cmp_neq_f64_e64 s3, s[14:15], 0
	s_mul_hi_u32 s4, s20, s6
	v_fma_f64 v[1:2], s[24:25], v[5:6], -v[0:1]
	v_fma_f64 v[3:4], s[26:27], v[5:6], v[3:4]
	s_or_b32 s2, s2, s3
	s_mul_i32 s3, s20, s7
	s_andn2_b32 vcc_lo, exec_lo, s2
	s_add_i32 s3, s4, s3
	s_mul_i32 s4, s21, s6
	s_mul_i32 s2, s20, s6
	s_add_i32 s3, s3, s4
	s_cbranch_vccnz .LBB187_28
; %bb.27:
	s_lshl_b64 s[4:5], s[2:3], 4
	s_add_u32 s4, s1, s4
	s_addc_u32 s5, s22, s5
	s_load_dwordx4 s[4:7], s[4:5], 0x0
	s_waitcnt lgkmcnt(0)
	v_mul_f64 v[5:6], s[14:15], s[6:7]
	v_mul_f64 v[7:8], s[12:13], s[6:7]
	v_fma_f64 v[5:6], s[12:13], s[4:5], -v[5:6]
	v_fma_f64 v[7:8], s[14:15], s[4:5], v[7:8]
	v_add_f64 v[1:2], v[1:2], v[5:6]
	v_add_f64 v[3:4], v[3:4], v[7:8]
.LBB187_28:
	s_or_b32 s23, s23, exec_lo
.LBB187_29:
	s_or_b32 exec_lo, exec_lo, s0
.LBB187_30:
	s_and_saveexec_b32 s0, s23
	s_cbranch_execz .LBB187_32
; %bb.31:
	s_lshl_b64 s[2:3], s[2:3], 4
	v_mov_b32_e32 v0, 0
	s_add_u32 s0, s1, s2
	s_addc_u32 s1, s22, s3
	global_store_dwordx4 v0, v[1:4], s[0:1]
.LBB187_32:
	s_endpgm
	.section	.rodata,"a",@progbits
	.p2align	6, 0x0
	.amdhsa_kernel _ZL32rocblas_gemvt_warp_reduce_kernelILb1ELi1024El19rocblas_complex_numIdEPKS1_S1_EviiT3_lPKT2_lT1_lS7_lS8_lS4_lPT4_lS8_li
		.amdhsa_group_segment_fixed_size 512
		.amdhsa_private_segment_fixed_size 0
		.amdhsa_kernarg_size 140
		.amdhsa_user_sgpr_count 6
		.amdhsa_user_sgpr_private_segment_buffer 1
		.amdhsa_user_sgpr_dispatch_ptr 0
		.amdhsa_user_sgpr_queue_ptr 0
		.amdhsa_user_sgpr_kernarg_segment_ptr 1
		.amdhsa_user_sgpr_dispatch_id 0
		.amdhsa_user_sgpr_flat_scratch_init 0
		.amdhsa_user_sgpr_private_segment_size 0
		.amdhsa_wavefront_size32 1
		.amdhsa_uses_dynamic_stack 0
		.amdhsa_system_sgpr_private_segment_wavefront_offset 0
		.amdhsa_system_sgpr_workgroup_id_x 1
		.amdhsa_system_sgpr_workgroup_id_y 0
		.amdhsa_system_sgpr_workgroup_id_z 1
		.amdhsa_system_sgpr_workgroup_info 0
		.amdhsa_system_vgpr_workitem_id 0
		.amdhsa_next_free_vgpr 21
		.amdhsa_next_free_sgpr 52
		.amdhsa_reserve_vcc 1
		.amdhsa_reserve_flat_scratch 0
		.amdhsa_float_round_mode_32 0
		.amdhsa_float_round_mode_16_64 0
		.amdhsa_float_denorm_mode_32 3
		.amdhsa_float_denorm_mode_16_64 3
		.amdhsa_dx10_clamp 1
		.amdhsa_ieee_mode 1
		.amdhsa_fp16_overflow 0
		.amdhsa_workgroup_processor_mode 1
		.amdhsa_memory_ordered 1
		.amdhsa_forward_progress 1
		.amdhsa_shared_vgpr_count 0
		.amdhsa_exception_fp_ieee_invalid_op 0
		.amdhsa_exception_fp_denorm_src 0
		.amdhsa_exception_fp_ieee_div_zero 0
		.amdhsa_exception_fp_ieee_overflow 0
		.amdhsa_exception_fp_ieee_underflow 0
		.amdhsa_exception_fp_ieee_inexact 0
		.amdhsa_exception_int_div_zero 0
	.end_amdhsa_kernel
	.section	.text._ZL32rocblas_gemvt_warp_reduce_kernelILb1ELi1024El19rocblas_complex_numIdEPKS1_S1_EviiT3_lPKT2_lT1_lS7_lS8_lS4_lPT4_lS8_li,"axG",@progbits,_ZL32rocblas_gemvt_warp_reduce_kernelILb1ELi1024El19rocblas_complex_numIdEPKS1_S1_EviiT3_lPKT2_lT1_lS7_lS8_lS4_lPT4_lS8_li,comdat
.Lfunc_end187:
	.size	_ZL32rocblas_gemvt_warp_reduce_kernelILb1ELi1024El19rocblas_complex_numIdEPKS1_S1_EviiT3_lPKT2_lT1_lS7_lS8_lS4_lPT4_lS8_li, .Lfunc_end187-_ZL32rocblas_gemvt_warp_reduce_kernelILb1ELi1024El19rocblas_complex_numIdEPKS1_S1_EviiT3_lPKT2_lT1_lS7_lS8_lS4_lPT4_lS8_li
                                        ; -- End function
	.set _ZL32rocblas_gemvt_warp_reduce_kernelILb1ELi1024El19rocblas_complex_numIdEPKS1_S1_EviiT3_lPKT2_lT1_lS7_lS8_lS4_lPT4_lS8_li.num_vgpr, 21
	.set _ZL32rocblas_gemvt_warp_reduce_kernelILb1ELi1024El19rocblas_complex_numIdEPKS1_S1_EviiT3_lPKT2_lT1_lS7_lS8_lS4_lPT4_lS8_li.num_agpr, 0
	.set _ZL32rocblas_gemvt_warp_reduce_kernelILb1ELi1024El19rocblas_complex_numIdEPKS1_S1_EviiT3_lPKT2_lT1_lS7_lS8_lS4_lPT4_lS8_li.numbered_sgpr, 52
	.set _ZL32rocblas_gemvt_warp_reduce_kernelILb1ELi1024El19rocblas_complex_numIdEPKS1_S1_EviiT3_lPKT2_lT1_lS7_lS8_lS4_lPT4_lS8_li.num_named_barrier, 0
	.set _ZL32rocblas_gemvt_warp_reduce_kernelILb1ELi1024El19rocblas_complex_numIdEPKS1_S1_EviiT3_lPKT2_lT1_lS7_lS8_lS4_lPT4_lS8_li.private_seg_size, 0
	.set _ZL32rocblas_gemvt_warp_reduce_kernelILb1ELi1024El19rocblas_complex_numIdEPKS1_S1_EviiT3_lPKT2_lT1_lS7_lS8_lS4_lPT4_lS8_li.uses_vcc, 1
	.set _ZL32rocblas_gemvt_warp_reduce_kernelILb1ELi1024El19rocblas_complex_numIdEPKS1_S1_EviiT3_lPKT2_lT1_lS7_lS8_lS4_lPT4_lS8_li.uses_flat_scratch, 0
	.set _ZL32rocblas_gemvt_warp_reduce_kernelILb1ELi1024El19rocblas_complex_numIdEPKS1_S1_EviiT3_lPKT2_lT1_lS7_lS8_lS4_lPT4_lS8_li.has_dyn_sized_stack, 0
	.set _ZL32rocblas_gemvt_warp_reduce_kernelILb1ELi1024El19rocblas_complex_numIdEPKS1_S1_EviiT3_lPKT2_lT1_lS7_lS8_lS4_lPT4_lS8_li.has_recursion, 0
	.set _ZL32rocblas_gemvt_warp_reduce_kernelILb1ELi1024El19rocblas_complex_numIdEPKS1_S1_EviiT3_lPKT2_lT1_lS7_lS8_lS4_lPT4_lS8_li.has_indirect_call, 0
	.section	.AMDGPU.csdata,"",@progbits
; Kernel info:
; codeLenInByte = 2208
; TotalNumSgprs: 54
; NumVgprs: 21
; ScratchSize: 0
; MemoryBound: 0
; FloatMode: 240
; IeeeMode: 1
; LDSByteSize: 512 bytes/workgroup (compile time only)
; SGPRBlocks: 0
; VGPRBlocks: 2
; NumSGPRsForWavesPerEU: 54
; NumVGPRsForWavesPerEU: 21
; Occupancy: 16
; WaveLimiterHint : 0
; COMPUTE_PGM_RSRC2:SCRATCH_EN: 0
; COMPUTE_PGM_RSRC2:USER_SGPR: 6
; COMPUTE_PGM_RSRC2:TRAP_HANDLER: 0
; COMPUTE_PGM_RSRC2:TGID_X_EN: 1
; COMPUTE_PGM_RSRC2:TGID_Y_EN: 0
; COMPUTE_PGM_RSRC2:TGID_Z_EN: 1
; COMPUTE_PGM_RSRC2:TIDIG_COMP_CNT: 0
	.section	.text._ZL32rocblas_gemvt_warp_reduce_kernelILb1ELi1024Ei19rocblas_complex_numIdES1_S1_EviiT3_lPKT2_lT1_lS5_lS6_lS2_lPT4_lS6_li,"axG",@progbits,_ZL32rocblas_gemvt_warp_reduce_kernelILb1ELi1024Ei19rocblas_complex_numIdES1_S1_EviiT3_lPKT2_lT1_lS5_lS6_lS2_lPT4_lS6_li,comdat
	.globl	_ZL32rocblas_gemvt_warp_reduce_kernelILb1ELi1024Ei19rocblas_complex_numIdES1_S1_EviiT3_lPKT2_lT1_lS5_lS6_lS2_lPT4_lS6_li ; -- Begin function _ZL32rocblas_gemvt_warp_reduce_kernelILb1ELi1024Ei19rocblas_complex_numIdES1_S1_EviiT3_lPKT2_lT1_lS5_lS6_lS2_lPT4_lS6_li
	.p2align	8
	.type	_ZL32rocblas_gemvt_warp_reduce_kernelILb1ELi1024Ei19rocblas_complex_numIdES1_S1_EviiT3_lPKT2_lT1_lS5_lS6_lS2_lPT4_lS6_li,@function
_ZL32rocblas_gemvt_warp_reduce_kernelILb1ELi1024Ei19rocblas_complex_numIdES1_S1_EviiT3_lPKT2_lT1_lS5_lS6_lS2_lPT4_lS6_li: ; @_ZL32rocblas_gemvt_warp_reduce_kernelILb1ELi1024Ei19rocblas_complex_numIdES1_S1_EviiT3_lPKT2_lT1_lS5_lS6_lS2_lPT4_lS6_li
; %bb.0:
	s_clause 0x2
	s_load_dwordx4 s[12:15], s[4:5], 0x8
	s_load_dwordx4 s[8:11], s[4:5], 0x58
	s_load_dwordx2 s[20:21], s[4:5], 0x68
	s_waitcnt lgkmcnt(0)
	v_cmp_neq_f64_e64 s0, s[12:13], 0
	v_cmp_neq_f64_e64 s1, s[14:15], 0
	s_or_b32 s0, s0, s1
	s_mov_b32 s1, -1
	s_and_b32 vcc_lo, exec_lo, s0
	s_cbranch_vccnz .LBB188_2
; %bb.1:
	v_cmp_neq_f64_e64 s1, s[10:11], 1.0
	v_cmp_neq_f64_e64 s2, s[20:21], 0
	s_or_b32 s1, s1, s2
.LBB188_2:
	s_andn2_b32 vcc_lo, exec_lo, s1
	s_cbranch_vccnz .LBB188_32
; %bb.3:
	s_clause 0x2
	s_load_dwordx2 s[2:3], s[4:5], 0x90
	s_load_dwordx4 s[16:19], s[4:5], 0x78
	s_load_dword s24, s[4:5], 0x88
	s_xor_b32 s25, s0, -1
	s_waitcnt lgkmcnt(0)
	s_mul_i32 s1, s3, s7
	s_mul_hi_u32 s3, s2, s7
	s_mul_i32 s0, s2, s7
	s_add_i32 s1, s3, s1
	s_lshl_b64 s[0:1], s[0:1], 4
	s_add_u32 s16, s16, s0
	s_addc_u32 s1, s17, s1
	s_lshl_b64 s[2:3], s[18:19], 4
	v_cmp_eq_u32_e64 s0, 0, v0
	s_add_u32 s22, s16, s2
	s_addc_u32 s23, s1, s3
	s_andn2_b32 vcc_lo, exec_lo, s25
	s_mov_b32 s25, 0
	s_cbranch_vccnz .LBB188_7
; %bb.4:
	s_mov_b32 s1, 0
                                        ; implicit-def: $vgpr3_vgpr4
                                        ; implicit-def: $sgpr2_sgpr3
	s_and_saveexec_b32 s16, s0
	s_cbranch_execz .LBB188_8
; %bb.5:
	v_cmp_neq_f64_e64 s0, s[10:11], 0
	v_cmp_neq_f64_e64 s2, s[20:21], 0
	s_or_b32 s0, s0, s2
	s_mul_i32 s2, s24, s6
	s_andn2_b32 vcc_lo, exec_lo, s0
	s_ashr_i32 s3, s2, 31
	s_cbranch_vccnz .LBB188_9
; %bb.6:
	s_lshl_b64 s[18:19], s[2:3], 4
	s_add_u32 s18, s22, s18
	s_addc_u32 s19, s23, s19
	s_load_dwordx4 s[28:31], s[18:19], 0x0
	s_waitcnt lgkmcnt(0)
	v_mul_f64 v[1:2], s[20:21], s[30:31]
	v_mul_f64 v[3:4], s[10:11], s[30:31]
	v_fma_f64 v[1:2], s[10:11], s[28:29], -v[1:2]
	v_fma_f64 v[3:4], s[20:21], s[28:29], v[3:4]
	s_branch .LBB188_10
.LBB188_7:
                                        ; implicit-def: $vgpr3_vgpr4
                                        ; implicit-def: $sgpr2_sgpr3
	s_cbranch_execnz .LBB188_11
	s_branch .LBB188_30
.LBB188_8:
	s_or_b32 exec_lo, exec_lo, s16
	s_and_b32 vcc_lo, exec_lo, s1
	s_cbranch_vccnz .LBB188_11
	s_branch .LBB188_30
.LBB188_9:
	v_mov_b32_e32 v3, 0
	v_mov_b32_e32 v1, 0
	v_mov_b32_e32 v4, 0
	v_mov_b32_e32 v2, 0
.LBB188_10:
	s_mov_b32 s25, exec_lo
	s_or_b32 exec_lo, exec_lo, s16
	s_and_b32 vcc_lo, exec_lo, s1
	s_cbranch_vccz .LBB188_30
.LBB188_11:
	s_clause 0x5
	s_load_dwordx4 s[0:3], s[4:5], 0x38
	s_load_dwordx2 s[30:31], s[4:5], 0x48
	s_load_dword s28, s[4:5], 0x0
	s_load_dwordx4 s[16:19], s[4:5], 0x20
	s_load_dword s29, s[4:5], 0x30
	s_load_dword s26, s[4:5], 0x50
	s_mul_i32 s9, s9, s7
	s_mul_hi_u32 s27, s8, s7
	s_mul_i32 s8, s8, s7
	s_add_i32 s9, s27, s9
	v_mov_b32_e32 v1, 0
	s_lshl_b64 s[4:5], s[8:9], 4
	v_mov_b32_e32 v3, 0
	v_mov_b32_e32 v2, 0
	;; [unrolled: 1-line block ×3, first 2 shown]
	s_waitcnt lgkmcnt(0)
	s_add_u32 s4, s2, s4
	s_addc_u32 s5, s3, s5
	v_cmp_gt_i32_e32 vcc_lo, s28, v0
	s_lshl_b64 s[2:3], s[30:31], 4
	s_mul_i32 s9, s1, s7
	s_add_u32 s1, s4, s2
	s_addc_u32 s27, s5, s3
	v_cndmask_b32_e32 v5, 0, v0, vcc_lo
	s_ashr_i32 s2, s28, 31
	s_mul_hi_u32 s3, s0, s7
	s_lshr_b32 s2, s2, 22
	s_mul_i32 s4, s29, s6
	v_lshlrev_b32_e32 v9, 4, v5
	s_add_i32 s2, s28, s2
	s_mul_i32 s8, s0, s7
	s_and_b32 s2, s2, 0xfffffc00
	s_add_i32 s9, s3, s9
	s_mov_b32 s7, 0
	s_ashr_i32 s5, s4, 31
	s_mov_b32 s3, exec_lo
	v_cmpx_gt_i32_e64 s2, v0
	s_cbranch_execz .LBB188_15
; %bb.12:
	s_lshl_b64 s[30:31], s[8:9], 4
	s_lshl_b64 s[34:35], s[18:19], 4
	s_lshl_b32 s29, s26, 10
	s_add_u32 s0, s30, s34
	s_addc_u32 s33, s31, s35
	s_lshl_b64 s[30:31], s[4:5], 4
	v_mul_lo_u32 v5, v0, s26
	s_add_u32 s0, s0, s30
	s_addc_u32 s30, s33, s31
	s_add_u32 s0, s16, s0
	s_addc_u32 s30, s17, s30
	v_add_co_u32 v1, s0, s0, v9
	v_add_co_ci_u32_e64 v2, null, s30, 0, s0
	v_mov_b32_e32 v3, 0
	v_add_co_u32 v7, vcc_lo, v1, 8
	v_add_co_ci_u32_e64 v8, null, 0, v2, vcc_lo
	v_mov_b32_e32 v1, 0
	v_mov_b32_e32 v2, 0
	;; [unrolled: 1-line block ×4, first 2 shown]
	s_inst_prefetch 0x1
	.p2align	6
.LBB188_13:                             ; =>This Inner Loop Header: Depth=1
	v_ashrrev_i32_e32 v6, 31, v5
	v_add_nc_u32_e32 v10, 0x400, v10
	v_lshlrev_b64 v[11:12], 4, v[5:6]
	v_cmp_le_i32_e64 s0, s2, v10
	v_add_nc_u32_e32 v5, s29, v5
	s_or_b32 s7, s0, s7
	v_add_co_u32 v15, vcc_lo, s1, v11
	v_add_co_ci_u32_e64 v16, null, s27, v12, vcc_lo
	global_load_dwordx4 v[11:14], v[7:8], off offset:-8
	global_load_dwordx4 v[15:18], v[15:16], off
	v_add_co_u32 v7, vcc_lo, 0x4000, v7
	v_add_co_ci_u32_e64 v8, null, 0, v8, vcc_lo
	s_waitcnt vmcnt(0)
	v_mul_f64 v[19:20], v[13:14], v[17:18]
	v_mul_f64 v[13:14], v[13:14], v[15:16]
	v_fma_f64 v[15:16], v[11:12], v[15:16], v[19:20]
	v_fma_f64 v[11:12], v[11:12], v[17:18], -v[13:14]
	v_add_f64 v[3:4], v[3:4], v[15:16]
	v_add_f64 v[1:2], v[1:2], v[11:12]
	s_andn2_b32 exec_lo, exec_lo, s7
	s_cbranch_execnz .LBB188_13
; %bb.14:
	s_inst_prefetch 0x2
	s_or_b32 exec_lo, exec_lo, s7
.LBB188_15:
	s_or_b32 exec_lo, exec_lo, s3
	v_or_b32_e32 v5, s2, v0
	s_mov_b32 s0, exec_lo
	v_cmpx_gt_i32_e64 s28, v5
	s_cbranch_execz .LBB188_17
; %bb.16:
	s_lshl_b64 s[8:9], s[8:9], 4
	v_mul_lo_u32 v5, s26, v5
	s_add_u32 s3, s16, s8
	s_addc_u32 s7, s17, s9
	s_lshl_b64 s[8:9], s[18:19], 4
	s_add_u32 s3, s3, s8
	s_addc_u32 s7, s7, s9
	v_add_co_u32 v7, s3, s3, v9
	v_ashrrev_i32_e32 v6, 31, v5
	v_add_co_ci_u32_e64 v8, null, s7, 0, s3
	s_lshl_b64 s[4:5], s[4:5], 4
	s_ashr_i32 s3, s2, 31
	v_add_co_u32 v7, vcc_lo, v7, s4
	v_lshlrev_b64 v[5:6], 4, v[5:6]
	v_add_co_ci_u32_e64 v8, null, s5, v8, vcc_lo
	s_lshl_b64 s[2:3], s[2:3], 4
	v_add_co_u32 v7, vcc_lo, v7, s2
	v_add_co_ci_u32_e64 v8, null, s3, v8, vcc_lo
	v_add_co_u32 v9, vcc_lo, s1, v5
	v_add_co_ci_u32_e64 v10, null, s27, v6, vcc_lo
	global_load_dwordx4 v[5:8], v[7:8], off
	global_load_dwordx4 v[9:12], v[9:10], off
	s_waitcnt vmcnt(0)
	v_mul_f64 v[13:14], v[7:8], v[11:12]
	v_mul_f64 v[7:8], v[7:8], v[9:10]
	v_fma_f64 v[9:10], v[5:6], v[9:10], v[13:14]
	v_fma_f64 v[5:6], v[5:6], v[11:12], -v[7:8]
	v_add_f64 v[3:4], v[3:4], v[9:10]
	v_add_f64 v[1:2], v[1:2], v[5:6]
.LBB188_17:
	s_or_b32 exec_lo, exec_lo, s0
	v_and_b32_e32 v15, 31, v0
	v_cmp_gt_u32_e32 vcc_lo, 32, v0
	v_lshlrev_b32_e32 v12, 4, v15
	s_and_saveexec_b32 s0, vcc_lo
	s_cbranch_execz .LBB188_19
; %bb.18:
	v_mov_b32_e32 v5, 0
	v_mov_b32_e32 v6, v5
	;; [unrolled: 1-line block ×4, first 2 shown]
	ds_write_b128 v12, v[5:8]
.LBB188_19:
	s_or_b32 exec_lo, exec_lo, s0
	v_mbcnt_lo_u32_b32 v14, -1, 0
	s_mov_b32 s1, exec_lo
	s_waitcnt lgkmcnt(0)
	s_barrier
	buffer_gl0_inv
	v_lshl_or_b32 v9, v14, 2, 64
	v_cmp_gt_u32_e64 s0, 24, v14
	ds_bpermute_b32 v5, v9, v3
	ds_bpermute_b32 v6, v9, v4
	;; [unrolled: 1-line block ×4, first 2 shown]
	s_waitcnt lgkmcnt(2)
	v_add_f64 v[3:4], v[3:4], v[5:6]
	v_cndmask_b32_e64 v5, 0, 8, s0
	s_waitcnt lgkmcnt(0)
	v_add_f64 v[1:2], v[1:2], v[7:8]
	v_cmp_gt_u32_e64 s0, 28, v14
	v_add_lshl_u32 v10, v5, v14, 2
	ds_bpermute_b32 v5, v10, v3
	ds_bpermute_b32 v6, v10, v4
	;; [unrolled: 1-line block ×4, first 2 shown]
	s_waitcnt lgkmcnt(2)
	v_add_f64 v[3:4], v[3:4], v[5:6]
	v_cndmask_b32_e64 v5, 0, 4, s0
	s_waitcnt lgkmcnt(0)
	v_add_f64 v[1:2], v[1:2], v[7:8]
	v_cmp_gt_u32_e64 s0, 30, v14
	v_add_lshl_u32 v11, v5, v14, 2
	ds_bpermute_b32 v5, v11, v3
	ds_bpermute_b32 v6, v11, v4
	;; [unrolled: 1-line block ×4, first 2 shown]
	s_waitcnt lgkmcnt(2)
	v_add_f64 v[3:4], v[3:4], v[5:6]
	s_waitcnt lgkmcnt(0)
	v_add_f64 v[5:6], v[1:2], v[7:8]
	v_cndmask_b32_e64 v1, 0, 2, s0
	v_cmp_ne_u32_e64 s0, 31, v14
	v_add_lshl_u32 v13, v1, v14, 2
	ds_bpermute_b32 v1, v13, v3
	ds_bpermute_b32 v2, v13, v4
	;; [unrolled: 1-line block ×4, first 2 shown]
	s_waitcnt lgkmcnt(2)
	v_add_f64 v[1:2], v[3:4], v[1:2]
	s_waitcnt lgkmcnt(0)
	v_add_f64 v[3:4], v[5:6], v[7:8]
	v_add_co_ci_u32_e64 v5, null, 0, v14, s0
	v_lshlrev_b32_e32 v14, 2, v5
	ds_bpermute_b32 v5, v14, v1
	ds_bpermute_b32 v6, v14, v2
	;; [unrolled: 1-line block ×4, first 2 shown]
	v_cmpx_eq_u32_e32 0, v15
	s_cbranch_execz .LBB188_21
; %bb.20:
	s_waitcnt lgkmcnt(0)
	v_add_f64 v[3:4], v[3:4], v[7:8]
	v_add_f64 v[1:2], v[1:2], v[5:6]
	v_lshrrev_b32_e32 v5, 1, v0
	v_and_b32_e32 v5, 0x1f0, v5
	ds_write_b128 v5, v[1:4]
.LBB188_21:
	s_or_b32 exec_lo, exec_lo, s1
	s_waitcnt lgkmcnt(0)
	v_mov_b32_e32 v7, 0
	v_mov_b32_e32 v5, 0
	;; [unrolled: 1-line block ×4, first 2 shown]
	s_barrier
	buffer_gl0_inv
	s_and_saveexec_b32 s0, vcc_lo
; %bb.22:
	ds_read_b128 v[5:8], v12
; %bb.23:
	s_or_b32 exec_lo, exec_lo, s0
	s_and_saveexec_b32 s0, vcc_lo
	s_cbranch_execz .LBB188_25
; %bb.24:
	s_waitcnt lgkmcnt(0)
	ds_bpermute_b32 v1, v9, v5
	ds_bpermute_b32 v2, v9, v6
	ds_bpermute_b32 v3, v9, v7
	ds_bpermute_b32 v4, v9, v8
	s_waitcnt lgkmcnt(2)
	v_add_f64 v[1:2], v[5:6], v[1:2]
	s_waitcnt lgkmcnt(0)
	v_add_f64 v[3:4], v[7:8], v[3:4]
	ds_bpermute_b32 v5, v10, v1
	ds_bpermute_b32 v6, v10, v2
	ds_bpermute_b32 v7, v10, v3
	ds_bpermute_b32 v8, v10, v4
	s_waitcnt lgkmcnt(2)
	v_add_f64 v[1:2], v[1:2], v[5:6]
	s_waitcnt lgkmcnt(0)
	v_add_f64 v[3:4], v[3:4], v[7:8]
	;; [unrolled: 8-line block ×5, first 2 shown]
.LBB188_25:
	s_or_b32 exec_lo, exec_lo, s0
	s_mov_b32 s0, exec_lo
                                        ; implicit-def: $vgpr3_vgpr4
                                        ; implicit-def: $sgpr2_sgpr3
	v_cmpx_eq_u32_e32 0, v0
	s_cbranch_execz .LBB188_29
; %bb.26:
	s_waitcnt lgkmcnt(0)
	v_mul_f64 v[0:1], s[14:15], v[7:8]
	v_mul_f64 v[3:4], s[12:13], v[7:8]
	v_cmp_neq_f64_e64 s1, s[10:11], 0
	v_cmp_neq_f64_e64 s2, s[20:21], 0
	v_fma_f64 v[1:2], s[12:13], v[5:6], -v[0:1]
	v_fma_f64 v[3:4], s[14:15], v[5:6], v[3:4]
	s_or_b32 s1, s1, s2
	s_mul_i32 s2, s24, s6
	s_andn2_b32 vcc_lo, exec_lo, s1
	s_ashr_i32 s3, s2, 31
	s_cbranch_vccnz .LBB188_28
; %bb.27:
	s_lshl_b64 s[4:5], s[2:3], 4
	s_add_u32 s4, s22, s4
	s_addc_u32 s5, s23, s5
	s_load_dwordx4 s[4:7], s[4:5], 0x0
	s_waitcnt lgkmcnt(0)
	v_mul_f64 v[5:6], s[20:21], s[6:7]
	v_mul_f64 v[7:8], s[10:11], s[6:7]
	v_fma_f64 v[5:6], s[10:11], s[4:5], -v[5:6]
	v_fma_f64 v[7:8], s[20:21], s[4:5], v[7:8]
	v_add_f64 v[1:2], v[1:2], v[5:6]
	v_add_f64 v[3:4], v[3:4], v[7:8]
.LBB188_28:
	s_or_b32 s25, s25, exec_lo
.LBB188_29:
	s_or_b32 exec_lo, exec_lo, s0
.LBB188_30:
	s_and_saveexec_b32 s0, s25
	s_cbranch_execz .LBB188_32
; %bb.31:
	s_lshl_b64 s[0:1], s[2:3], 4
	v_mov_b32_e32 v0, 0
	s_add_u32 s0, s22, s0
	s_addc_u32 s1, s23, s1
	global_store_dwordx4 v0, v[1:4], s[0:1]
.LBB188_32:
	s_endpgm
	.section	.rodata,"a",@progbits
	.p2align	6, 0x0
	.amdhsa_kernel _ZL32rocblas_gemvt_warp_reduce_kernelILb1ELi1024Ei19rocblas_complex_numIdES1_S1_EviiT3_lPKT2_lT1_lS5_lS6_lS2_lPT4_lS6_li
		.amdhsa_group_segment_fixed_size 512
		.amdhsa_private_segment_fixed_size 0
		.amdhsa_kernarg_size 156
		.amdhsa_user_sgpr_count 6
		.amdhsa_user_sgpr_private_segment_buffer 1
		.amdhsa_user_sgpr_dispatch_ptr 0
		.amdhsa_user_sgpr_queue_ptr 0
		.amdhsa_user_sgpr_kernarg_segment_ptr 1
		.amdhsa_user_sgpr_dispatch_id 0
		.amdhsa_user_sgpr_flat_scratch_init 0
		.amdhsa_user_sgpr_private_segment_size 0
		.amdhsa_wavefront_size32 1
		.amdhsa_uses_dynamic_stack 0
		.amdhsa_system_sgpr_private_segment_wavefront_offset 0
		.amdhsa_system_sgpr_workgroup_id_x 1
		.amdhsa_system_sgpr_workgroup_id_y 0
		.amdhsa_system_sgpr_workgroup_id_z 1
		.amdhsa_system_sgpr_workgroup_info 0
		.amdhsa_system_vgpr_workitem_id 0
		.amdhsa_next_free_vgpr 21
		.amdhsa_next_free_sgpr 36
		.amdhsa_reserve_vcc 1
		.amdhsa_reserve_flat_scratch 0
		.amdhsa_float_round_mode_32 0
		.amdhsa_float_round_mode_16_64 0
		.amdhsa_float_denorm_mode_32 3
		.amdhsa_float_denorm_mode_16_64 3
		.amdhsa_dx10_clamp 1
		.amdhsa_ieee_mode 1
		.amdhsa_fp16_overflow 0
		.amdhsa_workgroup_processor_mode 1
		.amdhsa_memory_ordered 1
		.amdhsa_forward_progress 1
		.amdhsa_shared_vgpr_count 0
		.amdhsa_exception_fp_ieee_invalid_op 0
		.amdhsa_exception_fp_denorm_src 0
		.amdhsa_exception_fp_ieee_div_zero 0
		.amdhsa_exception_fp_ieee_overflow 0
		.amdhsa_exception_fp_ieee_underflow 0
		.amdhsa_exception_fp_ieee_inexact 0
		.amdhsa_exception_int_div_zero 0
	.end_amdhsa_kernel
	.section	.text._ZL32rocblas_gemvt_warp_reduce_kernelILb1ELi1024Ei19rocblas_complex_numIdES1_S1_EviiT3_lPKT2_lT1_lS5_lS6_lS2_lPT4_lS6_li,"axG",@progbits,_ZL32rocblas_gemvt_warp_reduce_kernelILb1ELi1024Ei19rocblas_complex_numIdES1_S1_EviiT3_lPKT2_lT1_lS5_lS6_lS2_lPT4_lS6_li,comdat
.Lfunc_end188:
	.size	_ZL32rocblas_gemvt_warp_reduce_kernelILb1ELi1024Ei19rocblas_complex_numIdES1_S1_EviiT3_lPKT2_lT1_lS5_lS6_lS2_lPT4_lS6_li, .Lfunc_end188-_ZL32rocblas_gemvt_warp_reduce_kernelILb1ELi1024Ei19rocblas_complex_numIdES1_S1_EviiT3_lPKT2_lT1_lS5_lS6_lS2_lPT4_lS6_li
                                        ; -- End function
	.set _ZL32rocblas_gemvt_warp_reduce_kernelILb1ELi1024Ei19rocblas_complex_numIdES1_S1_EviiT3_lPKT2_lT1_lS5_lS6_lS2_lPT4_lS6_li.num_vgpr, 21
	.set _ZL32rocblas_gemvt_warp_reduce_kernelILb1ELi1024Ei19rocblas_complex_numIdES1_S1_EviiT3_lPKT2_lT1_lS5_lS6_lS2_lPT4_lS6_li.num_agpr, 0
	.set _ZL32rocblas_gemvt_warp_reduce_kernelILb1ELi1024Ei19rocblas_complex_numIdES1_S1_EviiT3_lPKT2_lT1_lS5_lS6_lS2_lPT4_lS6_li.numbered_sgpr, 36
	.set _ZL32rocblas_gemvt_warp_reduce_kernelILb1ELi1024Ei19rocblas_complex_numIdES1_S1_EviiT3_lPKT2_lT1_lS5_lS6_lS2_lPT4_lS6_li.num_named_barrier, 0
	.set _ZL32rocblas_gemvt_warp_reduce_kernelILb1ELi1024Ei19rocblas_complex_numIdES1_S1_EviiT3_lPKT2_lT1_lS5_lS6_lS2_lPT4_lS6_li.private_seg_size, 0
	.set _ZL32rocblas_gemvt_warp_reduce_kernelILb1ELi1024Ei19rocblas_complex_numIdES1_S1_EviiT3_lPKT2_lT1_lS5_lS6_lS2_lPT4_lS6_li.uses_vcc, 1
	.set _ZL32rocblas_gemvt_warp_reduce_kernelILb1ELi1024Ei19rocblas_complex_numIdES1_S1_EviiT3_lPKT2_lT1_lS5_lS6_lS2_lPT4_lS6_li.uses_flat_scratch, 0
	.set _ZL32rocblas_gemvt_warp_reduce_kernelILb1ELi1024Ei19rocblas_complex_numIdES1_S1_EviiT3_lPKT2_lT1_lS5_lS6_lS2_lPT4_lS6_li.has_dyn_sized_stack, 0
	.set _ZL32rocblas_gemvt_warp_reduce_kernelILb1ELi1024Ei19rocblas_complex_numIdES1_S1_EviiT3_lPKT2_lT1_lS5_lS6_lS2_lPT4_lS6_li.has_recursion, 0
	.set _ZL32rocblas_gemvt_warp_reduce_kernelILb1ELi1024Ei19rocblas_complex_numIdES1_S1_EviiT3_lPKT2_lT1_lS5_lS6_lS2_lPT4_lS6_li.has_indirect_call, 0
	.section	.AMDGPU.csdata,"",@progbits
; Kernel info:
; codeLenInByte = 2104
; TotalNumSgprs: 38
; NumVgprs: 21
; ScratchSize: 0
; MemoryBound: 0
; FloatMode: 240
; IeeeMode: 1
; LDSByteSize: 512 bytes/workgroup (compile time only)
; SGPRBlocks: 0
; VGPRBlocks: 2
; NumSGPRsForWavesPerEU: 38
; NumVGPRsForWavesPerEU: 21
; Occupancy: 16
; WaveLimiterHint : 1
; COMPUTE_PGM_RSRC2:SCRATCH_EN: 0
; COMPUTE_PGM_RSRC2:USER_SGPR: 6
; COMPUTE_PGM_RSRC2:TRAP_HANDLER: 0
; COMPUTE_PGM_RSRC2:TGID_X_EN: 1
; COMPUTE_PGM_RSRC2:TGID_Y_EN: 0
; COMPUTE_PGM_RSRC2:TGID_Z_EN: 1
; COMPUTE_PGM_RSRC2:TIDIG_COMP_CNT: 0
	.section	.text._ZL32rocblas_gemvt_warp_reduce_kernelILb1ELi1024El19rocblas_complex_numIdES1_S1_EviiT3_lPKT2_lT1_lS5_lS6_lS2_lPT4_lS6_li,"axG",@progbits,_ZL32rocblas_gemvt_warp_reduce_kernelILb1ELi1024El19rocblas_complex_numIdES1_S1_EviiT3_lPKT2_lT1_lS5_lS6_lS2_lPT4_lS6_li,comdat
	.globl	_ZL32rocblas_gemvt_warp_reduce_kernelILb1ELi1024El19rocblas_complex_numIdES1_S1_EviiT3_lPKT2_lT1_lS5_lS6_lS2_lPT4_lS6_li ; -- Begin function _ZL32rocblas_gemvt_warp_reduce_kernelILb1ELi1024El19rocblas_complex_numIdES1_S1_EviiT3_lPKT2_lT1_lS5_lS6_lS2_lPT4_lS6_li
	.p2align	8
	.type	_ZL32rocblas_gemvt_warp_reduce_kernelILb1ELi1024El19rocblas_complex_numIdES1_S1_EviiT3_lPKT2_lT1_lS5_lS6_lS2_lPT4_lS6_li,@function
_ZL32rocblas_gemvt_warp_reduce_kernelILb1ELi1024El19rocblas_complex_numIdES1_S1_EviiT3_lPKT2_lT1_lS5_lS6_lS2_lPT4_lS6_li: ; @_ZL32rocblas_gemvt_warp_reduce_kernelILb1ELi1024El19rocblas_complex_numIdES1_S1_EviiT3_lPKT2_lT1_lS5_lS6_lS2_lPT4_lS6_li
; %bb.0:
	s_clause 0x1
	s_load_dwordx4 s[36:39], s[4:5], 0x8
	s_load_dwordx4 s[28:31], s[4:5], 0x60
	s_waitcnt lgkmcnt(0)
	v_cmp_neq_f64_e64 s0, s[36:37], 0
	v_cmp_neq_f64_e64 s1, s[38:39], 0
	s_or_b32 s0, s0, s1
	s_mov_b32 s1, -1
	s_and_b32 vcc_lo, exec_lo, s0
	s_cbranch_vccnz .LBB189_2
; %bb.1:
	v_cmp_neq_f64_e64 s1, s[28:29], 1.0
	v_cmp_neq_f64_e64 s2, s[30:31], 0
	s_or_b32 s1, s1, s2
.LBB189_2:
	s_andn2_b32 vcc_lo, exec_lo, s1
	s_cbranch_vccnz .LBB189_32
; %bb.3:
	s_load_dwordx8 s[20:27], s[4:5], 0x78
	s_xor_b32 s8, s0, -1
	s_waitcnt lgkmcnt(0)
	s_mul_i32 s1, s27, s7
	s_mul_hi_u32 s2, s26, s7
	s_mul_i32 s0, s26, s7
	s_add_i32 s1, s2, s1
	s_mov_b32 s27, 0
	s_lshl_b64 s[0:1], s[0:1], 4
	s_add_u32 s9, s20, s0
	s_addc_u32 s10, s21, s1
	s_lshl_b64 s[2:3], s[22:23], 4
	v_cmp_eq_u32_e64 s0, 0, v0
	s_add_u32 s1, s9, s2
	s_addc_u32 s26, s10, s3
	s_andn2_b32 vcc_lo, exec_lo, s8
	s_cbranch_vccnz .LBB189_7
; %bb.4:
	s_mov_b32 s8, 0
                                        ; implicit-def: $vgpr3_vgpr4
                                        ; implicit-def: $sgpr2_sgpr3
	s_and_saveexec_b32 s9, s0
	s_cbranch_execz .LBB189_8
; %bb.5:
	v_cmp_neq_f64_e64 s0, s[28:29], 0
	v_cmp_neq_f64_e64 s2, s[30:31], 0
	s_mul_hi_u32 s3, s24, s6
	s_or_b32 s0, s0, s2
	s_ashr_i32 s2, s6, 31
	s_andn2_b32 vcc_lo, exec_lo, s0
	s_mul_i32 s2, s24, s2
	s_add_i32 s2, s3, s2
	s_mul_i32 s3, s25, s6
	s_add_i32 s3, s2, s3
	s_mul_i32 s2, s24, s6
	s_cbranch_vccnz .LBB189_9
; %bb.6:
	s_lshl_b64 s[10:11], s[2:3], 4
	s_add_u32 s10, s1, s10
	s_addc_u32 s11, s26, s11
	s_load_dwordx4 s[12:15], s[10:11], 0x0
	s_waitcnt lgkmcnt(0)
	v_mul_f64 v[1:2], s[30:31], s[14:15]
	v_mul_f64 v[3:4], s[28:29], s[14:15]
	v_fma_f64 v[1:2], s[28:29], s[12:13], -v[1:2]
	v_fma_f64 v[3:4], s[30:31], s[12:13], v[3:4]
	s_branch .LBB189_10
.LBB189_7:
                                        ; implicit-def: $vgpr3_vgpr4
                                        ; implicit-def: $sgpr2_sgpr3
	s_cbranch_execnz .LBB189_11
	s_branch .LBB189_30
.LBB189_8:
	s_or_b32 exec_lo, exec_lo, s9
	s_and_b32 vcc_lo, exec_lo, s8
	s_cbranch_vccnz .LBB189_11
	s_branch .LBB189_30
.LBB189_9:
	v_mov_b32_e32 v3, 0
	v_mov_b32_e32 v1, 0
	;; [unrolled: 1-line block ×4, first 2 shown]
.LBB189_10:
	s_mov_b32 s27, exec_lo
	s_or_b32 exec_lo, exec_lo, s9
	s_and_b32 vcc_lo, exec_lo, s8
	s_cbranch_vccz .LBB189_30
.LBB189_11:
	s_clause 0x1
	s_load_dwordx16 s[8:23], s[4:5], 0x20
	s_load_dword s3, s[4:5], 0x0
	s_ashr_i32 s33, s6, 31
	v_mov_b32_e32 v1, 0
	v_mov_b32_e32 v3, 0
	;; [unrolled: 1-line block ×4, first 2 shown]
	s_waitcnt lgkmcnt(0)
	s_mul_i32 s0, s23, s7
	v_cmp_gt_i32_e32 vcc_lo, s3, v0
	s_ashr_i32 s5, s3, 31
	s_mul_hi_u32 s2, s22, s7
	s_lshr_b32 s34, s5, 22
	s_mul_i32 s4, s22, s7
	v_cndmask_b32_e32 v5, 0, v0, vcc_lo
	s_mul_i32 s15, s15, s7
	s_mul_hi_u32 s22, s14, s7
	s_mul_i32 s14, s14, s7
	s_mul_hi_u32 s7, s12, s6
	s_mul_i32 s23, s12, s33
	s_add_i32 s5, s2, s0
	s_add_i32 s0, s3, s34
	v_lshlrev_b32_e32 v9, 4, v5
	s_mul_i32 s13, s13, s6
	s_and_b32 s2, s0, 0xfffffc00
	s_add_i32 s0, s7, s23
	s_add_i32 s15, s22, s15
	s_mov_b32 s34, 0
	s_add_i32 s13, s0, s13
	s_mul_i32 s12, s12, s6
	s_mov_b32 s7, exec_lo
	v_cmpx_gt_i32_e64 s2, v0
	s_cbranch_execz .LBB189_15
; %bb.12:
	v_mad_u64_u32 v[1:2], null, s20, v0, 0
	s_lshl_b64 s[22:23], s[18:19], 4
	s_lshl_b64 s[40:41], s[4:5], 4
	s_add_u32 s0, s16, s22
	s_addc_u32 s22, s17, s23
	s_add_u32 s0, s0, s40
	s_addc_u32 s35, s22, s41
	v_mad_u64_u32 v[2:3], null, s21, v0, v[2:3]
	s_lshl_b64 s[40:41], s[12:13], 4
	s_lshl_b64 s[42:43], s[14:15], 4
	;; [unrolled: 1-line block ×3, first 2 shown]
	s_add_u32 s42, s40, s42
	s_addc_u32 s43, s41, s43
	s_lshl_b64 s[40:41], s[10:11], 4
	v_lshlrev_b64 v[1:2], 4, v[1:2]
	s_add_u32 s40, s42, s40
	s_addc_u32 s41, s43, s41
	s_add_u32 s40, s8, s40
	s_addc_u32 s41, s9, s41
	v_mov_b32_e32 v10, v0
	v_add_co_u32 v1, vcc_lo, s0, v1
	v_add_co_ci_u32_e64 v2, null, s35, v2, vcc_lo
	v_add_co_u32 v3, s0, s40, v9
	v_add_co_ci_u32_e64 v4, null, s41, 0, s0
	v_add_co_u32 v5, vcc_lo, v1, 8
	v_add_co_ci_u32_e64 v6, null, 0, v2, vcc_lo
	v_add_co_u32 v7, vcc_lo, v3, 8
	v_add_co_ci_u32_e64 v8, null, 0, v4, vcc_lo
	v_mov_b32_e32 v1, 0
	v_mov_b32_e32 v3, 0
	;; [unrolled: 1-line block ×4, first 2 shown]
	.p2align	6
.LBB189_13:                             ; =>This Inner Loop Header: Depth=1
	global_load_dwordx4 v[11:14], v[7:8], off offset:-8
	global_load_dwordx4 v[15:18], v[5:6], off offset:-8
	v_add_nc_u32_e32 v10, 0x400, v10
	v_add_co_u32 v5, vcc_lo, v5, s22
	v_add_co_ci_u32_e64 v6, null, s23, v6, vcc_lo
	v_cmp_le_i32_e32 vcc_lo, s2, v10
	v_add_co_u32 v7, s0, 0x4000, v7
	v_add_co_ci_u32_e64 v8, null, 0, v8, s0
	s_or_b32 s34, vcc_lo, s34
	s_waitcnt vmcnt(0)
	v_mul_f64 v[19:20], v[13:14], v[17:18]
	v_mul_f64 v[13:14], v[13:14], v[15:16]
	v_fma_f64 v[15:16], v[11:12], v[15:16], v[19:20]
	v_fma_f64 v[11:12], v[11:12], v[17:18], -v[13:14]
	v_add_f64 v[3:4], v[3:4], v[15:16]
	v_add_f64 v[1:2], v[1:2], v[11:12]
	s_andn2_b32 exec_lo, exec_lo, s34
	s_cbranch_execnz .LBB189_13
; %bb.14:
	s_or_b32 exec_lo, exec_lo, s34
.LBB189_15:
	s_or_b32 exec_lo, exec_lo, s7
	v_or_b32_e32 v5, s2, v0
	s_mov_b32 s0, exec_lo
	v_cmpx_gt_i32_e64 s3, v5
	s_cbranch_execz .LBB189_17
; %bb.16:
	v_ashrrev_i32_e32 v6, 31, v5
	s_lshl_b64 s[14:15], s[14:15], 4
	v_mul_lo_u32 v7, s21, v5
	s_add_u32 s3, s8, s14
	s_addc_u32 s7, s9, s15
	v_mul_lo_u32 v8, s20, v6
	v_mad_u64_u32 v[5:6], null, s20, v5, 0
	s_lshl_b64 s[8:9], s[10:11], 4
	s_add_u32 s3, s3, s8
	s_addc_u32 s7, s7, s9
	s_lshl_b64 s[4:5], s[4:5], 4
	v_add_co_u32 v9, s3, s3, v9
	s_lshl_b64 s[8:9], s[12:13], 4
	v_add3_u32 v6, v6, v8, v7
	s_add_u32 s10, s16, s4
	v_add_co_ci_u32_e64 v10, null, s7, 0, s3
	s_addc_u32 s11, s17, s5
	s_lshl_b64 s[4:5], s[18:19], 4
	v_add_co_u32 v7, vcc_lo, v9, s8
	s_add_u32 s4, s10, s4
	s_addc_u32 s5, s11, s5
	s_ashr_i32 s3, s2, 31
	v_lshlrev_b64 v[5:6], 4, v[5:6]
	v_add_co_ci_u32_e64 v8, null, s9, v10, vcc_lo
	s_lshl_b64 s[2:3], s[2:3], 4
	v_add_co_u32 v7, vcc_lo, v7, s2
	v_add_co_ci_u32_e64 v8, null, s3, v8, vcc_lo
	v_add_co_u32 v9, vcc_lo, s4, v5
	v_add_co_ci_u32_e64 v10, null, s5, v6, vcc_lo
	global_load_dwordx4 v[5:8], v[7:8], off
	global_load_dwordx4 v[9:12], v[9:10], off
	s_waitcnt vmcnt(0)
	v_mul_f64 v[13:14], v[7:8], v[11:12]
	v_mul_f64 v[7:8], v[7:8], v[9:10]
	v_fma_f64 v[9:10], v[5:6], v[9:10], v[13:14]
	v_fma_f64 v[5:6], v[5:6], v[11:12], -v[7:8]
	v_add_f64 v[3:4], v[3:4], v[9:10]
	v_add_f64 v[1:2], v[1:2], v[5:6]
.LBB189_17:
	s_or_b32 exec_lo, exec_lo, s0
	v_and_b32_e32 v15, 31, v0
	v_cmp_gt_u32_e32 vcc_lo, 32, v0
	v_lshlrev_b32_e32 v12, 4, v15
	s_and_saveexec_b32 s0, vcc_lo
	s_cbranch_execz .LBB189_19
; %bb.18:
	v_mov_b32_e32 v5, 0
	v_mov_b32_e32 v6, v5
	;; [unrolled: 1-line block ×4, first 2 shown]
	ds_write_b128 v12, v[5:8]
.LBB189_19:
	s_or_b32 exec_lo, exec_lo, s0
	v_mbcnt_lo_u32_b32 v14, -1, 0
	s_mov_b32 s2, exec_lo
	s_waitcnt lgkmcnt(0)
	s_barrier
	buffer_gl0_inv
	v_lshl_or_b32 v9, v14, 2, 64
	v_cmp_gt_u32_e64 s0, 24, v14
	ds_bpermute_b32 v5, v9, v3
	ds_bpermute_b32 v6, v9, v4
	ds_bpermute_b32 v7, v9, v1
	ds_bpermute_b32 v8, v9, v2
	s_waitcnt lgkmcnt(2)
	v_add_f64 v[3:4], v[3:4], v[5:6]
	v_cndmask_b32_e64 v5, 0, 8, s0
	s_waitcnt lgkmcnt(0)
	v_add_f64 v[1:2], v[1:2], v[7:8]
	v_cmp_gt_u32_e64 s0, 28, v14
	v_add_lshl_u32 v10, v5, v14, 2
	ds_bpermute_b32 v5, v10, v3
	ds_bpermute_b32 v6, v10, v4
	;; [unrolled: 1-line block ×4, first 2 shown]
	s_waitcnt lgkmcnt(2)
	v_add_f64 v[3:4], v[3:4], v[5:6]
	v_cndmask_b32_e64 v5, 0, 4, s0
	s_waitcnt lgkmcnt(0)
	v_add_f64 v[1:2], v[1:2], v[7:8]
	v_cmp_gt_u32_e64 s0, 30, v14
	v_add_lshl_u32 v11, v5, v14, 2
	ds_bpermute_b32 v5, v11, v3
	ds_bpermute_b32 v6, v11, v4
	;; [unrolled: 1-line block ×4, first 2 shown]
	s_waitcnt lgkmcnt(2)
	v_add_f64 v[3:4], v[3:4], v[5:6]
	s_waitcnt lgkmcnt(0)
	v_add_f64 v[5:6], v[1:2], v[7:8]
	v_cndmask_b32_e64 v1, 0, 2, s0
	v_cmp_ne_u32_e64 s0, 31, v14
	v_add_lshl_u32 v13, v1, v14, 2
	ds_bpermute_b32 v1, v13, v3
	ds_bpermute_b32 v2, v13, v4
	;; [unrolled: 1-line block ×4, first 2 shown]
	s_waitcnt lgkmcnt(2)
	v_add_f64 v[1:2], v[3:4], v[1:2]
	s_waitcnt lgkmcnt(0)
	v_add_f64 v[3:4], v[5:6], v[7:8]
	v_add_co_ci_u32_e64 v5, null, 0, v14, s0
	v_lshlrev_b32_e32 v14, 2, v5
	ds_bpermute_b32 v5, v14, v1
	ds_bpermute_b32 v6, v14, v2
	;; [unrolled: 1-line block ×4, first 2 shown]
	v_cmpx_eq_u32_e32 0, v15
	s_cbranch_execz .LBB189_21
; %bb.20:
	s_waitcnt lgkmcnt(0)
	v_add_f64 v[3:4], v[3:4], v[7:8]
	v_add_f64 v[1:2], v[1:2], v[5:6]
	v_lshrrev_b32_e32 v5, 1, v0
	v_and_b32_e32 v5, 0x1f0, v5
	ds_write_b128 v5, v[1:4]
.LBB189_21:
	s_or_b32 exec_lo, exec_lo, s2
	s_waitcnt lgkmcnt(0)
	v_mov_b32_e32 v7, 0
	v_mov_b32_e32 v5, 0
	v_mov_b32_e32 v8, 0
	v_mov_b32_e32 v6, 0
	s_barrier
	buffer_gl0_inv
	s_and_saveexec_b32 s0, vcc_lo
; %bb.22:
	ds_read_b128 v[5:8], v12
; %bb.23:
	s_or_b32 exec_lo, exec_lo, s0
	s_and_saveexec_b32 s0, vcc_lo
	s_cbranch_execz .LBB189_25
; %bb.24:
	s_waitcnt lgkmcnt(0)
	ds_bpermute_b32 v1, v9, v5
	ds_bpermute_b32 v2, v9, v6
	ds_bpermute_b32 v3, v9, v7
	ds_bpermute_b32 v4, v9, v8
	s_waitcnt lgkmcnt(2)
	v_add_f64 v[1:2], v[5:6], v[1:2]
	s_waitcnt lgkmcnt(0)
	v_add_f64 v[3:4], v[7:8], v[3:4]
	ds_bpermute_b32 v5, v10, v1
	ds_bpermute_b32 v6, v10, v2
	ds_bpermute_b32 v7, v10, v3
	ds_bpermute_b32 v8, v10, v4
	s_waitcnt lgkmcnt(2)
	v_add_f64 v[1:2], v[1:2], v[5:6]
	s_waitcnt lgkmcnt(0)
	v_add_f64 v[3:4], v[3:4], v[7:8]
	;; [unrolled: 8-line block ×5, first 2 shown]
.LBB189_25:
	s_or_b32 exec_lo, exec_lo, s0
	s_mov_b32 s0, exec_lo
                                        ; implicit-def: $vgpr3_vgpr4
                                        ; implicit-def: $sgpr2_sgpr3
	v_cmpx_eq_u32_e32 0, v0
	s_cbranch_execz .LBB189_29
; %bb.26:
	s_waitcnt lgkmcnt(0)
	v_mul_f64 v[0:1], s[38:39], v[7:8]
	v_mul_f64 v[3:4], s[36:37], v[7:8]
	v_cmp_neq_f64_e64 s2, s[28:29], 0
	v_cmp_neq_f64_e64 s3, s[30:31], 0
	s_mul_hi_u32 s4, s24, s6
	v_fma_f64 v[1:2], s[36:37], v[5:6], -v[0:1]
	v_fma_f64 v[3:4], s[38:39], v[5:6], v[3:4]
	s_or_b32 s2, s2, s3
	s_mul_i32 s3, s24, s33
	s_andn2_b32 vcc_lo, exec_lo, s2
	s_add_i32 s3, s4, s3
	s_mul_i32 s4, s25, s6
	s_mul_i32 s2, s24, s6
	s_add_i32 s3, s3, s4
	s_cbranch_vccnz .LBB189_28
; %bb.27:
	s_lshl_b64 s[4:5], s[2:3], 4
	s_add_u32 s4, s1, s4
	s_addc_u32 s5, s26, s5
	s_load_dwordx4 s[4:7], s[4:5], 0x0
	s_waitcnt lgkmcnt(0)
	v_mul_f64 v[5:6], s[30:31], s[6:7]
	v_mul_f64 v[7:8], s[28:29], s[6:7]
	v_fma_f64 v[5:6], s[28:29], s[4:5], -v[5:6]
	v_fma_f64 v[7:8], s[30:31], s[4:5], v[7:8]
	v_add_f64 v[1:2], v[1:2], v[5:6]
	v_add_f64 v[3:4], v[3:4], v[7:8]
.LBB189_28:
	s_or_b32 s27, s27, exec_lo
.LBB189_29:
	s_or_b32 exec_lo, exec_lo, s0
.LBB189_30:
	s_and_saveexec_b32 s0, s27
	s_cbranch_execz .LBB189_32
; %bb.31:
	s_lshl_b64 s[2:3], s[2:3], 4
	v_mov_b32_e32 v0, 0
	s_add_u32 s0, s1, s2
	s_addc_u32 s1, s26, s3
	global_store_dwordx4 v0, v[1:4], s[0:1]
.LBB189_32:
	s_endpgm
	.section	.rodata,"a",@progbits
	.p2align	6, 0x0
	.amdhsa_kernel _ZL32rocblas_gemvt_warp_reduce_kernelILb1ELi1024El19rocblas_complex_numIdES1_S1_EviiT3_lPKT2_lT1_lS5_lS6_lS2_lPT4_lS6_li
		.amdhsa_group_segment_fixed_size 512
		.amdhsa_private_segment_fixed_size 0
		.amdhsa_kernarg_size 156
		.amdhsa_user_sgpr_count 6
		.amdhsa_user_sgpr_private_segment_buffer 1
		.amdhsa_user_sgpr_dispatch_ptr 0
		.amdhsa_user_sgpr_queue_ptr 0
		.amdhsa_user_sgpr_kernarg_segment_ptr 1
		.amdhsa_user_sgpr_dispatch_id 0
		.amdhsa_user_sgpr_flat_scratch_init 0
		.amdhsa_user_sgpr_private_segment_size 0
		.amdhsa_wavefront_size32 1
		.amdhsa_uses_dynamic_stack 0
		.amdhsa_system_sgpr_private_segment_wavefront_offset 0
		.amdhsa_system_sgpr_workgroup_id_x 1
		.amdhsa_system_sgpr_workgroup_id_y 0
		.amdhsa_system_sgpr_workgroup_id_z 1
		.amdhsa_system_sgpr_workgroup_info 0
		.amdhsa_system_vgpr_workitem_id 0
		.amdhsa_next_free_vgpr 21
		.amdhsa_next_free_sgpr 44
		.amdhsa_reserve_vcc 1
		.amdhsa_reserve_flat_scratch 0
		.amdhsa_float_round_mode_32 0
		.amdhsa_float_round_mode_16_64 0
		.amdhsa_float_denorm_mode_32 3
		.amdhsa_float_denorm_mode_16_64 3
		.amdhsa_dx10_clamp 1
		.amdhsa_ieee_mode 1
		.amdhsa_fp16_overflow 0
		.amdhsa_workgroup_processor_mode 1
		.amdhsa_memory_ordered 1
		.amdhsa_forward_progress 1
		.amdhsa_shared_vgpr_count 0
		.amdhsa_exception_fp_ieee_invalid_op 0
		.amdhsa_exception_fp_denorm_src 0
		.amdhsa_exception_fp_ieee_div_zero 0
		.amdhsa_exception_fp_ieee_overflow 0
		.amdhsa_exception_fp_ieee_underflow 0
		.amdhsa_exception_fp_ieee_inexact 0
		.amdhsa_exception_int_div_zero 0
	.end_amdhsa_kernel
	.section	.text._ZL32rocblas_gemvt_warp_reduce_kernelILb1ELi1024El19rocblas_complex_numIdES1_S1_EviiT3_lPKT2_lT1_lS5_lS6_lS2_lPT4_lS6_li,"axG",@progbits,_ZL32rocblas_gemvt_warp_reduce_kernelILb1ELi1024El19rocblas_complex_numIdES1_S1_EviiT3_lPKT2_lT1_lS5_lS6_lS2_lPT4_lS6_li,comdat
.Lfunc_end189:
	.size	_ZL32rocblas_gemvt_warp_reduce_kernelILb1ELi1024El19rocblas_complex_numIdES1_S1_EviiT3_lPKT2_lT1_lS5_lS6_lS2_lPT4_lS6_li, .Lfunc_end189-_ZL32rocblas_gemvt_warp_reduce_kernelILb1ELi1024El19rocblas_complex_numIdES1_S1_EviiT3_lPKT2_lT1_lS5_lS6_lS2_lPT4_lS6_li
                                        ; -- End function
	.set _ZL32rocblas_gemvt_warp_reduce_kernelILb1ELi1024El19rocblas_complex_numIdES1_S1_EviiT3_lPKT2_lT1_lS5_lS6_lS2_lPT4_lS6_li.num_vgpr, 21
	.set _ZL32rocblas_gemvt_warp_reduce_kernelILb1ELi1024El19rocblas_complex_numIdES1_S1_EviiT3_lPKT2_lT1_lS5_lS6_lS2_lPT4_lS6_li.num_agpr, 0
	.set _ZL32rocblas_gemvt_warp_reduce_kernelILb1ELi1024El19rocblas_complex_numIdES1_S1_EviiT3_lPKT2_lT1_lS5_lS6_lS2_lPT4_lS6_li.numbered_sgpr, 44
	.set _ZL32rocblas_gemvt_warp_reduce_kernelILb1ELi1024El19rocblas_complex_numIdES1_S1_EviiT3_lPKT2_lT1_lS5_lS6_lS2_lPT4_lS6_li.num_named_barrier, 0
	.set _ZL32rocblas_gemvt_warp_reduce_kernelILb1ELi1024El19rocblas_complex_numIdES1_S1_EviiT3_lPKT2_lT1_lS5_lS6_lS2_lPT4_lS6_li.private_seg_size, 0
	.set _ZL32rocblas_gemvt_warp_reduce_kernelILb1ELi1024El19rocblas_complex_numIdES1_S1_EviiT3_lPKT2_lT1_lS5_lS6_lS2_lPT4_lS6_li.uses_vcc, 1
	.set _ZL32rocblas_gemvt_warp_reduce_kernelILb1ELi1024El19rocblas_complex_numIdES1_S1_EviiT3_lPKT2_lT1_lS5_lS6_lS2_lPT4_lS6_li.uses_flat_scratch, 0
	.set _ZL32rocblas_gemvt_warp_reduce_kernelILb1ELi1024El19rocblas_complex_numIdES1_S1_EviiT3_lPKT2_lT1_lS5_lS6_lS2_lPT4_lS6_li.has_dyn_sized_stack, 0
	.set _ZL32rocblas_gemvt_warp_reduce_kernelILb1ELi1024El19rocblas_complex_numIdES1_S1_EviiT3_lPKT2_lT1_lS5_lS6_lS2_lPT4_lS6_li.has_recursion, 0
	.set _ZL32rocblas_gemvt_warp_reduce_kernelILb1ELi1024El19rocblas_complex_numIdES1_S1_EviiT3_lPKT2_lT1_lS5_lS6_lS2_lPT4_lS6_li.has_indirect_call, 0
	.section	.AMDGPU.csdata,"",@progbits
; Kernel info:
; codeLenInByte = 2144
; TotalNumSgprs: 46
; NumVgprs: 21
; ScratchSize: 0
; MemoryBound: 0
; FloatMode: 240
; IeeeMode: 1
; LDSByteSize: 512 bytes/workgroup (compile time only)
; SGPRBlocks: 0
; VGPRBlocks: 2
; NumSGPRsForWavesPerEU: 46
; NumVGPRsForWavesPerEU: 21
; Occupancy: 16
; WaveLimiterHint : 1
; COMPUTE_PGM_RSRC2:SCRATCH_EN: 0
; COMPUTE_PGM_RSRC2:USER_SGPR: 6
; COMPUTE_PGM_RSRC2:TRAP_HANDLER: 0
; COMPUTE_PGM_RSRC2:TGID_X_EN: 1
; COMPUTE_PGM_RSRC2:TGID_Y_EN: 0
; COMPUTE_PGM_RSRC2:TGID_Z_EN: 1
; COMPUTE_PGM_RSRC2:TIDIG_COMP_CNT: 0
	.section	.text._ZL34rocblas_gemvn_sm_mn_batched_kernelILi32ELi24EPKfS1_KPfEviiT2_lPKT1_lilS7_lilS4_lPT3_lili,"axG",@progbits,_ZL34rocblas_gemvn_sm_mn_batched_kernelILi32ELi24EPKfS1_KPfEviiT2_lPKT1_lilS7_lilS4_lPT3_lili,comdat
	.globl	_ZL34rocblas_gemvn_sm_mn_batched_kernelILi32ELi24EPKfS1_KPfEviiT2_lPKT1_lilS7_lilS4_lPT3_lili ; -- Begin function _ZL34rocblas_gemvn_sm_mn_batched_kernelILi32ELi24EPKfS1_KPfEviiT2_lPKT1_lilS7_lilS4_lPT3_lili
	.p2align	8
	.type	_ZL34rocblas_gemvn_sm_mn_batched_kernelILi32ELi24EPKfS1_KPfEviiT2_lPKT1_lilS7_lilS4_lPT3_lili,@function
_ZL34rocblas_gemvn_sm_mn_batched_kernelILi32ELi24EPKfS1_KPfEviiT2_lPKT1_lilS7_lilS4_lPT3_lili: ; @_ZL34rocblas_gemvn_sm_mn_batched_kernelILi32ELi24EPKfS1_KPfEviiT2_lPKT1_lilS7_lilS4_lPT3_lili
; %bb.0:
	s_endpgm
	.section	.rodata,"a",@progbits
	.p2align	6, 0x0
	.amdhsa_kernel _ZL34rocblas_gemvn_sm_mn_batched_kernelILi32ELi24EPKfS1_KPfEviiT2_lPKT1_lilS7_lilS4_lPT3_lili
		.amdhsa_group_segment_fixed_size 0
		.amdhsa_private_segment_fixed_size 0
		.amdhsa_kernarg_size 140
		.amdhsa_user_sgpr_count 6
		.amdhsa_user_sgpr_private_segment_buffer 1
		.amdhsa_user_sgpr_dispatch_ptr 0
		.amdhsa_user_sgpr_queue_ptr 0
		.amdhsa_user_sgpr_kernarg_segment_ptr 1
		.amdhsa_user_sgpr_dispatch_id 0
		.amdhsa_user_sgpr_flat_scratch_init 0
		.amdhsa_user_sgpr_private_segment_size 0
		.amdhsa_wavefront_size32 1
		.amdhsa_uses_dynamic_stack 0
		.amdhsa_system_sgpr_private_segment_wavefront_offset 0
		.amdhsa_system_sgpr_workgroup_id_x 1
		.amdhsa_system_sgpr_workgroup_id_y 0
		.amdhsa_system_sgpr_workgroup_id_z 0
		.amdhsa_system_sgpr_workgroup_info 0
		.amdhsa_system_vgpr_workitem_id 0
		.amdhsa_next_free_vgpr 1
		.amdhsa_next_free_sgpr 1
		.amdhsa_reserve_vcc 0
		.amdhsa_reserve_flat_scratch 0
		.amdhsa_float_round_mode_32 0
		.amdhsa_float_round_mode_16_64 0
		.amdhsa_float_denorm_mode_32 3
		.amdhsa_float_denorm_mode_16_64 3
		.amdhsa_dx10_clamp 1
		.amdhsa_ieee_mode 1
		.amdhsa_fp16_overflow 0
		.amdhsa_workgroup_processor_mode 1
		.amdhsa_memory_ordered 1
		.amdhsa_forward_progress 1
		.amdhsa_shared_vgpr_count 0
		.amdhsa_exception_fp_ieee_invalid_op 0
		.amdhsa_exception_fp_denorm_src 0
		.amdhsa_exception_fp_ieee_div_zero 0
		.amdhsa_exception_fp_ieee_overflow 0
		.amdhsa_exception_fp_ieee_underflow 0
		.amdhsa_exception_fp_ieee_inexact 0
		.amdhsa_exception_int_div_zero 0
	.end_amdhsa_kernel
	.section	.text._ZL34rocblas_gemvn_sm_mn_batched_kernelILi32ELi24EPKfS1_KPfEviiT2_lPKT1_lilS7_lilS4_lPT3_lili,"axG",@progbits,_ZL34rocblas_gemvn_sm_mn_batched_kernelILi32ELi24EPKfS1_KPfEviiT2_lPKT1_lilS7_lilS4_lPT3_lili,comdat
.Lfunc_end190:
	.size	_ZL34rocblas_gemvn_sm_mn_batched_kernelILi32ELi24EPKfS1_KPfEviiT2_lPKT1_lilS7_lilS4_lPT3_lili, .Lfunc_end190-_ZL34rocblas_gemvn_sm_mn_batched_kernelILi32ELi24EPKfS1_KPfEviiT2_lPKT1_lilS7_lilS4_lPT3_lili
                                        ; -- End function
	.set _ZL34rocblas_gemvn_sm_mn_batched_kernelILi32ELi24EPKfS1_KPfEviiT2_lPKT1_lilS7_lilS4_lPT3_lili.num_vgpr, 0
	.set _ZL34rocblas_gemvn_sm_mn_batched_kernelILi32ELi24EPKfS1_KPfEviiT2_lPKT1_lilS7_lilS4_lPT3_lili.num_agpr, 0
	.set _ZL34rocblas_gemvn_sm_mn_batched_kernelILi32ELi24EPKfS1_KPfEviiT2_lPKT1_lilS7_lilS4_lPT3_lili.numbered_sgpr, 0
	.set _ZL34rocblas_gemvn_sm_mn_batched_kernelILi32ELi24EPKfS1_KPfEviiT2_lPKT1_lilS7_lilS4_lPT3_lili.num_named_barrier, 0
	.set _ZL34rocblas_gemvn_sm_mn_batched_kernelILi32ELi24EPKfS1_KPfEviiT2_lPKT1_lilS7_lilS4_lPT3_lili.private_seg_size, 0
	.set _ZL34rocblas_gemvn_sm_mn_batched_kernelILi32ELi24EPKfS1_KPfEviiT2_lPKT1_lilS7_lilS4_lPT3_lili.uses_vcc, 0
	.set _ZL34rocblas_gemvn_sm_mn_batched_kernelILi32ELi24EPKfS1_KPfEviiT2_lPKT1_lilS7_lilS4_lPT3_lili.uses_flat_scratch, 0
	.set _ZL34rocblas_gemvn_sm_mn_batched_kernelILi32ELi24EPKfS1_KPfEviiT2_lPKT1_lilS7_lilS4_lPT3_lili.has_dyn_sized_stack, 0
	.set _ZL34rocblas_gemvn_sm_mn_batched_kernelILi32ELi24EPKfS1_KPfEviiT2_lPKT1_lilS7_lilS4_lPT3_lili.has_recursion, 0
	.set _ZL34rocblas_gemvn_sm_mn_batched_kernelILi32ELi24EPKfS1_KPfEviiT2_lPKT1_lilS7_lilS4_lPT3_lili.has_indirect_call, 0
	.section	.AMDGPU.csdata,"",@progbits
; Kernel info:
; codeLenInByte = 4
; TotalNumSgprs: 0
; NumVgprs: 0
; ScratchSize: 0
; MemoryBound: 0
; FloatMode: 240
; IeeeMode: 1
; LDSByteSize: 0 bytes/workgroup (compile time only)
; SGPRBlocks: 0
; VGPRBlocks: 0
; NumSGPRsForWavesPerEU: 1
; NumVGPRsForWavesPerEU: 1
; Occupancy: 16
; WaveLimiterHint : 0
; COMPUTE_PGM_RSRC2:SCRATCH_EN: 0
; COMPUTE_PGM_RSRC2:USER_SGPR: 6
; COMPUTE_PGM_RSRC2:TRAP_HANDLER: 0
; COMPUTE_PGM_RSRC2:TGID_X_EN: 1
; COMPUTE_PGM_RSRC2:TGID_Y_EN: 0
; COMPUTE_PGM_RSRC2:TGID_Z_EN: 0
; COMPUTE_PGM_RSRC2:TIDIG_COMP_CNT: 0
	.section	.text._ZL34rocblas_gemvn_sm_mn_batched_kernelILi32ELi24EPKffKPfEviiT2_lPKT1_lilS7_lilS4_lPT3_lili,"axG",@progbits,_ZL34rocblas_gemvn_sm_mn_batched_kernelILi32ELi24EPKffKPfEviiT2_lPKT1_lilS7_lilS4_lPT3_lili,comdat
	.globl	_ZL34rocblas_gemvn_sm_mn_batched_kernelILi32ELi24EPKffKPfEviiT2_lPKT1_lilS7_lilS4_lPT3_lili ; -- Begin function _ZL34rocblas_gemvn_sm_mn_batched_kernelILi32ELi24EPKffKPfEviiT2_lPKT1_lilS7_lilS4_lPT3_lili
	.p2align	8
	.type	_ZL34rocblas_gemvn_sm_mn_batched_kernelILi32ELi24EPKffKPfEviiT2_lPKT1_lilS7_lilS4_lPT3_lili,@function
_ZL34rocblas_gemvn_sm_mn_batched_kernelILi32ELi24EPKffKPfEviiT2_lPKT1_lilS7_lilS4_lPT3_lili: ; @_ZL34rocblas_gemvn_sm_mn_batched_kernelILi32ELi24EPKffKPfEviiT2_lPKT1_lilS7_lilS4_lPT3_lili
; %bb.0:
	s_endpgm
	.section	.rodata,"a",@progbits
	.p2align	6, 0x0
	.amdhsa_kernel _ZL34rocblas_gemvn_sm_mn_batched_kernelILi32ELi24EPKffKPfEviiT2_lPKT1_lilS7_lilS4_lPT3_lili
		.amdhsa_group_segment_fixed_size 0
		.amdhsa_private_segment_fixed_size 0
		.amdhsa_kernarg_size 140
		.amdhsa_user_sgpr_count 6
		.amdhsa_user_sgpr_private_segment_buffer 1
		.amdhsa_user_sgpr_dispatch_ptr 0
		.amdhsa_user_sgpr_queue_ptr 0
		.amdhsa_user_sgpr_kernarg_segment_ptr 1
		.amdhsa_user_sgpr_dispatch_id 0
		.amdhsa_user_sgpr_flat_scratch_init 0
		.amdhsa_user_sgpr_private_segment_size 0
		.amdhsa_wavefront_size32 1
		.amdhsa_uses_dynamic_stack 0
		.amdhsa_system_sgpr_private_segment_wavefront_offset 0
		.amdhsa_system_sgpr_workgroup_id_x 1
		.amdhsa_system_sgpr_workgroup_id_y 0
		.amdhsa_system_sgpr_workgroup_id_z 0
		.amdhsa_system_sgpr_workgroup_info 0
		.amdhsa_system_vgpr_workitem_id 0
		.amdhsa_next_free_vgpr 1
		.amdhsa_next_free_sgpr 1
		.amdhsa_reserve_vcc 0
		.amdhsa_reserve_flat_scratch 0
		.amdhsa_float_round_mode_32 0
		.amdhsa_float_round_mode_16_64 0
		.amdhsa_float_denorm_mode_32 3
		.amdhsa_float_denorm_mode_16_64 3
		.amdhsa_dx10_clamp 1
		.amdhsa_ieee_mode 1
		.amdhsa_fp16_overflow 0
		.amdhsa_workgroup_processor_mode 1
		.amdhsa_memory_ordered 1
		.amdhsa_forward_progress 1
		.amdhsa_shared_vgpr_count 0
		.amdhsa_exception_fp_ieee_invalid_op 0
		.amdhsa_exception_fp_denorm_src 0
		.amdhsa_exception_fp_ieee_div_zero 0
		.amdhsa_exception_fp_ieee_overflow 0
		.amdhsa_exception_fp_ieee_underflow 0
		.amdhsa_exception_fp_ieee_inexact 0
		.amdhsa_exception_int_div_zero 0
	.end_amdhsa_kernel
	.section	.text._ZL34rocblas_gemvn_sm_mn_batched_kernelILi32ELi24EPKffKPfEviiT2_lPKT1_lilS7_lilS4_lPT3_lili,"axG",@progbits,_ZL34rocblas_gemvn_sm_mn_batched_kernelILi32ELi24EPKffKPfEviiT2_lPKT1_lilS7_lilS4_lPT3_lili,comdat
.Lfunc_end191:
	.size	_ZL34rocblas_gemvn_sm_mn_batched_kernelILi32ELi24EPKffKPfEviiT2_lPKT1_lilS7_lilS4_lPT3_lili, .Lfunc_end191-_ZL34rocblas_gemvn_sm_mn_batched_kernelILi32ELi24EPKffKPfEviiT2_lPKT1_lilS7_lilS4_lPT3_lili
                                        ; -- End function
	.set _ZL34rocblas_gemvn_sm_mn_batched_kernelILi32ELi24EPKffKPfEviiT2_lPKT1_lilS7_lilS4_lPT3_lili.num_vgpr, 0
	.set _ZL34rocblas_gemvn_sm_mn_batched_kernelILi32ELi24EPKffKPfEviiT2_lPKT1_lilS7_lilS4_lPT3_lili.num_agpr, 0
	.set _ZL34rocblas_gemvn_sm_mn_batched_kernelILi32ELi24EPKffKPfEviiT2_lPKT1_lilS7_lilS4_lPT3_lili.numbered_sgpr, 0
	.set _ZL34rocblas_gemvn_sm_mn_batched_kernelILi32ELi24EPKffKPfEviiT2_lPKT1_lilS7_lilS4_lPT3_lili.num_named_barrier, 0
	.set _ZL34rocblas_gemvn_sm_mn_batched_kernelILi32ELi24EPKffKPfEviiT2_lPKT1_lilS7_lilS4_lPT3_lili.private_seg_size, 0
	.set _ZL34rocblas_gemvn_sm_mn_batched_kernelILi32ELi24EPKffKPfEviiT2_lPKT1_lilS7_lilS4_lPT3_lili.uses_vcc, 0
	.set _ZL34rocblas_gemvn_sm_mn_batched_kernelILi32ELi24EPKffKPfEviiT2_lPKT1_lilS7_lilS4_lPT3_lili.uses_flat_scratch, 0
	.set _ZL34rocblas_gemvn_sm_mn_batched_kernelILi32ELi24EPKffKPfEviiT2_lPKT1_lilS7_lilS4_lPT3_lili.has_dyn_sized_stack, 0
	.set _ZL34rocblas_gemvn_sm_mn_batched_kernelILi32ELi24EPKffKPfEviiT2_lPKT1_lilS7_lilS4_lPT3_lili.has_recursion, 0
	.set _ZL34rocblas_gemvn_sm_mn_batched_kernelILi32ELi24EPKffKPfEviiT2_lPKT1_lilS7_lilS4_lPT3_lili.has_indirect_call, 0
	.section	.AMDGPU.csdata,"",@progbits
; Kernel info:
; codeLenInByte = 4
; TotalNumSgprs: 0
; NumVgprs: 0
; ScratchSize: 0
; MemoryBound: 0
; FloatMode: 240
; IeeeMode: 1
; LDSByteSize: 0 bytes/workgroup (compile time only)
; SGPRBlocks: 0
; VGPRBlocks: 0
; NumSGPRsForWavesPerEU: 1
; NumVGPRsForWavesPerEU: 1
; Occupancy: 16
; WaveLimiterHint : 0
; COMPUTE_PGM_RSRC2:SCRATCH_EN: 0
; COMPUTE_PGM_RSRC2:USER_SGPR: 6
; COMPUTE_PGM_RSRC2:TRAP_HANDLER: 0
; COMPUTE_PGM_RSRC2:TGID_X_EN: 1
; COMPUTE_PGM_RSRC2:TGID_Y_EN: 0
; COMPUTE_PGM_RSRC2:TGID_Z_EN: 0
; COMPUTE_PGM_RSRC2:TIDIG_COMP_CNT: 0
	.section	.text._ZL20rocblas_gemvn_kernelILi64ELi4EiPKfS1_KPfEviiT3_lPKT2_lT1_lS7_lS8_lS4_lPT4_lS8_li,"axG",@progbits,_ZL20rocblas_gemvn_kernelILi64ELi4EiPKfS1_KPfEviiT3_lPKT2_lT1_lS7_lS8_lS4_lPT4_lS8_li,comdat
	.globl	_ZL20rocblas_gemvn_kernelILi64ELi4EiPKfS1_KPfEviiT3_lPKT2_lT1_lS7_lS8_lS4_lPT4_lS8_li ; -- Begin function _ZL20rocblas_gemvn_kernelILi64ELi4EiPKfS1_KPfEviiT3_lPKT2_lT1_lS7_lS8_lS4_lPT4_lS8_li
	.p2align	8
	.type	_ZL20rocblas_gemvn_kernelILi64ELi4EiPKfS1_KPfEviiT3_lPKT2_lT1_lS7_lS8_lS4_lPT4_lS8_li,@function
_ZL20rocblas_gemvn_kernelILi64ELi4EiPKfS1_KPfEviiT3_lPKT2_lT1_lS7_lS8_lS4_lPT4_lS8_li: ; @_ZL20rocblas_gemvn_kernelILi64ELi4EiPKfS1_KPfEviiT3_lPKT2_lT1_lS7_lS8_lS4_lPT4_lS8_li
; %bb.0:
	s_load_dwordx2 s[2:3], s[4:5], 0x9c
	s_waitcnt lgkmcnt(0)
	s_lshr_b32 s1, s2, 16
	s_and_b32 s2, s2, 0xffff
	s_and_b32 s3, s3, 0xffff
	s_mul_i32 s1, s1, s2
	s_mul_i32 s1, s1, s3
	s_cmpk_lg_i32 s1, 0x100
	s_cbranch_scc1 .LBB192_54
; %bb.1:
	s_clause 0x1
	s_load_dwordx8 s[16:23], s[4:5], 0x8
	s_load_dwordx8 s[8:15], s[4:5], 0x58
	s_mov_b32 s0, s7
	s_waitcnt lgkmcnt(0)
	s_mul_i32 s1, s19, s7
	s_mul_hi_u32 s3, s18, s7
	s_mul_i32 s2, s18, s7
	s_add_i32 s3, s3, s1
	s_mul_i32 s1, s11, s7
	s_lshl_b64 s[2:3], s[2:3], 2
	s_mul_hi_u32 s7, s10, s7
	s_add_u32 s2, s16, s2
	s_addc_u32 s3, s17, s3
	s_add_i32 s11, s7, s1
	s_mul_i32 s10, s10, s0
	s_lshl_b64 s[10:11], s[10:11], 2
	s_add_u32 s8, s8, s10
	s_addc_u32 s9, s9, s11
	s_load_dword s18, s[2:3], 0x0
	s_load_dword s7, s[8:9], 0x0
	s_waitcnt lgkmcnt(0)
	v_cmp_eq_f32_e64 s2, s18, 0
	v_cmp_eq_f32_e64 s1, s7, 1.0
	s_and_b32 s1, s2, s1
	s_and_b32 vcc_lo, exec_lo, s1
	s_mov_b32 s1, 0
	s_cbranch_vccnz .LBB192_54
; %bb.2:
	v_cmp_neq_f32_e64 s3, s18, 0
	s_mov_b64 s[16:17], 0
	s_and_b32 vcc_lo, exec_lo, s2
	s_mov_b64 s[10:11], 0
	s_cbranch_vccnz .LBB192_4
; %bb.3:
	s_lshl_b64 s[8:9], s[0:1], 3
	s_add_u32 s8, s20, s8
	s_addc_u32 s9, s21, s9
	s_lshl_b64 s[10:11], s[22:23], 2
	s_load_dwordx2 s[8:9], s[8:9], 0x0
	s_waitcnt lgkmcnt(0)
	s_add_u32 s10, s8, s10
	s_addc_u32 s11, s9, s11
.LBB192_4:
	s_andn2_b32 vcc_lo, exec_lo, s3
	s_cbranch_vccnz .LBB192_6
; %bb.5:
	s_load_dwordx4 s[20:23], s[4:5], 0x38
	s_lshl_b64 s[8:9], s[0:1], 3
	s_waitcnt lgkmcnt(0)
	s_add_u32 s8, s20, s8
	s_addc_u32 s9, s21, s9
	s_lshl_b64 s[16:17], s[22:23], 2
	s_load_dwordx2 s[8:9], s[8:9], 0x0
	s_waitcnt lgkmcnt(0)
	s_add_u32 s16, s8, s16
	s_addc_u32 s17, s9, s17
.LBB192_6:
	s_lshl_b64 s[0:1], s[0:1], 3
	v_lshlrev_b32_e32 v14, 6, v1
	s_add_u32 s0, s12, s0
	s_addc_u32 s1, s13, s1
	s_lshl_b64 s[14:15], s[14:15], 2
	s_load_dwordx2 s[12:13], s[0:1], 0x0
	s_clause 0x1
	s_load_dwordx2 s[8:9], s[4:5], 0x0
	s_load_dword s19, s[4:5], 0x78
	v_add_nc_u32_e32 v13, v14, v0
	v_cmp_gt_u32_e64 s0, 0x100, v13
	s_waitcnt lgkmcnt(0)
	s_add_u32 s12, s12, s14
	s_addc_u32 s13, s13, s15
	s_andn2_b32 vcc_lo, exec_lo, s2
	s_cbranch_vccnz .LBB192_13
; %bb.7:
	s_mov_b32 s1, 0
	s_mov_b32 s14, 0
                                        ; implicit-def: $vgpr3
                                        ; implicit-def: $vgpr4_vgpr5
	s_and_saveexec_b32 s2, s0
	s_cbranch_execz .LBB192_14
; %bb.8:
	v_lshl_or_b32 v2, s6, 8, v13
	v_mov_b32_e32 v3, 0
	s_ashr_i32 s15, s8, 31
	s_mov_b32 s14, s8
	s_mov_b32 s3, 0
	s_mov_b32 s0, exec_lo
                                        ; implicit-def: $vgpr4_vgpr5
	v_cmpx_gt_i64_e64 s[14:15], v[2:3]
	s_cbranch_execz .LBB192_12
; %bb.9:
	v_mad_u64_u32 v[4:5], null, s19, v2, 0
	s_ashr_i32 s3, s19, 31
	v_mad_u64_u32 v[5:6], null, s3, v2, v[5:6]
	v_cmp_eq_f32_e64 s3, s7, 0
	s_and_b32 vcc_lo, exec_lo, s3
	s_cbranch_vccnz .LBB192_11
; %bb.10:
	v_lshlrev_b64 v[2:3], 2, v[4:5]
	v_add_co_u32 v2, vcc_lo, s12, v2
	v_add_co_ci_u32_e64 v3, null, s13, v3, vcc_lo
	flat_load_dword v2, v[2:3]
	s_waitcnt vmcnt(0) lgkmcnt(0)
	v_mul_f32_e32 v3, s7, v2
.LBB192_11:
	s_mov_b32 s3, exec_lo
.LBB192_12:
	s_or_b32 exec_lo, exec_lo, s0
	s_and_b32 s14, s3, exec_lo
	s_or_b32 exec_lo, exec_lo, s2
	s_and_b32 vcc_lo, exec_lo, s1
	s_cbranch_vccnz .LBB192_15
	s_branch .LBB192_52
.LBB192_13:
	s_mov_b32 s14, 0
                                        ; implicit-def: $vgpr3
                                        ; implicit-def: $vgpr4_vgpr5
	s_cbranch_execnz .LBB192_15
	s_branch .LBB192_52
.LBB192_14:
	s_or_b32 exec_lo, exec_lo, s2
	s_and_b32 vcc_lo, exec_lo, s1
	s_cbranch_vccz .LBB192_52
.LBB192_15:
	s_clause 0x1
	s_load_dword s15, s[4:5], 0x28
	s_load_dword s4, s[4:5], 0x48
	s_ashr_i32 s0, s9, 31
	s_lshl_b32 s5, s6, 8
	s_lshr_b32 s0, s0, 28
	v_lshlrev_b32_e32 v20, 2, v1
	v_or_b32_e32 v19, s5, v0
	v_mov_b32_e32 v15, 0
	v_mov_b32_e32 v16, 0
	;; [unrolled: 1-line block ×4, first 2 shown]
	s_add_i32 s0, s9, s0
	s_mov_b32 s20, exec_lo
	s_and_b32 s6, s0, -16
	v_cmpx_gt_i32_e64 s6, v20
	s_cbranch_execz .LBB192_27
; %bb.16:
	v_add_nc_u32_e32 v5, 0xc0, v19
	s_waitcnt lgkmcnt(0)
	v_mul_lo_u32 v3, s15, v20
	v_add_nc_u32_e32 v2, 64, v19
	v_add_nc_u32_e32 v6, 2, v20
	;; [unrolled: 1-line block ×3, first 2 shown]
	v_cmp_gt_i32_e64 s2, s8, v5
	v_mul_lo_u32 v5, v1, s15
	v_add_nc_u32_e32 v7, 3, v20
	v_mul_lo_u32 v8, v1, s4
	v_cmp_gt_i32_e64 s0, s8, v2
	v_add3_u32 v21, v3, s15, v0
	v_mad_u64_u32 v[2:3], null, s15, v6, v[0:1]
	v_cmp_gt_i32_e64 s1, s8, v4
	v_mad_u64_u32 v[3:4], null, s15, v7, v[0:1]
	v_lshl_add_u32 v22, v5, 2, v0
	v_mad_u64_u32 v[4:5], null, s4, v20, s[4:5]
	v_mul_lo_u32 v23, s4, v6
	v_mul_lo_u32 v24, s4, v7
	v_lshlrev_b32_e32 v25, 2, v8
	v_mov_b32_e32 v15, 0
	v_mov_b32_e32 v16, 0
	v_mov_b32_e32 v17, 0
	v_mov_b32_e32 v18, 0
	s_lshl_b32 s21, s15, 4
	s_lshl_b32 s23, s4, 4
	s_mov_b32 s22, 0
	s_mov_b32 s24, 0
	v_cmp_gt_i32_e32 vcc_lo, s8, v19
	s_branch .LBB192_21
.LBB192_17:                             ;   in Loop: Header=BB192_21 Depth=1
	s_or_b32 exec_lo, exec_lo, s27
	s_waitcnt vmcnt(3) lgkmcnt(3)
	v_fmac_f32_e32 v17, v29, v41
	s_waitcnt vmcnt(2) lgkmcnt(2)
	v_fmac_f32_e32 v17, v28, v40
	;; [unrolled: 2-line block ×4, first 2 shown]
.LBB192_18:                             ;   in Loop: Header=BB192_21 Depth=1
	s_or_b32 exec_lo, exec_lo, s26
	s_waitcnt vmcnt(3) lgkmcnt(3)
	v_fmac_f32_e32 v16, v29, v37
	s_waitcnt vmcnt(2) lgkmcnt(2)
	v_fmac_f32_e32 v16, v28, v36
	;; [unrolled: 2-line block ×4, first 2 shown]
.LBB192_19:                             ;   in Loop: Header=BB192_21 Depth=1
	s_or_b32 exec_lo, exec_lo, s3
	s_waitcnt vmcnt(3) lgkmcnt(3)
	v_fmac_f32_e32 v15, v29, v33
	s_waitcnt vmcnt(2) lgkmcnt(2)
	v_fmac_f32_e32 v15, v28, v31
	;; [unrolled: 2-line block ×4, first 2 shown]
.LBB192_20:                             ;   in Loop: Header=BB192_21 Depth=1
	s_or_b32 exec_lo, exec_lo, s25
	v_add_nc_u32_e32 v20, 16, v20
	v_add_nc_u32_e32 v21, s21, v21
	v_add_nc_u32_e32 v2, s21, v2
	v_add_nc_u32_e32 v3, s21, v3
	v_add_nc_u32_e32 v22, s21, v22
	v_cmp_le_i32_e64 s3, s6, v20
	s_add_i32 s24, s24, s23
	s_or_b32 s22, s3, s22
	s_andn2_b32 exec_lo, exec_lo, s22
	s_cbranch_execz .LBB192_26
.LBB192_21:                             ; =>This Inner Loop Header: Depth=1
	s_and_saveexec_b32 s25, vcc_lo
	s_cbranch_execz .LBB192_20
; %bb.22:                               ;   in Loop: Header=BB192_21 Depth=1
	v_add_nc_u32_e32 v5, s24, v25
	v_add_nc_u32_e32 v7, s24, v4
	;; [unrolled: 1-line block ×5, first 2 shown]
	v_ashrrev_i32_e32 v6, 31, v5
	v_ashrrev_i32_e32 v8, 31, v7
	;; [unrolled: 1-line block ×5, first 2 shown]
	v_lshlrev_b64 v[5:6], 2, v[5:6]
	v_lshlrev_b64 v[7:8], 2, v[7:8]
	;; [unrolled: 1-line block ×3, first 2 shown]
	v_add_co_u32 v28, s3, s16, v5
	v_add_co_ci_u32_e64 v29, null, s17, v6, s3
	v_add_co_u32 v30, s3, s16, v7
	v_add_nc_u32_e32 v7, s5, v21
	v_add_co_ci_u32_e64 v31, null, s17, v8, s3
	v_lshlrev_b64 v[5:6], 2, v[11:12]
	v_add_co_u32 v32, s3, s16, v9
	v_add_nc_u32_e32 v11, s5, v2
	v_add_co_ci_u32_e64 v33, null, s17, v10, s3
	v_lshlrev_b64 v[9:10], 2, v[26:27]
	v_add_nc_u32_e32 v26, s5, v3
	v_ashrrev_i32_e32 v8, 31, v7
	v_ashrrev_i32_e32 v12, 31, v11
	v_add_co_u32 v34, s3, s16, v5
	v_ashrrev_i32_e32 v27, 31, v26
	v_add_co_ci_u32_e64 v35, null, s17, v6, s3
	v_lshlrev_b64 v[7:8], 2, v[7:8]
	v_add_co_u32 v5, s3, s10, v9
	v_add_co_ci_u32_e64 v6, null, s11, v10, s3
	v_lshlrev_b64 v[9:10], 2, v[11:12]
	v_lshlrev_b64 v[26:27], 2, v[26:27]
	v_add_co_u32 v7, s3, s10, v7
	v_add_co_ci_u32_e64 v8, null, s11, v8, s3
	v_add_co_u32 v11, s3, s10, v9
	v_add_co_ci_u32_e64 v12, null, s11, v10, s3
	;; [unrolled: 2-line block ×3, first 2 shown]
	s_clause 0x3
	flat_load_dword v29, v[28:29]
	flat_load_dword v28, v[30:31]
	;; [unrolled: 1-line block ×4, first 2 shown]
	s_clause 0x3
	flat_load_dword v33, v[5:6]
	flat_load_dword v31, v[7:8]
	;; [unrolled: 1-line block ×4, first 2 shown]
	s_and_saveexec_b32 s3, s0
	s_cbranch_execz .LBB192_19
; %bb.23:                               ;   in Loop: Header=BB192_21 Depth=1
	s_clause 0x3
	flat_load_dword v37, v[5:6] offset:256
	flat_load_dword v36, v[7:8] offset:256
	flat_load_dword v35, v[11:12] offset:256
	flat_load_dword v34, v[9:10] offset:256
	s_and_saveexec_b32 s26, s1
	s_cbranch_execz .LBB192_18
; %bb.24:                               ;   in Loop: Header=BB192_21 Depth=1
	s_clause 0x3
	flat_load_dword v41, v[5:6] offset:512
	flat_load_dword v40, v[7:8] offset:512
	flat_load_dword v39, v[11:12] offset:512
	flat_load_dword v38, v[9:10] offset:512
	s_and_saveexec_b32 s27, s2
	s_cbranch_execz .LBB192_17
; %bb.25:                               ;   in Loop: Header=BB192_21 Depth=1
	s_clause 0x3
	flat_load_dword v5, v[5:6] offset:768
	flat_load_dword v6, v[7:8] offset:768
	flat_load_dword v7, v[11:12] offset:768
	flat_load_dword v8, v[9:10] offset:768
	s_waitcnt vmcnt(3) lgkmcnt(3)
	v_fmac_f32_e32 v18, v29, v5
	s_waitcnt vmcnt(2) lgkmcnt(2)
	v_fmac_f32_e32 v18, v28, v6
	;; [unrolled: 2-line block ×4, first 2 shown]
	s_branch .LBB192_17
.LBB192_26:
	s_or_b32 exec_lo, exec_lo, s22
.LBB192_27:
	s_or_b32 exec_lo, exec_lo, s20
	s_sub_i32 s0, s9, s6
	s_cmp_lt_i32 s0, 1
	s_cbranch_scc1 .LBB192_45
; %bb.28:
	v_cmp_gt_i32_e32 vcc_lo, s9, v20
	v_mov_b32_e32 v12, 0
	v_or_b32_e32 v2, 1, v20
	v_mov_b32_e32 v21, 0
	v_mov_b32_e32 v11, 0
	;; [unrolled: 1-line block ×3, first 2 shown]
	s_and_saveexec_b32 s1, vcc_lo
	s_cbranch_execz .LBB192_36
; %bb.29:
	s_waitcnt lgkmcnt(0)
	v_mul_lo_u32 v3, v20, s4
	v_mov_b32_e32 v11, 0
	v_mov_b32_e32 v21, 0
	;; [unrolled: 1-line block ×3, first 2 shown]
	s_mov_b32 s2, exec_lo
	v_ashrrev_i32_e32 v4, 31, v3
	v_lshlrev_b64 v[3:4], 2, v[3:4]
	v_add_co_u32 v3, s0, s16, v3
	v_add_co_ci_u32_e64 v4, null, s17, v4, s0
	flat_load_dword v10, v[3:4]
	v_cmpx_gt_i32_e64 s9, v2
	s_cbranch_execz .LBB192_35
; %bb.30:
	v_mul_lo_u32 v3, v2, s4
	v_mov_b32_e32 v21, 0
	v_mov_b32_e32 v12, 0
	s_mov_b32 s3, exec_lo
	v_ashrrev_i32_e32 v4, 31, v3
	v_lshlrev_b64 v[3:4], 2, v[3:4]
	v_add_co_u32 v3, s0, s16, v3
	v_add_co_ci_u32_e64 v4, null, s17, v4, s0
	flat_load_dword v11, v[3:4]
	v_or_b32_e32 v3, 2, v20
	v_cmpx_gt_i32_e64 s9, v3
	s_cbranch_execz .LBB192_34
; %bb.31:
	v_mul_lo_u32 v3, v3, s4
	v_mov_b32_e32 v12, 0
	s_mov_b32 s6, exec_lo
	v_ashrrev_i32_e32 v4, 31, v3
	v_lshlrev_b64 v[3:4], 2, v[3:4]
	v_add_co_u32 v3, s0, s16, v3
	v_add_co_ci_u32_e64 v4, null, s17, v4, s0
	flat_load_dword v21, v[3:4]
	v_or_b32_e32 v3, 3, v20
	v_cmpx_gt_i32_e64 s9, v3
	s_cbranch_execz .LBB192_33
; %bb.32:
	v_mul_lo_u32 v3, v3, s4
	v_ashrrev_i32_e32 v4, 31, v3
	v_lshlrev_b64 v[3:4], 2, v[3:4]
	v_add_co_u32 v3, s0, s16, v3
	v_add_co_ci_u32_e64 v4, null, s17, v4, s0
	flat_load_dword v12, v[3:4]
.LBB192_33:
	s_or_b32 exec_lo, exec_lo, s6
.LBB192_34:
	s_or_b32 exec_lo, exec_lo, s3
.LBB192_35:
	s_or_b32 exec_lo, exec_lo, s2
.LBB192_36:
	s_or_b32 exec_lo, exec_lo, s1
	s_mov_b32 s1, exec_lo
	v_cmpx_gt_i32_e64 s8, v19
	s_cbranch_execz .LBB192_44
; %bb.37:
	s_waitcnt lgkmcnt(0)
	v_mul_lo_u32 v3, v20, s15
	v_or_b32_e32 v4, 2, v20
	v_mul_lo_u32 v5, v2, s15
	v_or_b32_e32 v6, 3, v20
	s_mov_b32 s0, exec_lo
	v_mul_lo_u32 v7, v4, s15
	v_mul_lo_u32 v8, v6, s15
	v_cndmask_b32_e32 v3, 0, v3, vcc_lo
	v_cmp_gt_i32_e32 vcc_lo, s9, v2
	v_add_nc_u32_e32 v2, v3, v19
	v_cndmask_b32_e32 v5, 0, v5, vcc_lo
	v_cmp_gt_i32_e32 vcc_lo, s9, v4
	v_ashrrev_i32_e32 v3, 31, v2
	v_add_nc_u32_e32 v4, v5, v19
	v_cndmask_b32_e32 v7, 0, v7, vcc_lo
	v_cmp_gt_i32_e32 vcc_lo, s9, v6
	v_lshlrev_b64 v[2:3], 2, v[2:3]
	v_ashrrev_i32_e32 v5, 31, v4
	v_add_nc_u32_e32 v6, v7, v19
	v_cndmask_b32_e32 v8, 0, v8, vcc_lo
	v_lshlrev_b64 v[4:5], 2, v[4:5]
	v_ashrrev_i32_e32 v7, 31, v6
	v_add_nc_u32_e32 v8, v8, v19
	v_lshlrev_b64 v[22:23], 2, v[6:7]
	v_add_co_u32 v6, vcc_lo, s10, v2
	v_add_co_ci_u32_e64 v7, null, s11, v3, vcc_lo
	v_ashrrev_i32_e32 v9, 31, v8
	v_add_co_u32 v2, vcc_lo, s10, v4
	v_add_co_ci_u32_e64 v3, null, s11, v5, vcc_lo
	flat_load_dword v24, v[6:7]
	v_add_co_u32 v4, vcc_lo, s10, v22
	v_add_co_ci_u32_e64 v5, null, s11, v23, vcc_lo
	v_lshlrev_b64 v[8:9], 2, v[8:9]
	s_clause 0x1
	flat_load_dword v22, v[2:3]
	flat_load_dword v23, v[4:5]
	v_add_co_u32 v8, vcc_lo, s10, v8
	v_add_co_ci_u32_e64 v9, null, s11, v9, vcc_lo
	flat_load_dword v20, v[8:9]
	s_waitcnt vmcnt(3) lgkmcnt(3)
	v_fmac_f32_e32 v15, v10, v24
	s_waitcnt vmcnt(2) lgkmcnt(2)
	v_fmac_f32_e32 v15, v11, v22
	v_add_nc_u32_e32 v22, 64, v19
	s_waitcnt vmcnt(1) lgkmcnt(1)
	v_fmac_f32_e32 v15, v21, v23
	v_cmpx_gt_i32_e64 s8, v22
	s_cbranch_execz .LBB192_43
; %bb.38:
	s_clause 0x3
	flat_load_dword v23, v[6:7] offset:256
	flat_load_dword v24, v[2:3] offset:256
	;; [unrolled: 1-line block ×4, first 2 shown]
	s_mov_b32 s2, exec_lo
	s_waitcnt vmcnt(3) lgkmcnt(3)
	v_fmac_f32_e32 v16, v10, v23
	v_add_nc_u32_e32 v23, 0x80, v19
	s_waitcnt vmcnt(2) lgkmcnt(2)
	v_fmac_f32_e32 v16, v11, v24
	s_waitcnt vmcnt(1) lgkmcnt(1)
	v_fmac_f32_e32 v16, v21, v25
	v_cmpx_gt_i32_e64 s8, v23
	s_cbranch_execz .LBB192_42
; %bb.39:
	s_clause 0x3
	flat_load_dword v24, v[6:7] offset:512
	flat_load_dword v25, v[2:3] offset:512
	;; [unrolled: 1-line block ×4, first 2 shown]
	v_add_nc_u32_e32 v19, 0xc0, v19
	s_mov_b32 s3, exec_lo
	s_waitcnt vmcnt(3) lgkmcnt(3)
	v_fmac_f32_e32 v17, v10, v24
	s_waitcnt vmcnt(2) lgkmcnt(2)
	v_fmac_f32_e32 v17, v11, v25
	;; [unrolled: 2-line block ×3, first 2 shown]
	v_cmpx_gt_i32_e64 s8, v19
	s_cbranch_execz .LBB192_41
; %bb.40:
	s_clause 0x3
	flat_load_dword v6, v[6:7] offset:768
	flat_load_dword v2, v[2:3] offset:768
	;; [unrolled: 1-line block ×4, first 2 shown]
	s_waitcnt vmcnt(3) lgkmcnt(3)
	v_fmac_f32_e32 v18, v10, v6
	s_waitcnt vmcnt(2) lgkmcnt(2)
	v_fmac_f32_e32 v18, v11, v2
	;; [unrolled: 2-line block ×4, first 2 shown]
.LBB192_41:
	s_or_b32 exec_lo, exec_lo, s3
	s_waitcnt vmcnt(0) lgkmcnt(0)
	v_fmac_f32_e32 v17, v12, v23
.LBB192_42:
	s_or_b32 exec_lo, exec_lo, s2
	s_waitcnt vmcnt(0) lgkmcnt(0)
	v_fmac_f32_e32 v16, v12, v22
.LBB192_43:
	s_or_b32 exec_lo, exec_lo, s0
	s_waitcnt vmcnt(0) lgkmcnt(0)
	v_fmac_f32_e32 v15, v12, v20
.LBB192_44:
	s_or_b32 exec_lo, exec_lo, s1
.LBB192_45:
	v_lshlrev_b32_e32 v0, 2, v0
	s_mov_b32 s0, exec_lo
                                        ; implicit-def: $vgpr3
                                        ; implicit-def: $vgpr4_vgpr5
	v_lshl_or_b32 v1, v1, 10, v0
	ds_write2st64_b32 v1, v15, v16 offset1:1
	ds_write2st64_b32 v1, v17, v18 offset0:2 offset1:3
	s_waitcnt vmcnt(0) lgkmcnt(0)
	s_barrier
	buffer_gl0_inv
	v_cmpx_gt_u32_e32 0x100, v13
	s_cbranch_execz .LBB192_51
; %bb.46:
	v_lshl_add_u32 v4, v14, 2, v0
	s_mov_b32 s2, s14
	s_mov_b32 s1, exec_lo
	ds_read2st64_b32 v[0:1], v4 offset1:4
	ds_read2st64_b32 v[2:3], v4 offset0:8 offset1:12
	s_waitcnt lgkmcnt(1)
	v_add_f32_e32 v0, v0, v1
	v_or_b32_e32 v1, s5, v13
	s_waitcnt lgkmcnt(0)
	v_add_f32_e32 v0, v2, v0
	v_add_f32_e32 v0, v3, v0
                                        ; implicit-def: $vgpr3
	ds_write_b32 v4, v0
                                        ; implicit-def: $vgpr4_vgpr5
	v_cmpx_gt_i32_e64 s8, v1
	s_cbranch_execz .LBB192_50
; %bb.47:
	v_mul_lo_u32 v4, s19, v1
	v_cmp_eq_f32_e64 s2, s7, 0
	v_mul_f32_e32 v3, s18, v0
	s_and_b32 vcc_lo, exec_lo, s2
	v_ashrrev_i32_e32 v5, 31, v4
	s_cbranch_vccnz .LBB192_49
; %bb.48:
	v_lshlrev_b64 v[0:1], 2, v[4:5]
	v_add_co_u32 v0, vcc_lo, s12, v0
	v_add_co_ci_u32_e64 v1, null, s13, v1, vcc_lo
	flat_load_dword v0, v[0:1]
	s_waitcnt vmcnt(0) lgkmcnt(0)
	v_fmac_f32_e32 v3, s7, v0
.LBB192_49:
	s_or_b32 s2, s14, exec_lo
.LBB192_50:
	s_or_b32 exec_lo, exec_lo, s1
	s_andn2_b32 s1, s14, exec_lo
	s_and_b32 s2, s2, exec_lo
	s_or_b32 s14, s1, s2
.LBB192_51:
	s_or_b32 exec_lo, exec_lo, s0
.LBB192_52:
	s_and_saveexec_b32 s0, s14
	s_cbranch_execz .LBB192_54
; %bb.53:
	v_lshlrev_b64 v[0:1], 2, v[4:5]
	v_add_co_u32 v0, vcc_lo, s12, v0
	v_add_co_ci_u32_e64 v1, null, s13, v1, vcc_lo
	flat_store_dword v[0:1], v3
.LBB192_54:
	s_endpgm
	.section	.rodata,"a",@progbits
	.p2align	6, 0x0
	.amdhsa_kernel _ZL20rocblas_gemvn_kernelILi64ELi4EiPKfS1_KPfEviiT3_lPKT2_lT1_lS7_lS8_lS4_lPT4_lS8_li
		.amdhsa_group_segment_fixed_size 4096
		.amdhsa_private_segment_fixed_size 0
		.amdhsa_kernarg_size 400
		.amdhsa_user_sgpr_count 6
		.amdhsa_user_sgpr_private_segment_buffer 1
		.amdhsa_user_sgpr_dispatch_ptr 0
		.amdhsa_user_sgpr_queue_ptr 0
		.amdhsa_user_sgpr_kernarg_segment_ptr 1
		.amdhsa_user_sgpr_dispatch_id 0
		.amdhsa_user_sgpr_flat_scratch_init 0
		.amdhsa_user_sgpr_private_segment_size 0
		.amdhsa_wavefront_size32 1
		.amdhsa_uses_dynamic_stack 0
		.amdhsa_system_sgpr_private_segment_wavefront_offset 0
		.amdhsa_system_sgpr_workgroup_id_x 1
		.amdhsa_system_sgpr_workgroup_id_y 0
		.amdhsa_system_sgpr_workgroup_id_z 1
		.amdhsa_system_sgpr_workgroup_info 0
		.amdhsa_system_vgpr_workitem_id 1
		.amdhsa_next_free_vgpr 42
		.amdhsa_next_free_sgpr 28
		.amdhsa_reserve_vcc 1
		.amdhsa_reserve_flat_scratch 1
		.amdhsa_float_round_mode_32 0
		.amdhsa_float_round_mode_16_64 0
		.amdhsa_float_denorm_mode_32 3
		.amdhsa_float_denorm_mode_16_64 3
		.amdhsa_dx10_clamp 1
		.amdhsa_ieee_mode 1
		.amdhsa_fp16_overflow 0
		.amdhsa_workgroup_processor_mode 1
		.amdhsa_memory_ordered 1
		.amdhsa_forward_progress 1
		.amdhsa_shared_vgpr_count 0
		.amdhsa_exception_fp_ieee_invalid_op 0
		.amdhsa_exception_fp_denorm_src 0
		.amdhsa_exception_fp_ieee_div_zero 0
		.amdhsa_exception_fp_ieee_overflow 0
		.amdhsa_exception_fp_ieee_underflow 0
		.amdhsa_exception_fp_ieee_inexact 0
		.amdhsa_exception_int_div_zero 0
	.end_amdhsa_kernel
	.section	.text._ZL20rocblas_gemvn_kernelILi64ELi4EiPKfS1_KPfEviiT3_lPKT2_lT1_lS7_lS8_lS4_lPT4_lS8_li,"axG",@progbits,_ZL20rocblas_gemvn_kernelILi64ELi4EiPKfS1_KPfEviiT3_lPKT2_lT1_lS7_lS8_lS4_lPT4_lS8_li,comdat
.Lfunc_end192:
	.size	_ZL20rocblas_gemvn_kernelILi64ELi4EiPKfS1_KPfEviiT3_lPKT2_lT1_lS7_lS8_lS4_lPT4_lS8_li, .Lfunc_end192-_ZL20rocblas_gemvn_kernelILi64ELi4EiPKfS1_KPfEviiT3_lPKT2_lT1_lS7_lS8_lS4_lPT4_lS8_li
                                        ; -- End function
	.set _ZL20rocblas_gemvn_kernelILi64ELi4EiPKfS1_KPfEviiT3_lPKT2_lT1_lS7_lS8_lS4_lPT4_lS8_li.num_vgpr, 42
	.set _ZL20rocblas_gemvn_kernelILi64ELi4EiPKfS1_KPfEviiT3_lPKT2_lT1_lS7_lS8_lS4_lPT4_lS8_li.num_agpr, 0
	.set _ZL20rocblas_gemvn_kernelILi64ELi4EiPKfS1_KPfEviiT3_lPKT2_lT1_lS7_lS8_lS4_lPT4_lS8_li.numbered_sgpr, 28
	.set _ZL20rocblas_gemvn_kernelILi64ELi4EiPKfS1_KPfEviiT3_lPKT2_lT1_lS7_lS8_lS4_lPT4_lS8_li.num_named_barrier, 0
	.set _ZL20rocblas_gemvn_kernelILi64ELi4EiPKfS1_KPfEviiT3_lPKT2_lT1_lS7_lS8_lS4_lPT4_lS8_li.private_seg_size, 0
	.set _ZL20rocblas_gemvn_kernelILi64ELi4EiPKfS1_KPfEviiT3_lPKT2_lT1_lS7_lS8_lS4_lPT4_lS8_li.uses_vcc, 1
	.set _ZL20rocblas_gemvn_kernelILi64ELi4EiPKfS1_KPfEviiT3_lPKT2_lT1_lS7_lS8_lS4_lPT4_lS8_li.uses_flat_scratch, 1
	.set _ZL20rocblas_gemvn_kernelILi64ELi4EiPKfS1_KPfEviiT3_lPKT2_lT1_lS7_lS8_lS4_lPT4_lS8_li.has_dyn_sized_stack, 0
	.set _ZL20rocblas_gemvn_kernelILi64ELi4EiPKfS1_KPfEviiT3_lPKT2_lT1_lS7_lS8_lS4_lPT4_lS8_li.has_recursion, 0
	.set _ZL20rocblas_gemvn_kernelILi64ELi4EiPKfS1_KPfEviiT3_lPKT2_lT1_lS7_lS8_lS4_lPT4_lS8_li.has_indirect_call, 0
	.section	.AMDGPU.csdata,"",@progbits
; Kernel info:
; codeLenInByte = 2664
; TotalNumSgprs: 30
; NumVgprs: 42
; ScratchSize: 0
; MemoryBound: 0
; FloatMode: 240
; IeeeMode: 1
; LDSByteSize: 4096 bytes/workgroup (compile time only)
; SGPRBlocks: 0
; VGPRBlocks: 5
; NumSGPRsForWavesPerEU: 30
; NumVGPRsForWavesPerEU: 42
; Occupancy: 16
; WaveLimiterHint : 1
; COMPUTE_PGM_RSRC2:SCRATCH_EN: 0
; COMPUTE_PGM_RSRC2:USER_SGPR: 6
; COMPUTE_PGM_RSRC2:TRAP_HANDLER: 0
; COMPUTE_PGM_RSRC2:TGID_X_EN: 1
; COMPUTE_PGM_RSRC2:TGID_Y_EN: 0
; COMPUTE_PGM_RSRC2:TGID_Z_EN: 1
; COMPUTE_PGM_RSRC2:TIDIG_COMP_CNT: 1
	.section	.text._ZL20rocblas_gemvn_kernelILi64ELi4ElPKfS1_KPfEviiT3_lPKT2_lT1_lS7_lS8_lS4_lPT4_lS8_li,"axG",@progbits,_ZL20rocblas_gemvn_kernelILi64ELi4ElPKfS1_KPfEviiT3_lPKT2_lT1_lS7_lS8_lS4_lPT4_lS8_li,comdat
	.globl	_ZL20rocblas_gemvn_kernelILi64ELi4ElPKfS1_KPfEviiT3_lPKT2_lT1_lS7_lS8_lS4_lPT4_lS8_li ; -- Begin function _ZL20rocblas_gemvn_kernelILi64ELi4ElPKfS1_KPfEviiT3_lPKT2_lT1_lS7_lS8_lS4_lPT4_lS8_li
	.p2align	8
	.type	_ZL20rocblas_gemvn_kernelILi64ELi4ElPKfS1_KPfEviiT3_lPKT2_lT1_lS7_lS8_lS4_lPT4_lS8_li,@function
_ZL20rocblas_gemvn_kernelILi64ELi4ElPKfS1_KPfEviiT3_lPKT2_lT1_lS7_lS8_lS4_lPT4_lS8_li: ; @_ZL20rocblas_gemvn_kernelILi64ELi4ElPKfS1_KPfEviiT3_lPKT2_lT1_lS7_lS8_lS4_lPT4_lS8_li
; %bb.0:
	s_load_dwordx2 s[0:1], s[4:5], 0x9c
	s_waitcnt lgkmcnt(0)
	s_lshr_b32 s2, s0, 16
	s_and_b32 s0, s0, 0xffff
	s_and_b32 s1, s1, 0xffff
	s_mul_i32 s0, s2, s0
	s_mul_i32 s0, s0, s1
	s_cmpk_lg_i32 s0, 0x100
	s_cbranch_scc1 .LBB193_54
; %bb.1:
	s_clause 0x1
	s_load_dwordx8 s[16:23], s[4:5], 0x8
	s_load_dwordx8 s[8:15], s[4:5], 0x58
	s_mov_b32 s26, s7
	s_mov_b32 s27, 0
	s_waitcnt lgkmcnt(0)
	s_mul_i32 s1, s19, s7
	s_mul_hi_u32 s2, s18, s7
	s_mul_i32 s0, s18, s7
	s_add_i32 s1, s2, s1
	s_mul_i32 s2, s11, s7
	s_lshl_b64 s[0:1], s[0:1], 2
	s_mul_hi_u32 s3, s10, s7
	s_add_u32 s0, s16, s0
	s_addc_u32 s1, s17, s1
	s_add_i32 s3, s3, s2
	s_mul_i32 s2, s10, s7
	s_lshl_b64 s[2:3], s[2:3], 2
	s_add_u32 s2, s8, s2
	s_addc_u32 s3, s9, s3
	s_load_dword s29, s[0:1], 0x0
	s_load_dword s28, s[2:3], 0x0
	s_waitcnt lgkmcnt(0)
	v_cmp_eq_f32_e64 s7, s29, 0
	v_cmp_eq_f32_e64 s0, s28, 1.0
	s_and_b32 s0, s7, s0
	s_and_b32 vcc_lo, exec_lo, s0
	s_cbranch_vccnz .LBB193_54
; %bb.2:
	s_clause 0x1
	s_load_dwordx2 s[16:17], s[4:5], 0x28
	s_load_dwordx2 s[8:9], s[4:5], 0x78
	v_cmp_neq_f32_e64 s10, s29, 0
	s_mov_b64 s[24:25], 0
	s_and_b32 vcc_lo, exec_lo, s7
	s_mov_b64 s[18:19], 0
	s_cbranch_vccnz .LBB193_4
; %bb.3:
	s_lshl_b64 s[0:1], s[26:27], 3
	s_add_u32 s0, s20, s0
	s_addc_u32 s1, s21, s1
	s_lshl_b64 s[2:3], s[22:23], 2
	s_load_dwordx2 s[0:1], s[0:1], 0x0
	s_waitcnt lgkmcnt(0)
	s_add_u32 s18, s0, s2
	s_addc_u32 s19, s1, s3
.LBB193_4:
	s_clause 0x1
	s_load_dwordx4 s[0:3], s[4:5], 0x38
	s_load_dwordx2 s[20:21], s[4:5], 0x48
	s_andn2_b32 vcc_lo, exec_lo, s10
	s_cbranch_vccnz .LBB193_6
; %bb.5:
	s_lshl_b64 s[10:11], s[26:27], 3
	s_waitcnt lgkmcnt(0)
	s_add_u32 s0, s0, s10
	s_addc_u32 s1, s1, s11
	s_lshl_b64 s[2:3], s[2:3], 2
	s_load_dwordx2 s[0:1], s[0:1], 0x0
	s_waitcnt lgkmcnt(0)
	s_add_u32 s24, s0, s2
	s_addc_u32 s25, s1, s3
.LBB193_6:
	s_waitcnt lgkmcnt(0)
	s_lshl_b64 s[0:1], s[26:27], 3
	v_lshlrev_b32_e32 v22, 6, v1
	s_add_u32 s0, s12, s0
	s_addc_u32 s1, s13, s1
	s_lshl_b64 s[12:13], s[14:15], 2
	s_load_dwordx2 s[2:3], s[0:1], 0x0
	s_load_dwordx2 s[10:11], s[4:5], 0x0
	v_add_nc_u32_e32 v21, v22, v0
	v_cmp_gt_u32_e64 s0, 0x100, v21
	s_waitcnt lgkmcnt(0)
	s_add_u32 s5, s2, s12
	s_addc_u32 s22, s3, s13
	s_andn2_b32 vcc_lo, exec_lo, s7
	s_cbranch_vccnz .LBB193_13
; %bb.7:
	s_mov_b32 s1, 0
	s_mov_b32 s23, 0
                                        ; implicit-def: $vgpr3
                                        ; implicit-def: $vgpr4_vgpr5
	s_and_saveexec_b32 s2, s0
	s_cbranch_execz .LBB193_14
; %bb.8:
	v_lshl_or_b32 v2, s6, 8, v21
	v_mov_b32_e32 v3, 0
	s_ashr_i32 s13, s10, 31
	s_mov_b32 s12, s10
	s_mov_b32 s3, 0
	s_mov_b32 s0, exec_lo
                                        ; implicit-def: $vgpr4_vgpr5
	v_cmpx_gt_i64_e64 s[12:13], v[2:3]
	s_cbranch_execz .LBB193_12
; %bb.9:
	v_mad_u64_u32 v[4:5], null, s8, v2, 0
	v_cmp_eq_f32_e64 s3, s28, 0
	s_and_b32 vcc_lo, exec_lo, s3
	v_mad_u64_u32 v[5:6], null, s9, v2, v[5:6]
	s_cbranch_vccnz .LBB193_11
; %bb.10:
	v_lshlrev_b64 v[2:3], 2, v[4:5]
	v_add_co_u32 v2, vcc_lo, s5, v2
	v_add_co_ci_u32_e64 v3, null, s22, v3, vcc_lo
	flat_load_dword v2, v[2:3]
	s_waitcnt vmcnt(0) lgkmcnt(0)
	v_mul_f32_e32 v3, s28, v2
.LBB193_11:
	s_mov_b32 s3, exec_lo
.LBB193_12:
	s_or_b32 exec_lo, exec_lo, s0
	s_and_b32 s23, s3, exec_lo
	s_or_b32 exec_lo, exec_lo, s2
	s_and_b32 vcc_lo, exec_lo, s1
	s_cbranch_vccnz .LBB193_15
	s_branch .LBB193_52
.LBB193_13:
	s_mov_b32 s23, 0
                                        ; implicit-def: $vgpr3
                                        ; implicit-def: $vgpr4_vgpr5
	s_cbranch_execnz .LBB193_15
	s_branch .LBB193_52
.LBB193_14:
	s_or_b32 exec_lo, exec_lo, s2
	s_and_b32 vcc_lo, exec_lo, s1
	s_cbranch_vccz .LBB193_52
.LBB193_15:
	s_ashr_i32 s0, s11, 31
	s_lshl_b32 s26, s6, 8
	s_lshr_b32 s0, s0, 28
	v_lshlrev_b32_e32 v27, 2, v1
	v_mov_b32_e32 v23, 0
	v_or_b32_e32 v2, s26, v0
	v_mov_b32_e32 v24, 0
	v_mov_b32_e32 v25, 0
	;; [unrolled: 1-line block ×3, first 2 shown]
	s_add_i32 s0, s11, s0
	s_mov_b32 s30, exec_lo
	s_and_b32 s27, s0, -16
	v_cmpx_gt_i32_e64 s27, v27
	s_cbranch_execz .LBB193_27
; %bb.16:
	v_lshlrev_b32_e32 v25, 2, v1
	v_add_nc_u32_e32 v4, 64, v2
	v_mad_u64_u32 v[7:8], null, s20, v1, 0
	v_mad_u64_u32 v[9:10], null, s16, v1, 0
	v_or_b32_e32 v26, 3, v25
	v_add_nc_u32_e32 v11, 0x80, v2
	v_add_nc_u32_e32 v12, 0xc0, v2
	v_cmp_gt_i32_e64 s0, s10, v4
	v_or_b32_e32 v32, 2, v25
	v_mad_u64_u32 v[5:6], null, s16, v26, 0
	v_cmp_gt_i32_e64 s1, s10, v11
	v_cmp_gt_i32_e64 s2, s10, v12
	v_mad_u64_u32 v[16:17], null, s16, v32, 0
	v_mad_u64_u32 v[18:19], null, s20, v26, 0
	v_mov_b32_e32 v4, v6
	v_mov_b32_e32 v6, v8
	;; [unrolled: 1-line block ×3, first 2 shown]
	v_ashrrev_i32_e32 v3, 31, v2
	s_lshl_b64 s[6:7], s[16:17], 6
	v_mad_u64_u32 v[11:12], null, s17, v26, v[4:5]
	v_mad_u64_u32 v[12:13], null, s21, v1, v[6:7]
	;; [unrolled: 1-line block ×4, first 2 shown]
	v_mov_b32_e32 v6, v11
	v_lshlrev_b64 v[3:4], 2, v[2:3]
	v_mov_b32_e32 v8, v12
	s_lshl_b64 s[12:13], s[20:21], 6
	v_mov_b32_e32 v10, v13
	v_lshlrev_b64 v[11:12], 2, v[5:6]
	s_mov_b32 s31, 0
	v_lshlrev_b64 v[5:6], 4, v[7:8]
	v_mov_b32_e32 v7, v17
	v_mov_b32_e32 v8, v15
	v_lshlrev_b64 v[9:10], 4, v[9:10]
	v_add_co_u32 v28, s3, s18, v11
	v_add_co_ci_u32_e64 v29, null, s19, v12, s3
	v_mad_u64_u32 v[11:12], null, s16, v25, s[16:17]
	v_mad_u64_u32 v[23:24], null, s17, v32, v[7:8]
	v_mov_b32_e32 v7, v19
	v_mad_u64_u32 v[19:20], null, s21, v25, v[8:9]
	v_add_co_u32 v30, s3, s18, v9
	v_mad_u64_u32 v[7:8], null, s21, v26, v[7:8]
	v_mov_b32_e32 v8, v12
	v_mov_b32_e32 v17, v23
	v_mad_u64_u32 v[23:24], null, s20, v32, 0
	v_mov_b32_e32 v15, v19
	v_mad_u64_u32 v[12:13], null, s17, v25, v[8:9]
	v_lshlrev_b64 v[16:17], 2, v[16:17]
	v_mov_b32_e32 v19, v7
	v_add_co_ci_u32_e64 v31, null, s19, v10, s3
	v_mov_b32_e32 v8, v24
	v_mov_b32_e32 v26, 0
	v_lshlrev_b64 v[11:12], 2, v[11:12]
	s_mov_b64 s[14:15], s[24:25]
	v_cmp_gt_i32_e32 vcc_lo, s10, v2
	v_mad_u64_u32 v[24:25], null, s21, v32, v[8:9]
	v_add_co_u32 v32, s3, s18, v16
	v_add_co_ci_u32_e64 v33, null, s19, v17, s3
	v_add_co_u32 v34, s3, s18, v11
	v_lshlrev_b64 v[7:8], 2, v[14:15]
	v_lshlrev_b64 v[9:10], 2, v[18:19]
	v_add_co_ci_u32_e64 v35, null, s19, v12, s3
	v_lshlrev_b64 v[11:12], 2, v[23:24]
	v_mov_b32_e32 v23, 0
	v_mov_b32_e32 v24, 0
	;; [unrolled: 1-line block ×3, first 2 shown]
	s_branch .LBB193_21
.LBB193_17:                             ;   in Loop: Header=BB193_21 Depth=1
	s_or_b32 exec_lo, exec_lo, s34
	s_waitcnt vmcnt(3) lgkmcnt(3)
	v_fmac_f32_e32 v25, v39, v51
	s_waitcnt vmcnt(2) lgkmcnt(2)
	v_fmac_f32_e32 v25, v38, v50
	;; [unrolled: 2-line block ×4, first 2 shown]
.LBB193_18:                             ;   in Loop: Header=BB193_21 Depth=1
	s_or_b32 exec_lo, exec_lo, s33
	s_waitcnt vmcnt(3) lgkmcnt(3)
	v_fmac_f32_e32 v24, v39, v47
	s_waitcnt vmcnt(2) lgkmcnt(2)
	v_fmac_f32_e32 v24, v38, v46
	;; [unrolled: 2-line block ×4, first 2 shown]
.LBB193_19:                             ;   in Loop: Header=BB193_21 Depth=1
	s_or_b32 exec_lo, exec_lo, s3
	s_waitcnt vmcnt(3) lgkmcnt(3)
	v_fmac_f32_e32 v23, v39, v43
	s_waitcnt vmcnt(2) lgkmcnt(2)
	v_fmac_f32_e32 v23, v38, v41
	;; [unrolled: 2-line block ×4, first 2 shown]
.LBB193_20:                             ;   in Loop: Header=BB193_21 Depth=1
	s_or_b32 exec_lo, exec_lo, s4
	v_add_co_u32 v28, s3, v28, s6
	v_add_nc_u32_e32 v27, 16, v27
	v_add_co_ci_u32_e64 v29, null, s7, v29, s3
	v_add_co_u32 v30, s3, v30, s6
	v_add_co_ci_u32_e64 v31, null, s7, v31, s3
	v_add_co_u32 v32, s3, v32, s6
	v_add_co_ci_u32_e64 v33, null, s7, v33, s3
	v_cmp_le_i32_e64 s3, s27, v27
	v_add_co_u32 v34, s4, v34, s6
	v_add_co_ci_u32_e64 v35, null, s7, v35, s4
	s_add_u32 s14, s14, s12
	s_addc_u32 s15, s15, s13
	s_or_b32 s31, s3, s31
	s_andn2_b32 exec_lo, exec_lo, s31
	s_cbranch_execz .LBB193_26
.LBB193_21:                             ; =>This Inner Loop Header: Depth=1
	s_and_saveexec_b32 s4, vcc_lo
	s_cbranch_execz .LBB193_20
; %bb.22:                               ;   in Loop: Header=BB193_21 Depth=1
	v_add_co_u32 v36, s3, s14, v5
	v_add_co_ci_u32_e64 v37, null, s15, v6, s3
	v_add_co_u32 v40, s3, s14, v7
	v_add_co_ci_u32_e64 v41, null, s15, v8, s3
	;; [unrolled: 2-line block ×8, first 2 shown]
	s_clause 0x3
	flat_load_dword v39, v[36:37]
	flat_load_dword v38, v[40:41]
	;; [unrolled: 1-line block ×8, first 2 shown]
	s_and_saveexec_b32 s3, s0
	s_cbranch_execz .LBB193_19
; %bb.23:                               ;   in Loop: Header=BB193_21 Depth=1
	flat_load_dword v47, v[13:14] offset:256
	flat_load_dword v46, v[15:16] offset:256
	flat_load_dword v45, v[17:18] offset:256
	flat_load_dword v44, v[19:20] offset:256
	s_and_saveexec_b32 s33, s1
	s_cbranch_execz .LBB193_18
; %bb.24:                               ;   in Loop: Header=BB193_21 Depth=1
	flat_load_dword v51, v[13:14] offset:512
	flat_load_dword v50, v[15:16] offset:512
	flat_load_dword v49, v[17:18] offset:512
	flat_load_dword v48, v[19:20] offset:512
	s_and_saveexec_b32 s34, s2
	s_cbranch_execz .LBB193_17
; %bb.25:                               ;   in Loop: Header=BB193_21 Depth=1
	flat_load_dword v13, v[13:14] offset:768
	flat_load_dword v14, v[15:16] offset:768
	flat_load_dword v15, v[17:18] offset:768
	flat_load_dword v16, v[19:20] offset:768
	s_waitcnt vmcnt(3) lgkmcnt(3)
	v_fmac_f32_e32 v26, v39, v13
	s_waitcnt vmcnt(2) lgkmcnt(2)
	v_fmac_f32_e32 v26, v38, v14
	;; [unrolled: 2-line block ×4, first 2 shown]
	s_branch .LBB193_17
.LBB193_26:
	s_or_b32 exec_lo, exec_lo, s31
.LBB193_27:
	s_or_b32 exec_lo, exec_lo, s30
	s_sub_i32 s0, s11, s27
	s_cmp_lt_i32 s0, 1
	s_cbranch_scc1 .LBB193_45
; %bb.28:
	v_cmp_gt_i32_e32 vcc_lo, s11, v27
	v_mov_b32_e32 v13, 0
	v_or_b32_e32 v4, 1, v27
	v_mov_b32_e32 v14, 0
	v_mov_b32_e32 v12, 0
	;; [unrolled: 1-line block ×3, first 2 shown]
	s_and_saveexec_b32 s1, vcc_lo
	s_cbranch_execz .LBB193_36
; %bb.29:
	v_mad_u64_u32 v[5:6], null, s20, v27, 0
	v_mov_b32_e32 v12, 0
	v_mov_b32_e32 v14, 0
	;; [unrolled: 1-line block ×3, first 2 shown]
	s_mov_b32 s2, exec_lo
	v_mov_b32_e32 v3, v6
	v_mad_u64_u32 v[6:7], null, s21, v27, v[3:4]
	v_lshlrev_b64 v[5:6], 2, v[5:6]
	v_add_co_u32 v5, s0, s24, v5
	v_add_co_ci_u32_e64 v6, null, s25, v6, s0
	flat_load_dword v11, v[5:6]
	v_cmpx_gt_i32_e64 s11, v4
	s_cbranch_execz .LBB193_35
; %bb.30:
	v_mad_u64_u32 v[5:6], null, s20, v4, 0
	v_mov_b32_e32 v14, 0
	v_mov_b32_e32 v13, 0
	s_mov_b32 s3, exec_lo
	v_mov_b32_e32 v3, v6
	v_mad_u64_u32 v[6:7], null, s21, v4, v[3:4]
	v_or_b32_e32 v3, 2, v27
	v_lshlrev_b64 v[5:6], 2, v[5:6]
	v_add_co_u32 v5, s0, s24, v5
	v_add_co_ci_u32_e64 v6, null, s25, v6, s0
	flat_load_dword v12, v[5:6]
	v_cmpx_gt_i32_e64 s11, v3
	s_cbranch_execz .LBB193_34
; %bb.31:
	v_mad_u64_u32 v[5:6], null, s20, v3, 0
	v_mov_b32_e32 v13, 0
	s_mov_b32 s4, exec_lo
	v_mad_u64_u32 v[6:7], null, s21, v3, v[6:7]
	v_or_b32_e32 v3, 3, v27
	v_lshlrev_b64 v[5:6], 2, v[5:6]
	v_add_co_u32 v5, s0, s24, v5
	v_add_co_ci_u32_e64 v6, null, s25, v6, s0
	flat_load_dword v14, v[5:6]
	v_cmpx_gt_i32_e64 s11, v3
	s_cbranch_execz .LBB193_33
; %bb.32:
	v_mad_u64_u32 v[5:6], null, s20, v3, 0
	v_mad_u64_u32 v[6:7], null, s21, v3, v[6:7]
	v_lshlrev_b64 v[5:6], 2, v[5:6]
	v_add_co_u32 v5, s0, s24, v5
	v_add_co_ci_u32_e64 v6, null, s25, v6, s0
	flat_load_dword v13, v[5:6]
.LBB193_33:
	s_or_b32 exec_lo, exec_lo, s4
.LBB193_34:
	s_or_b32 exec_lo, exec_lo, s3
.LBB193_35:
	s_or_b32 exec_lo, exec_lo, s2
.LBB193_36:
	s_or_b32 exec_lo, exec_lo, s1
	s_mov_b32 s1, exec_lo
	v_cmpx_gt_i32_e64 s10, v2
	s_cbranch_execz .LBB193_44
; %bb.37:
	v_mad_u64_u32 v[5:6], null, s16, v27, 0
	v_mad_u64_u32 v[7:8], null, s16, v4, 0
	v_ashrrev_i32_e32 v3, 31, v2
	v_or_b32_e32 v20, 2, v27
	v_or_b32_e32 v29, 3, v27
	v_cndmask_b32_e32 v5, 0, v5, vcc_lo
	v_lshlrev_b64 v[9:10], 2, v[2:3]
	v_mad_u64_u32 v[15:16], null, s17, v27, v[6:7]
	v_mov_b32_e32 v3, v8
	v_mad_u64_u32 v[16:17], null, s16, v20, 0
	v_mad_u64_u32 v[18:19], null, s16, v29, 0
	;; [unrolled: 1-line block ×3, first 2 shown]
	v_cndmask_b32_e32 v6, 0, v15, vcc_lo
	v_cmp_gt_i32_e32 vcc_lo, s11, v4
	v_mov_b32_e32 v3, v17
	v_cmp_gt_i32_e64 s0, s11, v20
	v_mov_b32_e32 v8, v19
	v_cndmask_b32_e32 v4, 0, v7, vcc_lo
	v_lshlrev_b64 v[6:7], 2, v[5:6]
	v_cndmask_b32_e32 v5, 0, v27, vcc_lo
	v_cndmask_b32_e64 v15, 0, v16, s0
	v_mad_u64_u32 v[19:20], null, s17, v20, v[3:4]
	v_add_co_u32 v3, vcc_lo, s18, v6
	v_lshlrev_b64 v[5:6], 2, v[4:5]
	v_add_co_ci_u32_e64 v7, null, s19, v7, vcc_lo
	v_add_co_u32 v3, vcc_lo, v3, v9
	v_cndmask_b32_e64 v16, 0, v19, s0
	v_add_co_ci_u32_e64 v4, null, v7, v10, vcc_lo
	v_add_co_u32 v5, vcc_lo, s18, v5
	v_add_co_ci_u32_e64 v6, null, s19, v6, vcc_lo
	v_mad_u64_u32 v[7:8], null, s17, v29, v[8:9]
	v_add_co_u32 v5, vcc_lo, v5, v9
	v_add_co_ci_u32_e64 v6, null, v6, v10, vcc_lo
	v_cmp_gt_i32_e32 vcc_lo, s11, v29
	v_lshlrev_b64 v[15:16], 2, v[15:16]
	s_clause 0x1
	flat_load_dword v19, v[3:4]
	flat_load_dword v20, v[5:6]
	s_mov_b32 s0, exec_lo
	v_cndmask_b32_e32 v17, 0, v18, vcc_lo
	v_cndmask_b32_e32 v18, 0, v7, vcc_lo
	v_add_co_u32 v7, vcc_lo, s18, v15
	v_add_co_ci_u32_e64 v8, null, s19, v16, vcc_lo
	v_lshlrev_b64 v[15:16], 2, v[17:18]
	v_add_co_u32 v7, vcc_lo, v7, v9
	v_add_co_ci_u32_e64 v8, null, v8, v10, vcc_lo
	v_add_co_u32 v15, vcc_lo, s18, v15
	v_add_co_ci_u32_e64 v16, null, s19, v16, vcc_lo
	flat_load_dword v17, v[7:8]
	v_add_co_u32 v9, vcc_lo, v15, v9
	v_add_co_ci_u32_e64 v10, null, v16, v10, vcc_lo
	v_add_nc_u32_e32 v16, 64, v2
	flat_load_dword v15, v[9:10]
	s_waitcnt vmcnt(3) lgkmcnt(3)
	v_fmac_f32_e32 v23, v11, v19
	s_waitcnt vmcnt(2) lgkmcnt(2)
	v_fmac_f32_e32 v23, v12, v20
	;; [unrolled: 2-line block ×3, first 2 shown]
	v_cmpx_gt_i32_e64 s10, v16
	s_cbranch_execz .LBB193_43
; %bb.38:
	s_clause 0x3
	flat_load_dword v17, v[3:4] offset:256
	flat_load_dword v18, v[5:6] offset:256
	;; [unrolled: 1-line block ×4, first 2 shown]
	s_mov_b32 s2, exec_lo
	s_waitcnt vmcnt(3) lgkmcnt(3)
	v_fmac_f32_e32 v24, v11, v17
	v_add_nc_u32_e32 v17, 0x80, v2
	s_waitcnt vmcnt(2) lgkmcnt(2)
	v_fmac_f32_e32 v24, v12, v18
	s_waitcnt vmcnt(1) lgkmcnt(1)
	v_fmac_f32_e32 v24, v14, v19
	v_cmpx_gt_i32_e64 s10, v17
	s_cbranch_execz .LBB193_42
; %bb.39:
	s_clause 0x3
	flat_load_dword v18, v[3:4] offset:512
	flat_load_dword v19, v[5:6] offset:512
	flat_load_dword v20, v[7:8] offset:512
	flat_load_dword v17, v[9:10] offset:512
	v_add_nc_u32_e32 v2, 0xc0, v2
	s_mov_b32 s3, exec_lo
	s_waitcnt vmcnt(3) lgkmcnt(3)
	v_fmac_f32_e32 v25, v11, v18
	s_waitcnt vmcnt(2) lgkmcnt(2)
	v_fmac_f32_e32 v25, v12, v19
	;; [unrolled: 2-line block ×3, first 2 shown]
	v_cmpx_gt_i32_e64 s10, v2
	s_cbranch_execz .LBB193_41
; %bb.40:
	s_clause 0x3
	flat_load_dword v2, v[3:4] offset:768
	flat_load_dword v3, v[5:6] offset:768
	;; [unrolled: 1-line block ×4, first 2 shown]
	s_waitcnt vmcnt(3) lgkmcnt(3)
	v_fmac_f32_e32 v26, v11, v2
	s_waitcnt vmcnt(2) lgkmcnt(2)
	v_fmac_f32_e32 v26, v12, v3
	;; [unrolled: 2-line block ×4, first 2 shown]
.LBB193_41:
	s_or_b32 exec_lo, exec_lo, s3
	s_waitcnt vmcnt(0) lgkmcnt(0)
	v_fmac_f32_e32 v25, v13, v17
.LBB193_42:
	s_or_b32 exec_lo, exec_lo, s2
	s_waitcnt vmcnt(0) lgkmcnt(0)
	v_fmac_f32_e32 v24, v13, v16
.LBB193_43:
	s_or_b32 exec_lo, exec_lo, s0
	s_waitcnt vmcnt(0) lgkmcnt(0)
	v_fmac_f32_e32 v23, v13, v15
.LBB193_44:
	s_or_b32 exec_lo, exec_lo, s1
.LBB193_45:
	v_lshlrev_b32_e32 v0, 2, v0
	s_mov_b32 s0, exec_lo
                                        ; implicit-def: $vgpr3
                                        ; implicit-def: $vgpr4_vgpr5
	v_lshl_or_b32 v1, v1, 10, v0
	ds_write2st64_b32 v1, v23, v24 offset1:1
	ds_write2st64_b32 v1, v25, v26 offset0:2 offset1:3
	s_waitcnt vmcnt(0) lgkmcnt(0)
	s_barrier
	buffer_gl0_inv
	v_cmpx_gt_u32_e32 0x100, v21
	s_cbranch_execz .LBB193_51
; %bb.46:
	v_lshl_add_u32 v4, v22, 2, v0
	s_mov_b32 s2, s23
	s_mov_b32 s1, exec_lo
	ds_read2st64_b32 v[0:1], v4 offset1:4
	ds_read2st64_b32 v[2:3], v4 offset0:8 offset1:12
	s_waitcnt lgkmcnt(1)
	v_add_f32_e32 v0, v0, v1
	v_or_b32_e32 v1, s26, v21
	s_waitcnt lgkmcnt(0)
	v_add_f32_e32 v0, v2, v0
	v_add_f32_e32 v0, v3, v0
                                        ; implicit-def: $vgpr3
	ds_write_b32 v4, v0
                                        ; implicit-def: $vgpr4_vgpr5
	v_cmpx_gt_i32_e64 s10, v1
	s_cbranch_execz .LBB193_50
; %bb.47:
	v_ashrrev_i32_e32 v2, 31, v1
	v_mul_lo_u32 v6, s9, v1
	v_mad_u64_u32 v[4:5], null, s8, v1, 0
	v_cmp_eq_f32_e64 s2, s28, 0
	v_mul_lo_u32 v1, s8, v2
	v_mul_f32_e32 v3, s29, v0
	s_and_b32 vcc_lo, exec_lo, s2
	v_add3_u32 v5, v5, v1, v6
	s_cbranch_vccnz .LBB193_49
; %bb.48:
	v_lshlrev_b64 v[0:1], 2, v[4:5]
	v_add_co_u32 v0, vcc_lo, s5, v0
	v_add_co_ci_u32_e64 v1, null, s22, v1, vcc_lo
	flat_load_dword v0, v[0:1]
	s_waitcnt vmcnt(0) lgkmcnt(0)
	v_fmac_f32_e32 v3, s28, v0
.LBB193_49:
	s_or_b32 s2, s23, exec_lo
.LBB193_50:
	s_or_b32 exec_lo, exec_lo, s1
	s_andn2_b32 s1, s23, exec_lo
	s_and_b32 s2, s2, exec_lo
	s_or_b32 s23, s1, s2
.LBB193_51:
	s_or_b32 exec_lo, exec_lo, s0
.LBB193_52:
	s_and_saveexec_b32 s0, s23
	s_cbranch_execz .LBB193_54
; %bb.53:
	v_lshlrev_b64 v[0:1], 2, v[4:5]
	v_add_co_u32 v0, vcc_lo, s5, v0
	v_add_co_ci_u32_e64 v1, null, s22, v1, vcc_lo
	flat_store_dword v[0:1], v3
.LBB193_54:
	s_endpgm
	.section	.rodata,"a",@progbits
	.p2align	6, 0x0
	.amdhsa_kernel _ZL20rocblas_gemvn_kernelILi64ELi4ElPKfS1_KPfEviiT3_lPKT2_lT1_lS7_lS8_lS4_lPT4_lS8_li
		.amdhsa_group_segment_fixed_size 4096
		.amdhsa_private_segment_fixed_size 0
		.amdhsa_kernarg_size 400
		.amdhsa_user_sgpr_count 6
		.amdhsa_user_sgpr_private_segment_buffer 1
		.amdhsa_user_sgpr_dispatch_ptr 0
		.amdhsa_user_sgpr_queue_ptr 0
		.amdhsa_user_sgpr_kernarg_segment_ptr 1
		.amdhsa_user_sgpr_dispatch_id 0
		.amdhsa_user_sgpr_flat_scratch_init 0
		.amdhsa_user_sgpr_private_segment_size 0
		.amdhsa_wavefront_size32 1
		.amdhsa_uses_dynamic_stack 0
		.amdhsa_system_sgpr_private_segment_wavefront_offset 0
		.amdhsa_system_sgpr_workgroup_id_x 1
		.amdhsa_system_sgpr_workgroup_id_y 0
		.amdhsa_system_sgpr_workgroup_id_z 1
		.amdhsa_system_sgpr_workgroup_info 0
		.amdhsa_system_vgpr_workitem_id 1
		.amdhsa_next_free_vgpr 52
		.amdhsa_next_free_sgpr 35
		.amdhsa_reserve_vcc 1
		.amdhsa_reserve_flat_scratch 1
		.amdhsa_float_round_mode_32 0
		.amdhsa_float_round_mode_16_64 0
		.amdhsa_float_denorm_mode_32 3
		.amdhsa_float_denorm_mode_16_64 3
		.amdhsa_dx10_clamp 1
		.amdhsa_ieee_mode 1
		.amdhsa_fp16_overflow 0
		.amdhsa_workgroup_processor_mode 1
		.amdhsa_memory_ordered 1
		.amdhsa_forward_progress 1
		.amdhsa_shared_vgpr_count 0
		.amdhsa_exception_fp_ieee_invalid_op 0
		.amdhsa_exception_fp_denorm_src 0
		.amdhsa_exception_fp_ieee_div_zero 0
		.amdhsa_exception_fp_ieee_overflow 0
		.amdhsa_exception_fp_ieee_underflow 0
		.amdhsa_exception_fp_ieee_inexact 0
		.amdhsa_exception_int_div_zero 0
	.end_amdhsa_kernel
	.section	.text._ZL20rocblas_gemvn_kernelILi64ELi4ElPKfS1_KPfEviiT3_lPKT2_lT1_lS7_lS8_lS4_lPT4_lS8_li,"axG",@progbits,_ZL20rocblas_gemvn_kernelILi64ELi4ElPKfS1_KPfEviiT3_lPKT2_lT1_lS7_lS8_lS4_lPT4_lS8_li,comdat
.Lfunc_end193:
	.size	_ZL20rocblas_gemvn_kernelILi64ELi4ElPKfS1_KPfEviiT3_lPKT2_lT1_lS7_lS8_lS4_lPT4_lS8_li, .Lfunc_end193-_ZL20rocblas_gemvn_kernelILi64ELi4ElPKfS1_KPfEviiT3_lPKT2_lT1_lS7_lS8_lS4_lPT4_lS8_li
                                        ; -- End function
	.set _ZL20rocblas_gemvn_kernelILi64ELi4ElPKfS1_KPfEviiT3_lPKT2_lT1_lS7_lS8_lS4_lPT4_lS8_li.num_vgpr, 52
	.set _ZL20rocblas_gemvn_kernelILi64ELi4ElPKfS1_KPfEviiT3_lPKT2_lT1_lS7_lS8_lS4_lPT4_lS8_li.num_agpr, 0
	.set _ZL20rocblas_gemvn_kernelILi64ELi4ElPKfS1_KPfEviiT3_lPKT2_lT1_lS7_lS8_lS4_lPT4_lS8_li.numbered_sgpr, 35
	.set _ZL20rocblas_gemvn_kernelILi64ELi4ElPKfS1_KPfEviiT3_lPKT2_lT1_lS7_lS8_lS4_lPT4_lS8_li.num_named_barrier, 0
	.set _ZL20rocblas_gemvn_kernelILi64ELi4ElPKfS1_KPfEviiT3_lPKT2_lT1_lS7_lS8_lS4_lPT4_lS8_li.private_seg_size, 0
	.set _ZL20rocblas_gemvn_kernelILi64ELi4ElPKfS1_KPfEviiT3_lPKT2_lT1_lS7_lS8_lS4_lPT4_lS8_li.uses_vcc, 1
	.set _ZL20rocblas_gemvn_kernelILi64ELi4ElPKfS1_KPfEviiT3_lPKT2_lT1_lS7_lS8_lS4_lPT4_lS8_li.uses_flat_scratch, 1
	.set _ZL20rocblas_gemvn_kernelILi64ELi4ElPKfS1_KPfEviiT3_lPKT2_lT1_lS7_lS8_lS4_lPT4_lS8_li.has_dyn_sized_stack, 0
	.set _ZL20rocblas_gemvn_kernelILi64ELi4ElPKfS1_KPfEviiT3_lPKT2_lT1_lS7_lS8_lS4_lPT4_lS8_li.has_recursion, 0
	.set _ZL20rocblas_gemvn_kernelILi64ELi4ElPKfS1_KPfEviiT3_lPKT2_lT1_lS7_lS8_lS4_lPT4_lS8_li.has_indirect_call, 0
	.section	.AMDGPU.csdata,"",@progbits
; Kernel info:
; codeLenInByte = 2968
; TotalNumSgprs: 37
; NumVgprs: 52
; ScratchSize: 0
; MemoryBound: 0
; FloatMode: 240
; IeeeMode: 1
; LDSByteSize: 4096 bytes/workgroup (compile time only)
; SGPRBlocks: 0
; VGPRBlocks: 6
; NumSGPRsForWavesPerEU: 37
; NumVGPRsForWavesPerEU: 52
; Occupancy: 16
; WaveLimiterHint : 1
; COMPUTE_PGM_RSRC2:SCRATCH_EN: 0
; COMPUTE_PGM_RSRC2:USER_SGPR: 6
; COMPUTE_PGM_RSRC2:TRAP_HANDLER: 0
; COMPUTE_PGM_RSRC2:TGID_X_EN: 1
; COMPUTE_PGM_RSRC2:TGID_Y_EN: 0
; COMPUTE_PGM_RSRC2:TGID_Z_EN: 1
; COMPUTE_PGM_RSRC2:TIDIG_COMP_CNT: 1
	.section	.text._ZL20rocblas_gemvn_kernelILi64ELi4EiPKffKPfEviiT3_lPKT2_lT1_lS7_lS8_lS4_lPT4_lS8_li,"axG",@progbits,_ZL20rocblas_gemvn_kernelILi64ELi4EiPKffKPfEviiT3_lPKT2_lT1_lS7_lS8_lS4_lPT4_lS8_li,comdat
	.globl	_ZL20rocblas_gemvn_kernelILi64ELi4EiPKffKPfEviiT3_lPKT2_lT1_lS7_lS8_lS4_lPT4_lS8_li ; -- Begin function _ZL20rocblas_gemvn_kernelILi64ELi4EiPKffKPfEviiT3_lPKT2_lT1_lS7_lS8_lS4_lPT4_lS8_li
	.p2align	8
	.type	_ZL20rocblas_gemvn_kernelILi64ELi4EiPKffKPfEviiT3_lPKT2_lT1_lS7_lS8_lS4_lPT4_lS8_li,@function
_ZL20rocblas_gemvn_kernelILi64ELi4EiPKffKPfEviiT3_lPKT2_lT1_lS7_lS8_lS4_lPT4_lS8_li: ; @_ZL20rocblas_gemvn_kernelILi64ELi4EiPKffKPfEviiT3_lPKT2_lT1_lS7_lS8_lS4_lPT4_lS8_li
; %bb.0:
	s_load_dwordx2 s[0:1], s[4:5], 0x9c
	s_waitcnt lgkmcnt(0)
	s_lshr_b32 s3, s0, 16
	s_and_b32 s0, s0, 0xffff
	s_and_b32 s1, s1, 0xffff
	s_mul_i32 s0, s3, s0
	s_mul_i32 s0, s0, s1
	s_cmpk_lg_i32 s0, 0x100
	s_cbranch_scc1 .LBB194_56
; %bb.1:
	s_mov_b32 s2, s7
	s_clause 0x1
	s_load_dwordx4 s[8:11], s[4:5], 0x0
	s_load_dword s7, s[4:5], 0x58
	s_mov_b32 s3, 0
	s_waitcnt lgkmcnt(0)
	v_cmp_eq_f32_e64 s18, s10, 0
	v_cmp_eq_f32_e64 s0, s7, 1.0
	s_and_b32 s0, s18, s0
	s_and_b32 vcc_lo, exec_lo, s0
	s_cbranch_vccnz .LBB194_56
; %bb.2:
	v_cmp_neq_f32_e64 s11, s10, 0
	s_and_b32 vcc_lo, exec_lo, s11
	s_cbranch_vccnz .LBB194_4
; %bb.3:
	s_mov_b32 s1, 0
	s_mov_b32 s0, s2
	;; [unrolled: 1-line block ×3, first 2 shown]
	s_mov_b64 s[14:15], 0
	s_andn2_b32 vcc_lo, exec_lo, s12
	s_mov_b64 s[12:13], 0
	s_cbranch_vccz .LBB194_5
	s_branch .LBB194_6
.LBB194_4:
	s_mov_b64 s[0:1], s[2:3]
	s_mov_b64 s[14:15], 0
	;; [unrolled: 1-line block ×3, first 2 shown]
.LBB194_5:
	s_load_dwordx4 s[20:23], s[4:5], 0x18
	s_lshl_b64 s[2:3], s[2:3], 3
	s_waitcnt lgkmcnt(0)
	s_add_u32 s2, s20, s2
	s_addc_u32 s3, s21, s3
	s_lshl_b64 s[12:13], s[22:23], 2
	s_load_dwordx2 s[2:3], s[2:3], 0x0
	s_waitcnt lgkmcnt(0)
	s_add_u32 s12, s2, s12
	s_addc_u32 s13, s3, s13
.LBB194_6:
	s_andn2_b32 vcc_lo, exec_lo, s11
	s_cbranch_vccnz .LBB194_8
; %bb.7:
	s_load_dwordx4 s[20:23], s[4:5], 0x38
	s_lshl_b64 s[2:3], s[0:1], 3
	s_waitcnt lgkmcnt(0)
	s_add_u32 s2, s20, s2
	s_addc_u32 s3, s21, s3
	s_lshl_b64 s[14:15], s[22:23], 2
	s_load_dwordx2 s[2:3], s[2:3], 0x0
	s_waitcnt lgkmcnt(0)
	s_add_u32 s14, s2, s14
	s_addc_u32 s15, s3, s15
.LBB194_8:
	s_clause 0x1
	s_load_dwordx4 s[20:23], s[4:5], 0x68
	s_load_dword s17, s[4:5], 0x78
	s_lshl_b64 s[0:1], s[0:1], 3
	v_lshlrev_b32_e32 v14, 6, v1
	v_add_nc_u32_e32 v13, v14, v0
	s_waitcnt lgkmcnt(0)
	s_add_u32 s0, s20, s0
	s_addc_u32 s1, s21, s1
	s_lshl_b64 s[20:21], s[22:23], 2
	s_load_dwordx2 s[2:3], s[0:1], 0x0
	v_cmp_gt_u32_e64 s0, 0x100, v13
	s_waitcnt lgkmcnt(0)
	s_add_u32 s11, s2, s20
	s_addc_u32 s16, s3, s21
	s_andn2_b32 vcc_lo, exec_lo, s18
	s_cbranch_vccnz .LBB194_15
; %bb.9:
	s_mov_b32 s1, 0
	s_mov_b32 s18, 0
                                        ; implicit-def: $vgpr3
                                        ; implicit-def: $vgpr4_vgpr5
	s_and_saveexec_b32 s2, s0
	s_cbranch_execz .LBB194_16
; %bb.10:
	v_lshl_or_b32 v2, s6, 8, v13
	v_mov_b32_e32 v3, 0
	s_ashr_i32 s19, s8, 31
	s_mov_b32 s18, s8
	s_mov_b32 s3, 0
	s_mov_b32 s0, exec_lo
                                        ; implicit-def: $vgpr4_vgpr5
	v_cmpx_gt_i64_e64 s[18:19], v[2:3]
	s_cbranch_execz .LBB194_14
; %bb.11:
	v_mad_u64_u32 v[4:5], null, s17, v2, 0
	s_ashr_i32 s3, s17, 31
	v_mad_u64_u32 v[5:6], null, s3, v2, v[5:6]
	v_cmp_eq_f32_e64 s3, s7, 0
	s_and_b32 vcc_lo, exec_lo, s3
	s_cbranch_vccnz .LBB194_13
; %bb.12:
	v_lshlrev_b64 v[2:3], 2, v[4:5]
	v_add_co_u32 v2, vcc_lo, s11, v2
	v_add_co_ci_u32_e64 v3, null, s16, v3, vcc_lo
	flat_load_dword v2, v[2:3]
	s_waitcnt vmcnt(0) lgkmcnt(0)
	v_mul_f32_e32 v3, s7, v2
.LBB194_13:
	s_mov_b32 s3, exec_lo
.LBB194_14:
	s_or_b32 exec_lo, exec_lo, s0
	s_and_b32 s18, s3, exec_lo
	s_or_b32 exec_lo, exec_lo, s2
	s_and_b32 vcc_lo, exec_lo, s1
	s_cbranch_vccnz .LBB194_17
	s_branch .LBB194_54
.LBB194_15:
	s_mov_b32 s18, 0
                                        ; implicit-def: $vgpr3
                                        ; implicit-def: $vgpr4_vgpr5
	s_cbranch_execnz .LBB194_17
	s_branch .LBB194_54
.LBB194_16:
	s_or_b32 exec_lo, exec_lo, s2
	s_and_b32 vcc_lo, exec_lo, s1
	s_cbranch_vccz .LBB194_54
.LBB194_17:
	s_clause 0x1
	s_load_dword s19, s[4:5], 0x28
	s_load_dword s4, s[4:5], 0x48
	s_ashr_i32 s0, s9, 31
	s_lshl_b32 s5, s6, 8
	s_lshr_b32 s0, s0, 28
	v_lshlrev_b32_e32 v20, 2, v1
	v_or_b32_e32 v19, s5, v0
	v_mov_b32_e32 v15, 0
	v_mov_b32_e32 v16, 0
	;; [unrolled: 1-line block ×4, first 2 shown]
	s_add_i32 s0, s9, s0
	s_mov_b32 s20, exec_lo
	s_and_b32 s6, s0, -16
	v_cmpx_gt_i32_e64 s6, v20
	s_cbranch_execz .LBB194_29
; %bb.18:
	v_add_nc_u32_e32 v5, 0xc0, v19
	s_waitcnt lgkmcnt(0)
	v_mul_lo_u32 v3, s19, v20
	v_add_nc_u32_e32 v2, 64, v19
	v_add_nc_u32_e32 v6, 2, v20
	;; [unrolled: 1-line block ×3, first 2 shown]
	v_cmp_gt_i32_e64 s2, s8, v5
	v_mul_lo_u32 v5, v1, s19
	v_add_nc_u32_e32 v7, 3, v20
	v_mul_lo_u32 v8, v1, s4
	v_cmp_gt_i32_e64 s0, s8, v2
	v_add3_u32 v21, v3, s19, v0
	v_mad_u64_u32 v[2:3], null, s19, v6, v[0:1]
	v_cmp_gt_i32_e64 s1, s8, v4
	v_mad_u64_u32 v[3:4], null, s19, v7, v[0:1]
	v_lshl_add_u32 v22, v5, 2, v0
	v_mad_u64_u32 v[4:5], null, s4, v20, s[4:5]
	v_mul_lo_u32 v23, s4, v6
	v_mul_lo_u32 v24, s4, v7
	v_lshlrev_b32_e32 v25, 2, v8
	v_mov_b32_e32 v15, 0
	v_mov_b32_e32 v16, 0
	v_mov_b32_e32 v17, 0
	v_mov_b32_e32 v18, 0
	s_lshl_b32 s21, s19, 4
	s_lshl_b32 s23, s4, 4
	s_mov_b32 s22, 0
	s_mov_b32 s24, 0
	v_cmp_gt_i32_e32 vcc_lo, s8, v19
	s_branch .LBB194_23
.LBB194_19:                             ;   in Loop: Header=BB194_23 Depth=1
	s_or_b32 exec_lo, exec_lo, s27
	s_waitcnt vmcnt(3) lgkmcnt(3)
	v_fmac_f32_e32 v17, v29, v41
	s_waitcnt vmcnt(2) lgkmcnt(2)
	v_fmac_f32_e32 v17, v28, v40
	;; [unrolled: 2-line block ×4, first 2 shown]
.LBB194_20:                             ;   in Loop: Header=BB194_23 Depth=1
	s_or_b32 exec_lo, exec_lo, s26
	s_waitcnt vmcnt(3) lgkmcnt(3)
	v_fmac_f32_e32 v16, v29, v37
	s_waitcnt vmcnt(2) lgkmcnt(2)
	v_fmac_f32_e32 v16, v28, v36
	;; [unrolled: 2-line block ×4, first 2 shown]
.LBB194_21:                             ;   in Loop: Header=BB194_23 Depth=1
	s_or_b32 exec_lo, exec_lo, s3
	s_waitcnt vmcnt(3) lgkmcnt(3)
	v_fmac_f32_e32 v15, v29, v33
	s_waitcnt vmcnt(2) lgkmcnt(2)
	v_fmac_f32_e32 v15, v28, v31
	;; [unrolled: 2-line block ×4, first 2 shown]
.LBB194_22:                             ;   in Loop: Header=BB194_23 Depth=1
	s_or_b32 exec_lo, exec_lo, s25
	v_add_nc_u32_e32 v20, 16, v20
	v_add_nc_u32_e32 v21, s21, v21
	;; [unrolled: 1-line block ×5, first 2 shown]
	v_cmp_le_i32_e64 s3, s6, v20
	s_add_i32 s24, s24, s23
	s_or_b32 s22, s3, s22
	s_andn2_b32 exec_lo, exec_lo, s22
	s_cbranch_execz .LBB194_28
.LBB194_23:                             ; =>This Inner Loop Header: Depth=1
	s_and_saveexec_b32 s25, vcc_lo
	s_cbranch_execz .LBB194_22
; %bb.24:                               ;   in Loop: Header=BB194_23 Depth=1
	v_add_nc_u32_e32 v5, s24, v25
	v_add_nc_u32_e32 v7, s24, v4
	;; [unrolled: 1-line block ×5, first 2 shown]
	v_ashrrev_i32_e32 v6, 31, v5
	v_ashrrev_i32_e32 v8, 31, v7
	;; [unrolled: 1-line block ×5, first 2 shown]
	v_lshlrev_b64 v[5:6], 2, v[5:6]
	v_lshlrev_b64 v[7:8], 2, v[7:8]
	;; [unrolled: 1-line block ×3, first 2 shown]
	v_add_co_u32 v28, s3, s14, v5
	v_add_co_ci_u32_e64 v29, null, s15, v6, s3
	v_add_co_u32 v30, s3, s14, v7
	v_add_nc_u32_e32 v7, s5, v21
	v_add_co_ci_u32_e64 v31, null, s15, v8, s3
	v_lshlrev_b64 v[5:6], 2, v[11:12]
	v_add_co_u32 v32, s3, s14, v9
	v_add_nc_u32_e32 v11, s5, v2
	v_add_co_ci_u32_e64 v33, null, s15, v10, s3
	v_lshlrev_b64 v[9:10], 2, v[26:27]
	v_add_nc_u32_e32 v26, s5, v3
	v_ashrrev_i32_e32 v8, 31, v7
	v_ashrrev_i32_e32 v12, 31, v11
	v_add_co_u32 v34, s3, s14, v5
	v_ashrrev_i32_e32 v27, 31, v26
	v_add_co_ci_u32_e64 v35, null, s15, v6, s3
	v_lshlrev_b64 v[7:8], 2, v[7:8]
	v_add_co_u32 v5, s3, s12, v9
	v_add_co_ci_u32_e64 v6, null, s13, v10, s3
	v_lshlrev_b64 v[9:10], 2, v[11:12]
	v_lshlrev_b64 v[26:27], 2, v[26:27]
	v_add_co_u32 v7, s3, s12, v7
	v_add_co_ci_u32_e64 v8, null, s13, v8, s3
	v_add_co_u32 v11, s3, s12, v9
	v_add_co_ci_u32_e64 v12, null, s13, v10, s3
	;; [unrolled: 2-line block ×3, first 2 shown]
	s_clause 0x3
	flat_load_dword v29, v[28:29]
	flat_load_dword v28, v[30:31]
	;; [unrolled: 1-line block ×4, first 2 shown]
	s_clause 0x3
	flat_load_dword v33, v[5:6]
	flat_load_dword v31, v[7:8]
	;; [unrolled: 1-line block ×4, first 2 shown]
	s_and_saveexec_b32 s3, s0
	s_cbranch_execz .LBB194_21
; %bb.25:                               ;   in Loop: Header=BB194_23 Depth=1
	s_clause 0x3
	flat_load_dword v37, v[5:6] offset:256
	flat_load_dword v36, v[7:8] offset:256
	flat_load_dword v35, v[11:12] offset:256
	flat_load_dword v34, v[9:10] offset:256
	s_and_saveexec_b32 s26, s1
	s_cbranch_execz .LBB194_20
; %bb.26:                               ;   in Loop: Header=BB194_23 Depth=1
	s_clause 0x3
	flat_load_dword v41, v[5:6] offset:512
	flat_load_dword v40, v[7:8] offset:512
	flat_load_dword v39, v[11:12] offset:512
	flat_load_dword v38, v[9:10] offset:512
	;; [unrolled: 8-line block ×3, first 2 shown]
	s_waitcnt vmcnt(3) lgkmcnt(3)
	v_fmac_f32_e32 v18, v29, v5
	s_waitcnt vmcnt(2) lgkmcnt(2)
	v_fmac_f32_e32 v18, v28, v6
	;; [unrolled: 2-line block ×4, first 2 shown]
	s_branch .LBB194_19
.LBB194_28:
	s_or_b32 exec_lo, exec_lo, s22
.LBB194_29:
	s_or_b32 exec_lo, exec_lo, s20
	s_sub_i32 s0, s9, s6
	s_cmp_lt_i32 s0, 1
	s_cbranch_scc1 .LBB194_47
; %bb.30:
	v_cmp_gt_i32_e32 vcc_lo, s9, v20
	v_mov_b32_e32 v12, 0
	v_or_b32_e32 v2, 1, v20
	v_mov_b32_e32 v21, 0
	v_mov_b32_e32 v11, 0
	;; [unrolled: 1-line block ×3, first 2 shown]
	s_and_saveexec_b32 s1, vcc_lo
	s_cbranch_execz .LBB194_38
; %bb.31:
	s_waitcnt lgkmcnt(0)
	v_mul_lo_u32 v3, v20, s4
	v_mov_b32_e32 v11, 0
	v_mov_b32_e32 v21, 0
	;; [unrolled: 1-line block ×3, first 2 shown]
	s_mov_b32 s2, exec_lo
	v_ashrrev_i32_e32 v4, 31, v3
	v_lshlrev_b64 v[3:4], 2, v[3:4]
	v_add_co_u32 v3, s0, s14, v3
	v_add_co_ci_u32_e64 v4, null, s15, v4, s0
	flat_load_dword v10, v[3:4]
	v_cmpx_gt_i32_e64 s9, v2
	s_cbranch_execz .LBB194_37
; %bb.32:
	v_mul_lo_u32 v3, v2, s4
	v_mov_b32_e32 v21, 0
	v_mov_b32_e32 v12, 0
	s_mov_b32 s3, exec_lo
	v_ashrrev_i32_e32 v4, 31, v3
	v_lshlrev_b64 v[3:4], 2, v[3:4]
	v_add_co_u32 v3, s0, s14, v3
	v_add_co_ci_u32_e64 v4, null, s15, v4, s0
	flat_load_dword v11, v[3:4]
	v_or_b32_e32 v3, 2, v20
	v_cmpx_gt_i32_e64 s9, v3
	s_cbranch_execz .LBB194_36
; %bb.33:
	v_mul_lo_u32 v3, v3, s4
	v_mov_b32_e32 v12, 0
	s_mov_b32 s6, exec_lo
	v_ashrrev_i32_e32 v4, 31, v3
	v_lshlrev_b64 v[3:4], 2, v[3:4]
	v_add_co_u32 v3, s0, s14, v3
	v_add_co_ci_u32_e64 v4, null, s15, v4, s0
	flat_load_dword v21, v[3:4]
	v_or_b32_e32 v3, 3, v20
	v_cmpx_gt_i32_e64 s9, v3
	s_cbranch_execz .LBB194_35
; %bb.34:
	v_mul_lo_u32 v3, v3, s4
	v_ashrrev_i32_e32 v4, 31, v3
	v_lshlrev_b64 v[3:4], 2, v[3:4]
	v_add_co_u32 v3, s0, s14, v3
	v_add_co_ci_u32_e64 v4, null, s15, v4, s0
	flat_load_dword v12, v[3:4]
.LBB194_35:
	s_or_b32 exec_lo, exec_lo, s6
.LBB194_36:
	s_or_b32 exec_lo, exec_lo, s3
.LBB194_37:
	s_or_b32 exec_lo, exec_lo, s2
.LBB194_38:
	s_or_b32 exec_lo, exec_lo, s1
	s_mov_b32 s1, exec_lo
	v_cmpx_gt_i32_e64 s8, v19
	s_cbranch_execz .LBB194_46
; %bb.39:
	s_waitcnt lgkmcnt(0)
	v_mul_lo_u32 v3, v20, s19
	v_or_b32_e32 v4, 2, v20
	v_mul_lo_u32 v5, v2, s19
	v_or_b32_e32 v6, 3, v20
	s_mov_b32 s0, exec_lo
	v_mul_lo_u32 v7, v4, s19
	v_mul_lo_u32 v8, v6, s19
	v_cndmask_b32_e32 v3, 0, v3, vcc_lo
	v_cmp_gt_i32_e32 vcc_lo, s9, v2
	v_add_nc_u32_e32 v2, v3, v19
	v_cndmask_b32_e32 v5, 0, v5, vcc_lo
	v_cmp_gt_i32_e32 vcc_lo, s9, v4
	v_ashrrev_i32_e32 v3, 31, v2
	v_add_nc_u32_e32 v4, v5, v19
	v_cndmask_b32_e32 v7, 0, v7, vcc_lo
	v_cmp_gt_i32_e32 vcc_lo, s9, v6
	v_lshlrev_b64 v[2:3], 2, v[2:3]
	v_ashrrev_i32_e32 v5, 31, v4
	v_add_nc_u32_e32 v6, v7, v19
	v_cndmask_b32_e32 v8, 0, v8, vcc_lo
	v_lshlrev_b64 v[4:5], 2, v[4:5]
	v_ashrrev_i32_e32 v7, 31, v6
	v_add_nc_u32_e32 v8, v8, v19
	v_lshlrev_b64 v[22:23], 2, v[6:7]
	v_add_co_u32 v6, vcc_lo, s12, v2
	v_add_co_ci_u32_e64 v7, null, s13, v3, vcc_lo
	v_ashrrev_i32_e32 v9, 31, v8
	v_add_co_u32 v2, vcc_lo, s12, v4
	v_add_co_ci_u32_e64 v3, null, s13, v5, vcc_lo
	flat_load_dword v24, v[6:7]
	v_add_co_u32 v4, vcc_lo, s12, v22
	v_add_co_ci_u32_e64 v5, null, s13, v23, vcc_lo
	v_lshlrev_b64 v[8:9], 2, v[8:9]
	s_clause 0x1
	flat_load_dword v22, v[2:3]
	flat_load_dword v23, v[4:5]
	v_add_co_u32 v8, vcc_lo, s12, v8
	v_add_co_ci_u32_e64 v9, null, s13, v9, vcc_lo
	flat_load_dword v20, v[8:9]
	s_waitcnt vmcnt(3) lgkmcnt(3)
	v_fmac_f32_e32 v15, v10, v24
	s_waitcnt vmcnt(2) lgkmcnt(2)
	v_fmac_f32_e32 v15, v11, v22
	v_add_nc_u32_e32 v22, 64, v19
	s_waitcnt vmcnt(1) lgkmcnt(1)
	v_fmac_f32_e32 v15, v21, v23
	v_cmpx_gt_i32_e64 s8, v22
	s_cbranch_execz .LBB194_45
; %bb.40:
	s_clause 0x3
	flat_load_dword v23, v[6:7] offset:256
	flat_load_dword v24, v[2:3] offset:256
	;; [unrolled: 1-line block ×4, first 2 shown]
	s_mov_b32 s2, exec_lo
	s_waitcnt vmcnt(3) lgkmcnt(3)
	v_fmac_f32_e32 v16, v10, v23
	v_add_nc_u32_e32 v23, 0x80, v19
	s_waitcnt vmcnt(2) lgkmcnt(2)
	v_fmac_f32_e32 v16, v11, v24
	s_waitcnt vmcnt(1) lgkmcnt(1)
	v_fmac_f32_e32 v16, v21, v25
	v_cmpx_gt_i32_e64 s8, v23
	s_cbranch_execz .LBB194_44
; %bb.41:
	s_clause 0x3
	flat_load_dword v24, v[6:7] offset:512
	flat_load_dword v25, v[2:3] offset:512
	;; [unrolled: 1-line block ×4, first 2 shown]
	v_add_nc_u32_e32 v19, 0xc0, v19
	s_mov_b32 s3, exec_lo
	s_waitcnt vmcnt(3) lgkmcnt(3)
	v_fmac_f32_e32 v17, v10, v24
	s_waitcnt vmcnt(2) lgkmcnt(2)
	v_fmac_f32_e32 v17, v11, v25
	;; [unrolled: 2-line block ×3, first 2 shown]
	v_cmpx_gt_i32_e64 s8, v19
	s_cbranch_execz .LBB194_43
; %bb.42:
	s_clause 0x3
	flat_load_dword v6, v[6:7] offset:768
	flat_load_dword v2, v[2:3] offset:768
	;; [unrolled: 1-line block ×4, first 2 shown]
	s_waitcnt vmcnt(3) lgkmcnt(3)
	v_fmac_f32_e32 v18, v10, v6
	s_waitcnt vmcnt(2) lgkmcnt(2)
	v_fmac_f32_e32 v18, v11, v2
	;; [unrolled: 2-line block ×4, first 2 shown]
.LBB194_43:
	s_or_b32 exec_lo, exec_lo, s3
	s_waitcnt vmcnt(0) lgkmcnt(0)
	v_fmac_f32_e32 v17, v12, v23
.LBB194_44:
	s_or_b32 exec_lo, exec_lo, s2
	s_waitcnt vmcnt(0) lgkmcnt(0)
	v_fmac_f32_e32 v16, v12, v22
.LBB194_45:
	s_or_b32 exec_lo, exec_lo, s0
	s_waitcnt vmcnt(0) lgkmcnt(0)
	v_fmac_f32_e32 v15, v12, v20
.LBB194_46:
	s_or_b32 exec_lo, exec_lo, s1
.LBB194_47:
	v_lshlrev_b32_e32 v0, 2, v0
	s_mov_b32 s0, exec_lo
                                        ; implicit-def: $vgpr3
                                        ; implicit-def: $vgpr4_vgpr5
	v_lshl_or_b32 v1, v1, 10, v0
	ds_write2st64_b32 v1, v15, v16 offset1:1
	ds_write2st64_b32 v1, v17, v18 offset0:2 offset1:3
	s_waitcnt vmcnt(0) lgkmcnt(0)
	s_barrier
	buffer_gl0_inv
	v_cmpx_gt_u32_e32 0x100, v13
	s_cbranch_execz .LBB194_53
; %bb.48:
	v_lshl_add_u32 v4, v14, 2, v0
	s_mov_b32 s2, s18
	s_mov_b32 s1, exec_lo
	ds_read2st64_b32 v[0:1], v4 offset1:4
	ds_read2st64_b32 v[2:3], v4 offset0:8 offset1:12
	s_waitcnt lgkmcnt(1)
	v_add_f32_e32 v0, v0, v1
	v_or_b32_e32 v1, s5, v13
	s_waitcnt lgkmcnt(0)
	v_add_f32_e32 v0, v2, v0
	v_add_f32_e32 v0, v3, v0
                                        ; implicit-def: $vgpr3
	ds_write_b32 v4, v0
                                        ; implicit-def: $vgpr4_vgpr5
	v_cmpx_gt_i32_e64 s8, v1
	s_cbranch_execz .LBB194_52
; %bb.49:
	v_mul_lo_u32 v4, s17, v1
	v_cmp_eq_f32_e64 s2, s7, 0
	v_mul_f32_e32 v3, s10, v0
	s_and_b32 vcc_lo, exec_lo, s2
	v_ashrrev_i32_e32 v5, 31, v4
	s_cbranch_vccnz .LBB194_51
; %bb.50:
	v_lshlrev_b64 v[0:1], 2, v[4:5]
	v_add_co_u32 v0, vcc_lo, s11, v0
	v_add_co_ci_u32_e64 v1, null, s16, v1, vcc_lo
	flat_load_dword v0, v[0:1]
	s_waitcnt vmcnt(0) lgkmcnt(0)
	v_fmac_f32_e32 v3, s7, v0
.LBB194_51:
	s_or_b32 s2, s18, exec_lo
.LBB194_52:
	s_or_b32 exec_lo, exec_lo, s1
	s_andn2_b32 s1, s18, exec_lo
	s_and_b32 s2, s2, exec_lo
	s_or_b32 s18, s1, s2
.LBB194_53:
	s_or_b32 exec_lo, exec_lo, s0
.LBB194_54:
	s_and_saveexec_b32 s0, s18
	s_cbranch_execz .LBB194_56
; %bb.55:
	v_lshlrev_b64 v[0:1], 2, v[4:5]
	v_add_co_u32 v0, vcc_lo, s11, v0
	v_add_co_ci_u32_e64 v1, null, s16, v1, vcc_lo
	flat_store_dword v[0:1], v3
.LBB194_56:
	s_endpgm
	.section	.rodata,"a",@progbits
	.p2align	6, 0x0
	.amdhsa_kernel _ZL20rocblas_gemvn_kernelILi64ELi4EiPKffKPfEviiT3_lPKT2_lT1_lS7_lS8_lS4_lPT4_lS8_li
		.amdhsa_group_segment_fixed_size 4096
		.amdhsa_private_segment_fixed_size 0
		.amdhsa_kernarg_size 400
		.amdhsa_user_sgpr_count 6
		.amdhsa_user_sgpr_private_segment_buffer 1
		.amdhsa_user_sgpr_dispatch_ptr 0
		.amdhsa_user_sgpr_queue_ptr 0
		.amdhsa_user_sgpr_kernarg_segment_ptr 1
		.amdhsa_user_sgpr_dispatch_id 0
		.amdhsa_user_sgpr_flat_scratch_init 0
		.amdhsa_user_sgpr_private_segment_size 0
		.amdhsa_wavefront_size32 1
		.amdhsa_uses_dynamic_stack 0
		.amdhsa_system_sgpr_private_segment_wavefront_offset 0
		.amdhsa_system_sgpr_workgroup_id_x 1
		.amdhsa_system_sgpr_workgroup_id_y 0
		.amdhsa_system_sgpr_workgroup_id_z 1
		.amdhsa_system_sgpr_workgroup_info 0
		.amdhsa_system_vgpr_workitem_id 1
		.amdhsa_next_free_vgpr 42
		.amdhsa_next_free_sgpr 28
		.amdhsa_reserve_vcc 1
		.amdhsa_reserve_flat_scratch 1
		.amdhsa_float_round_mode_32 0
		.amdhsa_float_round_mode_16_64 0
		.amdhsa_float_denorm_mode_32 3
		.amdhsa_float_denorm_mode_16_64 3
		.amdhsa_dx10_clamp 1
		.amdhsa_ieee_mode 1
		.amdhsa_fp16_overflow 0
		.amdhsa_workgroup_processor_mode 1
		.amdhsa_memory_ordered 1
		.amdhsa_forward_progress 1
		.amdhsa_shared_vgpr_count 0
		.amdhsa_exception_fp_ieee_invalid_op 0
		.amdhsa_exception_fp_denorm_src 0
		.amdhsa_exception_fp_ieee_div_zero 0
		.amdhsa_exception_fp_ieee_overflow 0
		.amdhsa_exception_fp_ieee_underflow 0
		.amdhsa_exception_fp_ieee_inexact 0
		.amdhsa_exception_int_div_zero 0
	.end_amdhsa_kernel
	.section	.text._ZL20rocblas_gemvn_kernelILi64ELi4EiPKffKPfEviiT3_lPKT2_lT1_lS7_lS8_lS4_lPT4_lS8_li,"axG",@progbits,_ZL20rocblas_gemvn_kernelILi64ELi4EiPKffKPfEviiT3_lPKT2_lT1_lS7_lS8_lS4_lPT4_lS8_li,comdat
.Lfunc_end194:
	.size	_ZL20rocblas_gemvn_kernelILi64ELi4EiPKffKPfEviiT3_lPKT2_lT1_lS7_lS8_lS4_lPT4_lS8_li, .Lfunc_end194-_ZL20rocblas_gemvn_kernelILi64ELi4EiPKffKPfEviiT3_lPKT2_lT1_lS7_lS8_lS4_lPT4_lS8_li
                                        ; -- End function
	.set _ZL20rocblas_gemvn_kernelILi64ELi4EiPKffKPfEviiT3_lPKT2_lT1_lS7_lS8_lS4_lPT4_lS8_li.num_vgpr, 42
	.set _ZL20rocblas_gemvn_kernelILi64ELi4EiPKffKPfEviiT3_lPKT2_lT1_lS7_lS8_lS4_lPT4_lS8_li.num_agpr, 0
	.set _ZL20rocblas_gemvn_kernelILi64ELi4EiPKffKPfEviiT3_lPKT2_lT1_lS7_lS8_lS4_lPT4_lS8_li.numbered_sgpr, 28
	.set _ZL20rocblas_gemvn_kernelILi64ELi4EiPKffKPfEviiT3_lPKT2_lT1_lS7_lS8_lS4_lPT4_lS8_li.num_named_barrier, 0
	.set _ZL20rocblas_gemvn_kernelILi64ELi4EiPKffKPfEviiT3_lPKT2_lT1_lS7_lS8_lS4_lPT4_lS8_li.private_seg_size, 0
	.set _ZL20rocblas_gemvn_kernelILi64ELi4EiPKffKPfEviiT3_lPKT2_lT1_lS7_lS8_lS4_lPT4_lS8_li.uses_vcc, 1
	.set _ZL20rocblas_gemvn_kernelILi64ELi4EiPKffKPfEviiT3_lPKT2_lT1_lS7_lS8_lS4_lPT4_lS8_li.uses_flat_scratch, 1
	.set _ZL20rocblas_gemvn_kernelILi64ELi4EiPKffKPfEviiT3_lPKT2_lT1_lS7_lS8_lS4_lPT4_lS8_li.has_dyn_sized_stack, 0
	.set _ZL20rocblas_gemvn_kernelILi64ELi4EiPKffKPfEviiT3_lPKT2_lT1_lS7_lS8_lS4_lPT4_lS8_li.has_recursion, 0
	.set _ZL20rocblas_gemvn_kernelILi64ELi4EiPKffKPfEviiT3_lPKT2_lT1_lS7_lS8_lS4_lPT4_lS8_li.has_indirect_call, 0
	.section	.AMDGPU.csdata,"",@progbits
; Kernel info:
; codeLenInByte = 2640
; TotalNumSgprs: 30
; NumVgprs: 42
; ScratchSize: 0
; MemoryBound: 0
; FloatMode: 240
; IeeeMode: 1
; LDSByteSize: 4096 bytes/workgroup (compile time only)
; SGPRBlocks: 0
; VGPRBlocks: 5
; NumSGPRsForWavesPerEU: 30
; NumVGPRsForWavesPerEU: 42
; Occupancy: 16
; WaveLimiterHint : 1
; COMPUTE_PGM_RSRC2:SCRATCH_EN: 0
; COMPUTE_PGM_RSRC2:USER_SGPR: 6
; COMPUTE_PGM_RSRC2:TRAP_HANDLER: 0
; COMPUTE_PGM_RSRC2:TGID_X_EN: 1
; COMPUTE_PGM_RSRC2:TGID_Y_EN: 0
; COMPUTE_PGM_RSRC2:TGID_Z_EN: 1
; COMPUTE_PGM_RSRC2:TIDIG_COMP_CNT: 1
	.section	.text._ZL20rocblas_gemvn_kernelILi64ELi4ElPKffKPfEviiT3_lPKT2_lT1_lS7_lS8_lS4_lPT4_lS8_li,"axG",@progbits,_ZL20rocblas_gemvn_kernelILi64ELi4ElPKffKPfEviiT3_lPKT2_lT1_lS7_lS8_lS4_lPT4_lS8_li,comdat
	.globl	_ZL20rocblas_gemvn_kernelILi64ELi4ElPKffKPfEviiT3_lPKT2_lT1_lS7_lS8_lS4_lPT4_lS8_li ; -- Begin function _ZL20rocblas_gemvn_kernelILi64ELi4ElPKffKPfEviiT3_lPKT2_lT1_lS7_lS8_lS4_lPT4_lS8_li
	.p2align	8
	.type	_ZL20rocblas_gemvn_kernelILi64ELi4ElPKffKPfEviiT3_lPKT2_lT1_lS7_lS8_lS4_lPT4_lS8_li,@function
_ZL20rocblas_gemvn_kernelILi64ELi4ElPKffKPfEviiT3_lPKT2_lT1_lS7_lS8_lS4_lPT4_lS8_li: ; @_ZL20rocblas_gemvn_kernelILi64ELi4ElPKffKPfEviiT3_lPKT2_lT1_lS7_lS8_lS4_lPT4_lS8_li
; %bb.0:
	s_load_dwordx2 s[0:1], s[4:5], 0x9c
	s_waitcnt lgkmcnt(0)
	s_lshr_b32 s2, s0, 16
	s_and_b32 s0, s0, 0xffff
	s_and_b32 s1, s1, 0xffff
	s_mul_i32 s0, s2, s0
	s_mul_i32 s0, s0, s1
	s_cmpk_lg_i32 s0, 0x100
	s_cbranch_scc1 .LBB195_56
; %bb.1:
	s_load_dwordx4 s[8:11], s[4:5], 0x0
	s_waitcnt lgkmcnt(0)
	s_load_dword s11, s[4:5], 0x58
	s_mov_b32 s20, s7
	s_mov_b32 s21, 0
	v_cmp_eq_f32_e64 s7, s10, 0
	s_waitcnt lgkmcnt(0)
	v_cmp_eq_f32_e64 s0, s11, 1.0
	s_and_b32 s0, s7, s0
	s_and_b32 vcc_lo, exec_lo, s0
	s_cbranch_vccnz .LBB195_56
; %bb.2:
	s_clause 0x1
	s_load_dwordx4 s[0:3], s[4:5], 0x18
	s_load_dwordx2 s[14:15], s[4:5], 0x28
	v_cmp_neq_f32_e64 s22, s10, 0
	s_and_b32 vcc_lo, exec_lo, s22
	s_cbranch_vccnz .LBB195_4
; %bb.3:
	s_mov_b32 s13, 0
	s_mov_b32 s12, s20
	;; [unrolled: 1-line block ×3, first 2 shown]
	s_mov_b64 s[18:19], 0
	s_andn2_b32 vcc_lo, exec_lo, s16
	s_mov_b64 s[16:17], 0
	s_cbranch_vccz .LBB195_5
	s_branch .LBB195_6
.LBB195_4:
	s_mov_b64 s[12:13], s[20:21]
	s_mov_b64 s[18:19], 0
	;; [unrolled: 1-line block ×3, first 2 shown]
.LBB195_5:
	s_lshl_b64 s[16:17], s[20:21], 3
	s_waitcnt lgkmcnt(0)
	s_add_u32 s0, s0, s16
	s_addc_u32 s1, s1, s17
	s_lshl_b64 s[2:3], s[2:3], 2
	s_load_dwordx2 s[0:1], s[0:1], 0x0
	s_waitcnt lgkmcnt(0)
	s_add_u32 s16, s0, s2
	s_addc_u32 s17, s1, s3
.LBB195_6:
	s_waitcnt lgkmcnt(0)
	s_clause 0x1
	s_load_dwordx4 s[0:3], s[4:5], 0x38
	s_load_dwordx2 s[20:21], s[4:5], 0x48
	s_andn2_b32 vcc_lo, exec_lo, s22
	s_cbranch_vccnz .LBB195_8
; %bb.7:
	s_lshl_b64 s[18:19], s[12:13], 3
	s_waitcnt lgkmcnt(0)
	s_add_u32 s0, s0, s18
	s_addc_u32 s1, s1, s19
	s_lshl_b64 s[2:3], s[2:3], 2
	s_load_dwordx2 s[0:1], s[0:1], 0x0
	s_waitcnt lgkmcnt(0)
	s_add_u32 s18, s0, s2
	s_addc_u32 s19, s1, s3
.LBB195_8:
	s_waitcnt lgkmcnt(0)
	s_load_dwordx4 s[0:3], s[4:5], 0x68
	s_lshl_b64 s[22:23], s[12:13], 3
	s_load_dwordx2 s[12:13], s[4:5], 0x78
	v_lshlrev_b32_e32 v22, 6, v1
	v_add_nc_u32_e32 v21, v22, v0
	s_waitcnt lgkmcnt(0)
	s_add_u32 s0, s0, s22
	s_addc_u32 s1, s1, s23
	s_lshl_b64 s[2:3], s[2:3], 2
	s_load_dwordx2 s[22:23], s[0:1], 0x0
	v_cmp_gt_u32_e64 s0, 0x100, v21
	s_waitcnt lgkmcnt(0)
	s_add_u32 s5, s22, s2
	s_addc_u32 s26, s23, s3
	s_andn2_b32 vcc_lo, exec_lo, s7
	s_cbranch_vccnz .LBB195_15
; %bb.9:
	s_mov_b32 s1, 0
	s_mov_b32 s27, 0
                                        ; implicit-def: $vgpr3
                                        ; implicit-def: $vgpr4_vgpr5
	s_and_saveexec_b32 s2, s0
	s_cbranch_execz .LBB195_16
; %bb.10:
	v_lshl_or_b32 v2, s6, 8, v21
	v_mov_b32_e32 v3, 0
	s_ashr_i32 s23, s8, 31
	s_mov_b32 s22, s8
	s_mov_b32 s3, 0
	s_mov_b32 s0, exec_lo
                                        ; implicit-def: $vgpr4_vgpr5
	v_cmpx_gt_i64_e64 s[22:23], v[2:3]
	s_cbranch_execz .LBB195_14
; %bb.11:
	v_mad_u64_u32 v[4:5], null, s12, v2, 0
	v_cmp_eq_f32_e64 s3, s11, 0
	s_and_b32 vcc_lo, exec_lo, s3
	v_mad_u64_u32 v[5:6], null, s13, v2, v[5:6]
	s_cbranch_vccnz .LBB195_13
; %bb.12:
	v_lshlrev_b64 v[2:3], 2, v[4:5]
	v_add_co_u32 v2, vcc_lo, s5, v2
	v_add_co_ci_u32_e64 v3, null, s26, v3, vcc_lo
	flat_load_dword v2, v[2:3]
	s_waitcnt vmcnt(0) lgkmcnt(0)
	v_mul_f32_e32 v3, s11, v2
.LBB195_13:
	s_mov_b32 s3, exec_lo
.LBB195_14:
	s_or_b32 exec_lo, exec_lo, s0
	s_and_b32 s27, s3, exec_lo
	s_or_b32 exec_lo, exec_lo, s2
	s_and_b32 vcc_lo, exec_lo, s1
	s_cbranch_vccnz .LBB195_17
	s_branch .LBB195_54
.LBB195_15:
	s_mov_b32 s27, 0
                                        ; implicit-def: $vgpr3
                                        ; implicit-def: $vgpr4_vgpr5
	s_cbranch_execnz .LBB195_17
	s_branch .LBB195_54
.LBB195_16:
	s_or_b32 exec_lo, exec_lo, s2
	s_and_b32 vcc_lo, exec_lo, s1
	s_cbranch_vccz .LBB195_54
.LBB195_17:
	s_ashr_i32 s0, s9, 31
	s_lshl_b32 s28, s6, 8
	s_lshr_b32 s0, s0, 28
	v_lshlrev_b32_e32 v27, 2, v1
	v_mov_b32_e32 v23, 0
	v_or_b32_e32 v2, s28, v0
	v_mov_b32_e32 v24, 0
	v_mov_b32_e32 v25, 0
	;; [unrolled: 1-line block ×3, first 2 shown]
	s_add_i32 s0, s9, s0
	s_mov_b32 s30, exec_lo
	s_and_b32 s29, s0, -16
	v_cmpx_gt_i32_e64 s29, v27
	s_cbranch_execz .LBB195_29
; %bb.18:
	v_lshlrev_b32_e32 v25, 2, v1
	v_add_nc_u32_e32 v4, 64, v2
	v_mad_u64_u32 v[7:8], null, s20, v1, 0
	v_mad_u64_u32 v[9:10], null, s14, v1, 0
	v_or_b32_e32 v26, 3, v25
	v_add_nc_u32_e32 v11, 0x80, v2
	v_add_nc_u32_e32 v12, 0xc0, v2
	v_cmp_gt_i32_e64 s0, s8, v4
	v_or_b32_e32 v32, 2, v25
	v_mad_u64_u32 v[5:6], null, s14, v26, 0
	v_cmp_gt_i32_e64 s1, s8, v11
	v_cmp_gt_i32_e64 s2, s8, v12
	v_mad_u64_u32 v[16:17], null, s14, v32, 0
	v_mad_u64_u32 v[18:19], null, s20, v26, 0
	v_mov_b32_e32 v4, v6
	v_mov_b32_e32 v6, v8
	;; [unrolled: 1-line block ×3, first 2 shown]
	v_ashrrev_i32_e32 v3, 31, v2
	s_lshl_b64 s[6:7], s[14:15], 6
	v_mad_u64_u32 v[11:12], null, s15, v26, v[4:5]
	v_mad_u64_u32 v[12:13], null, s21, v1, v[6:7]
	;; [unrolled: 1-line block ×4, first 2 shown]
	v_mov_b32_e32 v6, v11
	v_lshlrev_b64 v[3:4], 2, v[2:3]
	v_mov_b32_e32 v8, v12
	s_lshl_b64 s[22:23], s[20:21], 6
	v_mov_b32_e32 v10, v13
	v_lshlrev_b64 v[11:12], 2, v[5:6]
	s_mov_b32 s31, 0
	v_lshlrev_b64 v[5:6], 4, v[7:8]
	v_mov_b32_e32 v7, v17
	v_mov_b32_e32 v8, v15
	v_lshlrev_b64 v[9:10], 4, v[9:10]
	v_add_co_u32 v28, s3, s16, v11
	v_add_co_ci_u32_e64 v29, null, s17, v12, s3
	v_mad_u64_u32 v[11:12], null, s14, v25, s[14:15]
	v_mad_u64_u32 v[23:24], null, s15, v32, v[7:8]
	v_mov_b32_e32 v7, v19
	v_mad_u64_u32 v[19:20], null, s21, v25, v[8:9]
	v_add_co_u32 v30, s3, s16, v9
	v_mad_u64_u32 v[7:8], null, s21, v26, v[7:8]
	v_mov_b32_e32 v8, v12
	v_mov_b32_e32 v17, v23
	v_mad_u64_u32 v[23:24], null, s20, v32, 0
	v_mov_b32_e32 v15, v19
	v_mad_u64_u32 v[12:13], null, s15, v25, v[8:9]
	v_lshlrev_b64 v[16:17], 2, v[16:17]
	v_mov_b32_e32 v19, v7
	v_add_co_ci_u32_e64 v31, null, s17, v10, s3
	v_mov_b32_e32 v8, v24
	v_mov_b32_e32 v26, 0
	v_lshlrev_b64 v[11:12], 2, v[11:12]
	s_mov_b64 s[24:25], s[18:19]
	v_cmp_gt_i32_e32 vcc_lo, s8, v2
	v_mad_u64_u32 v[24:25], null, s21, v32, v[8:9]
	v_add_co_u32 v32, s3, s16, v16
	v_add_co_ci_u32_e64 v33, null, s17, v17, s3
	v_add_co_u32 v34, s3, s16, v11
	v_lshlrev_b64 v[7:8], 2, v[14:15]
	v_lshlrev_b64 v[9:10], 2, v[18:19]
	v_add_co_ci_u32_e64 v35, null, s17, v12, s3
	v_lshlrev_b64 v[11:12], 2, v[23:24]
	v_mov_b32_e32 v23, 0
	v_mov_b32_e32 v24, 0
	;; [unrolled: 1-line block ×3, first 2 shown]
	s_branch .LBB195_23
.LBB195_19:                             ;   in Loop: Header=BB195_23 Depth=1
	s_or_b32 exec_lo, exec_lo, s34
	s_waitcnt vmcnt(3) lgkmcnt(3)
	v_fmac_f32_e32 v25, v39, v51
	s_waitcnt vmcnt(2) lgkmcnt(2)
	v_fmac_f32_e32 v25, v38, v50
	;; [unrolled: 2-line block ×4, first 2 shown]
.LBB195_20:                             ;   in Loop: Header=BB195_23 Depth=1
	s_or_b32 exec_lo, exec_lo, s33
	s_waitcnt vmcnt(3) lgkmcnt(3)
	v_fmac_f32_e32 v24, v39, v47
	s_waitcnt vmcnt(2) lgkmcnt(2)
	v_fmac_f32_e32 v24, v38, v46
	;; [unrolled: 2-line block ×4, first 2 shown]
.LBB195_21:                             ;   in Loop: Header=BB195_23 Depth=1
	s_or_b32 exec_lo, exec_lo, s3
	s_waitcnt vmcnt(3) lgkmcnt(3)
	v_fmac_f32_e32 v23, v39, v43
	s_waitcnt vmcnt(2) lgkmcnt(2)
	v_fmac_f32_e32 v23, v38, v41
	;; [unrolled: 2-line block ×4, first 2 shown]
.LBB195_22:                             ;   in Loop: Header=BB195_23 Depth=1
	s_or_b32 exec_lo, exec_lo, s4
	v_add_co_u32 v28, s3, v28, s6
	v_add_nc_u32_e32 v27, 16, v27
	v_add_co_ci_u32_e64 v29, null, s7, v29, s3
	v_add_co_u32 v30, s3, v30, s6
	v_add_co_ci_u32_e64 v31, null, s7, v31, s3
	v_add_co_u32 v32, s3, v32, s6
	v_add_co_ci_u32_e64 v33, null, s7, v33, s3
	v_cmp_le_i32_e64 s3, s29, v27
	v_add_co_u32 v34, s4, v34, s6
	v_add_co_ci_u32_e64 v35, null, s7, v35, s4
	s_add_u32 s24, s24, s22
	s_addc_u32 s25, s25, s23
	s_or_b32 s31, s3, s31
	s_andn2_b32 exec_lo, exec_lo, s31
	s_cbranch_execz .LBB195_28
.LBB195_23:                             ; =>This Inner Loop Header: Depth=1
	s_and_saveexec_b32 s4, vcc_lo
	s_cbranch_execz .LBB195_22
; %bb.24:                               ;   in Loop: Header=BB195_23 Depth=1
	v_add_co_u32 v36, s3, s24, v5
	v_add_co_ci_u32_e64 v37, null, s25, v6, s3
	v_add_co_u32 v40, s3, s24, v7
	v_add_co_ci_u32_e64 v41, null, s25, v8, s3
	;; [unrolled: 2-line block ×8, first 2 shown]
	s_clause 0x3
	flat_load_dword v39, v[36:37]
	flat_load_dword v38, v[40:41]
	;; [unrolled: 1-line block ×8, first 2 shown]
	s_and_saveexec_b32 s3, s0
	s_cbranch_execz .LBB195_21
; %bb.25:                               ;   in Loop: Header=BB195_23 Depth=1
	flat_load_dword v47, v[13:14] offset:256
	flat_load_dword v46, v[15:16] offset:256
	flat_load_dword v45, v[17:18] offset:256
	flat_load_dword v44, v[19:20] offset:256
	s_and_saveexec_b32 s33, s1
	s_cbranch_execz .LBB195_20
; %bb.26:                               ;   in Loop: Header=BB195_23 Depth=1
	flat_load_dword v51, v[13:14] offset:512
	flat_load_dword v50, v[15:16] offset:512
	flat_load_dword v49, v[17:18] offset:512
	flat_load_dword v48, v[19:20] offset:512
	;; [unrolled: 7-line block ×3, first 2 shown]
	s_waitcnt vmcnt(3) lgkmcnt(3)
	v_fmac_f32_e32 v26, v39, v13
	s_waitcnt vmcnt(2) lgkmcnt(2)
	v_fmac_f32_e32 v26, v38, v14
	;; [unrolled: 2-line block ×4, first 2 shown]
	s_branch .LBB195_19
.LBB195_28:
	s_or_b32 exec_lo, exec_lo, s31
.LBB195_29:
	s_or_b32 exec_lo, exec_lo, s30
	s_sub_i32 s0, s9, s29
	s_cmp_lt_i32 s0, 1
	s_cbranch_scc1 .LBB195_47
; %bb.30:
	v_cmp_gt_i32_e32 vcc_lo, s9, v27
	v_mov_b32_e32 v13, 0
	v_or_b32_e32 v4, 1, v27
	v_mov_b32_e32 v14, 0
	v_mov_b32_e32 v12, 0
	v_mov_b32_e32 v11, 0
	s_and_saveexec_b32 s1, vcc_lo
	s_cbranch_execz .LBB195_38
; %bb.31:
	v_mad_u64_u32 v[5:6], null, s20, v27, 0
	v_mov_b32_e32 v12, 0
	v_mov_b32_e32 v14, 0
	;; [unrolled: 1-line block ×3, first 2 shown]
	s_mov_b32 s2, exec_lo
	v_mov_b32_e32 v3, v6
	v_mad_u64_u32 v[6:7], null, s21, v27, v[3:4]
	v_lshlrev_b64 v[5:6], 2, v[5:6]
	v_add_co_u32 v5, s0, s18, v5
	v_add_co_ci_u32_e64 v6, null, s19, v6, s0
	flat_load_dword v11, v[5:6]
	v_cmpx_gt_i32_e64 s9, v4
	s_cbranch_execz .LBB195_37
; %bb.32:
	v_mad_u64_u32 v[5:6], null, s20, v4, 0
	v_mov_b32_e32 v14, 0
	v_mov_b32_e32 v13, 0
	s_mov_b32 s3, exec_lo
	v_mov_b32_e32 v3, v6
	v_mad_u64_u32 v[6:7], null, s21, v4, v[3:4]
	v_or_b32_e32 v3, 2, v27
	v_lshlrev_b64 v[5:6], 2, v[5:6]
	v_add_co_u32 v5, s0, s18, v5
	v_add_co_ci_u32_e64 v6, null, s19, v6, s0
	flat_load_dword v12, v[5:6]
	v_cmpx_gt_i32_e64 s9, v3
	s_cbranch_execz .LBB195_36
; %bb.33:
	v_mad_u64_u32 v[5:6], null, s20, v3, 0
	v_mov_b32_e32 v13, 0
	s_mov_b32 s4, exec_lo
	v_mad_u64_u32 v[6:7], null, s21, v3, v[6:7]
	v_or_b32_e32 v3, 3, v27
	v_lshlrev_b64 v[5:6], 2, v[5:6]
	v_add_co_u32 v5, s0, s18, v5
	v_add_co_ci_u32_e64 v6, null, s19, v6, s0
	flat_load_dword v14, v[5:6]
	v_cmpx_gt_i32_e64 s9, v3
	s_cbranch_execz .LBB195_35
; %bb.34:
	v_mad_u64_u32 v[5:6], null, s20, v3, 0
	v_mad_u64_u32 v[6:7], null, s21, v3, v[6:7]
	v_lshlrev_b64 v[5:6], 2, v[5:6]
	v_add_co_u32 v5, s0, s18, v5
	v_add_co_ci_u32_e64 v6, null, s19, v6, s0
	flat_load_dword v13, v[5:6]
.LBB195_35:
	s_or_b32 exec_lo, exec_lo, s4
.LBB195_36:
	s_or_b32 exec_lo, exec_lo, s3
.LBB195_37:
	s_or_b32 exec_lo, exec_lo, s2
.LBB195_38:
	s_or_b32 exec_lo, exec_lo, s1
	s_mov_b32 s1, exec_lo
	v_cmpx_gt_i32_e64 s8, v2
	s_cbranch_execz .LBB195_46
; %bb.39:
	v_mad_u64_u32 v[5:6], null, s14, v27, 0
	v_mad_u64_u32 v[7:8], null, s14, v4, 0
	v_ashrrev_i32_e32 v3, 31, v2
	v_or_b32_e32 v20, 2, v27
	v_or_b32_e32 v29, 3, v27
	v_cndmask_b32_e32 v5, 0, v5, vcc_lo
	v_lshlrev_b64 v[9:10], 2, v[2:3]
	v_mad_u64_u32 v[15:16], null, s15, v27, v[6:7]
	v_mov_b32_e32 v3, v8
	v_mad_u64_u32 v[16:17], null, s14, v20, 0
	v_mad_u64_u32 v[18:19], null, s14, v29, 0
	;; [unrolled: 1-line block ×3, first 2 shown]
	v_cndmask_b32_e32 v6, 0, v15, vcc_lo
	v_cmp_gt_i32_e32 vcc_lo, s9, v4
	v_mov_b32_e32 v3, v17
	v_cmp_gt_i32_e64 s0, s9, v20
	v_mov_b32_e32 v8, v19
	v_cndmask_b32_e32 v4, 0, v7, vcc_lo
	v_lshlrev_b64 v[6:7], 2, v[5:6]
	v_cndmask_b32_e32 v5, 0, v27, vcc_lo
	v_cndmask_b32_e64 v15, 0, v16, s0
	v_mad_u64_u32 v[19:20], null, s15, v20, v[3:4]
	v_add_co_u32 v3, vcc_lo, s16, v6
	v_lshlrev_b64 v[5:6], 2, v[4:5]
	v_add_co_ci_u32_e64 v7, null, s17, v7, vcc_lo
	v_add_co_u32 v3, vcc_lo, v3, v9
	v_cndmask_b32_e64 v16, 0, v19, s0
	v_add_co_ci_u32_e64 v4, null, v7, v10, vcc_lo
	v_add_co_u32 v5, vcc_lo, s16, v5
	v_add_co_ci_u32_e64 v6, null, s17, v6, vcc_lo
	v_mad_u64_u32 v[7:8], null, s15, v29, v[8:9]
	v_add_co_u32 v5, vcc_lo, v5, v9
	v_add_co_ci_u32_e64 v6, null, v6, v10, vcc_lo
	v_cmp_gt_i32_e32 vcc_lo, s9, v29
	v_lshlrev_b64 v[15:16], 2, v[15:16]
	s_clause 0x1
	flat_load_dword v19, v[3:4]
	flat_load_dword v20, v[5:6]
	s_mov_b32 s0, exec_lo
	v_cndmask_b32_e32 v17, 0, v18, vcc_lo
	v_cndmask_b32_e32 v18, 0, v7, vcc_lo
	v_add_co_u32 v7, vcc_lo, s16, v15
	v_add_co_ci_u32_e64 v8, null, s17, v16, vcc_lo
	v_lshlrev_b64 v[15:16], 2, v[17:18]
	v_add_co_u32 v7, vcc_lo, v7, v9
	v_add_co_ci_u32_e64 v8, null, v8, v10, vcc_lo
	v_add_co_u32 v15, vcc_lo, s16, v15
	v_add_co_ci_u32_e64 v16, null, s17, v16, vcc_lo
	flat_load_dword v17, v[7:8]
	v_add_co_u32 v9, vcc_lo, v15, v9
	v_add_co_ci_u32_e64 v10, null, v16, v10, vcc_lo
	v_add_nc_u32_e32 v16, 64, v2
	flat_load_dword v15, v[9:10]
	s_waitcnt vmcnt(3) lgkmcnt(3)
	v_fmac_f32_e32 v23, v11, v19
	s_waitcnt vmcnt(2) lgkmcnt(2)
	v_fmac_f32_e32 v23, v12, v20
	;; [unrolled: 2-line block ×3, first 2 shown]
	v_cmpx_gt_i32_e64 s8, v16
	s_cbranch_execz .LBB195_45
; %bb.40:
	s_clause 0x3
	flat_load_dword v17, v[3:4] offset:256
	flat_load_dword v18, v[5:6] offset:256
	;; [unrolled: 1-line block ×4, first 2 shown]
	s_mov_b32 s2, exec_lo
	s_waitcnt vmcnt(3) lgkmcnt(3)
	v_fmac_f32_e32 v24, v11, v17
	v_add_nc_u32_e32 v17, 0x80, v2
	s_waitcnt vmcnt(2) lgkmcnt(2)
	v_fmac_f32_e32 v24, v12, v18
	s_waitcnt vmcnt(1) lgkmcnt(1)
	v_fmac_f32_e32 v24, v14, v19
	v_cmpx_gt_i32_e64 s8, v17
	s_cbranch_execz .LBB195_44
; %bb.41:
	s_clause 0x3
	flat_load_dword v18, v[3:4] offset:512
	flat_load_dword v19, v[5:6] offset:512
	;; [unrolled: 1-line block ×4, first 2 shown]
	v_add_nc_u32_e32 v2, 0xc0, v2
	s_mov_b32 s3, exec_lo
	s_waitcnt vmcnt(3) lgkmcnt(3)
	v_fmac_f32_e32 v25, v11, v18
	s_waitcnt vmcnt(2) lgkmcnt(2)
	v_fmac_f32_e32 v25, v12, v19
	;; [unrolled: 2-line block ×3, first 2 shown]
	v_cmpx_gt_i32_e64 s8, v2
	s_cbranch_execz .LBB195_43
; %bb.42:
	s_clause 0x3
	flat_load_dword v2, v[3:4] offset:768
	flat_load_dword v3, v[5:6] offset:768
	;; [unrolled: 1-line block ×4, first 2 shown]
	s_waitcnt vmcnt(3) lgkmcnt(3)
	v_fmac_f32_e32 v26, v11, v2
	s_waitcnt vmcnt(2) lgkmcnt(2)
	v_fmac_f32_e32 v26, v12, v3
	;; [unrolled: 2-line block ×4, first 2 shown]
.LBB195_43:
	s_or_b32 exec_lo, exec_lo, s3
	s_waitcnt vmcnt(0) lgkmcnt(0)
	v_fmac_f32_e32 v25, v13, v17
.LBB195_44:
	s_or_b32 exec_lo, exec_lo, s2
	s_waitcnt vmcnt(0) lgkmcnt(0)
	v_fmac_f32_e32 v24, v13, v16
.LBB195_45:
	s_or_b32 exec_lo, exec_lo, s0
	s_waitcnt vmcnt(0) lgkmcnt(0)
	v_fmac_f32_e32 v23, v13, v15
.LBB195_46:
	s_or_b32 exec_lo, exec_lo, s1
.LBB195_47:
	v_lshlrev_b32_e32 v0, 2, v0
	s_mov_b32 s0, exec_lo
                                        ; implicit-def: $vgpr3
                                        ; implicit-def: $vgpr4_vgpr5
	v_lshl_or_b32 v1, v1, 10, v0
	ds_write2st64_b32 v1, v23, v24 offset1:1
	ds_write2st64_b32 v1, v25, v26 offset0:2 offset1:3
	s_waitcnt vmcnt(0) lgkmcnt(0)
	s_barrier
	buffer_gl0_inv
	v_cmpx_gt_u32_e32 0x100, v21
	s_cbranch_execz .LBB195_53
; %bb.48:
	v_lshl_add_u32 v4, v22, 2, v0
	s_mov_b32 s2, s27
	s_mov_b32 s1, exec_lo
	ds_read2st64_b32 v[0:1], v4 offset1:4
	ds_read2st64_b32 v[2:3], v4 offset0:8 offset1:12
	s_waitcnt lgkmcnt(1)
	v_add_f32_e32 v0, v0, v1
	v_or_b32_e32 v1, s28, v21
	s_waitcnt lgkmcnt(0)
	v_add_f32_e32 v0, v2, v0
	v_add_f32_e32 v0, v3, v0
                                        ; implicit-def: $vgpr3
	ds_write_b32 v4, v0
                                        ; implicit-def: $vgpr4_vgpr5
	v_cmpx_gt_i32_e64 s8, v1
	s_cbranch_execz .LBB195_52
; %bb.49:
	v_ashrrev_i32_e32 v2, 31, v1
	v_mul_lo_u32 v6, s13, v1
	v_mad_u64_u32 v[4:5], null, s12, v1, 0
	v_cmp_eq_f32_e64 s2, s11, 0
	v_mul_lo_u32 v1, s12, v2
	v_mul_f32_e32 v3, s10, v0
	s_and_b32 vcc_lo, exec_lo, s2
	v_add3_u32 v5, v5, v1, v6
	s_cbranch_vccnz .LBB195_51
; %bb.50:
	v_lshlrev_b64 v[0:1], 2, v[4:5]
	v_add_co_u32 v0, vcc_lo, s5, v0
	v_add_co_ci_u32_e64 v1, null, s26, v1, vcc_lo
	flat_load_dword v0, v[0:1]
	s_waitcnt vmcnt(0) lgkmcnt(0)
	v_fmac_f32_e32 v3, s11, v0
.LBB195_51:
	s_or_b32 s2, s27, exec_lo
.LBB195_52:
	s_or_b32 exec_lo, exec_lo, s1
	s_andn2_b32 s1, s27, exec_lo
	s_and_b32 s2, s2, exec_lo
	s_or_b32 s27, s1, s2
.LBB195_53:
	s_or_b32 exec_lo, exec_lo, s0
.LBB195_54:
	s_and_saveexec_b32 s0, s27
	s_cbranch_execz .LBB195_56
; %bb.55:
	v_lshlrev_b64 v[0:1], 2, v[4:5]
	v_add_co_u32 v0, vcc_lo, s5, v0
	v_add_co_ci_u32_e64 v1, null, s26, v1, vcc_lo
	flat_store_dword v[0:1], v3
.LBB195_56:
	s_endpgm
	.section	.rodata,"a",@progbits
	.p2align	6, 0x0
	.amdhsa_kernel _ZL20rocblas_gemvn_kernelILi64ELi4ElPKffKPfEviiT3_lPKT2_lT1_lS7_lS8_lS4_lPT4_lS8_li
		.amdhsa_group_segment_fixed_size 4096
		.amdhsa_private_segment_fixed_size 0
		.amdhsa_kernarg_size 400
		.amdhsa_user_sgpr_count 6
		.amdhsa_user_sgpr_private_segment_buffer 1
		.amdhsa_user_sgpr_dispatch_ptr 0
		.amdhsa_user_sgpr_queue_ptr 0
		.amdhsa_user_sgpr_kernarg_segment_ptr 1
		.amdhsa_user_sgpr_dispatch_id 0
		.amdhsa_user_sgpr_flat_scratch_init 0
		.amdhsa_user_sgpr_private_segment_size 0
		.amdhsa_wavefront_size32 1
		.amdhsa_uses_dynamic_stack 0
		.amdhsa_system_sgpr_private_segment_wavefront_offset 0
		.amdhsa_system_sgpr_workgroup_id_x 1
		.amdhsa_system_sgpr_workgroup_id_y 0
		.amdhsa_system_sgpr_workgroup_id_z 1
		.amdhsa_system_sgpr_workgroup_info 0
		.amdhsa_system_vgpr_workitem_id 1
		.amdhsa_next_free_vgpr 52
		.amdhsa_next_free_sgpr 35
		.amdhsa_reserve_vcc 1
		.amdhsa_reserve_flat_scratch 1
		.amdhsa_float_round_mode_32 0
		.amdhsa_float_round_mode_16_64 0
		.amdhsa_float_denorm_mode_32 3
		.amdhsa_float_denorm_mode_16_64 3
		.amdhsa_dx10_clamp 1
		.amdhsa_ieee_mode 1
		.amdhsa_fp16_overflow 0
		.amdhsa_workgroup_processor_mode 1
		.amdhsa_memory_ordered 1
		.amdhsa_forward_progress 1
		.amdhsa_shared_vgpr_count 0
		.amdhsa_exception_fp_ieee_invalid_op 0
		.amdhsa_exception_fp_denorm_src 0
		.amdhsa_exception_fp_ieee_div_zero 0
		.amdhsa_exception_fp_ieee_overflow 0
		.amdhsa_exception_fp_ieee_underflow 0
		.amdhsa_exception_fp_ieee_inexact 0
		.amdhsa_exception_int_div_zero 0
	.end_amdhsa_kernel
	.section	.text._ZL20rocblas_gemvn_kernelILi64ELi4ElPKffKPfEviiT3_lPKT2_lT1_lS7_lS8_lS4_lPT4_lS8_li,"axG",@progbits,_ZL20rocblas_gemvn_kernelILi64ELi4ElPKffKPfEviiT3_lPKT2_lT1_lS7_lS8_lS4_lPT4_lS8_li,comdat
.Lfunc_end195:
	.size	_ZL20rocblas_gemvn_kernelILi64ELi4ElPKffKPfEviiT3_lPKT2_lT1_lS7_lS8_lS4_lPT4_lS8_li, .Lfunc_end195-_ZL20rocblas_gemvn_kernelILi64ELi4ElPKffKPfEviiT3_lPKT2_lT1_lS7_lS8_lS4_lPT4_lS8_li
                                        ; -- End function
	.set _ZL20rocblas_gemvn_kernelILi64ELi4ElPKffKPfEviiT3_lPKT2_lT1_lS7_lS8_lS4_lPT4_lS8_li.num_vgpr, 52
	.set _ZL20rocblas_gemvn_kernelILi64ELi4ElPKffKPfEviiT3_lPKT2_lT1_lS7_lS8_lS4_lPT4_lS8_li.num_agpr, 0
	.set _ZL20rocblas_gemvn_kernelILi64ELi4ElPKffKPfEviiT3_lPKT2_lT1_lS7_lS8_lS4_lPT4_lS8_li.numbered_sgpr, 35
	.set _ZL20rocblas_gemvn_kernelILi64ELi4ElPKffKPfEviiT3_lPKT2_lT1_lS7_lS8_lS4_lPT4_lS8_li.num_named_barrier, 0
	.set _ZL20rocblas_gemvn_kernelILi64ELi4ElPKffKPfEviiT3_lPKT2_lT1_lS7_lS8_lS4_lPT4_lS8_li.private_seg_size, 0
	.set _ZL20rocblas_gemvn_kernelILi64ELi4ElPKffKPfEviiT3_lPKT2_lT1_lS7_lS8_lS4_lPT4_lS8_li.uses_vcc, 1
	.set _ZL20rocblas_gemvn_kernelILi64ELi4ElPKffKPfEviiT3_lPKT2_lT1_lS7_lS8_lS4_lPT4_lS8_li.uses_flat_scratch, 1
	.set _ZL20rocblas_gemvn_kernelILi64ELi4ElPKffKPfEviiT3_lPKT2_lT1_lS7_lS8_lS4_lPT4_lS8_li.has_dyn_sized_stack, 0
	.set _ZL20rocblas_gemvn_kernelILi64ELi4ElPKffKPfEviiT3_lPKT2_lT1_lS7_lS8_lS4_lPT4_lS8_li.has_recursion, 0
	.set _ZL20rocblas_gemvn_kernelILi64ELi4ElPKffKPfEviiT3_lPKT2_lT1_lS7_lS8_lS4_lPT4_lS8_li.has_indirect_call, 0
	.section	.AMDGPU.csdata,"",@progbits
; Kernel info:
; codeLenInByte = 2948
; TotalNumSgprs: 37
; NumVgprs: 52
; ScratchSize: 0
; MemoryBound: 0
; FloatMode: 240
; IeeeMode: 1
; LDSByteSize: 4096 bytes/workgroup (compile time only)
; SGPRBlocks: 0
; VGPRBlocks: 6
; NumSGPRsForWavesPerEU: 37
; NumVGPRsForWavesPerEU: 52
; Occupancy: 16
; WaveLimiterHint : 1
; COMPUTE_PGM_RSRC2:SCRATCH_EN: 0
; COMPUTE_PGM_RSRC2:USER_SGPR: 6
; COMPUTE_PGM_RSRC2:TRAP_HANDLER: 0
; COMPUTE_PGM_RSRC2:TGID_X_EN: 1
; COMPUTE_PGM_RSRC2:TGID_Y_EN: 0
; COMPUTE_PGM_RSRC2:TGID_Z_EN: 1
; COMPUTE_PGM_RSRC2:TIDIG_COMP_CNT: 1
	.section	.text._ZL24rocblas_gemv_scal_kernelILi256EPKfPKPfEviT0_lT1_lili,"axG",@progbits,_ZL24rocblas_gemv_scal_kernelILi256EPKfPKPfEviT0_lT1_lili,comdat
	.globl	_ZL24rocblas_gemv_scal_kernelILi256EPKfPKPfEviT0_lT1_lili ; -- Begin function _ZL24rocblas_gemv_scal_kernelILi256EPKfPKPfEviT0_lT1_lili
	.p2align	8
	.type	_ZL24rocblas_gemv_scal_kernelILi256EPKfPKPfEviT0_lT1_lili,@function
_ZL24rocblas_gemv_scal_kernelILi256EPKfPKPfEviT0_lT1_lili: ; @_ZL24rocblas_gemv_scal_kernelILi256EPKfPKPfEviT0_lT1_lili
; %bb.0:
	s_load_dwordx8 s[8:15], s[4:5], 0x8
	s_waitcnt lgkmcnt(0)
	s_mul_i32 s1, s11, s7
	s_mul_hi_u32 s2, s10, s7
	s_add_i32 s3, s2, s1
	s_mul_i32 s2, s10, s7
	s_lshl_b64 s[2:3], s[2:3], 2
	s_add_u32 s2, s8, s2
	s_addc_u32 s3, s9, s3
	s_load_dword s2, s[2:3], 0x0
	s_waitcnt lgkmcnt(0)
	v_cmp_eq_f32_e64 s1, s2, 1.0
	s_and_b32 vcc_lo, exec_lo, s1
	s_cbranch_vccnz .LBB196_5
; %bb.1:
	s_clause 0x1
	s_load_dword s1, s[4:5], 0x4c
	s_load_dword s8, s[4:5], 0x0
	s_waitcnt lgkmcnt(0)
	s_and_b32 s1, s1, 0xffff
	s_ashr_i32 s9, s8, 31
	v_mad_u64_u32 v[0:1], null, s6, s1, v[0:1]
	v_mov_b32_e32 v1, 0
	s_mov_b32 s1, exec_lo
	v_cmpx_gt_i64_e64 s[8:9], v[0:1]
	s_cbranch_execz .LBB196_5
; %bb.2:
	s_load_dword s3, s[4:5], 0x28
	s_mov_b32 s0, s7
	s_mov_b32 s1, 0
	s_lshl_b64 s[0:1], s[0:1], 3
	s_add_u32 s0, s12, s0
	s_addc_u32 s1, s13, s1
	s_lshl_b64 s[4:5], s[14:15], 2
	s_load_dwordx2 s[0:1], s[0:1], 0x0
	s_waitcnt lgkmcnt(0)
	v_mad_u64_u32 v[2:3], null, v0, s3, 0
	s_ashr_i32 s3, s3, 31
	v_mad_u64_u32 v[3:4], null, v0, s3, v[3:4]
	s_add_u32 s0, s0, s4
	v_cmp_eq_f32_e64 s3, s2, 0
	s_addc_u32 s1, s1, s5
	v_lshlrev_b64 v[2:3], 2, v[2:3]
	v_add_co_u32 v2, vcc_lo, s0, v2
	v_add_co_ci_u32_e64 v3, null, s1, v3, vcc_lo
	s_and_b32 vcc_lo, exec_lo, s3
	s_cbranch_vccnz .LBB196_4
; %bb.3:
	flat_load_dword v0, v[2:3]
	s_waitcnt vmcnt(0) lgkmcnt(0)
	v_mul_f32_e32 v1, s2, v0
.LBB196_4:
	flat_store_dword v[2:3], v1
.LBB196_5:
	s_endpgm
	.section	.rodata,"a",@progbits
	.p2align	6, 0x0
	.amdhsa_kernel _ZL24rocblas_gemv_scal_kernelILi256EPKfPKPfEviT0_lT1_lili
		.amdhsa_group_segment_fixed_size 0
		.amdhsa_private_segment_fixed_size 0
		.amdhsa_kernarg_size 320
		.amdhsa_user_sgpr_count 6
		.amdhsa_user_sgpr_private_segment_buffer 1
		.amdhsa_user_sgpr_dispatch_ptr 0
		.amdhsa_user_sgpr_queue_ptr 0
		.amdhsa_user_sgpr_kernarg_segment_ptr 1
		.amdhsa_user_sgpr_dispatch_id 0
		.amdhsa_user_sgpr_flat_scratch_init 0
		.amdhsa_user_sgpr_private_segment_size 0
		.amdhsa_wavefront_size32 1
		.amdhsa_uses_dynamic_stack 0
		.amdhsa_system_sgpr_private_segment_wavefront_offset 0
		.amdhsa_system_sgpr_workgroup_id_x 1
		.amdhsa_system_sgpr_workgroup_id_y 0
		.amdhsa_system_sgpr_workgroup_id_z 1
		.amdhsa_system_sgpr_workgroup_info 0
		.amdhsa_system_vgpr_workitem_id 0
		.amdhsa_next_free_vgpr 5
		.amdhsa_next_free_sgpr 16
		.amdhsa_reserve_vcc 1
		.amdhsa_reserve_flat_scratch 0
		.amdhsa_float_round_mode_32 0
		.amdhsa_float_round_mode_16_64 0
		.amdhsa_float_denorm_mode_32 3
		.amdhsa_float_denorm_mode_16_64 3
		.amdhsa_dx10_clamp 1
		.amdhsa_ieee_mode 1
		.amdhsa_fp16_overflow 0
		.amdhsa_workgroup_processor_mode 1
		.amdhsa_memory_ordered 1
		.amdhsa_forward_progress 1
		.amdhsa_shared_vgpr_count 0
		.amdhsa_exception_fp_ieee_invalid_op 0
		.amdhsa_exception_fp_denorm_src 0
		.amdhsa_exception_fp_ieee_div_zero 0
		.amdhsa_exception_fp_ieee_overflow 0
		.amdhsa_exception_fp_ieee_underflow 0
		.amdhsa_exception_fp_ieee_inexact 0
		.amdhsa_exception_int_div_zero 0
	.end_amdhsa_kernel
	.section	.text._ZL24rocblas_gemv_scal_kernelILi256EPKfPKPfEviT0_lT1_lili,"axG",@progbits,_ZL24rocblas_gemv_scal_kernelILi256EPKfPKPfEviT0_lT1_lili,comdat
.Lfunc_end196:
	.size	_ZL24rocblas_gemv_scal_kernelILi256EPKfPKPfEviT0_lT1_lili, .Lfunc_end196-_ZL24rocblas_gemv_scal_kernelILi256EPKfPKPfEviT0_lT1_lili
                                        ; -- End function
	.set _ZL24rocblas_gemv_scal_kernelILi256EPKfPKPfEviT0_lT1_lili.num_vgpr, 5
	.set _ZL24rocblas_gemv_scal_kernelILi256EPKfPKPfEviT0_lT1_lili.num_agpr, 0
	.set _ZL24rocblas_gemv_scal_kernelILi256EPKfPKPfEviT0_lT1_lili.numbered_sgpr, 16
	.set _ZL24rocblas_gemv_scal_kernelILi256EPKfPKPfEviT0_lT1_lili.num_named_barrier, 0
	.set _ZL24rocblas_gemv_scal_kernelILi256EPKfPKPfEviT0_lT1_lili.private_seg_size, 0
	.set _ZL24rocblas_gemv_scal_kernelILi256EPKfPKPfEviT0_lT1_lili.uses_vcc, 1
	.set _ZL24rocblas_gemv_scal_kernelILi256EPKfPKPfEviT0_lT1_lili.uses_flat_scratch, 0
	.set _ZL24rocblas_gemv_scal_kernelILi256EPKfPKPfEviT0_lT1_lili.has_dyn_sized_stack, 0
	.set _ZL24rocblas_gemv_scal_kernelILi256EPKfPKPfEviT0_lT1_lili.has_recursion, 0
	.set _ZL24rocblas_gemv_scal_kernelILi256EPKfPKPfEviT0_lT1_lili.has_indirect_call, 0
	.section	.AMDGPU.csdata,"",@progbits
; Kernel info:
; codeLenInByte = 272
; TotalNumSgprs: 18
; NumVgprs: 5
; ScratchSize: 0
; MemoryBound: 0
; FloatMode: 240
; IeeeMode: 1
; LDSByteSize: 0 bytes/workgroup (compile time only)
; SGPRBlocks: 0
; VGPRBlocks: 0
; NumSGPRsForWavesPerEU: 18
; NumVGPRsForWavesPerEU: 5
; Occupancy: 16
; WaveLimiterHint : 1
; COMPUTE_PGM_RSRC2:SCRATCH_EN: 0
; COMPUTE_PGM_RSRC2:USER_SGPR: 6
; COMPUTE_PGM_RSRC2:TRAP_HANDLER: 0
; COMPUTE_PGM_RSRC2:TGID_X_EN: 1
; COMPUTE_PGM_RSRC2:TGID_Y_EN: 0
; COMPUTE_PGM_RSRC2:TGID_Z_EN: 1
; COMPUTE_PGM_RSRC2:TIDIG_COMP_CNT: 0
	.section	.text._ZL24rocblas_gemv_scal_kernelILi256EfPKPfEviT0_lT1_lili,"axG",@progbits,_ZL24rocblas_gemv_scal_kernelILi256EfPKPfEviT0_lT1_lili,comdat
	.globl	_ZL24rocblas_gemv_scal_kernelILi256EfPKPfEviT0_lT1_lili ; -- Begin function _ZL24rocblas_gemv_scal_kernelILi256EfPKPfEviT0_lT1_lili
	.p2align	8
	.type	_ZL24rocblas_gemv_scal_kernelILi256EfPKPfEviT0_lT1_lili,@function
_ZL24rocblas_gemv_scal_kernelILi256EfPKPfEviT0_lT1_lili: ; @_ZL24rocblas_gemv_scal_kernelILi256EfPKPfEviT0_lT1_lili
; %bb.0:
	s_load_dwordx2 s[0:1], s[4:5], 0x0
	s_waitcnt lgkmcnt(0)
	v_cmp_eq_f32_e64 s3, s1, 1.0
	s_and_b32 vcc_lo, exec_lo, s3
	s_cbranch_vccnz .LBB197_5
; %bb.1:
	s_load_dword s3, s[4:5], 0x44
	s_mov_b32 s2, s7
	s_ashr_i32 s7, s0, 31
	s_waitcnt lgkmcnt(0)
	s_and_b32 s3, s3, 0xffff
	v_mad_u64_u32 v[0:1], null, s6, s3, v[0:1]
	v_mov_b32_e32 v1, 0
	s_mov_b32 s6, s0
	s_mov_b32 s0, exec_lo
	v_cmpx_gt_i64_e64 s[6:7], v[0:1]
	s_cbranch_execz .LBB197_5
; %bb.2:
	s_clause 0x1
	s_load_dword s0, s[4:5], 0x20
	s_load_dwordx4 s[4:7], s[4:5], 0x10
	s_mov_b32 s3, 0
	s_lshl_b64 s[2:3], s[2:3], 3
	s_waitcnt lgkmcnt(0)
	v_mad_u64_u32 v[2:3], null, v0, s0, 0
	s_add_u32 s2, s4, s2
	s_addc_u32 s3, s5, s3
	s_ashr_i32 s0, s0, 31
	s_load_dwordx2 s[2:3], s[2:3], 0x0
	s_lshl_b64 s[4:5], s[6:7], 2
	v_mad_u64_u32 v[3:4], null, v0, s0, v[3:4]
	v_cmp_eq_f32_e64 s0, s1, 0
	v_lshlrev_b64 v[2:3], 2, v[2:3]
	s_waitcnt lgkmcnt(0)
	s_add_u32 s2, s2, s4
	s_addc_u32 s3, s3, s5
	v_add_co_u32 v2, vcc_lo, s2, v2
	v_add_co_ci_u32_e64 v3, null, s3, v3, vcc_lo
	s_and_b32 vcc_lo, exec_lo, s0
	s_cbranch_vccnz .LBB197_4
; %bb.3:
	flat_load_dword v0, v[2:3]
	s_waitcnt vmcnt(0) lgkmcnt(0)
	v_mul_f32_e32 v1, s1, v0
.LBB197_4:
	flat_store_dword v[2:3], v1
.LBB197_5:
	s_endpgm
	.section	.rodata,"a",@progbits
	.p2align	6, 0x0
	.amdhsa_kernel _ZL24rocblas_gemv_scal_kernelILi256EfPKPfEviT0_lT1_lili
		.amdhsa_group_segment_fixed_size 0
		.amdhsa_private_segment_fixed_size 0
		.amdhsa_kernarg_size 312
		.amdhsa_user_sgpr_count 6
		.amdhsa_user_sgpr_private_segment_buffer 1
		.amdhsa_user_sgpr_dispatch_ptr 0
		.amdhsa_user_sgpr_queue_ptr 0
		.amdhsa_user_sgpr_kernarg_segment_ptr 1
		.amdhsa_user_sgpr_dispatch_id 0
		.amdhsa_user_sgpr_flat_scratch_init 0
		.amdhsa_user_sgpr_private_segment_size 0
		.amdhsa_wavefront_size32 1
		.amdhsa_uses_dynamic_stack 0
		.amdhsa_system_sgpr_private_segment_wavefront_offset 0
		.amdhsa_system_sgpr_workgroup_id_x 1
		.amdhsa_system_sgpr_workgroup_id_y 0
		.amdhsa_system_sgpr_workgroup_id_z 1
		.amdhsa_system_sgpr_workgroup_info 0
		.amdhsa_system_vgpr_workitem_id 0
		.amdhsa_next_free_vgpr 5
		.amdhsa_next_free_sgpr 8
		.amdhsa_reserve_vcc 1
		.amdhsa_reserve_flat_scratch 0
		.amdhsa_float_round_mode_32 0
		.amdhsa_float_round_mode_16_64 0
		.amdhsa_float_denorm_mode_32 3
		.amdhsa_float_denorm_mode_16_64 3
		.amdhsa_dx10_clamp 1
		.amdhsa_ieee_mode 1
		.amdhsa_fp16_overflow 0
		.amdhsa_workgroup_processor_mode 1
		.amdhsa_memory_ordered 1
		.amdhsa_forward_progress 1
		.amdhsa_shared_vgpr_count 0
		.amdhsa_exception_fp_ieee_invalid_op 0
		.amdhsa_exception_fp_denorm_src 0
		.amdhsa_exception_fp_ieee_div_zero 0
		.amdhsa_exception_fp_ieee_overflow 0
		.amdhsa_exception_fp_ieee_underflow 0
		.amdhsa_exception_fp_ieee_inexact 0
		.amdhsa_exception_int_div_zero 0
	.end_amdhsa_kernel
	.section	.text._ZL24rocblas_gemv_scal_kernelILi256EfPKPfEviT0_lT1_lili,"axG",@progbits,_ZL24rocblas_gemv_scal_kernelILi256EfPKPfEviT0_lT1_lili,comdat
.Lfunc_end197:
	.size	_ZL24rocblas_gemv_scal_kernelILi256EfPKPfEviT0_lT1_lili, .Lfunc_end197-_ZL24rocblas_gemv_scal_kernelILi256EfPKPfEviT0_lT1_lili
                                        ; -- End function
	.set _ZL24rocblas_gemv_scal_kernelILi256EfPKPfEviT0_lT1_lili.num_vgpr, 5
	.set _ZL24rocblas_gemv_scal_kernelILi256EfPKPfEviT0_lT1_lili.num_agpr, 0
	.set _ZL24rocblas_gemv_scal_kernelILi256EfPKPfEviT0_lT1_lili.numbered_sgpr, 8
	.set _ZL24rocblas_gemv_scal_kernelILi256EfPKPfEviT0_lT1_lili.num_named_barrier, 0
	.set _ZL24rocblas_gemv_scal_kernelILi256EfPKPfEviT0_lT1_lili.private_seg_size, 0
	.set _ZL24rocblas_gemv_scal_kernelILi256EfPKPfEviT0_lT1_lili.uses_vcc, 1
	.set _ZL24rocblas_gemv_scal_kernelILi256EfPKPfEviT0_lT1_lili.uses_flat_scratch, 0
	.set _ZL24rocblas_gemv_scal_kernelILi256EfPKPfEviT0_lT1_lili.has_dyn_sized_stack, 0
	.set _ZL24rocblas_gemv_scal_kernelILi256EfPKPfEviT0_lT1_lili.has_recursion, 0
	.set _ZL24rocblas_gemv_scal_kernelILi256EfPKPfEviT0_lT1_lili.has_indirect_call, 0
	.section	.AMDGPU.csdata,"",@progbits
; Kernel info:
; codeLenInByte = 240
; TotalNumSgprs: 10
; NumVgprs: 5
; ScratchSize: 0
; MemoryBound: 0
; FloatMode: 240
; IeeeMode: 1
; LDSByteSize: 0 bytes/workgroup (compile time only)
; SGPRBlocks: 0
; VGPRBlocks: 0
; NumSGPRsForWavesPerEU: 10
; NumVGPRsForWavesPerEU: 5
; Occupancy: 16
; WaveLimiterHint : 1
; COMPUTE_PGM_RSRC2:SCRATCH_EN: 0
; COMPUTE_PGM_RSRC2:USER_SGPR: 6
; COMPUTE_PGM_RSRC2:TRAP_HANDLER: 0
; COMPUTE_PGM_RSRC2:TGID_X_EN: 1
; COMPUTE_PGM_RSRC2:TGID_Y_EN: 0
; COMPUTE_PGM_RSRC2:TGID_Z_EN: 1
; COMPUTE_PGM_RSRC2:TIDIG_COMP_CNT: 0
	.section	.text._ZL36rocblas_gemvn_double_buffered_kernelILi128ELi8ELi8EPKfS1_KPfEviiT3_lPKT2_lilS7_lilPT4_lili,"axG",@progbits,_ZL36rocblas_gemvn_double_buffered_kernelILi128ELi8ELi8EPKfS1_KPfEviiT3_lPKT2_lilS7_lilPT4_lili,comdat
	.globl	_ZL36rocblas_gemvn_double_buffered_kernelILi128ELi8ELi8EPKfS1_KPfEviiT3_lPKT2_lilS7_lilPT4_lili ; -- Begin function _ZL36rocblas_gemvn_double_buffered_kernelILi128ELi8ELi8EPKfS1_KPfEviiT3_lPKT2_lilS7_lilPT4_lili
	.p2align	8
	.type	_ZL36rocblas_gemvn_double_buffered_kernelILi128ELi8ELi8EPKfS1_KPfEviiT3_lPKT2_lilS7_lilPT4_lili,@function
_ZL36rocblas_gemvn_double_buffered_kernelILi128ELi8ELi8EPKfS1_KPfEviiT3_lPKT2_lilS7_lilPT4_lili: ; @_ZL36rocblas_gemvn_double_buffered_kernelILi128ELi8ELi8EPKfS1_KPfEviiT3_lPKT2_lilS7_lilPT4_lili
; %bb.0:
	s_load_dwordx8 s[12:19], s[4:5], 0x8
	s_mov_b32 s9, 0
	s_waitcnt lgkmcnt(0)
	s_mul_i32 s0, s15, s8
	s_mul_hi_u32 s1, s14, s8
	s_add_i32 s1, s1, s0
	s_mul_i32 s0, s14, s8
	s_lshl_b64 s[0:1], s[0:1], 2
	s_add_u32 s0, s12, s0
	s_addc_u32 s1, s13, s1
	s_load_dword s26, s[0:1], 0x0
	s_waitcnt lgkmcnt(0)
	v_cmp_eq_f32_e64 s0, s26, 0
	s_and_b32 vcc_lo, exec_lo, s0
	s_cbranch_vccnz .LBB198_12
; %bb.1:
	s_clause 0x1
	s_load_dword s0, s[4:5], 0x84
	s_load_dword s1, s[4:5], 0x4
	s_waitcnt lgkmcnt(0)
	v_cvt_f32_u32_e32 v2, s0
	s_ashr_i32 s3, s1, 31
	s_sub_i32 s10, 0, s0
	s_lshr_b32 s3, s3, 25
	s_add_i32 s1, s1, s3
	v_rcp_iflag_f32_e32 v2, v2
	s_ashr_i32 s1, s1, 7
	v_mul_f32_e32 v2, 0x4f7ffffe, v2
	v_cvt_u32_f32_e32 v2, v2
	v_readfirstlane_b32 s2, v2
	s_mul_i32 s10, s10, s2
	s_mul_hi_u32 s3, s2, s10
	s_add_i32 s2, s2, s3
	s_mul_hi_u32 s2, s1, s2
	s_mul_i32 s3, s2, s0
	s_add_i32 s10, s2, 1
	s_sub_i32 s3, s1, s3
	s_sub_i32 s11, s3, s0
	s_cmp_ge_u32 s3, s0
	s_cselect_b32 s2, s10, s2
	s_cselect_b32 s3, s11, s3
	s_add_i32 s10, s2, 1
	s_cmp_ge_u32 s3, s0
	s_cselect_b32 s10, s10, s2
	s_mul_i32 s0, s10, s0
	s_sub_i32 s11, s1, s0
	s_cmp_lt_u32 s7, s11
	s_cselect_b32 s0, -1, 0
	s_cmp_lg_u32 s0, 0
	s_addc_u32 s27, s10, 0
	s_cmp_eq_u32 s27, 0
	s_cbranch_scc1 .LBB198_12
; %bb.2:
	s_load_dwordx4 s[0:3], s[4:5], 0x58
	s_lshl_b64 s[22:23], s[8:9], 3
	v_lshl_add_u32 v4, v1, 7, v0
	v_and_b32_e32 v2, 63, v0
	v_lshrrev_b32_e32 v22, 6, v4
	v_lshlrev_b32_e32 v23, 2, v2
	s_waitcnt lgkmcnt(0)
	s_add_u32 s0, s0, s22
	s_addc_u32 s1, s1, s23
	s_lshl_b32 s12, s6, 7
	s_load_dwordx2 s[0:1], s[0:1], 0x0
	s_ashr_i32 s13, s12, 31
	s_cmp_lt_i32 s27, 1
	s_cbranch_scc1 .LBB198_8
; %bb.3:
	v_cvt_f64_i32_e32 v[5:6], s7
	v_cvt_f64_u32_e32 v[7:8], s11
	s_mul_i32 s10, s10, s7
	s_load_dword s20, s[4:5], 0x28
	v_cvt_f64_u32_e32 v[9:10], s10
	s_clause 0x1
	s_load_dwordx4 s[8:11], s[4:5], 0x38
	s_load_dword s14, s[4:5], 0x48
	v_mov_b32_e32 v3, 0
	v_lshrrev_b32_e32 v4, 1, v4
	v_and_b32_e32 v4, 0x1ffe0, v4
	s_waitcnt lgkmcnt(0)
	s_ashr_i32 s21, s20, 31
	v_min_f64 v[5:6], v[5:6], v[7:8]
	s_add_u32 s6, s16, s22
	s_addc_u32 s7, s17, s23
	s_add_u32 s8, s8, s22
	s_load_dwordx2 s[24:25], s[6:7], 0x0
	s_addc_u32 s9, s9, s23
	s_lshl_b64 s[22:23], s[18:19], 2
	s_ashr_i32 s15, s14, 31
	v_add_f64 v[5:6], v[5:6], v[9:10]
	s_waitcnt lgkmcnt(0)
	s_add_u32 s6, s24, s22
	s_addc_u32 s7, s25, s23
	s_lshl_b64 s[28:29], s[12:13], 2
	s_add_u32 s13, s6, s28
	s_addc_u32 s18, s7, s29
	v_cvt_i32_f64_e32 v7, v[5:6]
	v_lshlrev_b32_e32 v5, 3, v22
	v_mad_i64_i32 v[5:6], null, s20, v5, v[2:3]
	v_lshlrev_b64 v[5:6], 2, v[5:6]
	v_readfirstlane_b32 s16, v7
	s_lshl_b32 s16, s16, 7
	s_mul_hi_i32 s7, s16, s20
	s_mul_i32 s6, s16, s20
	s_ashr_i32 s17, s16, 31
	s_lshl_b64 s[6:7], s[6:7], 2
	s_add_u32 s6, s13, s6
	s_addc_u32 s7, s18, s7
	v_add_co_u32 v5, vcc_lo, s6, v5
	v_add_co_ci_u32_e64 v6, null, s7, v6, vcc_lo
	s_lshl_b64 s[6:7], s[20:21], 2
	s_add_i32 s13, s27, -1
	v_add_co_u32 v7, vcc_lo, v5, s6
	v_add_co_ci_u32_e64 v8, null, s7, v6, vcc_lo
	v_add_co_u32 v9, vcc_lo, v7, s6
	v_add_co_ci_u32_e64 v10, null, s7, v8, vcc_lo
	;; [unrolled: 2-line block ×7, first 2 shown]
	s_clause 0x6
	flat_load_dword v30, v[5:6]
	flat_load_dword v29, v[7:8]
	;; [unrolled: 1-line block ×8, first 2 shown]
	s_load_dwordx2 s[18:19], s[8:9], 0x0
	s_lshl_b64 s[8:9], s[16:17], 2
	s_lshl_b32 s16, s14, 7
	v_add_co_u32 v20, s8, v4, s8
	v_add_co_ci_u32_e64 v21, null, 0, s9, s8
	s_lshl_b64 s[8:9], s[20:21], 9
	v_add_co_u32 v4, vcc_lo, 0x208, v20
	v_add_co_ci_u32_e64 v5, null, 0, v21, vcc_lo
	v_add_co_u32 v6, vcc_lo, 0x20c, v20
	v_add_co_ci_u32_e64 v7, null, 0, v21, vcc_lo
	;; [unrolled: 2-line block ×3, first 2 shown]
	v_add_co_u32 v10, vcc_lo, 0x214, v20
	s_ashr_i32 s17, s16, 31
	s_add_u32 s24, s24, s28
	v_add_co_ci_u32_e64 v11, null, 0, v21, vcc_lo
	v_add_co_u32 v12, vcc_lo, 0x218, v20
	s_addc_u32 s25, s25, s29
	s_add_u32 s22, s24, s22
	v_add_co_ci_u32_e64 v13, null, 0, v21, vcc_lo
	v_add_co_u32 v14, vcc_lo, 0x21c, v20
	s_addc_u32 s23, s25, s23
	v_add_co_ci_u32_e64 v15, null, 0, v21, vcc_lo
	v_mul_lo_u32 v16, v4, s21
	v_mul_lo_u32 v17, v5, s20
	v_mad_u64_u32 v[4:5], null, v4, s20, s[22:23]
	v_mul_lo_u32 v18, v6, s21
	v_mul_lo_u32 v19, v7, s20
	v_mad_u64_u32 v[6:7], null, v6, s20, s[22:23]
	;; [unrolled: 3-line block ×4, first 2 shown]
	v_add3_u32 v5, v17, v5, v16
	v_add_co_u32 v16, vcc_lo, 0x204, v20
	v_mul_lo_u32 v33, v10, s21
	v_mul_lo_u32 v34, v11, s20
	v_mad_u64_u32 v[10:11], null, v10, s20, s[22:23]
	v_mul_lo_u32 v35, v12, s21
	v_mul_lo_u32 v36, v13, s20
	v_mad_u64_u32 v[12:13], null, v12, s20, s[22:23]
	v_add3_u32 v7, v19, v7, v18
	v_add_co_ci_u32_e64 v17, null, 0, v21, vcc_lo
	v_add_co_u32 v18, vcc_lo, 0x200, v20
	v_add3_u32 v9, v32, v9, v31
	v_add3_u32 v15, v38, v15, v37
	v_add_co_ci_u32_e64 v19, null, 0, v21, vcc_lo
	v_mul_lo_u32 v37, v20, s21
	v_mul_lo_u32 v38, v21, s20
	v_mad_u64_u32 v[31:32], null, v20, s20, s[22:23]
	s_lshl_b64 s[10:11], s[10:11], 2
	v_add3_u32 v11, v34, v11, v33
	s_waitcnt lgkmcnt(0)
	s_add_u32 s10, s18, s10
	s_addc_u32 s11, s19, s11
	v_add3_u32 v13, v36, v13, v35
	v_mul_lo_u32 v33, v16, s21
	v_mul_lo_u32 v34, v17, s20
	v_mad_u64_u32 v[16:17], null, v16, s20, s[22:23]
	v_mul_lo_u32 v35, v18, s21
	v_mul_lo_u32 v36, v19, s20
	v_mad_u64_u32 v[18:19], null, v18, s20, s[22:23]
	;; [unrolled: 3-line block ×3, first 2 shown]
	v_add3_u32 v32, v38, v32, v37
	v_add_co_u32 v31, vcc_lo, 0x100, v31
	v_add3_u32 v17, v34, v17, v33
	v_add3_u32 v19, v36, v19, v35
	v_add_co_ci_u32_e64 v32, null, 0, v32, vcc_lo
	v_add3_u32 v21, v40, v21, v39
	v_mov_b32_e32 v33, v3
	s_lshl_b64 s[10:11], s[16:17], 2
	s_lshl_b64 s[14:15], s[14:15], 2
	s_mov_b32 s16, 0
	s_waitcnt vmcnt(7)
	v_mov_b32_e32 v34, v30
	s_waitcnt vmcnt(6)
	v_mov_b32_e32 v35, v29
	;; [unrolled: 2-line block ×8, first 2 shown]
.LBB198_4:                              ; =>This Inner Loop Header: Depth=1
	v_add_co_u32 v42, vcc_lo, v31, v23
	v_add_co_ci_u32_e64 v43, null, 0, v32, vcc_lo
	s_cmp_eq_u32 s13, s16
	v_add_co_u32 v44, vcc_lo, v42, s6
	v_add_co_ci_u32_e64 v45, null, s7, v43, vcc_lo
	v_add_co_u32 v46, vcc_lo, v44, s6
	v_add_co_ci_u32_e64 v47, null, s7, v45, vcc_lo
	;; [unrolled: 2-line block ×13, first 2 shown]
	s_clause 0x7
	flat_load_dword v54, v[42:43]
	flat_load_dword v53, v[44:45]
	flat_load_dword v51, v[46:47]
	flat_load_dword v47, v[55:56]
	flat_load_dword v45, v[60:61]
	flat_load_dword v44, v[64:65]
	flat_load_dword v43, v[68:69]
	flat_load_dword v42, v[72:73]
	v_add_co_u32 v60, vcc_lo, v74, s14
	v_add_co_ci_u32_e64 v61, null, s15, v75, vcc_lo
	s_clause 0x7
	flat_load_dword v57, v[20:21]
	flat_load_dword v56, v[48:49]
	;; [unrolled: 1-line block ×8, first 2 shown]
	s_cbranch_scc1 .LBB198_6
; %bb.5:                                ;   in Loop: Header=BB198_4 Depth=1
	v_add_co_u32 v34, vcc_lo, v18, v23
	v_add_co_ci_u32_e64 v35, null, 0, v19, vcc_lo
	v_add_co_u32 v36, vcc_lo, v16, v23
	v_add_co_ci_u32_e64 v37, null, 0, v17, vcc_lo
	;; [unrolled: 2-line block ×3, first 2 shown]
	flat_load_dword v34, v[34:35]
	flat_load_dword v35, v[36:37]
	;; [unrolled: 1-line block ×3, first 2 shown]
	v_add_co_u32 v37, vcc_lo, v6, v23
	v_add_co_ci_u32_e64 v38, null, 0, v7, vcc_lo
	v_add_co_u32 v39, vcc_lo, v8, v23
	v_add_co_ci_u32_e64 v40, null, 0, v9, vcc_lo
	;; [unrolled: 2-line block ×5, first 2 shown]
	flat_load_dword v37, v[37:38]
	flat_load_dword v38, v[39:40]
	;; [unrolled: 1-line block ×5, first 2 shown]
.LBB198_6:                              ;   in Loop: Header=BB198_4 Depth=1
	s_waitcnt vmcnt(7) lgkmcnt(7)
	v_fmac_f32_e32 v33, v30, v57
	v_fmac_f32_e32 v3, v54, v57
	v_add_co_u32 v4, vcc_lo, v4, s8
	v_add_co_ci_u32_e64 v5, null, s9, v5, vcc_lo
	s_waitcnt vmcnt(6) lgkmcnt(6)
	v_fmac_f32_e32 v33, v29, v56
	v_fmac_f32_e32 v3, v53, v56
	v_add_co_u32 v6, vcc_lo, v6, s8
	v_add_co_ci_u32_e64 v7, null, s9, v7, vcc_lo
	;; [unrolled: 5-line block ×6, first 2 shown]
	v_add_co_u32 v16, vcc_lo, v16, s8
	v_add_co_ci_u32_e64 v17, null, s9, v17, vcc_lo
	v_add_co_u32 v18, vcc_lo, v18, s8
	s_waitcnt vmcnt(1) lgkmcnt(1)
	v_fmac_f32_e32 v33, v24, v48
	v_fmac_f32_e32 v3, v43, v48
	v_add_co_ci_u32_e64 v19, null, s9, v19, vcc_lo
	v_add_co_u32 v31, vcc_lo, v31, s8
	v_add_co_ci_u32_e64 v32, null, s9, v32, vcc_lo
	v_add_co_u32 v20, vcc_lo, v20, s10
	s_waitcnt vmcnt(0) lgkmcnt(0)
	v_fmac_f32_e32 v33, v2, v46
	v_fmac_f32_e32 v3, v42, v46
	v_add_co_ci_u32_e64 v21, null, s11, v21, vcc_lo
	s_add_i32 s16, s16, 1
	s_cmp_lt_i32 s16, s27
	s_cbranch_scc0 .LBB198_9
; %bb.7:                                ;   in Loop: Header=BB198_4 Depth=1
	v_mov_b32_e32 v30, v34
	v_mov_b32_e32 v29, v35
	;; [unrolled: 1-line block ×8, first 2 shown]
	s_branch .LBB198_4
.LBB198_8:
	v_mov_b32_e32 v3, 0
	v_mov_b32_e32 v33, 0
.LBB198_9:
	v_lshl_or_b32 v2, v22, 9, v23
	s_mov_b32 s6, 0
	s_mov_b32 s7, exec_lo
	ds_write2st64_b32 v2, v33, v3 offset1:1
	s_waitcnt lgkmcnt(0)
	s_barrier
	buffer_gl0_inv
	v_cmpx_eq_u32_e32 0, v1
	s_cbranch_execz .LBB198_12
; %bb.10:
	s_load_dword s4, s[4:5], 0x68
	s_lshl_b64 s[2:3], s[2:3], 2
	s_add_u32 s2, s0, s2
	s_addc_u32 s3, s1, s3
	s_waitcnt lgkmcnt(0)
	v_mad_i64_i32 v[1:2], null, s4, v0, 0
	s_mul_hi_i32 s1, s4, s12
	s_mul_i32 s0, s4, s12
	v_lshlrev_b32_e32 v0, 2, v0
	s_lshl_b64 s[0:1], s[0:1], 2
	s_add_u32 s0, s2, s0
	v_lshlrev_b64 v[1:2], 2, v[1:2]
	s_addc_u32 s1, s3, s1
	v_add_co_u32 v1, vcc_lo, s0, v1
	v_add_co_ci_u32_e64 v2, null, s1, v2, vcc_lo
	flat_load_dword v4, v[1:2]
	ds_read2st64_b32 v[5:6], v0 offset1:2
	ds_read2st64_b32 v[7:8], v0 offset0:4 offset1:6
	ds_read2st64_b32 v[9:10], v0 offset0:8 offset1:10
	s_waitcnt lgkmcnt(2)
	v_add_f32_e32 v3, 0, v5
	v_add_f32_e32 v3, v3, v6
	ds_read2st64_b32 v[5:6], v0 offset0:12 offset1:14
	s_waitcnt lgkmcnt(2)
	v_add_f32_e32 v3, v3, v7
	v_add_f32_e32 v3, v3, v8
	;; [unrolled: 4-line block ×6, first 2 shown]
	s_waitcnt lgkmcnt(1)
	v_add_f32_e32 v0, v0, v5
	v_add_f32_e32 v0, v0, v6
	s_waitcnt lgkmcnt(0)
	v_add_f32_e32 v0, v0, v7
	v_add_f32_e32 v0, v0, v8
	v_mul_f32_e32 v0, s26, v0
.LBB198_11:                             ; =>This Inner Loop Header: Depth=1
	s_waitcnt vmcnt(0)
	v_add_f32_e32 v3, v4, v0
	flat_atomic_cmpswap v3, v[1:2], v[3:4] glc
	s_waitcnt vmcnt(0) lgkmcnt(0)
	v_cmp_eq_u32_e32 vcc_lo, v3, v4
	v_mov_b32_e32 v4, v3
	s_or_b32 s6, vcc_lo, s6
	s_andn2_b32 exec_lo, exec_lo, s6
	s_cbranch_execnz .LBB198_11
.LBB198_12:
	s_endpgm
	.section	.rodata,"a",@progbits
	.p2align	6, 0x0
	.amdhsa_kernel _ZL36rocblas_gemvn_double_buffered_kernelILi128ELi8ELi8EPKfS1_KPfEviiT3_lPKT2_lilS7_lilPT4_lili
		.amdhsa_group_segment_fixed_size 8192
		.amdhsa_private_segment_fixed_size 0
		.amdhsa_kernarg_size 384
		.amdhsa_user_sgpr_count 6
		.amdhsa_user_sgpr_private_segment_buffer 1
		.amdhsa_user_sgpr_dispatch_ptr 0
		.amdhsa_user_sgpr_queue_ptr 0
		.amdhsa_user_sgpr_kernarg_segment_ptr 1
		.amdhsa_user_sgpr_dispatch_id 0
		.amdhsa_user_sgpr_flat_scratch_init 0
		.amdhsa_user_sgpr_private_segment_size 0
		.amdhsa_wavefront_size32 1
		.amdhsa_uses_dynamic_stack 0
		.amdhsa_system_sgpr_private_segment_wavefront_offset 0
		.amdhsa_system_sgpr_workgroup_id_x 1
		.amdhsa_system_sgpr_workgroup_id_y 1
		.amdhsa_system_sgpr_workgroup_id_z 1
		.amdhsa_system_sgpr_workgroup_info 0
		.amdhsa_system_vgpr_workitem_id 1
		.amdhsa_next_free_vgpr 76
		.amdhsa_next_free_sgpr 30
		.amdhsa_reserve_vcc 1
		.amdhsa_reserve_flat_scratch 1
		.amdhsa_float_round_mode_32 0
		.amdhsa_float_round_mode_16_64 0
		.amdhsa_float_denorm_mode_32 3
		.amdhsa_float_denorm_mode_16_64 3
		.amdhsa_dx10_clamp 1
		.amdhsa_ieee_mode 1
		.amdhsa_fp16_overflow 0
		.amdhsa_workgroup_processor_mode 1
		.amdhsa_memory_ordered 1
		.amdhsa_forward_progress 1
		.amdhsa_shared_vgpr_count 0
		.amdhsa_exception_fp_ieee_invalid_op 0
		.amdhsa_exception_fp_denorm_src 0
		.amdhsa_exception_fp_ieee_div_zero 0
		.amdhsa_exception_fp_ieee_overflow 0
		.amdhsa_exception_fp_ieee_underflow 0
		.amdhsa_exception_fp_ieee_inexact 0
		.amdhsa_exception_int_div_zero 0
	.end_amdhsa_kernel
	.section	.text._ZL36rocblas_gemvn_double_buffered_kernelILi128ELi8ELi8EPKfS1_KPfEviiT3_lPKT2_lilS7_lilPT4_lili,"axG",@progbits,_ZL36rocblas_gemvn_double_buffered_kernelILi128ELi8ELi8EPKfS1_KPfEviiT3_lPKT2_lilS7_lilPT4_lili,comdat
.Lfunc_end198:
	.size	_ZL36rocblas_gemvn_double_buffered_kernelILi128ELi8ELi8EPKfS1_KPfEviiT3_lPKT2_lilS7_lilPT4_lili, .Lfunc_end198-_ZL36rocblas_gemvn_double_buffered_kernelILi128ELi8ELi8EPKfS1_KPfEviiT3_lPKT2_lilS7_lilPT4_lili
                                        ; -- End function
	.set _ZL36rocblas_gemvn_double_buffered_kernelILi128ELi8ELi8EPKfS1_KPfEviiT3_lPKT2_lilS7_lilPT4_lili.num_vgpr, 76
	.set _ZL36rocblas_gemvn_double_buffered_kernelILi128ELi8ELi8EPKfS1_KPfEviiT3_lPKT2_lilS7_lilPT4_lili.num_agpr, 0
	.set _ZL36rocblas_gemvn_double_buffered_kernelILi128ELi8ELi8EPKfS1_KPfEviiT3_lPKT2_lilS7_lilPT4_lili.numbered_sgpr, 30
	.set _ZL36rocblas_gemvn_double_buffered_kernelILi128ELi8ELi8EPKfS1_KPfEviiT3_lPKT2_lilS7_lilPT4_lili.num_named_barrier, 0
	.set _ZL36rocblas_gemvn_double_buffered_kernelILi128ELi8ELi8EPKfS1_KPfEviiT3_lPKT2_lilS7_lilPT4_lili.private_seg_size, 0
	.set _ZL36rocblas_gemvn_double_buffered_kernelILi128ELi8ELi8EPKfS1_KPfEviiT3_lPKT2_lilS7_lilPT4_lili.uses_vcc, 1
	.set _ZL36rocblas_gemvn_double_buffered_kernelILi128ELi8ELi8EPKfS1_KPfEviiT3_lPKT2_lilS7_lilPT4_lili.uses_flat_scratch, 1
	.set _ZL36rocblas_gemvn_double_buffered_kernelILi128ELi8ELi8EPKfS1_KPfEviiT3_lPKT2_lilS7_lilPT4_lili.has_dyn_sized_stack, 0
	.set _ZL36rocblas_gemvn_double_buffered_kernelILi128ELi8ELi8EPKfS1_KPfEviiT3_lPKT2_lilS7_lilPT4_lili.has_recursion, 0
	.set _ZL36rocblas_gemvn_double_buffered_kernelILi128ELi8ELi8EPKfS1_KPfEviiT3_lPKT2_lilS7_lilPT4_lili.has_indirect_call, 0
	.section	.AMDGPU.csdata,"",@progbits
; Kernel info:
; codeLenInByte = 2580
; TotalNumSgprs: 32
; NumVgprs: 76
; ScratchSize: 0
; MemoryBound: 0
; FloatMode: 240
; IeeeMode: 1
; LDSByteSize: 8192 bytes/workgroup (compile time only)
; SGPRBlocks: 0
; VGPRBlocks: 9
; NumSGPRsForWavesPerEU: 32
; NumVGPRsForWavesPerEU: 76
; Occupancy: 12
; WaveLimiterHint : 1
; COMPUTE_PGM_RSRC2:SCRATCH_EN: 0
; COMPUTE_PGM_RSRC2:USER_SGPR: 6
; COMPUTE_PGM_RSRC2:TRAP_HANDLER: 0
; COMPUTE_PGM_RSRC2:TGID_X_EN: 1
; COMPUTE_PGM_RSRC2:TGID_Y_EN: 1
; COMPUTE_PGM_RSRC2:TGID_Z_EN: 1
; COMPUTE_PGM_RSRC2:TIDIG_COMP_CNT: 1
	.section	.text._ZL36rocblas_gemvn_double_buffered_kernelILi128ELi8ELi8EPKffKPfEviiT3_lPKT2_lilS7_lilPT4_lili,"axG",@progbits,_ZL36rocblas_gemvn_double_buffered_kernelILi128ELi8ELi8EPKffKPfEviiT3_lPKT2_lilS7_lilPT4_lili,comdat
	.globl	_ZL36rocblas_gemvn_double_buffered_kernelILi128ELi8ELi8EPKffKPfEviiT3_lPKT2_lilS7_lilPT4_lili ; -- Begin function _ZL36rocblas_gemvn_double_buffered_kernelILi128ELi8ELi8EPKffKPfEviiT3_lPKT2_lilS7_lilPT4_lili
	.p2align	8
	.type	_ZL36rocblas_gemvn_double_buffered_kernelILi128ELi8ELi8EPKffKPfEviiT3_lPKT2_lilS7_lilPT4_lili,@function
_ZL36rocblas_gemvn_double_buffered_kernelILi128ELi8ELi8EPKffKPfEviiT3_lPKT2_lilS7_lilPT4_lili: ; @_ZL36rocblas_gemvn_double_buffered_kernelILi128ELi8ELi8EPKffKPfEviiT3_lPKT2_lilS7_lilPT4_lili
; %bb.0:
	s_load_dwordx2 s[10:11], s[4:5], 0x4
	s_waitcnt lgkmcnt(0)
	v_cmp_eq_f32_e64 s0, s11, 0
	s_and_b32 vcc_lo, exec_lo, s0
	s_cbranch_vccnz .LBB199_12
; %bb.1:
	s_load_dword s0, s[4:5], 0x84
	s_ashr_i32 s2, s10, 31
	s_lshr_b32 s2, s2, 25
	s_add_i32 s2, s10, s2
	s_ashr_i32 s2, s2, 7
	s_waitcnt lgkmcnt(0)
	v_cvt_f32_u32_e32 v2, s0
	s_sub_i32 s3, 0, s0
	v_rcp_iflag_f32_e32 v2, v2
	v_mul_f32_e32 v2, 0x4f7ffffe, v2
	v_cvt_u32_f32_e32 v2, v2
	v_readfirstlane_b32 s1, v2
	s_mul_i32 s3, s3, s1
	s_mul_hi_u32 s3, s1, s3
	s_add_i32 s1, s1, s3
	s_mul_hi_u32 s1, s2, s1
	s_mul_i32 s3, s1, s0
	s_add_i32 s9, s1, 1
	s_sub_i32 s3, s2, s3
	s_sub_i32 s10, s3, s0
	s_cmp_ge_u32 s3, s0
	s_cselect_b32 s1, s9, s1
	s_cselect_b32 s3, s10, s3
	s_add_i32 s9, s1, 1
	s_cmp_ge_u32 s3, s0
	s_cselect_b32 s12, s9, s1
	s_mul_i32 s0, s12, s0
	s_sub_i32 s13, s2, s0
	s_cmp_lt_u32 s7, s13
	s_cselect_b32 s0, -1, 0
	s_cmp_lg_u32 s0, 0
	s_addc_u32 s10, s12, 0
	s_cmp_eq_u32 s10, 0
	s_cbranch_scc1 .LBB199_12
; %bb.2:
	s_load_dwordx4 s[0:3], s[4:5], 0x58
	s_mov_b32 s9, 0
	v_lshl_add_u32 v4, v1, 7, v0
	s_lshl_b64 s[22:23], s[8:9], 3
	v_and_b32_e32 v2, 63, v0
	v_lshrrev_b32_e32 v22, 6, v4
	v_lshlrev_b32_e32 v23, 2, v2
	s_waitcnt lgkmcnt(0)
	s_add_u32 s0, s0, s22
	s_addc_u32 s1, s1, s23
	s_lshl_b32 s16, s6, 7
	s_load_dwordx2 s[0:1], s[0:1], 0x0
	s_ashr_i32 s17, s16, 31
	s_cmp_lt_i32 s10, 1
	s_cbranch_scc1 .LBB199_8
; %bb.3:
	v_cvt_f64_i32_e32 v[5:6], s7
	v_cvt_f64_u32_e32 v[7:8], s13
	s_mul_i32 s12, s12, s7
	s_clause 0x1
	s_load_dwordx4 s[24:27], s[4:5], 0x18
	s_load_dword s20, s[4:5], 0x28
	v_cvt_f64_u32_e32 v[9:10], s12
	s_clause 0x1
	s_load_dwordx4 s[12:15], s[4:5], 0x38
	s_load_dword s18, s[4:5], 0x48
	v_mov_b32_e32 v3, 0
	v_lshrrev_b32_e32 v4, 1, v4
	v_and_b32_e32 v4, 0x1ffe0, v4
	s_waitcnt lgkmcnt(0)
	s_ashr_i32 s21, s20, 31
	v_min_f64 v[5:6], v[5:6], v[7:8]
	s_add_u32 s6, s24, s22
	s_addc_u32 s7, s25, s23
	s_add_u32 s12, s12, s22
	s_load_dwordx2 s[28:29], s[6:7], 0x0
	s_addc_u32 s13, s13, s23
	s_lshl_b64 s[26:27], s[26:27], 2
	s_ashr_i32 s19, s18, 31
	v_add_f64 v[5:6], v[5:6], v[9:10]
	s_waitcnt lgkmcnt(0)
	s_add_u32 s6, s28, s26
	s_addc_u32 s7, s29, s27
	s_lshl_b64 s[30:31], s[16:17], 2
	s_add_u32 s17, s6, s30
	s_addc_u32 s24, s7, s31
	v_cvt_i32_f64_e32 v7, v[5:6]
	v_lshlrev_b32_e32 v5, 3, v22
	v_mad_i64_i32 v[5:6], null, s20, v5, v[2:3]
	v_lshlrev_b64 v[5:6], 2, v[5:6]
	v_readfirstlane_b32 s8, v7
	s_lshl_b32 s22, s8, 7
	s_mul_hi_i32 s7, s22, s20
	s_mul_i32 s6, s22, s20
	s_ashr_i32 s23, s22, 31
	s_lshl_b64 s[6:7], s[6:7], 2
	s_add_u32 s6, s17, s6
	s_addc_u32 s7, s24, s7
	v_add_co_u32 v5, vcc_lo, s6, v5
	v_add_co_ci_u32_e64 v6, null, s7, v6, vcc_lo
	s_lshl_b64 s[6:7], s[20:21], 2
	v_add_co_u32 v7, vcc_lo, v5, s6
	v_add_co_ci_u32_e64 v8, null, s7, v6, vcc_lo
	v_add_co_u32 v9, vcc_lo, v7, s6
	v_add_co_ci_u32_e64 v10, null, s7, v8, vcc_lo
	;; [unrolled: 2-line block ×7, first 2 shown]
	s_clause 0x6
	flat_load_dword v30, v[5:6]
	flat_load_dword v29, v[7:8]
	;; [unrolled: 1-line block ×8, first 2 shown]
	s_load_dwordx2 s[24:25], s[12:13], 0x0
	s_lshl_b64 s[12:13], s[22:23], 2
	s_lshl_b32 s22, s18, 7
	v_add_co_u32 v20, s8, v4, s12
	v_add_co_ci_u32_e64 v21, null, 0, s13, s8
	s_lshl_b64 s[12:13], s[20:21], 9
	v_add_co_u32 v4, vcc_lo, 0x208, v20
	v_add_co_ci_u32_e64 v5, null, 0, v21, vcc_lo
	v_add_co_u32 v6, vcc_lo, 0x20c, v20
	v_add_co_ci_u32_e64 v7, null, 0, v21, vcc_lo
	v_add_co_u32 v8, vcc_lo, 0x210, v20
	v_add_co_ci_u32_e64 v9, null, 0, v21, vcc_lo
	v_add_co_u32 v10, vcc_lo, 0x214, v20
	s_add_i32 s8, s10, -1
	s_ashr_i32 s23, s22, 31
	s_add_u32 s17, s28, s30
	v_add_co_ci_u32_e64 v11, null, 0, v21, vcc_lo
	v_add_co_u32 v12, vcc_lo, 0x218, v20
	s_addc_u32 s28, s29, s31
	s_add_u32 s26, s17, s26
	v_add_co_ci_u32_e64 v13, null, 0, v21, vcc_lo
	v_add_co_u32 v14, vcc_lo, 0x21c, v20
	s_addc_u32 s27, s28, s27
	v_add_co_ci_u32_e64 v15, null, 0, v21, vcc_lo
	v_mul_lo_u32 v16, v4, s21
	v_mul_lo_u32 v17, v5, s20
	v_mad_u64_u32 v[4:5], null, v4, s20, s[26:27]
	v_mul_lo_u32 v18, v6, s21
	v_mul_lo_u32 v19, v7, s20
	v_mad_u64_u32 v[6:7], null, v6, s20, s[26:27]
	;; [unrolled: 3-line block ×4, first 2 shown]
	v_add3_u32 v5, v17, v5, v16
	v_add_co_u32 v16, vcc_lo, 0x204, v20
	v_mul_lo_u32 v33, v10, s21
	v_mul_lo_u32 v34, v11, s20
	v_mad_u64_u32 v[10:11], null, v10, s20, s[26:27]
	v_mul_lo_u32 v35, v12, s21
	v_mul_lo_u32 v36, v13, s20
	v_mad_u64_u32 v[12:13], null, v12, s20, s[26:27]
	v_add3_u32 v7, v19, v7, v18
	v_add_co_ci_u32_e64 v17, null, 0, v21, vcc_lo
	v_add_co_u32 v18, vcc_lo, 0x200, v20
	v_add3_u32 v9, v32, v9, v31
	v_add3_u32 v15, v38, v15, v37
	v_add_co_ci_u32_e64 v19, null, 0, v21, vcc_lo
	v_mul_lo_u32 v37, v20, s21
	v_mul_lo_u32 v38, v21, s20
	v_mad_u64_u32 v[31:32], null, v20, s20, s[26:27]
	s_lshl_b64 s[14:15], s[14:15], 2
	v_add3_u32 v11, v34, v11, v33
	s_waitcnt lgkmcnt(0)
	s_add_u32 s14, s24, s14
	s_addc_u32 s15, s25, s15
	v_add3_u32 v13, v36, v13, v35
	v_mul_lo_u32 v33, v16, s21
	v_mul_lo_u32 v34, v17, s20
	v_mad_u64_u32 v[16:17], null, v16, s20, s[26:27]
	v_mul_lo_u32 v35, v18, s21
	v_mul_lo_u32 v36, v19, s20
	v_mad_u64_u32 v[18:19], null, v18, s20, s[26:27]
	;; [unrolled: 3-line block ×3, first 2 shown]
	v_add3_u32 v32, v38, v32, v37
	v_add_co_u32 v31, vcc_lo, 0x100, v31
	v_add3_u32 v17, v34, v17, v33
	v_add3_u32 v19, v36, v19, v35
	v_add_co_ci_u32_e64 v32, null, 0, v32, vcc_lo
	v_add3_u32 v21, v40, v21, v39
	v_mov_b32_e32 v33, v3
	s_lshl_b64 s[14:15], s[22:23], 2
	s_lshl_b64 s[18:19], s[18:19], 2
	s_waitcnt vmcnt(7)
	v_mov_b32_e32 v34, v30
	s_waitcnt vmcnt(6)
	v_mov_b32_e32 v35, v29
	;; [unrolled: 2-line block ×8, first 2 shown]
.LBB199_4:                              ; =>This Inner Loop Header: Depth=1
	v_add_co_u32 v42, vcc_lo, v31, v23
	v_add_co_ci_u32_e64 v43, null, 0, v32, vcc_lo
	s_cmp_eq_u32 s8, s9
	v_add_co_u32 v44, vcc_lo, v42, s6
	v_add_co_ci_u32_e64 v45, null, s7, v43, vcc_lo
	v_add_co_u32 v46, vcc_lo, v44, s6
	v_add_co_ci_u32_e64 v47, null, s7, v45, vcc_lo
	;; [unrolled: 2-line block ×13, first 2 shown]
	s_clause 0x7
	flat_load_dword v54, v[42:43]
	flat_load_dword v53, v[44:45]
	;; [unrolled: 1-line block ×8, first 2 shown]
	v_add_co_u32 v60, vcc_lo, v74, s18
	v_add_co_ci_u32_e64 v61, null, s19, v75, vcc_lo
	s_clause 0x7
	flat_load_dword v57, v[20:21]
	flat_load_dword v56, v[48:49]
	;; [unrolled: 1-line block ×8, first 2 shown]
	s_cbranch_scc1 .LBB199_6
; %bb.5:                                ;   in Loop: Header=BB199_4 Depth=1
	v_add_co_u32 v34, vcc_lo, v18, v23
	v_add_co_ci_u32_e64 v35, null, 0, v19, vcc_lo
	v_add_co_u32 v36, vcc_lo, v16, v23
	v_add_co_ci_u32_e64 v37, null, 0, v17, vcc_lo
	;; [unrolled: 2-line block ×3, first 2 shown]
	flat_load_dword v34, v[34:35]
	flat_load_dword v35, v[36:37]
	;; [unrolled: 1-line block ×3, first 2 shown]
	v_add_co_u32 v37, vcc_lo, v6, v23
	v_add_co_ci_u32_e64 v38, null, 0, v7, vcc_lo
	v_add_co_u32 v39, vcc_lo, v8, v23
	v_add_co_ci_u32_e64 v40, null, 0, v9, vcc_lo
	;; [unrolled: 2-line block ×5, first 2 shown]
	flat_load_dword v37, v[37:38]
	flat_load_dword v38, v[39:40]
	flat_load_dword v39, v[58:59]
	flat_load_dword v40, v[60:61]
	flat_load_dword v41, v[62:63]
.LBB199_6:                              ;   in Loop: Header=BB199_4 Depth=1
	s_waitcnt vmcnt(7) lgkmcnt(7)
	v_fmac_f32_e32 v33, v30, v57
	v_fmac_f32_e32 v3, v54, v57
	v_add_co_u32 v4, vcc_lo, v4, s12
	v_add_co_ci_u32_e64 v5, null, s13, v5, vcc_lo
	s_waitcnt vmcnt(6) lgkmcnt(6)
	v_fmac_f32_e32 v33, v29, v56
	v_fmac_f32_e32 v3, v53, v56
	v_add_co_u32 v6, vcc_lo, v6, s12
	v_add_co_ci_u32_e64 v7, null, s13, v7, vcc_lo
	;; [unrolled: 5-line block ×6, first 2 shown]
	v_add_co_u32 v16, vcc_lo, v16, s12
	v_add_co_ci_u32_e64 v17, null, s13, v17, vcc_lo
	v_add_co_u32 v18, vcc_lo, v18, s12
	s_waitcnt vmcnt(1) lgkmcnt(1)
	v_fmac_f32_e32 v33, v24, v48
	v_fmac_f32_e32 v3, v43, v48
	v_add_co_ci_u32_e64 v19, null, s13, v19, vcc_lo
	v_add_co_u32 v31, vcc_lo, v31, s12
	v_add_co_ci_u32_e64 v32, null, s13, v32, vcc_lo
	v_add_co_u32 v20, vcc_lo, v20, s14
	s_waitcnt vmcnt(0) lgkmcnt(0)
	v_fmac_f32_e32 v33, v2, v46
	v_fmac_f32_e32 v3, v42, v46
	v_add_co_ci_u32_e64 v21, null, s15, v21, vcc_lo
	s_add_i32 s9, s9, 1
	s_cmp_lt_i32 s9, s10
	s_cbranch_scc0 .LBB199_9
; %bb.7:                                ;   in Loop: Header=BB199_4 Depth=1
	v_mov_b32_e32 v30, v34
	v_mov_b32_e32 v29, v35
	;; [unrolled: 1-line block ×8, first 2 shown]
	s_branch .LBB199_4
.LBB199_8:
	v_mov_b32_e32 v3, 0
	v_mov_b32_e32 v33, 0
.LBB199_9:
	v_lshl_or_b32 v2, v22, 9, v23
	s_mov_b32 s6, 0
	s_mov_b32 s7, exec_lo
	ds_write2st64_b32 v2, v33, v3 offset1:1
	s_waitcnt lgkmcnt(0)
	s_barrier
	buffer_gl0_inv
	v_cmpx_eq_u32_e32 0, v1
	s_cbranch_execz .LBB199_12
; %bb.10:
	s_load_dword s4, s[4:5], 0x68
	s_lshl_b64 s[2:3], s[2:3], 2
	s_add_u32 s2, s0, s2
	s_addc_u32 s3, s1, s3
	s_waitcnt lgkmcnt(0)
	v_mad_i64_i32 v[1:2], null, s4, v0, 0
	s_mul_hi_i32 s1, s4, s16
	s_mul_i32 s0, s4, s16
	v_lshlrev_b32_e32 v0, 2, v0
	s_lshl_b64 s[0:1], s[0:1], 2
	s_add_u32 s0, s2, s0
	v_lshlrev_b64 v[1:2], 2, v[1:2]
	s_addc_u32 s1, s3, s1
	v_add_co_u32 v1, vcc_lo, s0, v1
	v_add_co_ci_u32_e64 v2, null, s1, v2, vcc_lo
	flat_load_dword v4, v[1:2]
	ds_read2st64_b32 v[5:6], v0 offset1:2
	ds_read2st64_b32 v[7:8], v0 offset0:4 offset1:6
	ds_read2st64_b32 v[9:10], v0 offset0:8 offset1:10
	s_waitcnt lgkmcnt(2)
	v_add_f32_e32 v3, 0, v5
	v_add_f32_e32 v3, v3, v6
	ds_read2st64_b32 v[5:6], v0 offset0:12 offset1:14
	s_waitcnt lgkmcnt(2)
	v_add_f32_e32 v3, v3, v7
	v_add_f32_e32 v3, v3, v8
	;; [unrolled: 4-line block ×6, first 2 shown]
	s_waitcnt lgkmcnt(1)
	v_add_f32_e32 v0, v0, v5
	v_add_f32_e32 v0, v0, v6
	s_waitcnt lgkmcnt(0)
	v_add_f32_e32 v0, v0, v7
	v_add_f32_e32 v0, v0, v8
	v_mul_f32_e32 v0, s11, v0
.LBB199_11:                             ; =>This Inner Loop Header: Depth=1
	s_waitcnt vmcnt(0)
	v_add_f32_e32 v3, v4, v0
	flat_atomic_cmpswap v3, v[1:2], v[3:4] glc
	s_waitcnt vmcnt(0) lgkmcnt(0)
	v_cmp_eq_u32_e32 vcc_lo, v3, v4
	v_mov_b32_e32 v4, v3
	s_or_b32 s6, vcc_lo, s6
	s_andn2_b32 exec_lo, exec_lo, s6
	s_cbranch_execnz .LBB199_11
.LBB199_12:
	s_endpgm
	.section	.rodata,"a",@progbits
	.p2align	6, 0x0
	.amdhsa_kernel _ZL36rocblas_gemvn_double_buffered_kernelILi128ELi8ELi8EPKffKPfEviiT3_lPKT2_lilS7_lilPT4_lili
		.amdhsa_group_segment_fixed_size 8192
		.amdhsa_private_segment_fixed_size 0
		.amdhsa_kernarg_size 384
		.amdhsa_user_sgpr_count 6
		.amdhsa_user_sgpr_private_segment_buffer 1
		.amdhsa_user_sgpr_dispatch_ptr 0
		.amdhsa_user_sgpr_queue_ptr 0
		.amdhsa_user_sgpr_kernarg_segment_ptr 1
		.amdhsa_user_sgpr_dispatch_id 0
		.amdhsa_user_sgpr_flat_scratch_init 0
		.amdhsa_user_sgpr_private_segment_size 0
		.amdhsa_wavefront_size32 1
		.amdhsa_uses_dynamic_stack 0
		.amdhsa_system_sgpr_private_segment_wavefront_offset 0
		.amdhsa_system_sgpr_workgroup_id_x 1
		.amdhsa_system_sgpr_workgroup_id_y 1
		.amdhsa_system_sgpr_workgroup_id_z 1
		.amdhsa_system_sgpr_workgroup_info 0
		.amdhsa_system_vgpr_workitem_id 1
		.amdhsa_next_free_vgpr 76
		.amdhsa_next_free_sgpr 32
		.amdhsa_reserve_vcc 1
		.amdhsa_reserve_flat_scratch 1
		.amdhsa_float_round_mode_32 0
		.amdhsa_float_round_mode_16_64 0
		.amdhsa_float_denorm_mode_32 3
		.amdhsa_float_denorm_mode_16_64 3
		.amdhsa_dx10_clamp 1
		.amdhsa_ieee_mode 1
		.amdhsa_fp16_overflow 0
		.amdhsa_workgroup_processor_mode 1
		.amdhsa_memory_ordered 1
		.amdhsa_forward_progress 1
		.amdhsa_shared_vgpr_count 0
		.amdhsa_exception_fp_ieee_invalid_op 0
		.amdhsa_exception_fp_denorm_src 0
		.amdhsa_exception_fp_ieee_div_zero 0
		.amdhsa_exception_fp_ieee_overflow 0
		.amdhsa_exception_fp_ieee_underflow 0
		.amdhsa_exception_fp_ieee_inexact 0
		.amdhsa_exception_int_div_zero 0
	.end_amdhsa_kernel
	.section	.text._ZL36rocblas_gemvn_double_buffered_kernelILi128ELi8ELi8EPKffKPfEviiT3_lPKT2_lilS7_lilPT4_lili,"axG",@progbits,_ZL36rocblas_gemvn_double_buffered_kernelILi128ELi8ELi8EPKffKPfEviiT3_lPKT2_lilS7_lilPT4_lili,comdat
.Lfunc_end199:
	.size	_ZL36rocblas_gemvn_double_buffered_kernelILi128ELi8ELi8EPKffKPfEviiT3_lPKT2_lilS7_lilPT4_lili, .Lfunc_end199-_ZL36rocblas_gemvn_double_buffered_kernelILi128ELi8ELi8EPKffKPfEviiT3_lPKT2_lilS7_lilPT4_lili
                                        ; -- End function
	.set _ZL36rocblas_gemvn_double_buffered_kernelILi128ELi8ELi8EPKffKPfEviiT3_lPKT2_lilS7_lilPT4_lili.num_vgpr, 76
	.set _ZL36rocblas_gemvn_double_buffered_kernelILi128ELi8ELi8EPKffKPfEviiT3_lPKT2_lilS7_lilPT4_lili.num_agpr, 0
	.set _ZL36rocblas_gemvn_double_buffered_kernelILi128ELi8ELi8EPKffKPfEviiT3_lPKT2_lilS7_lilPT4_lili.numbered_sgpr, 32
	.set _ZL36rocblas_gemvn_double_buffered_kernelILi128ELi8ELi8EPKffKPfEviiT3_lPKT2_lilS7_lilPT4_lili.num_named_barrier, 0
	.set _ZL36rocblas_gemvn_double_buffered_kernelILi128ELi8ELi8EPKffKPfEviiT3_lPKT2_lilS7_lilPT4_lili.private_seg_size, 0
	.set _ZL36rocblas_gemvn_double_buffered_kernelILi128ELi8ELi8EPKffKPfEviiT3_lPKT2_lilS7_lilPT4_lili.uses_vcc, 1
	.set _ZL36rocblas_gemvn_double_buffered_kernelILi128ELi8ELi8EPKffKPfEviiT3_lPKT2_lilS7_lilPT4_lili.uses_flat_scratch, 1
	.set _ZL36rocblas_gemvn_double_buffered_kernelILi128ELi8ELi8EPKffKPfEviiT3_lPKT2_lilS7_lilPT4_lili.has_dyn_sized_stack, 0
	.set _ZL36rocblas_gemvn_double_buffered_kernelILi128ELi8ELi8EPKffKPfEviiT3_lPKT2_lilS7_lilPT4_lili.has_recursion, 0
	.set _ZL36rocblas_gemvn_double_buffered_kernelILi128ELi8ELi8EPKffKPfEviiT3_lPKT2_lilS7_lilPT4_lili.has_indirect_call, 0
	.section	.AMDGPU.csdata,"",@progbits
; Kernel info:
; codeLenInByte = 2536
; TotalNumSgprs: 34
; NumVgprs: 76
; ScratchSize: 0
; MemoryBound: 0
; FloatMode: 240
; IeeeMode: 1
; LDSByteSize: 8192 bytes/workgroup (compile time only)
; SGPRBlocks: 0
; VGPRBlocks: 9
; NumSGPRsForWavesPerEU: 34
; NumVGPRsForWavesPerEU: 76
; Occupancy: 12
; WaveLimiterHint : 1
; COMPUTE_PGM_RSRC2:SCRATCH_EN: 0
; COMPUTE_PGM_RSRC2:USER_SGPR: 6
; COMPUTE_PGM_RSRC2:TRAP_HANDLER: 0
; COMPUTE_PGM_RSRC2:TGID_X_EN: 1
; COMPUTE_PGM_RSRC2:TGID_Y_EN: 1
; COMPUTE_PGM_RSRC2:TGID_Z_EN: 1
; COMPUTE_PGM_RSRC2:TIDIG_COMP_CNT: 1
	.section	.text._ZL20rocblas_gemvn_kernelILi32ELi16EiPKfS1_KPfEviiT3_lPKT2_lT1_lS7_lS8_lS4_lPT4_lS8_li,"axG",@progbits,_ZL20rocblas_gemvn_kernelILi32ELi16EiPKfS1_KPfEviiT3_lPKT2_lT1_lS7_lS8_lS4_lPT4_lS8_li,comdat
	.globl	_ZL20rocblas_gemvn_kernelILi32ELi16EiPKfS1_KPfEviiT3_lPKT2_lT1_lS7_lS8_lS4_lPT4_lS8_li ; -- Begin function _ZL20rocblas_gemvn_kernelILi32ELi16EiPKfS1_KPfEviiT3_lPKT2_lT1_lS7_lS8_lS4_lPT4_lS8_li
	.p2align	8
	.type	_ZL20rocblas_gemvn_kernelILi32ELi16EiPKfS1_KPfEviiT3_lPKT2_lT1_lS7_lS8_lS4_lPT4_lS8_li,@function
_ZL20rocblas_gemvn_kernelILi32ELi16EiPKfS1_KPfEviiT3_lPKT2_lT1_lS7_lS8_lS4_lPT4_lS8_li: ; @_ZL20rocblas_gemvn_kernelILi32ELi16EiPKfS1_KPfEviiT3_lPKT2_lT1_lS7_lS8_lS4_lPT4_lS8_li
; %bb.0:
	s_load_dwordx2 s[2:3], s[4:5], 0x9c
	s_waitcnt lgkmcnt(0)
	s_lshr_b32 s1, s2, 16
	s_and_b32 s2, s2, 0xffff
	s_and_b32 s3, s3, 0xffff
	s_mul_i32 s1, s1, s2
	s_mul_i32 s1, s1, s3
	s_cmpk_lg_i32 s1, 0x200
	s_cbranch_scc1 .LBB200_54
; %bb.1:
	s_clause 0x1
	s_load_dwordx8 s[16:23], s[4:5], 0x8
	s_load_dwordx8 s[8:15], s[4:5], 0x58
	s_mov_b32 s0, s7
	s_waitcnt lgkmcnt(0)
	s_mul_i32 s1, s19, s7
	s_mul_hi_u32 s3, s18, s7
	s_mul_i32 s2, s18, s7
	s_add_i32 s3, s3, s1
	s_mul_i32 s1, s11, s7
	s_lshl_b64 s[2:3], s[2:3], 2
	s_mul_hi_u32 s7, s10, s7
	s_add_u32 s2, s16, s2
	s_addc_u32 s3, s17, s3
	s_add_i32 s11, s7, s1
	s_mul_i32 s10, s10, s0
	s_lshl_b64 s[10:11], s[10:11], 2
	s_add_u32 s8, s8, s10
	s_addc_u32 s9, s9, s11
	s_load_dword s18, s[2:3], 0x0
	s_load_dword s7, s[8:9], 0x0
	s_waitcnt lgkmcnt(0)
	v_cmp_eq_f32_e64 s2, s18, 0
	v_cmp_eq_f32_e64 s1, s7, 1.0
	s_and_b32 s1, s2, s1
	s_and_b32 vcc_lo, exec_lo, s1
	s_mov_b32 s1, 0
	s_cbranch_vccnz .LBB200_54
; %bb.2:
	v_cmp_neq_f32_e64 s3, s18, 0
	s_mov_b64 s[16:17], 0
	s_and_b32 vcc_lo, exec_lo, s2
	s_mov_b64 s[10:11], 0
	s_cbranch_vccnz .LBB200_4
; %bb.3:
	s_lshl_b64 s[8:9], s[0:1], 3
	s_add_u32 s8, s20, s8
	s_addc_u32 s9, s21, s9
	s_lshl_b64 s[10:11], s[22:23], 2
	s_load_dwordx2 s[8:9], s[8:9], 0x0
	s_waitcnt lgkmcnt(0)
	s_add_u32 s10, s8, s10
	s_addc_u32 s11, s9, s11
.LBB200_4:
	s_andn2_b32 vcc_lo, exec_lo, s3
	s_cbranch_vccnz .LBB200_6
; %bb.5:
	s_load_dwordx4 s[20:23], s[4:5], 0x38
	s_lshl_b64 s[8:9], s[0:1], 3
	s_waitcnt lgkmcnt(0)
	s_add_u32 s8, s20, s8
	s_addc_u32 s9, s21, s9
	s_lshl_b64 s[16:17], s[22:23], 2
	s_load_dwordx2 s[8:9], s[8:9], 0x0
	s_waitcnt lgkmcnt(0)
	s_add_u32 s16, s8, s16
	s_addc_u32 s17, s9, s17
.LBB200_6:
	s_lshl_b64 s[0:1], s[0:1], 3
	v_lshlrev_b32_e32 v14, 5, v1
	s_add_u32 s0, s12, s0
	s_addc_u32 s1, s13, s1
	s_lshl_b64 s[14:15], s[14:15], 2
	s_load_dwordx2 s[12:13], s[0:1], 0x0
	s_clause 0x1
	s_load_dwordx2 s[8:9], s[4:5], 0x0
	s_load_dword s19, s[4:5], 0x78
	v_add_nc_u32_e32 v13, v14, v0
	v_cmp_gt_u32_e64 s0, 0x80, v13
	s_waitcnt lgkmcnt(0)
	s_add_u32 s12, s12, s14
	s_addc_u32 s13, s13, s15
	s_andn2_b32 vcc_lo, exec_lo, s2
	s_cbranch_vccnz .LBB200_13
; %bb.7:
	s_mov_b32 s1, 0
	s_mov_b32 s14, 0
                                        ; implicit-def: $vgpr3
                                        ; implicit-def: $vgpr4_vgpr5
	s_and_saveexec_b32 s2, s0
	s_cbranch_execz .LBB200_14
; %bb.8:
	v_lshl_or_b32 v2, s6, 7, v13
	v_mov_b32_e32 v3, 0
	s_ashr_i32 s15, s8, 31
	s_mov_b32 s14, s8
	s_mov_b32 s3, 0
	s_mov_b32 s0, exec_lo
                                        ; implicit-def: $vgpr4_vgpr5
	v_cmpx_gt_i64_e64 s[14:15], v[2:3]
	s_cbranch_execz .LBB200_12
; %bb.9:
	v_mad_u64_u32 v[4:5], null, s19, v2, 0
	s_ashr_i32 s3, s19, 31
	v_mad_u64_u32 v[5:6], null, s3, v2, v[5:6]
	v_cmp_eq_f32_e64 s3, s7, 0
	s_and_b32 vcc_lo, exec_lo, s3
	s_cbranch_vccnz .LBB200_11
; %bb.10:
	v_lshlrev_b64 v[2:3], 2, v[4:5]
	v_add_co_u32 v2, vcc_lo, s12, v2
	v_add_co_ci_u32_e64 v3, null, s13, v3, vcc_lo
	flat_load_dword v2, v[2:3]
	s_waitcnt vmcnt(0) lgkmcnt(0)
	v_mul_f32_e32 v3, s7, v2
.LBB200_11:
	s_mov_b32 s3, exec_lo
.LBB200_12:
	s_or_b32 exec_lo, exec_lo, s0
	s_and_b32 s14, s3, exec_lo
	s_or_b32 exec_lo, exec_lo, s2
	s_and_b32 vcc_lo, exec_lo, s1
	s_cbranch_vccnz .LBB200_15
	s_branch .LBB200_52
.LBB200_13:
	s_mov_b32 s14, 0
                                        ; implicit-def: $vgpr3
                                        ; implicit-def: $vgpr4_vgpr5
	s_cbranch_execnz .LBB200_15
	s_branch .LBB200_52
.LBB200_14:
	s_or_b32 exec_lo, exec_lo, s2
	s_and_b32 vcc_lo, exec_lo, s1
	s_cbranch_vccz .LBB200_52
.LBB200_15:
	s_clause 0x1
	s_load_dword s15, s[4:5], 0x28
	s_load_dword s4, s[4:5], 0x48
	s_ashr_i32 s0, s9, 31
	s_lshl_b32 s5, s6, 7
	s_lshr_b32 s0, s0, 26
	v_lshlrev_b32_e32 v20, 2, v1
	v_add_nc_u32_e32 v19, s5, v0
	v_mov_b32_e32 v15, 0
	v_mov_b32_e32 v16, 0
	;; [unrolled: 1-line block ×4, first 2 shown]
	s_add_i32 s0, s9, s0
	s_mov_b32 s20, exec_lo
	s_and_b32 s6, s0, 0xffffffc0
	v_cmpx_gt_i32_e64 s6, v20
	s_cbranch_execz .LBB200_27
; %bb.16:
	v_add_nc_u32_e32 v5, 0x60, v19
	s_waitcnt lgkmcnt(0)
	v_mul_lo_u32 v3, s15, v20
	v_add_nc_u32_e32 v2, 32, v19
	v_add_nc_u32_e32 v6, 2, v20
	;; [unrolled: 1-line block ×3, first 2 shown]
	v_cmp_gt_i32_e64 s2, s8, v5
	v_mul_lo_u32 v5, v1, s15
	v_add_nc_u32_e32 v7, 3, v20
	v_mul_lo_u32 v8, v1, s4
	v_cmp_gt_i32_e64 s0, s8, v2
	v_add3_u32 v21, v3, s15, v0
	v_mad_u64_u32 v[2:3], null, s15, v6, v[0:1]
	v_cmp_gt_i32_e64 s1, s8, v4
	v_mad_u64_u32 v[3:4], null, s15, v7, v[0:1]
	v_lshl_add_u32 v22, v5, 2, v0
	v_mad_u64_u32 v[4:5], null, s4, v20, s[4:5]
	v_mul_lo_u32 v23, s4, v6
	v_mul_lo_u32 v24, s4, v7
	v_lshlrev_b32_e32 v25, 2, v8
	v_mov_b32_e32 v15, 0
	v_mov_b32_e32 v16, 0
	;; [unrolled: 1-line block ×4, first 2 shown]
	s_lshl_b32 s21, s15, 6
	s_lshl_b32 s23, s4, 6
	s_mov_b32 s22, 0
	s_mov_b32 s24, 0
	v_cmp_gt_i32_e32 vcc_lo, s8, v19
	s_branch .LBB200_21
.LBB200_17:                             ;   in Loop: Header=BB200_21 Depth=1
	s_or_b32 exec_lo, exec_lo, s27
	s_waitcnt vmcnt(3) lgkmcnt(3)
	v_fmac_f32_e32 v17, v29, v41
	s_waitcnt vmcnt(2) lgkmcnt(2)
	v_fmac_f32_e32 v17, v28, v40
	;; [unrolled: 2-line block ×4, first 2 shown]
.LBB200_18:                             ;   in Loop: Header=BB200_21 Depth=1
	s_or_b32 exec_lo, exec_lo, s26
	s_waitcnt vmcnt(3) lgkmcnt(3)
	v_fmac_f32_e32 v16, v29, v37
	s_waitcnt vmcnt(2) lgkmcnt(2)
	v_fmac_f32_e32 v16, v28, v36
	;; [unrolled: 2-line block ×4, first 2 shown]
.LBB200_19:                             ;   in Loop: Header=BB200_21 Depth=1
	s_or_b32 exec_lo, exec_lo, s3
	s_waitcnt vmcnt(3) lgkmcnt(3)
	v_fmac_f32_e32 v15, v29, v33
	s_waitcnt vmcnt(2) lgkmcnt(2)
	v_fmac_f32_e32 v15, v28, v31
	;; [unrolled: 2-line block ×4, first 2 shown]
.LBB200_20:                             ;   in Loop: Header=BB200_21 Depth=1
	s_or_b32 exec_lo, exec_lo, s25
	v_add_nc_u32_e32 v20, 64, v20
	v_add_nc_u32_e32 v21, s21, v21
	;; [unrolled: 1-line block ×5, first 2 shown]
	v_cmp_le_i32_e64 s3, s6, v20
	s_add_i32 s24, s24, s23
	s_or_b32 s22, s3, s22
	s_andn2_b32 exec_lo, exec_lo, s22
	s_cbranch_execz .LBB200_26
.LBB200_21:                             ; =>This Inner Loop Header: Depth=1
	s_and_saveexec_b32 s25, vcc_lo
	s_cbranch_execz .LBB200_20
; %bb.22:                               ;   in Loop: Header=BB200_21 Depth=1
	v_add_nc_u32_e32 v5, s24, v25
	v_add_nc_u32_e32 v7, s24, v4
	;; [unrolled: 1-line block ×5, first 2 shown]
	v_ashrrev_i32_e32 v6, 31, v5
	v_ashrrev_i32_e32 v8, 31, v7
	;; [unrolled: 1-line block ×5, first 2 shown]
	v_lshlrev_b64 v[5:6], 2, v[5:6]
	v_lshlrev_b64 v[7:8], 2, v[7:8]
	;; [unrolled: 1-line block ×3, first 2 shown]
	v_add_co_u32 v28, s3, s16, v5
	v_add_co_ci_u32_e64 v29, null, s17, v6, s3
	v_add_co_u32 v30, s3, s16, v7
	v_add_nc_u32_e32 v7, s5, v21
	v_add_co_ci_u32_e64 v31, null, s17, v8, s3
	v_lshlrev_b64 v[5:6], 2, v[11:12]
	v_add_co_u32 v32, s3, s16, v9
	v_add_nc_u32_e32 v11, s5, v2
	v_add_co_ci_u32_e64 v33, null, s17, v10, s3
	v_lshlrev_b64 v[9:10], 2, v[26:27]
	v_add_nc_u32_e32 v26, s5, v3
	v_ashrrev_i32_e32 v8, 31, v7
	v_ashrrev_i32_e32 v12, 31, v11
	v_add_co_u32 v34, s3, s16, v5
	v_ashrrev_i32_e32 v27, 31, v26
	v_add_co_ci_u32_e64 v35, null, s17, v6, s3
	v_lshlrev_b64 v[7:8], 2, v[7:8]
	v_add_co_u32 v5, s3, s10, v9
	v_add_co_ci_u32_e64 v6, null, s11, v10, s3
	v_lshlrev_b64 v[9:10], 2, v[11:12]
	v_lshlrev_b64 v[26:27], 2, v[26:27]
	v_add_co_u32 v7, s3, s10, v7
	v_add_co_ci_u32_e64 v8, null, s11, v8, s3
	v_add_co_u32 v11, s3, s10, v9
	v_add_co_ci_u32_e64 v12, null, s11, v10, s3
	;; [unrolled: 2-line block ×3, first 2 shown]
	s_clause 0x3
	flat_load_dword v29, v[28:29]
	flat_load_dword v28, v[30:31]
	;; [unrolled: 1-line block ×4, first 2 shown]
	s_clause 0x3
	flat_load_dword v33, v[5:6]
	flat_load_dword v31, v[7:8]
	;; [unrolled: 1-line block ×4, first 2 shown]
	s_and_saveexec_b32 s3, s0
	s_cbranch_execz .LBB200_19
; %bb.23:                               ;   in Loop: Header=BB200_21 Depth=1
	s_clause 0x3
	flat_load_dword v37, v[5:6] offset:128
	flat_load_dword v36, v[7:8] offset:128
	flat_load_dword v35, v[11:12] offset:128
	flat_load_dword v34, v[9:10] offset:128
	s_and_saveexec_b32 s26, s1
	s_cbranch_execz .LBB200_18
; %bb.24:                               ;   in Loop: Header=BB200_21 Depth=1
	s_clause 0x3
	flat_load_dword v41, v[5:6] offset:256
	flat_load_dword v40, v[7:8] offset:256
	flat_load_dword v39, v[11:12] offset:256
	flat_load_dword v38, v[9:10] offset:256
	;; [unrolled: 8-line block ×3, first 2 shown]
	s_waitcnt vmcnt(3) lgkmcnt(3)
	v_fmac_f32_e32 v18, v29, v5
	s_waitcnt vmcnt(2) lgkmcnt(2)
	v_fmac_f32_e32 v18, v28, v6
	s_waitcnt vmcnt(1) lgkmcnt(1)
	v_fmac_f32_e32 v18, v27, v7
	s_waitcnt vmcnt(0) lgkmcnt(0)
	v_fmac_f32_e32 v18, v26, v8
	s_branch .LBB200_17
.LBB200_26:
	s_or_b32 exec_lo, exec_lo, s22
.LBB200_27:
	s_or_b32 exec_lo, exec_lo, s20
	s_sub_i32 s0, s9, s6
	s_cmp_lt_i32 s0, 1
	s_cbranch_scc1 .LBB200_45
; %bb.28:
	v_cmp_gt_i32_e32 vcc_lo, s9, v20
	v_mov_b32_e32 v12, 0
	v_or_b32_e32 v2, 1, v20
	v_mov_b32_e32 v21, 0
	v_mov_b32_e32 v11, 0
	;; [unrolled: 1-line block ×3, first 2 shown]
	s_and_saveexec_b32 s1, vcc_lo
	s_cbranch_execz .LBB200_36
; %bb.29:
	s_waitcnt lgkmcnt(0)
	v_mul_lo_u32 v3, v20, s4
	v_mov_b32_e32 v11, 0
	v_mov_b32_e32 v21, 0
	;; [unrolled: 1-line block ×3, first 2 shown]
	s_mov_b32 s2, exec_lo
	v_ashrrev_i32_e32 v4, 31, v3
	v_lshlrev_b64 v[3:4], 2, v[3:4]
	v_add_co_u32 v3, s0, s16, v3
	v_add_co_ci_u32_e64 v4, null, s17, v4, s0
	flat_load_dword v10, v[3:4]
	v_cmpx_gt_i32_e64 s9, v2
	s_cbranch_execz .LBB200_35
; %bb.30:
	v_mul_lo_u32 v3, v2, s4
	v_mov_b32_e32 v21, 0
	v_mov_b32_e32 v12, 0
	s_mov_b32 s3, exec_lo
	v_ashrrev_i32_e32 v4, 31, v3
	v_lshlrev_b64 v[3:4], 2, v[3:4]
	v_add_co_u32 v3, s0, s16, v3
	v_add_co_ci_u32_e64 v4, null, s17, v4, s0
	flat_load_dword v11, v[3:4]
	v_or_b32_e32 v3, 2, v20
	v_cmpx_gt_i32_e64 s9, v3
	s_cbranch_execz .LBB200_34
; %bb.31:
	v_mul_lo_u32 v3, v3, s4
	v_mov_b32_e32 v12, 0
	s_mov_b32 s6, exec_lo
	v_ashrrev_i32_e32 v4, 31, v3
	v_lshlrev_b64 v[3:4], 2, v[3:4]
	v_add_co_u32 v3, s0, s16, v3
	v_add_co_ci_u32_e64 v4, null, s17, v4, s0
	flat_load_dword v21, v[3:4]
	v_or_b32_e32 v3, 3, v20
	v_cmpx_gt_i32_e64 s9, v3
	s_cbranch_execz .LBB200_33
; %bb.32:
	v_mul_lo_u32 v3, v3, s4
	v_ashrrev_i32_e32 v4, 31, v3
	v_lshlrev_b64 v[3:4], 2, v[3:4]
	v_add_co_u32 v3, s0, s16, v3
	v_add_co_ci_u32_e64 v4, null, s17, v4, s0
	flat_load_dword v12, v[3:4]
.LBB200_33:
	s_or_b32 exec_lo, exec_lo, s6
.LBB200_34:
	s_or_b32 exec_lo, exec_lo, s3
.LBB200_35:
	s_or_b32 exec_lo, exec_lo, s2
.LBB200_36:
	s_or_b32 exec_lo, exec_lo, s1
	s_mov_b32 s1, exec_lo
	v_cmpx_gt_i32_e64 s8, v19
	s_cbranch_execz .LBB200_44
; %bb.37:
	s_waitcnt lgkmcnt(0)
	v_mul_lo_u32 v3, v20, s15
	v_or_b32_e32 v4, 2, v20
	v_mul_lo_u32 v5, v2, s15
	v_or_b32_e32 v6, 3, v20
	s_mov_b32 s0, exec_lo
	v_mul_lo_u32 v7, v4, s15
	v_mul_lo_u32 v8, v6, s15
	v_cndmask_b32_e32 v3, 0, v3, vcc_lo
	v_cmp_gt_i32_e32 vcc_lo, s9, v2
	v_add_nc_u32_e32 v2, v3, v19
	v_cndmask_b32_e32 v5, 0, v5, vcc_lo
	v_cmp_gt_i32_e32 vcc_lo, s9, v4
	v_ashrrev_i32_e32 v3, 31, v2
	v_add_nc_u32_e32 v4, v5, v19
	v_cndmask_b32_e32 v7, 0, v7, vcc_lo
	v_cmp_gt_i32_e32 vcc_lo, s9, v6
	v_lshlrev_b64 v[2:3], 2, v[2:3]
	v_ashrrev_i32_e32 v5, 31, v4
	v_add_nc_u32_e32 v6, v7, v19
	v_cndmask_b32_e32 v8, 0, v8, vcc_lo
	v_lshlrev_b64 v[4:5], 2, v[4:5]
	v_ashrrev_i32_e32 v7, 31, v6
	v_add_nc_u32_e32 v8, v8, v19
	v_lshlrev_b64 v[22:23], 2, v[6:7]
	v_add_co_u32 v6, vcc_lo, s10, v2
	v_add_co_ci_u32_e64 v7, null, s11, v3, vcc_lo
	v_ashrrev_i32_e32 v9, 31, v8
	v_add_co_u32 v2, vcc_lo, s10, v4
	v_add_co_ci_u32_e64 v3, null, s11, v5, vcc_lo
	flat_load_dword v24, v[6:7]
	v_add_co_u32 v4, vcc_lo, s10, v22
	v_add_co_ci_u32_e64 v5, null, s11, v23, vcc_lo
	v_lshlrev_b64 v[8:9], 2, v[8:9]
	s_clause 0x1
	flat_load_dword v22, v[2:3]
	flat_load_dword v23, v[4:5]
	v_add_co_u32 v8, vcc_lo, s10, v8
	v_add_co_ci_u32_e64 v9, null, s11, v9, vcc_lo
	flat_load_dword v20, v[8:9]
	s_waitcnt vmcnt(3) lgkmcnt(3)
	v_fmac_f32_e32 v15, v10, v24
	s_waitcnt vmcnt(2) lgkmcnt(2)
	v_fmac_f32_e32 v15, v11, v22
	v_add_nc_u32_e32 v22, 32, v19
	s_waitcnt vmcnt(1) lgkmcnt(1)
	v_fmac_f32_e32 v15, v21, v23
	v_cmpx_gt_i32_e64 s8, v22
	s_cbranch_execz .LBB200_43
; %bb.38:
	s_clause 0x3
	flat_load_dword v23, v[6:7] offset:128
	flat_load_dword v24, v[2:3] offset:128
	;; [unrolled: 1-line block ×4, first 2 shown]
	s_mov_b32 s2, exec_lo
	s_waitcnt vmcnt(3) lgkmcnt(3)
	v_fmac_f32_e32 v16, v10, v23
	v_add_nc_u32_e32 v23, 64, v19
	s_waitcnt vmcnt(2) lgkmcnt(2)
	v_fmac_f32_e32 v16, v11, v24
	s_waitcnt vmcnt(1) lgkmcnt(1)
	v_fmac_f32_e32 v16, v21, v25
	v_cmpx_gt_i32_e64 s8, v23
	s_cbranch_execz .LBB200_42
; %bb.39:
	s_clause 0x3
	flat_load_dword v24, v[6:7] offset:256
	flat_load_dword v25, v[2:3] offset:256
	;; [unrolled: 1-line block ×4, first 2 shown]
	v_add_nc_u32_e32 v19, 0x60, v19
	s_mov_b32 s3, exec_lo
	s_waitcnt vmcnt(3) lgkmcnt(3)
	v_fmac_f32_e32 v17, v10, v24
	s_waitcnt vmcnt(2) lgkmcnt(2)
	v_fmac_f32_e32 v17, v11, v25
	;; [unrolled: 2-line block ×3, first 2 shown]
	v_cmpx_gt_i32_e64 s8, v19
	s_cbranch_execz .LBB200_41
; %bb.40:
	s_clause 0x3
	flat_load_dword v6, v[6:7] offset:384
	flat_load_dword v2, v[2:3] offset:384
	;; [unrolled: 1-line block ×4, first 2 shown]
	s_waitcnt vmcnt(3) lgkmcnt(3)
	v_fmac_f32_e32 v18, v10, v6
	s_waitcnt vmcnt(2) lgkmcnt(2)
	v_fmac_f32_e32 v18, v11, v2
	;; [unrolled: 2-line block ×4, first 2 shown]
.LBB200_41:
	s_or_b32 exec_lo, exec_lo, s3
	s_waitcnt vmcnt(0) lgkmcnt(0)
	v_fmac_f32_e32 v17, v12, v23
.LBB200_42:
	s_or_b32 exec_lo, exec_lo, s2
	s_waitcnt vmcnt(0) lgkmcnt(0)
	v_fmac_f32_e32 v16, v12, v22
.LBB200_43:
	s_or_b32 exec_lo, exec_lo, s0
	s_waitcnt vmcnt(0) lgkmcnt(0)
	v_fmac_f32_e32 v15, v12, v20
.LBB200_44:
	s_or_b32 exec_lo, exec_lo, s1
.LBB200_45:
	v_lshlrev_b32_e32 v0, 2, v0
	s_mov_b32 s0, exec_lo
                                        ; implicit-def: $vgpr3
                                        ; implicit-def: $vgpr4_vgpr5
	v_lshl_add_u32 v1, v1, 9, v0
	ds_write2_b32 v1, v15, v16 offset1:32
	ds_write2_b32 v1, v17, v18 offset0:64 offset1:96
	s_waitcnt vmcnt(0) lgkmcnt(0)
	s_barrier
	buffer_gl0_inv
	v_cmpx_gt_u32_e32 0x80, v13
	s_cbranch_execz .LBB200_51
; %bb.46:
	v_lshl_add_u32 v6, v14, 2, v0
	s_mov_b32 s2, s14
	s_mov_b32 s1, exec_lo
	ds_read2st64_b32 v[0:1], v6 offset1:2
	ds_read2st64_b32 v[2:3], v6 offset0:4 offset1:6
	ds_read2st64_b32 v[4:5], v6 offset0:8 offset1:10
	s_waitcnt lgkmcnt(2)
	v_add_f32_e32 v7, v0, v1
	ds_read2st64_b32 v[0:1], v6 offset0:12 offset1:14
	s_waitcnt lgkmcnt(2)
	v_add_f32_e32 v2, v2, v7
	v_add_f32_e32 v7, v3, v2
	ds_read2st64_b32 v[2:3], v6 offset0:16 offset1:18
	s_waitcnt lgkmcnt(2)
	v_add_f32_e32 v4, v4, v7
	;; [unrolled: 4-line block ×3, first 2 shown]
	v_add_f32_e32 v0, v1, v0
	s_waitcnt lgkmcnt(1)
	v_add_f32_e32 v2, v2, v0
	ds_read2st64_b32 v[0:1], v6 offset0:24 offset1:26
	v_add_f32_e32 v2, v3, v2
	s_waitcnt lgkmcnt(1)
	v_add_f32_e32 v4, v4, v2
	ds_read2st64_b32 v[2:3], v6 offset0:28 offset1:30
	v_add_f32_e32 v4, v5, v4
	s_waitcnt lgkmcnt(1)
	v_add_f32_e32 v0, v0, v4
                                        ; implicit-def: $vgpr4_vgpr5
	v_add_f32_e32 v0, v1, v0
	v_or_b32_e32 v1, s5, v13
	s_waitcnt lgkmcnt(0)
	v_add_f32_e32 v0, v2, v0
	v_add_f32_e32 v0, v3, v0
                                        ; implicit-def: $vgpr3
	ds_write_b32 v6, v0
	v_cmpx_gt_i32_e64 s8, v1
	s_cbranch_execz .LBB200_50
; %bb.47:
	v_mul_lo_u32 v4, s19, v1
	v_cmp_eq_f32_e64 s2, s7, 0
	v_mul_f32_e32 v3, s18, v0
	s_and_b32 vcc_lo, exec_lo, s2
	v_ashrrev_i32_e32 v5, 31, v4
	s_cbranch_vccnz .LBB200_49
; %bb.48:
	v_lshlrev_b64 v[0:1], 2, v[4:5]
	v_add_co_u32 v0, vcc_lo, s12, v0
	v_add_co_ci_u32_e64 v1, null, s13, v1, vcc_lo
	flat_load_dword v0, v[0:1]
	s_waitcnt vmcnt(0) lgkmcnt(0)
	v_fmac_f32_e32 v3, s7, v0
.LBB200_49:
	s_or_b32 s2, s14, exec_lo
.LBB200_50:
	s_or_b32 exec_lo, exec_lo, s1
	s_andn2_b32 s1, s14, exec_lo
	s_and_b32 s2, s2, exec_lo
	s_or_b32 s14, s1, s2
.LBB200_51:
	s_or_b32 exec_lo, exec_lo, s0
.LBB200_52:
	s_and_saveexec_b32 s0, s14
	s_cbranch_execz .LBB200_54
; %bb.53:
	v_lshlrev_b64 v[0:1], 2, v[4:5]
	v_add_co_u32 v0, vcc_lo, s12, v0
	v_add_co_ci_u32_e64 v1, null, s13, v1, vcc_lo
	flat_store_dword v[0:1], v3
.LBB200_54:
	s_endpgm
	.section	.rodata,"a",@progbits
	.p2align	6, 0x0
	.amdhsa_kernel _ZL20rocblas_gemvn_kernelILi32ELi16EiPKfS1_KPfEviiT3_lPKT2_lT1_lS7_lS8_lS4_lPT4_lS8_li
		.amdhsa_group_segment_fixed_size 8192
		.amdhsa_private_segment_fixed_size 0
		.amdhsa_kernarg_size 400
		.amdhsa_user_sgpr_count 6
		.amdhsa_user_sgpr_private_segment_buffer 1
		.amdhsa_user_sgpr_dispatch_ptr 0
		.amdhsa_user_sgpr_queue_ptr 0
		.amdhsa_user_sgpr_kernarg_segment_ptr 1
		.amdhsa_user_sgpr_dispatch_id 0
		.amdhsa_user_sgpr_flat_scratch_init 0
		.amdhsa_user_sgpr_private_segment_size 0
		.amdhsa_wavefront_size32 1
		.amdhsa_uses_dynamic_stack 0
		.amdhsa_system_sgpr_private_segment_wavefront_offset 0
		.amdhsa_system_sgpr_workgroup_id_x 1
		.amdhsa_system_sgpr_workgroup_id_y 0
		.amdhsa_system_sgpr_workgroup_id_z 1
		.amdhsa_system_sgpr_workgroup_info 0
		.amdhsa_system_vgpr_workitem_id 1
		.amdhsa_next_free_vgpr 42
		.amdhsa_next_free_sgpr 28
		.amdhsa_reserve_vcc 1
		.amdhsa_reserve_flat_scratch 1
		.amdhsa_float_round_mode_32 0
		.amdhsa_float_round_mode_16_64 0
		.amdhsa_float_denorm_mode_32 3
		.amdhsa_float_denorm_mode_16_64 3
		.amdhsa_dx10_clamp 1
		.amdhsa_ieee_mode 1
		.amdhsa_fp16_overflow 0
		.amdhsa_workgroup_processor_mode 1
		.amdhsa_memory_ordered 1
		.amdhsa_forward_progress 1
		.amdhsa_shared_vgpr_count 0
		.amdhsa_exception_fp_ieee_invalid_op 0
		.amdhsa_exception_fp_denorm_src 0
		.amdhsa_exception_fp_ieee_div_zero 0
		.amdhsa_exception_fp_ieee_overflow 0
		.amdhsa_exception_fp_ieee_underflow 0
		.amdhsa_exception_fp_ieee_inexact 0
		.amdhsa_exception_int_div_zero 0
	.end_amdhsa_kernel
	.section	.text._ZL20rocblas_gemvn_kernelILi32ELi16EiPKfS1_KPfEviiT3_lPKT2_lT1_lS7_lS8_lS4_lPT4_lS8_li,"axG",@progbits,_ZL20rocblas_gemvn_kernelILi32ELi16EiPKfS1_KPfEviiT3_lPKT2_lT1_lS7_lS8_lS4_lPT4_lS8_li,comdat
.Lfunc_end200:
	.size	_ZL20rocblas_gemvn_kernelILi32ELi16EiPKfS1_KPfEviiT3_lPKT2_lT1_lS7_lS8_lS4_lPT4_lS8_li, .Lfunc_end200-_ZL20rocblas_gemvn_kernelILi32ELi16EiPKfS1_KPfEviiT3_lPKT2_lT1_lS7_lS8_lS4_lPT4_lS8_li
                                        ; -- End function
	.set _ZL20rocblas_gemvn_kernelILi32ELi16EiPKfS1_KPfEviiT3_lPKT2_lT1_lS7_lS8_lS4_lPT4_lS8_li.num_vgpr, 42
	.set _ZL20rocblas_gemvn_kernelILi32ELi16EiPKfS1_KPfEviiT3_lPKT2_lT1_lS7_lS8_lS4_lPT4_lS8_li.num_agpr, 0
	.set _ZL20rocblas_gemvn_kernelILi32ELi16EiPKfS1_KPfEviiT3_lPKT2_lT1_lS7_lS8_lS4_lPT4_lS8_li.numbered_sgpr, 28
	.set _ZL20rocblas_gemvn_kernelILi32ELi16EiPKfS1_KPfEviiT3_lPKT2_lT1_lS7_lS8_lS4_lPT4_lS8_li.num_named_barrier, 0
	.set _ZL20rocblas_gemvn_kernelILi32ELi16EiPKfS1_KPfEviiT3_lPKT2_lT1_lS7_lS8_lS4_lPT4_lS8_li.private_seg_size, 0
	.set _ZL20rocblas_gemvn_kernelILi32ELi16EiPKfS1_KPfEviiT3_lPKT2_lT1_lS7_lS8_lS4_lPT4_lS8_li.uses_vcc, 1
	.set _ZL20rocblas_gemvn_kernelILi32ELi16EiPKfS1_KPfEviiT3_lPKT2_lT1_lS7_lS8_lS4_lPT4_lS8_li.uses_flat_scratch, 1
	.set _ZL20rocblas_gemvn_kernelILi32ELi16EiPKfS1_KPfEviiT3_lPKT2_lT1_lS7_lS8_lS4_lPT4_lS8_li.has_dyn_sized_stack, 0
	.set _ZL20rocblas_gemvn_kernelILi32ELi16EiPKfS1_KPfEviiT3_lPKT2_lT1_lS7_lS8_lS4_lPT4_lS8_li.has_recursion, 0
	.set _ZL20rocblas_gemvn_kernelILi32ELi16EiPKfS1_KPfEviiT3_lPKT2_lT1_lS7_lS8_lS4_lPT4_lS8_li.has_indirect_call, 0
	.section	.AMDGPU.csdata,"",@progbits
; Kernel info:
; codeLenInByte = 2780
; TotalNumSgprs: 30
; NumVgprs: 42
; ScratchSize: 0
; MemoryBound: 0
; FloatMode: 240
; IeeeMode: 1
; LDSByteSize: 8192 bytes/workgroup (compile time only)
; SGPRBlocks: 0
; VGPRBlocks: 5
; NumSGPRsForWavesPerEU: 30
; NumVGPRsForWavesPerEU: 42
; Occupancy: 16
; WaveLimiterHint : 1
; COMPUTE_PGM_RSRC2:SCRATCH_EN: 0
; COMPUTE_PGM_RSRC2:USER_SGPR: 6
; COMPUTE_PGM_RSRC2:TRAP_HANDLER: 0
; COMPUTE_PGM_RSRC2:TGID_X_EN: 1
; COMPUTE_PGM_RSRC2:TGID_Y_EN: 0
; COMPUTE_PGM_RSRC2:TGID_Z_EN: 1
; COMPUTE_PGM_RSRC2:TIDIG_COMP_CNT: 1
	.section	.text._ZL20rocblas_gemvn_kernelILi32ELi16ElPKfS1_KPfEviiT3_lPKT2_lT1_lS7_lS8_lS4_lPT4_lS8_li,"axG",@progbits,_ZL20rocblas_gemvn_kernelILi32ELi16ElPKfS1_KPfEviiT3_lPKT2_lT1_lS7_lS8_lS4_lPT4_lS8_li,comdat
	.globl	_ZL20rocblas_gemvn_kernelILi32ELi16ElPKfS1_KPfEviiT3_lPKT2_lT1_lS7_lS8_lS4_lPT4_lS8_li ; -- Begin function _ZL20rocblas_gemvn_kernelILi32ELi16ElPKfS1_KPfEviiT3_lPKT2_lT1_lS7_lS8_lS4_lPT4_lS8_li
	.p2align	8
	.type	_ZL20rocblas_gemvn_kernelILi32ELi16ElPKfS1_KPfEviiT3_lPKT2_lT1_lS7_lS8_lS4_lPT4_lS8_li,@function
_ZL20rocblas_gemvn_kernelILi32ELi16ElPKfS1_KPfEviiT3_lPKT2_lT1_lS7_lS8_lS4_lPT4_lS8_li: ; @_ZL20rocblas_gemvn_kernelILi32ELi16ElPKfS1_KPfEviiT3_lPKT2_lT1_lS7_lS8_lS4_lPT4_lS8_li
; %bb.0:
	s_load_dwordx2 s[0:1], s[4:5], 0x9c
	s_waitcnt lgkmcnt(0)
	s_lshr_b32 s2, s0, 16
	s_and_b32 s0, s0, 0xffff
	s_and_b32 s1, s1, 0xffff
	s_mul_i32 s0, s2, s0
	s_mul_i32 s0, s0, s1
	s_cmpk_lg_i32 s0, 0x200
	s_cbranch_scc1 .LBB201_54
; %bb.1:
	s_clause 0x1
	s_load_dwordx8 s[16:23], s[4:5], 0x8
	s_load_dwordx8 s[8:15], s[4:5], 0x58
	s_mov_b32 s26, s7
	s_mov_b32 s27, 0
	s_waitcnt lgkmcnt(0)
	s_mul_i32 s1, s19, s7
	s_mul_hi_u32 s2, s18, s7
	s_mul_i32 s0, s18, s7
	s_add_i32 s1, s2, s1
	s_mul_i32 s2, s11, s7
	s_lshl_b64 s[0:1], s[0:1], 2
	s_mul_hi_u32 s3, s10, s7
	s_add_u32 s0, s16, s0
	s_addc_u32 s1, s17, s1
	s_add_i32 s3, s3, s2
	s_mul_i32 s2, s10, s7
	s_lshl_b64 s[2:3], s[2:3], 2
	s_add_u32 s2, s8, s2
	s_addc_u32 s3, s9, s3
	s_load_dword s29, s[0:1], 0x0
	s_load_dword s28, s[2:3], 0x0
	s_waitcnt lgkmcnt(0)
	v_cmp_eq_f32_e64 s7, s29, 0
	v_cmp_eq_f32_e64 s0, s28, 1.0
	s_and_b32 s0, s7, s0
	s_and_b32 vcc_lo, exec_lo, s0
	s_cbranch_vccnz .LBB201_54
; %bb.2:
	s_clause 0x1
	s_load_dwordx2 s[16:17], s[4:5], 0x28
	s_load_dwordx2 s[8:9], s[4:5], 0x78
	v_cmp_neq_f32_e64 s10, s29, 0
	s_mov_b64 s[24:25], 0
	s_and_b32 vcc_lo, exec_lo, s7
	s_mov_b64 s[18:19], 0
	s_cbranch_vccnz .LBB201_4
; %bb.3:
	s_lshl_b64 s[0:1], s[26:27], 3
	s_add_u32 s0, s20, s0
	s_addc_u32 s1, s21, s1
	s_lshl_b64 s[2:3], s[22:23], 2
	s_load_dwordx2 s[0:1], s[0:1], 0x0
	s_waitcnt lgkmcnt(0)
	s_add_u32 s18, s0, s2
	s_addc_u32 s19, s1, s3
.LBB201_4:
	s_clause 0x1
	s_load_dwordx4 s[0:3], s[4:5], 0x38
	s_load_dwordx2 s[20:21], s[4:5], 0x48
	s_andn2_b32 vcc_lo, exec_lo, s10
	s_cbranch_vccnz .LBB201_6
; %bb.5:
	s_lshl_b64 s[10:11], s[26:27], 3
	s_waitcnt lgkmcnt(0)
	s_add_u32 s0, s0, s10
	s_addc_u32 s1, s1, s11
	s_lshl_b64 s[2:3], s[2:3], 2
	s_load_dwordx2 s[0:1], s[0:1], 0x0
	s_waitcnt lgkmcnt(0)
	s_add_u32 s24, s0, s2
	s_addc_u32 s25, s1, s3
.LBB201_6:
	s_waitcnt lgkmcnt(0)
	s_lshl_b64 s[0:1], s[26:27], 3
	v_lshlrev_b32_e32 v22, 5, v1
	s_add_u32 s0, s12, s0
	s_addc_u32 s1, s13, s1
	s_lshl_b64 s[12:13], s[14:15], 2
	s_load_dwordx2 s[2:3], s[0:1], 0x0
	s_load_dwordx2 s[10:11], s[4:5], 0x0
	v_add_nc_u32_e32 v21, v22, v0
	v_cmp_gt_u32_e64 s0, 0x80, v21
	s_waitcnt lgkmcnt(0)
	s_add_u32 s5, s2, s12
	s_addc_u32 s22, s3, s13
	s_andn2_b32 vcc_lo, exec_lo, s7
	s_cbranch_vccnz .LBB201_13
; %bb.7:
	s_mov_b32 s1, 0
	s_mov_b32 s23, 0
                                        ; implicit-def: $vgpr3
                                        ; implicit-def: $vgpr4_vgpr5
	s_and_saveexec_b32 s2, s0
	s_cbranch_execz .LBB201_14
; %bb.8:
	v_lshl_or_b32 v2, s6, 7, v21
	v_mov_b32_e32 v3, 0
	s_ashr_i32 s13, s10, 31
	s_mov_b32 s12, s10
	s_mov_b32 s3, 0
	s_mov_b32 s0, exec_lo
                                        ; implicit-def: $vgpr4_vgpr5
	v_cmpx_gt_i64_e64 s[12:13], v[2:3]
	s_cbranch_execz .LBB201_12
; %bb.9:
	v_mad_u64_u32 v[4:5], null, s8, v2, 0
	v_cmp_eq_f32_e64 s3, s28, 0
	s_and_b32 vcc_lo, exec_lo, s3
	v_mad_u64_u32 v[5:6], null, s9, v2, v[5:6]
	s_cbranch_vccnz .LBB201_11
; %bb.10:
	v_lshlrev_b64 v[2:3], 2, v[4:5]
	v_add_co_u32 v2, vcc_lo, s5, v2
	v_add_co_ci_u32_e64 v3, null, s22, v3, vcc_lo
	flat_load_dword v2, v[2:3]
	s_waitcnt vmcnt(0) lgkmcnt(0)
	v_mul_f32_e32 v3, s28, v2
.LBB201_11:
	s_mov_b32 s3, exec_lo
.LBB201_12:
	s_or_b32 exec_lo, exec_lo, s0
	s_and_b32 s23, s3, exec_lo
	s_or_b32 exec_lo, exec_lo, s2
	s_and_b32 vcc_lo, exec_lo, s1
	s_cbranch_vccnz .LBB201_15
	s_branch .LBB201_52
.LBB201_13:
	s_mov_b32 s23, 0
                                        ; implicit-def: $vgpr3
                                        ; implicit-def: $vgpr4_vgpr5
	s_cbranch_execnz .LBB201_15
	s_branch .LBB201_52
.LBB201_14:
	s_or_b32 exec_lo, exec_lo, s2
	s_and_b32 vcc_lo, exec_lo, s1
	s_cbranch_vccz .LBB201_52
.LBB201_15:
	s_ashr_i32 s0, s11, 31
	s_lshl_b32 s26, s6, 7
	s_lshr_b32 s0, s0, 26
	v_lshlrev_b32_e32 v27, 2, v1
	v_mov_b32_e32 v23, 0
	v_add_nc_u32_e32 v2, s26, v0
	v_mov_b32_e32 v24, 0
	v_mov_b32_e32 v25, 0
	;; [unrolled: 1-line block ×3, first 2 shown]
	s_add_i32 s27, s11, s0
	s_mov_b32 s30, exec_lo
	s_andn2_b32 s27, s27, 63
	v_cmpx_gt_i32_e64 s27, v27
	s_cbranch_execz .LBB201_27
; %bb.16:
	v_lshlrev_b32_e32 v25, 2, v1
	v_add_nc_u32_e32 v4, 32, v2
	v_mad_u64_u32 v[7:8], null, s20, v1, 0
	v_mad_u64_u32 v[9:10], null, s16, v1, 0
	v_or_b32_e32 v26, 3, v25
	v_add_nc_u32_e32 v11, 64, v2
	v_add_nc_u32_e32 v12, 0x60, v2
	v_cmp_gt_i32_e64 s0, s10, v4
	v_or_b32_e32 v32, 2, v25
	v_mad_u64_u32 v[5:6], null, s16, v26, 0
	v_cmp_gt_i32_e64 s1, s10, v11
	v_cmp_gt_i32_e64 s2, s10, v12
	v_mad_u64_u32 v[16:17], null, s16, v32, 0
	v_mad_u64_u32 v[18:19], null, s20, v26, 0
	v_mov_b32_e32 v4, v6
	v_mov_b32_e32 v6, v8
	v_mov_b32_e32 v8, v10
	v_ashrrev_i32_e32 v3, 31, v2
	s_lshl_b64 s[6:7], s[16:17], 8
	v_mad_u64_u32 v[11:12], null, s17, v26, v[4:5]
	v_mad_u64_u32 v[12:13], null, s21, v1, v[6:7]
	;; [unrolled: 1-line block ×4, first 2 shown]
	v_mov_b32_e32 v6, v11
	v_lshlrev_b64 v[3:4], 2, v[2:3]
	v_mov_b32_e32 v8, v12
	s_lshl_b64 s[12:13], s[20:21], 8
	v_mov_b32_e32 v10, v13
	v_lshlrev_b64 v[11:12], 2, v[5:6]
	s_mov_b32 s31, 0
	v_lshlrev_b64 v[5:6], 4, v[7:8]
	v_mov_b32_e32 v7, v17
	v_mov_b32_e32 v8, v15
	v_lshlrev_b64 v[9:10], 4, v[9:10]
	v_add_co_u32 v28, s3, s18, v11
	v_add_co_ci_u32_e64 v29, null, s19, v12, s3
	v_mad_u64_u32 v[11:12], null, s16, v25, s[16:17]
	v_mad_u64_u32 v[23:24], null, s17, v32, v[7:8]
	v_mov_b32_e32 v7, v19
	v_mad_u64_u32 v[19:20], null, s21, v25, v[8:9]
	v_add_co_u32 v30, s3, s18, v9
	v_mad_u64_u32 v[7:8], null, s21, v26, v[7:8]
	v_mov_b32_e32 v8, v12
	v_mov_b32_e32 v17, v23
	v_mad_u64_u32 v[23:24], null, s20, v32, 0
	v_mov_b32_e32 v15, v19
	v_mad_u64_u32 v[12:13], null, s17, v25, v[8:9]
	v_lshlrev_b64 v[16:17], 2, v[16:17]
	v_mov_b32_e32 v19, v7
	v_add_co_ci_u32_e64 v31, null, s19, v10, s3
	v_mov_b32_e32 v8, v24
	v_mov_b32_e32 v26, 0
	v_lshlrev_b64 v[11:12], 2, v[11:12]
	s_mov_b64 s[14:15], s[24:25]
	v_cmp_gt_i32_e32 vcc_lo, s10, v2
	v_mad_u64_u32 v[24:25], null, s21, v32, v[8:9]
	v_add_co_u32 v32, s3, s18, v16
	v_add_co_ci_u32_e64 v33, null, s19, v17, s3
	v_add_co_u32 v34, s3, s18, v11
	v_lshlrev_b64 v[7:8], 2, v[14:15]
	v_lshlrev_b64 v[9:10], 2, v[18:19]
	v_add_co_ci_u32_e64 v35, null, s19, v12, s3
	v_lshlrev_b64 v[11:12], 2, v[23:24]
	v_mov_b32_e32 v23, 0
	v_mov_b32_e32 v24, 0
	;; [unrolled: 1-line block ×3, first 2 shown]
	s_branch .LBB201_21
.LBB201_17:                             ;   in Loop: Header=BB201_21 Depth=1
	s_or_b32 exec_lo, exec_lo, s34
	s_waitcnt vmcnt(3) lgkmcnt(3)
	v_fmac_f32_e32 v25, v39, v51
	s_waitcnt vmcnt(2) lgkmcnt(2)
	v_fmac_f32_e32 v25, v38, v50
	s_waitcnt vmcnt(1) lgkmcnt(1)
	v_fmac_f32_e32 v25, v37, v49
	s_waitcnt vmcnt(0) lgkmcnt(0)
	v_fmac_f32_e32 v25, v36, v48
.LBB201_18:                             ;   in Loop: Header=BB201_21 Depth=1
	s_or_b32 exec_lo, exec_lo, s33
	s_waitcnt vmcnt(3) lgkmcnt(3)
	v_fmac_f32_e32 v24, v39, v47
	s_waitcnt vmcnt(2) lgkmcnt(2)
	v_fmac_f32_e32 v24, v38, v46
	;; [unrolled: 2-line block ×4, first 2 shown]
.LBB201_19:                             ;   in Loop: Header=BB201_21 Depth=1
	s_or_b32 exec_lo, exec_lo, s3
	s_waitcnt vmcnt(3) lgkmcnt(3)
	v_fmac_f32_e32 v23, v39, v43
	s_waitcnt vmcnt(2) lgkmcnt(2)
	v_fmac_f32_e32 v23, v38, v41
	;; [unrolled: 2-line block ×4, first 2 shown]
.LBB201_20:                             ;   in Loop: Header=BB201_21 Depth=1
	s_or_b32 exec_lo, exec_lo, s4
	v_add_co_u32 v28, s3, v28, s6
	v_add_nc_u32_e32 v27, 64, v27
	v_add_co_ci_u32_e64 v29, null, s7, v29, s3
	v_add_co_u32 v30, s3, v30, s6
	v_add_co_ci_u32_e64 v31, null, s7, v31, s3
	v_add_co_u32 v32, s3, v32, s6
	v_add_co_ci_u32_e64 v33, null, s7, v33, s3
	v_cmp_le_i32_e64 s3, s27, v27
	v_add_co_u32 v34, s4, v34, s6
	v_add_co_ci_u32_e64 v35, null, s7, v35, s4
	s_add_u32 s14, s14, s12
	s_addc_u32 s15, s15, s13
	s_or_b32 s31, s3, s31
	s_andn2_b32 exec_lo, exec_lo, s31
	s_cbranch_execz .LBB201_26
.LBB201_21:                             ; =>This Inner Loop Header: Depth=1
	s_and_saveexec_b32 s4, vcc_lo
	s_cbranch_execz .LBB201_20
; %bb.22:                               ;   in Loop: Header=BB201_21 Depth=1
	v_add_co_u32 v36, s3, s14, v5
	v_add_co_ci_u32_e64 v37, null, s15, v6, s3
	v_add_co_u32 v40, s3, s14, v7
	v_add_co_ci_u32_e64 v41, null, s15, v8, s3
	;; [unrolled: 2-line block ×8, first 2 shown]
	s_clause 0x3
	flat_load_dword v39, v[36:37]
	flat_load_dword v38, v[40:41]
	;; [unrolled: 1-line block ×8, first 2 shown]
	s_and_saveexec_b32 s3, s0
	s_cbranch_execz .LBB201_19
; %bb.23:                               ;   in Loop: Header=BB201_21 Depth=1
	flat_load_dword v47, v[13:14] offset:128
	flat_load_dword v46, v[15:16] offset:128
	flat_load_dword v45, v[17:18] offset:128
	flat_load_dword v44, v[19:20] offset:128
	s_and_saveexec_b32 s33, s1
	s_cbranch_execz .LBB201_18
; %bb.24:                               ;   in Loop: Header=BB201_21 Depth=1
	flat_load_dword v51, v[13:14] offset:256
	flat_load_dword v50, v[15:16] offset:256
	flat_load_dword v49, v[17:18] offset:256
	flat_load_dword v48, v[19:20] offset:256
	;; [unrolled: 7-line block ×3, first 2 shown]
	s_waitcnt vmcnt(3) lgkmcnt(3)
	v_fmac_f32_e32 v26, v39, v13
	s_waitcnt vmcnt(2) lgkmcnt(2)
	v_fmac_f32_e32 v26, v38, v14
	;; [unrolled: 2-line block ×4, first 2 shown]
	s_branch .LBB201_17
.LBB201_26:
	s_or_b32 exec_lo, exec_lo, s31
.LBB201_27:
	s_or_b32 exec_lo, exec_lo, s30
	s_sub_i32 s0, s11, s27
	s_cmp_lt_i32 s0, 1
	s_cbranch_scc1 .LBB201_45
; %bb.28:
	v_cmp_gt_i32_e32 vcc_lo, s11, v27
	v_mov_b32_e32 v13, 0
	v_or_b32_e32 v4, 1, v27
	v_mov_b32_e32 v14, 0
	v_mov_b32_e32 v12, 0
	;; [unrolled: 1-line block ×3, first 2 shown]
	s_and_saveexec_b32 s1, vcc_lo
	s_cbranch_execz .LBB201_36
; %bb.29:
	v_mad_u64_u32 v[5:6], null, s20, v27, 0
	v_mov_b32_e32 v12, 0
	v_mov_b32_e32 v14, 0
	;; [unrolled: 1-line block ×3, first 2 shown]
	s_mov_b32 s2, exec_lo
	v_mov_b32_e32 v3, v6
	v_mad_u64_u32 v[6:7], null, s21, v27, v[3:4]
	v_lshlrev_b64 v[5:6], 2, v[5:6]
	v_add_co_u32 v5, s0, s24, v5
	v_add_co_ci_u32_e64 v6, null, s25, v6, s0
	flat_load_dword v11, v[5:6]
	v_cmpx_gt_i32_e64 s11, v4
	s_cbranch_execz .LBB201_35
; %bb.30:
	v_mad_u64_u32 v[5:6], null, s20, v4, 0
	v_mov_b32_e32 v14, 0
	v_mov_b32_e32 v13, 0
	s_mov_b32 s3, exec_lo
	v_mov_b32_e32 v3, v6
	v_mad_u64_u32 v[6:7], null, s21, v4, v[3:4]
	v_or_b32_e32 v3, 2, v27
	v_lshlrev_b64 v[5:6], 2, v[5:6]
	v_add_co_u32 v5, s0, s24, v5
	v_add_co_ci_u32_e64 v6, null, s25, v6, s0
	flat_load_dword v12, v[5:6]
	v_cmpx_gt_i32_e64 s11, v3
	s_cbranch_execz .LBB201_34
; %bb.31:
	v_mad_u64_u32 v[5:6], null, s20, v3, 0
	v_mov_b32_e32 v13, 0
	s_mov_b32 s4, exec_lo
	v_mad_u64_u32 v[6:7], null, s21, v3, v[6:7]
	v_or_b32_e32 v3, 3, v27
	v_lshlrev_b64 v[5:6], 2, v[5:6]
	v_add_co_u32 v5, s0, s24, v5
	v_add_co_ci_u32_e64 v6, null, s25, v6, s0
	flat_load_dword v14, v[5:6]
	v_cmpx_gt_i32_e64 s11, v3
	s_cbranch_execz .LBB201_33
; %bb.32:
	v_mad_u64_u32 v[5:6], null, s20, v3, 0
	v_mad_u64_u32 v[6:7], null, s21, v3, v[6:7]
	v_lshlrev_b64 v[5:6], 2, v[5:6]
	v_add_co_u32 v5, s0, s24, v5
	v_add_co_ci_u32_e64 v6, null, s25, v6, s0
	flat_load_dword v13, v[5:6]
.LBB201_33:
	s_or_b32 exec_lo, exec_lo, s4
.LBB201_34:
	s_or_b32 exec_lo, exec_lo, s3
.LBB201_35:
	s_or_b32 exec_lo, exec_lo, s2
.LBB201_36:
	s_or_b32 exec_lo, exec_lo, s1
	s_mov_b32 s1, exec_lo
	v_cmpx_gt_i32_e64 s10, v2
	s_cbranch_execz .LBB201_44
; %bb.37:
	v_mad_u64_u32 v[5:6], null, s16, v27, 0
	v_mad_u64_u32 v[7:8], null, s16, v4, 0
	v_ashrrev_i32_e32 v3, 31, v2
	v_or_b32_e32 v20, 2, v27
	v_or_b32_e32 v29, 3, v27
	v_cndmask_b32_e32 v5, 0, v5, vcc_lo
	v_lshlrev_b64 v[9:10], 2, v[2:3]
	v_mad_u64_u32 v[15:16], null, s17, v27, v[6:7]
	v_mov_b32_e32 v3, v8
	v_mad_u64_u32 v[16:17], null, s16, v20, 0
	v_mad_u64_u32 v[18:19], null, s16, v29, 0
	;; [unrolled: 1-line block ×3, first 2 shown]
	v_cndmask_b32_e32 v6, 0, v15, vcc_lo
	v_cmp_gt_i32_e32 vcc_lo, s11, v4
	v_mov_b32_e32 v3, v17
	v_cmp_gt_i32_e64 s0, s11, v20
	v_mov_b32_e32 v8, v19
	v_cndmask_b32_e32 v4, 0, v7, vcc_lo
	v_lshlrev_b64 v[6:7], 2, v[5:6]
	v_cndmask_b32_e32 v5, 0, v27, vcc_lo
	v_cndmask_b32_e64 v15, 0, v16, s0
	v_mad_u64_u32 v[19:20], null, s17, v20, v[3:4]
	v_add_co_u32 v3, vcc_lo, s18, v6
	v_lshlrev_b64 v[5:6], 2, v[4:5]
	v_add_co_ci_u32_e64 v7, null, s19, v7, vcc_lo
	v_add_co_u32 v3, vcc_lo, v3, v9
	v_cndmask_b32_e64 v16, 0, v19, s0
	v_add_co_ci_u32_e64 v4, null, v7, v10, vcc_lo
	v_add_co_u32 v5, vcc_lo, s18, v5
	v_add_co_ci_u32_e64 v6, null, s19, v6, vcc_lo
	v_mad_u64_u32 v[7:8], null, s17, v29, v[8:9]
	v_add_co_u32 v5, vcc_lo, v5, v9
	v_add_co_ci_u32_e64 v6, null, v6, v10, vcc_lo
	v_cmp_gt_i32_e32 vcc_lo, s11, v29
	v_lshlrev_b64 v[15:16], 2, v[15:16]
	s_clause 0x1
	flat_load_dword v19, v[3:4]
	flat_load_dword v20, v[5:6]
	s_mov_b32 s0, exec_lo
	v_cndmask_b32_e32 v17, 0, v18, vcc_lo
	v_cndmask_b32_e32 v18, 0, v7, vcc_lo
	v_add_co_u32 v7, vcc_lo, s18, v15
	v_add_co_ci_u32_e64 v8, null, s19, v16, vcc_lo
	v_lshlrev_b64 v[15:16], 2, v[17:18]
	v_add_co_u32 v7, vcc_lo, v7, v9
	v_add_co_ci_u32_e64 v8, null, v8, v10, vcc_lo
	v_add_co_u32 v15, vcc_lo, s18, v15
	v_add_co_ci_u32_e64 v16, null, s19, v16, vcc_lo
	flat_load_dword v17, v[7:8]
	v_add_co_u32 v9, vcc_lo, v15, v9
	v_add_co_ci_u32_e64 v10, null, v16, v10, vcc_lo
	v_add_nc_u32_e32 v16, 32, v2
	flat_load_dword v15, v[9:10]
	s_waitcnt vmcnt(3) lgkmcnt(3)
	v_fmac_f32_e32 v23, v11, v19
	s_waitcnt vmcnt(2) lgkmcnt(2)
	v_fmac_f32_e32 v23, v12, v20
	;; [unrolled: 2-line block ×3, first 2 shown]
	v_cmpx_gt_i32_e64 s10, v16
	s_cbranch_execz .LBB201_43
; %bb.38:
	s_clause 0x3
	flat_load_dword v17, v[3:4] offset:128
	flat_load_dword v18, v[5:6] offset:128
	;; [unrolled: 1-line block ×4, first 2 shown]
	s_mov_b32 s2, exec_lo
	s_waitcnt vmcnt(3) lgkmcnt(3)
	v_fmac_f32_e32 v24, v11, v17
	v_add_nc_u32_e32 v17, 64, v2
	s_waitcnt vmcnt(2) lgkmcnt(2)
	v_fmac_f32_e32 v24, v12, v18
	s_waitcnt vmcnt(1) lgkmcnt(1)
	v_fmac_f32_e32 v24, v14, v19
	v_cmpx_gt_i32_e64 s10, v17
	s_cbranch_execz .LBB201_42
; %bb.39:
	s_clause 0x3
	flat_load_dword v18, v[3:4] offset:256
	flat_load_dword v19, v[5:6] offset:256
	;; [unrolled: 1-line block ×4, first 2 shown]
	v_add_nc_u32_e32 v2, 0x60, v2
	s_mov_b32 s3, exec_lo
	s_waitcnt vmcnt(3) lgkmcnt(3)
	v_fmac_f32_e32 v25, v11, v18
	s_waitcnt vmcnt(2) lgkmcnt(2)
	v_fmac_f32_e32 v25, v12, v19
	s_waitcnt vmcnt(1) lgkmcnt(1)
	v_fmac_f32_e32 v25, v14, v20
	v_cmpx_gt_i32_e64 s10, v2
	s_cbranch_execz .LBB201_41
; %bb.40:
	s_clause 0x3
	flat_load_dword v2, v[3:4] offset:384
	flat_load_dword v3, v[5:6] offset:384
	;; [unrolled: 1-line block ×4, first 2 shown]
	s_waitcnt vmcnt(3) lgkmcnt(3)
	v_fmac_f32_e32 v26, v11, v2
	s_waitcnt vmcnt(2) lgkmcnt(2)
	v_fmac_f32_e32 v26, v12, v3
	s_waitcnt vmcnt(1) lgkmcnt(1)
	v_fmac_f32_e32 v26, v14, v4
	s_waitcnt vmcnt(0) lgkmcnt(0)
	v_fmac_f32_e32 v26, v13, v5
.LBB201_41:
	s_or_b32 exec_lo, exec_lo, s3
	s_waitcnt vmcnt(0) lgkmcnt(0)
	v_fmac_f32_e32 v25, v13, v17
.LBB201_42:
	s_or_b32 exec_lo, exec_lo, s2
	s_waitcnt vmcnt(0) lgkmcnt(0)
	v_fmac_f32_e32 v24, v13, v16
.LBB201_43:
	s_or_b32 exec_lo, exec_lo, s0
	s_waitcnt vmcnt(0) lgkmcnt(0)
	v_fmac_f32_e32 v23, v13, v15
.LBB201_44:
	s_or_b32 exec_lo, exec_lo, s1
.LBB201_45:
	v_lshlrev_b32_e32 v0, 2, v0
	s_mov_b32 s0, exec_lo
                                        ; implicit-def: $vgpr3
                                        ; implicit-def: $vgpr4_vgpr5
	v_lshl_add_u32 v1, v1, 9, v0
	ds_write2_b32 v1, v23, v24 offset1:32
	ds_write2_b32 v1, v25, v26 offset0:64 offset1:96
	s_waitcnt vmcnt(0) lgkmcnt(0)
	s_barrier
	buffer_gl0_inv
	v_cmpx_gt_u32_e32 0x80, v21
	s_cbranch_execz .LBB201_51
; %bb.46:
	v_lshl_add_u32 v6, v22, 2, v0
	s_mov_b32 s2, s23
	s_mov_b32 s1, exec_lo
	ds_read2st64_b32 v[0:1], v6 offset1:2
	ds_read2st64_b32 v[2:3], v6 offset0:4 offset1:6
	ds_read2st64_b32 v[4:5], v6 offset0:8 offset1:10
	s_waitcnt lgkmcnt(2)
	v_add_f32_e32 v7, v0, v1
	ds_read2st64_b32 v[0:1], v6 offset0:12 offset1:14
	s_waitcnt lgkmcnt(2)
	v_add_f32_e32 v2, v2, v7
	v_add_f32_e32 v7, v3, v2
	ds_read2st64_b32 v[2:3], v6 offset0:16 offset1:18
	s_waitcnt lgkmcnt(2)
	v_add_f32_e32 v4, v4, v7
	;; [unrolled: 4-line block ×3, first 2 shown]
	v_add_f32_e32 v0, v1, v0
	s_waitcnt lgkmcnt(1)
	v_add_f32_e32 v2, v2, v0
	ds_read2st64_b32 v[0:1], v6 offset0:24 offset1:26
	v_add_f32_e32 v2, v3, v2
	s_waitcnt lgkmcnt(1)
	v_add_f32_e32 v4, v4, v2
	ds_read2st64_b32 v[2:3], v6 offset0:28 offset1:30
	v_add_f32_e32 v4, v5, v4
	s_waitcnt lgkmcnt(1)
	v_add_f32_e32 v0, v0, v4
                                        ; implicit-def: $vgpr4_vgpr5
	v_add_f32_e32 v0, v1, v0
	v_or_b32_e32 v1, s26, v21
	s_waitcnt lgkmcnt(0)
	v_add_f32_e32 v0, v2, v0
	v_add_f32_e32 v0, v3, v0
                                        ; implicit-def: $vgpr3
	ds_write_b32 v6, v0
	v_cmpx_gt_i32_e64 s10, v1
	s_cbranch_execz .LBB201_50
; %bb.47:
	v_ashrrev_i32_e32 v2, 31, v1
	v_mul_lo_u32 v6, s9, v1
	v_mad_u64_u32 v[4:5], null, s8, v1, 0
	v_cmp_eq_f32_e64 s2, s28, 0
	v_mul_lo_u32 v1, s8, v2
	v_mul_f32_e32 v3, s29, v0
	s_and_b32 vcc_lo, exec_lo, s2
	v_add3_u32 v5, v5, v1, v6
	s_cbranch_vccnz .LBB201_49
; %bb.48:
	v_lshlrev_b64 v[0:1], 2, v[4:5]
	v_add_co_u32 v0, vcc_lo, s5, v0
	v_add_co_ci_u32_e64 v1, null, s22, v1, vcc_lo
	flat_load_dword v0, v[0:1]
	s_waitcnt vmcnt(0) lgkmcnt(0)
	v_fmac_f32_e32 v3, s28, v0
.LBB201_49:
	s_or_b32 s2, s23, exec_lo
.LBB201_50:
	s_or_b32 exec_lo, exec_lo, s1
	s_andn2_b32 s1, s23, exec_lo
	s_and_b32 s2, s2, exec_lo
	s_or_b32 s23, s1, s2
.LBB201_51:
	s_or_b32 exec_lo, exec_lo, s0
.LBB201_52:
	s_and_saveexec_b32 s0, s23
	s_cbranch_execz .LBB201_54
; %bb.53:
	v_lshlrev_b64 v[0:1], 2, v[4:5]
	v_add_co_u32 v0, vcc_lo, s5, v0
	v_add_co_ci_u32_e64 v1, null, s22, v1, vcc_lo
	flat_store_dword v[0:1], v3
.LBB201_54:
	s_endpgm
	.section	.rodata,"a",@progbits
	.p2align	6, 0x0
	.amdhsa_kernel _ZL20rocblas_gemvn_kernelILi32ELi16ElPKfS1_KPfEviiT3_lPKT2_lT1_lS7_lS8_lS4_lPT4_lS8_li
		.amdhsa_group_segment_fixed_size 8192
		.amdhsa_private_segment_fixed_size 0
		.amdhsa_kernarg_size 400
		.amdhsa_user_sgpr_count 6
		.amdhsa_user_sgpr_private_segment_buffer 1
		.amdhsa_user_sgpr_dispatch_ptr 0
		.amdhsa_user_sgpr_queue_ptr 0
		.amdhsa_user_sgpr_kernarg_segment_ptr 1
		.amdhsa_user_sgpr_dispatch_id 0
		.amdhsa_user_sgpr_flat_scratch_init 0
		.amdhsa_user_sgpr_private_segment_size 0
		.amdhsa_wavefront_size32 1
		.amdhsa_uses_dynamic_stack 0
		.amdhsa_system_sgpr_private_segment_wavefront_offset 0
		.amdhsa_system_sgpr_workgroup_id_x 1
		.amdhsa_system_sgpr_workgroup_id_y 0
		.amdhsa_system_sgpr_workgroup_id_z 1
		.amdhsa_system_sgpr_workgroup_info 0
		.amdhsa_system_vgpr_workitem_id 1
		.amdhsa_next_free_vgpr 52
		.amdhsa_next_free_sgpr 35
		.amdhsa_reserve_vcc 1
		.amdhsa_reserve_flat_scratch 1
		.amdhsa_float_round_mode_32 0
		.amdhsa_float_round_mode_16_64 0
		.amdhsa_float_denorm_mode_32 3
		.amdhsa_float_denorm_mode_16_64 3
		.amdhsa_dx10_clamp 1
		.amdhsa_ieee_mode 1
		.amdhsa_fp16_overflow 0
		.amdhsa_workgroup_processor_mode 1
		.amdhsa_memory_ordered 1
		.amdhsa_forward_progress 1
		.amdhsa_shared_vgpr_count 0
		.amdhsa_exception_fp_ieee_invalid_op 0
		.amdhsa_exception_fp_denorm_src 0
		.amdhsa_exception_fp_ieee_div_zero 0
		.amdhsa_exception_fp_ieee_overflow 0
		.amdhsa_exception_fp_ieee_underflow 0
		.amdhsa_exception_fp_ieee_inexact 0
		.amdhsa_exception_int_div_zero 0
	.end_amdhsa_kernel
	.section	.text._ZL20rocblas_gemvn_kernelILi32ELi16ElPKfS1_KPfEviiT3_lPKT2_lT1_lS7_lS8_lS4_lPT4_lS8_li,"axG",@progbits,_ZL20rocblas_gemvn_kernelILi32ELi16ElPKfS1_KPfEviiT3_lPKT2_lT1_lS7_lS8_lS4_lPT4_lS8_li,comdat
.Lfunc_end201:
	.size	_ZL20rocblas_gemvn_kernelILi32ELi16ElPKfS1_KPfEviiT3_lPKT2_lT1_lS7_lS8_lS4_lPT4_lS8_li, .Lfunc_end201-_ZL20rocblas_gemvn_kernelILi32ELi16ElPKfS1_KPfEviiT3_lPKT2_lT1_lS7_lS8_lS4_lPT4_lS8_li
                                        ; -- End function
	.set _ZL20rocblas_gemvn_kernelILi32ELi16ElPKfS1_KPfEviiT3_lPKT2_lT1_lS7_lS8_lS4_lPT4_lS8_li.num_vgpr, 52
	.set _ZL20rocblas_gemvn_kernelILi32ELi16ElPKfS1_KPfEviiT3_lPKT2_lT1_lS7_lS8_lS4_lPT4_lS8_li.num_agpr, 0
	.set _ZL20rocblas_gemvn_kernelILi32ELi16ElPKfS1_KPfEviiT3_lPKT2_lT1_lS7_lS8_lS4_lPT4_lS8_li.numbered_sgpr, 35
	.set _ZL20rocblas_gemvn_kernelILi32ELi16ElPKfS1_KPfEviiT3_lPKT2_lT1_lS7_lS8_lS4_lPT4_lS8_li.num_named_barrier, 0
	.set _ZL20rocblas_gemvn_kernelILi32ELi16ElPKfS1_KPfEviiT3_lPKT2_lT1_lS7_lS8_lS4_lPT4_lS8_li.private_seg_size, 0
	.set _ZL20rocblas_gemvn_kernelILi32ELi16ElPKfS1_KPfEviiT3_lPKT2_lT1_lS7_lS8_lS4_lPT4_lS8_li.uses_vcc, 1
	.set _ZL20rocblas_gemvn_kernelILi32ELi16ElPKfS1_KPfEviiT3_lPKT2_lT1_lS7_lS8_lS4_lPT4_lS8_li.uses_flat_scratch, 1
	.set _ZL20rocblas_gemvn_kernelILi32ELi16ElPKfS1_KPfEviiT3_lPKT2_lT1_lS7_lS8_lS4_lPT4_lS8_li.has_dyn_sized_stack, 0
	.set _ZL20rocblas_gemvn_kernelILi32ELi16ElPKfS1_KPfEviiT3_lPKT2_lT1_lS7_lS8_lS4_lPT4_lS8_li.has_recursion, 0
	.set _ZL20rocblas_gemvn_kernelILi32ELi16ElPKfS1_KPfEviiT3_lPKT2_lT1_lS7_lS8_lS4_lPT4_lS8_li.has_indirect_call, 0
	.section	.AMDGPU.csdata,"",@progbits
; Kernel info:
; codeLenInByte = 3080
; TotalNumSgprs: 37
; NumVgprs: 52
; ScratchSize: 0
; MemoryBound: 0
; FloatMode: 240
; IeeeMode: 1
; LDSByteSize: 8192 bytes/workgroup (compile time only)
; SGPRBlocks: 0
; VGPRBlocks: 6
; NumSGPRsForWavesPerEU: 37
; NumVGPRsForWavesPerEU: 52
; Occupancy: 16
; WaveLimiterHint : 1
; COMPUTE_PGM_RSRC2:SCRATCH_EN: 0
; COMPUTE_PGM_RSRC2:USER_SGPR: 6
; COMPUTE_PGM_RSRC2:TRAP_HANDLER: 0
; COMPUTE_PGM_RSRC2:TGID_X_EN: 1
; COMPUTE_PGM_RSRC2:TGID_Y_EN: 0
; COMPUTE_PGM_RSRC2:TGID_Z_EN: 1
; COMPUTE_PGM_RSRC2:TIDIG_COMP_CNT: 1
	.section	.text._ZL20rocblas_gemvn_kernelILi32ELi16EiPKffKPfEviiT3_lPKT2_lT1_lS7_lS8_lS4_lPT4_lS8_li,"axG",@progbits,_ZL20rocblas_gemvn_kernelILi32ELi16EiPKffKPfEviiT3_lPKT2_lT1_lS7_lS8_lS4_lPT4_lS8_li,comdat
	.globl	_ZL20rocblas_gemvn_kernelILi32ELi16EiPKffKPfEviiT3_lPKT2_lT1_lS7_lS8_lS4_lPT4_lS8_li ; -- Begin function _ZL20rocblas_gemvn_kernelILi32ELi16EiPKffKPfEviiT3_lPKT2_lT1_lS7_lS8_lS4_lPT4_lS8_li
	.p2align	8
	.type	_ZL20rocblas_gemvn_kernelILi32ELi16EiPKffKPfEviiT3_lPKT2_lT1_lS7_lS8_lS4_lPT4_lS8_li,@function
_ZL20rocblas_gemvn_kernelILi32ELi16EiPKffKPfEviiT3_lPKT2_lT1_lS7_lS8_lS4_lPT4_lS8_li: ; @_ZL20rocblas_gemvn_kernelILi32ELi16EiPKffKPfEviiT3_lPKT2_lT1_lS7_lS8_lS4_lPT4_lS8_li
; %bb.0:
	s_load_dwordx2 s[0:1], s[4:5], 0x9c
	s_waitcnt lgkmcnt(0)
	s_lshr_b32 s3, s0, 16
	s_and_b32 s0, s0, 0xffff
	s_and_b32 s1, s1, 0xffff
	s_mul_i32 s0, s3, s0
	s_mul_i32 s0, s0, s1
	s_cmpk_lg_i32 s0, 0x200
	s_cbranch_scc1 .LBB202_56
; %bb.1:
	s_mov_b32 s2, s7
	s_clause 0x1
	s_load_dwordx4 s[8:11], s[4:5], 0x0
	s_load_dword s7, s[4:5], 0x58
	s_mov_b32 s3, 0
	s_waitcnt lgkmcnt(0)
	v_cmp_eq_f32_e64 s18, s10, 0
	v_cmp_eq_f32_e64 s0, s7, 1.0
	s_and_b32 s0, s18, s0
	s_and_b32 vcc_lo, exec_lo, s0
	s_cbranch_vccnz .LBB202_56
; %bb.2:
	v_cmp_neq_f32_e64 s11, s10, 0
	s_and_b32 vcc_lo, exec_lo, s11
	s_cbranch_vccnz .LBB202_4
; %bb.3:
	s_mov_b32 s1, 0
	s_mov_b32 s0, s2
	;; [unrolled: 1-line block ×3, first 2 shown]
	s_mov_b64 s[14:15], 0
	s_andn2_b32 vcc_lo, exec_lo, s12
	s_mov_b64 s[12:13], 0
	s_cbranch_vccz .LBB202_5
	s_branch .LBB202_6
.LBB202_4:
	s_mov_b64 s[0:1], s[2:3]
	s_mov_b64 s[14:15], 0
	;; [unrolled: 1-line block ×3, first 2 shown]
.LBB202_5:
	s_load_dwordx4 s[20:23], s[4:5], 0x18
	s_lshl_b64 s[2:3], s[2:3], 3
	s_waitcnt lgkmcnt(0)
	s_add_u32 s2, s20, s2
	s_addc_u32 s3, s21, s3
	s_lshl_b64 s[12:13], s[22:23], 2
	s_load_dwordx2 s[2:3], s[2:3], 0x0
	s_waitcnt lgkmcnt(0)
	s_add_u32 s12, s2, s12
	s_addc_u32 s13, s3, s13
.LBB202_6:
	s_andn2_b32 vcc_lo, exec_lo, s11
	s_cbranch_vccnz .LBB202_8
; %bb.7:
	s_load_dwordx4 s[20:23], s[4:5], 0x38
	s_lshl_b64 s[2:3], s[0:1], 3
	s_waitcnt lgkmcnt(0)
	s_add_u32 s2, s20, s2
	s_addc_u32 s3, s21, s3
	s_lshl_b64 s[14:15], s[22:23], 2
	s_load_dwordx2 s[2:3], s[2:3], 0x0
	s_waitcnt lgkmcnt(0)
	s_add_u32 s14, s2, s14
	s_addc_u32 s15, s3, s15
.LBB202_8:
	s_clause 0x1
	s_load_dwordx4 s[20:23], s[4:5], 0x68
	s_load_dword s17, s[4:5], 0x78
	s_lshl_b64 s[0:1], s[0:1], 3
	v_lshlrev_b32_e32 v14, 5, v1
	v_add_nc_u32_e32 v13, v14, v0
	s_waitcnt lgkmcnt(0)
	s_add_u32 s0, s20, s0
	s_addc_u32 s1, s21, s1
	s_lshl_b64 s[20:21], s[22:23], 2
	s_load_dwordx2 s[2:3], s[0:1], 0x0
	v_cmp_gt_u32_e64 s0, 0x80, v13
	s_waitcnt lgkmcnt(0)
	s_add_u32 s11, s2, s20
	s_addc_u32 s16, s3, s21
	s_andn2_b32 vcc_lo, exec_lo, s18
	s_cbranch_vccnz .LBB202_15
; %bb.9:
	s_mov_b32 s1, 0
	s_mov_b32 s18, 0
                                        ; implicit-def: $vgpr3
                                        ; implicit-def: $vgpr4_vgpr5
	s_and_saveexec_b32 s2, s0
	s_cbranch_execz .LBB202_16
; %bb.10:
	v_lshl_or_b32 v2, s6, 7, v13
	v_mov_b32_e32 v3, 0
	s_ashr_i32 s19, s8, 31
	s_mov_b32 s18, s8
	s_mov_b32 s3, 0
	s_mov_b32 s0, exec_lo
                                        ; implicit-def: $vgpr4_vgpr5
	v_cmpx_gt_i64_e64 s[18:19], v[2:3]
	s_cbranch_execz .LBB202_14
; %bb.11:
	v_mad_u64_u32 v[4:5], null, s17, v2, 0
	s_ashr_i32 s3, s17, 31
	v_mad_u64_u32 v[5:6], null, s3, v2, v[5:6]
	v_cmp_eq_f32_e64 s3, s7, 0
	s_and_b32 vcc_lo, exec_lo, s3
	s_cbranch_vccnz .LBB202_13
; %bb.12:
	v_lshlrev_b64 v[2:3], 2, v[4:5]
	v_add_co_u32 v2, vcc_lo, s11, v2
	v_add_co_ci_u32_e64 v3, null, s16, v3, vcc_lo
	flat_load_dword v2, v[2:3]
	s_waitcnt vmcnt(0) lgkmcnt(0)
	v_mul_f32_e32 v3, s7, v2
.LBB202_13:
	s_mov_b32 s3, exec_lo
.LBB202_14:
	s_or_b32 exec_lo, exec_lo, s0
	s_and_b32 s18, s3, exec_lo
	s_or_b32 exec_lo, exec_lo, s2
	s_and_b32 vcc_lo, exec_lo, s1
	s_cbranch_vccnz .LBB202_17
	s_branch .LBB202_54
.LBB202_15:
	s_mov_b32 s18, 0
                                        ; implicit-def: $vgpr3
                                        ; implicit-def: $vgpr4_vgpr5
	s_cbranch_execnz .LBB202_17
	s_branch .LBB202_54
.LBB202_16:
	s_or_b32 exec_lo, exec_lo, s2
	s_and_b32 vcc_lo, exec_lo, s1
	s_cbranch_vccz .LBB202_54
.LBB202_17:
	s_clause 0x1
	s_load_dword s19, s[4:5], 0x28
	s_load_dword s4, s[4:5], 0x48
	s_ashr_i32 s0, s9, 31
	s_lshl_b32 s5, s6, 7
	s_lshr_b32 s0, s0, 26
	v_lshlrev_b32_e32 v20, 2, v1
	v_add_nc_u32_e32 v19, s5, v0
	v_mov_b32_e32 v15, 0
	v_mov_b32_e32 v16, 0
	;; [unrolled: 1-line block ×4, first 2 shown]
	s_add_i32 s0, s9, s0
	s_mov_b32 s20, exec_lo
	s_and_b32 s6, s0, 0xffffffc0
	v_cmpx_gt_i32_e64 s6, v20
	s_cbranch_execz .LBB202_29
; %bb.18:
	v_add_nc_u32_e32 v5, 0x60, v19
	s_waitcnt lgkmcnt(0)
	v_mul_lo_u32 v3, s19, v20
	v_add_nc_u32_e32 v2, 32, v19
	v_add_nc_u32_e32 v6, 2, v20
	;; [unrolled: 1-line block ×3, first 2 shown]
	v_cmp_gt_i32_e64 s2, s8, v5
	v_mul_lo_u32 v5, v1, s19
	v_add_nc_u32_e32 v7, 3, v20
	v_mul_lo_u32 v8, v1, s4
	v_cmp_gt_i32_e64 s0, s8, v2
	v_add3_u32 v21, v3, s19, v0
	v_mad_u64_u32 v[2:3], null, s19, v6, v[0:1]
	v_cmp_gt_i32_e64 s1, s8, v4
	v_mad_u64_u32 v[3:4], null, s19, v7, v[0:1]
	v_lshl_add_u32 v22, v5, 2, v0
	v_mad_u64_u32 v[4:5], null, s4, v20, s[4:5]
	v_mul_lo_u32 v23, s4, v6
	v_mul_lo_u32 v24, s4, v7
	v_lshlrev_b32_e32 v25, 2, v8
	v_mov_b32_e32 v15, 0
	v_mov_b32_e32 v16, 0
	;; [unrolled: 1-line block ×4, first 2 shown]
	s_lshl_b32 s21, s19, 6
	s_lshl_b32 s23, s4, 6
	s_mov_b32 s22, 0
	s_mov_b32 s24, 0
	v_cmp_gt_i32_e32 vcc_lo, s8, v19
	s_branch .LBB202_23
.LBB202_19:                             ;   in Loop: Header=BB202_23 Depth=1
	s_or_b32 exec_lo, exec_lo, s27
	s_waitcnt vmcnt(3) lgkmcnt(3)
	v_fmac_f32_e32 v17, v29, v41
	s_waitcnt vmcnt(2) lgkmcnt(2)
	v_fmac_f32_e32 v17, v28, v40
	;; [unrolled: 2-line block ×4, first 2 shown]
.LBB202_20:                             ;   in Loop: Header=BB202_23 Depth=1
	s_or_b32 exec_lo, exec_lo, s26
	s_waitcnt vmcnt(3) lgkmcnt(3)
	v_fmac_f32_e32 v16, v29, v37
	s_waitcnt vmcnt(2) lgkmcnt(2)
	v_fmac_f32_e32 v16, v28, v36
	;; [unrolled: 2-line block ×4, first 2 shown]
.LBB202_21:                             ;   in Loop: Header=BB202_23 Depth=1
	s_or_b32 exec_lo, exec_lo, s3
	s_waitcnt vmcnt(3) lgkmcnt(3)
	v_fmac_f32_e32 v15, v29, v33
	s_waitcnt vmcnt(2) lgkmcnt(2)
	v_fmac_f32_e32 v15, v28, v31
	;; [unrolled: 2-line block ×4, first 2 shown]
.LBB202_22:                             ;   in Loop: Header=BB202_23 Depth=1
	s_or_b32 exec_lo, exec_lo, s25
	v_add_nc_u32_e32 v20, 64, v20
	v_add_nc_u32_e32 v21, s21, v21
	;; [unrolled: 1-line block ×5, first 2 shown]
	v_cmp_le_i32_e64 s3, s6, v20
	s_add_i32 s24, s24, s23
	s_or_b32 s22, s3, s22
	s_andn2_b32 exec_lo, exec_lo, s22
	s_cbranch_execz .LBB202_28
.LBB202_23:                             ; =>This Inner Loop Header: Depth=1
	s_and_saveexec_b32 s25, vcc_lo
	s_cbranch_execz .LBB202_22
; %bb.24:                               ;   in Loop: Header=BB202_23 Depth=1
	v_add_nc_u32_e32 v5, s24, v25
	v_add_nc_u32_e32 v7, s24, v4
	;; [unrolled: 1-line block ×5, first 2 shown]
	v_ashrrev_i32_e32 v6, 31, v5
	v_ashrrev_i32_e32 v8, 31, v7
	;; [unrolled: 1-line block ×5, first 2 shown]
	v_lshlrev_b64 v[5:6], 2, v[5:6]
	v_lshlrev_b64 v[7:8], 2, v[7:8]
	;; [unrolled: 1-line block ×3, first 2 shown]
	v_add_co_u32 v28, s3, s14, v5
	v_add_co_ci_u32_e64 v29, null, s15, v6, s3
	v_add_co_u32 v30, s3, s14, v7
	v_add_nc_u32_e32 v7, s5, v21
	v_add_co_ci_u32_e64 v31, null, s15, v8, s3
	v_lshlrev_b64 v[5:6], 2, v[11:12]
	v_add_co_u32 v32, s3, s14, v9
	v_add_nc_u32_e32 v11, s5, v2
	v_add_co_ci_u32_e64 v33, null, s15, v10, s3
	v_lshlrev_b64 v[9:10], 2, v[26:27]
	v_add_nc_u32_e32 v26, s5, v3
	v_ashrrev_i32_e32 v8, 31, v7
	v_ashrrev_i32_e32 v12, 31, v11
	v_add_co_u32 v34, s3, s14, v5
	v_ashrrev_i32_e32 v27, 31, v26
	v_add_co_ci_u32_e64 v35, null, s15, v6, s3
	v_lshlrev_b64 v[7:8], 2, v[7:8]
	v_add_co_u32 v5, s3, s12, v9
	v_add_co_ci_u32_e64 v6, null, s13, v10, s3
	v_lshlrev_b64 v[9:10], 2, v[11:12]
	v_lshlrev_b64 v[26:27], 2, v[26:27]
	v_add_co_u32 v7, s3, s12, v7
	v_add_co_ci_u32_e64 v8, null, s13, v8, s3
	v_add_co_u32 v11, s3, s12, v9
	v_add_co_ci_u32_e64 v12, null, s13, v10, s3
	;; [unrolled: 2-line block ×3, first 2 shown]
	s_clause 0x3
	flat_load_dword v29, v[28:29]
	flat_load_dword v28, v[30:31]
	;; [unrolled: 1-line block ×4, first 2 shown]
	s_clause 0x3
	flat_load_dword v33, v[5:6]
	flat_load_dword v31, v[7:8]
	;; [unrolled: 1-line block ×4, first 2 shown]
	s_and_saveexec_b32 s3, s0
	s_cbranch_execz .LBB202_21
; %bb.25:                               ;   in Loop: Header=BB202_23 Depth=1
	s_clause 0x3
	flat_load_dword v37, v[5:6] offset:128
	flat_load_dword v36, v[7:8] offset:128
	flat_load_dword v35, v[11:12] offset:128
	flat_load_dword v34, v[9:10] offset:128
	s_and_saveexec_b32 s26, s1
	s_cbranch_execz .LBB202_20
; %bb.26:                               ;   in Loop: Header=BB202_23 Depth=1
	s_clause 0x3
	flat_load_dword v41, v[5:6] offset:256
	flat_load_dword v40, v[7:8] offset:256
	flat_load_dword v39, v[11:12] offset:256
	flat_load_dword v38, v[9:10] offset:256
	;; [unrolled: 8-line block ×3, first 2 shown]
	s_waitcnt vmcnt(3) lgkmcnt(3)
	v_fmac_f32_e32 v18, v29, v5
	s_waitcnt vmcnt(2) lgkmcnt(2)
	v_fmac_f32_e32 v18, v28, v6
	;; [unrolled: 2-line block ×4, first 2 shown]
	s_branch .LBB202_19
.LBB202_28:
	s_or_b32 exec_lo, exec_lo, s22
.LBB202_29:
	s_or_b32 exec_lo, exec_lo, s20
	s_sub_i32 s0, s9, s6
	s_cmp_lt_i32 s0, 1
	s_cbranch_scc1 .LBB202_47
; %bb.30:
	v_cmp_gt_i32_e32 vcc_lo, s9, v20
	v_mov_b32_e32 v12, 0
	v_or_b32_e32 v2, 1, v20
	v_mov_b32_e32 v21, 0
	v_mov_b32_e32 v11, 0
	;; [unrolled: 1-line block ×3, first 2 shown]
	s_and_saveexec_b32 s1, vcc_lo
	s_cbranch_execz .LBB202_38
; %bb.31:
	s_waitcnt lgkmcnt(0)
	v_mul_lo_u32 v3, v20, s4
	v_mov_b32_e32 v11, 0
	v_mov_b32_e32 v21, 0
	v_mov_b32_e32 v12, 0
	s_mov_b32 s2, exec_lo
	v_ashrrev_i32_e32 v4, 31, v3
	v_lshlrev_b64 v[3:4], 2, v[3:4]
	v_add_co_u32 v3, s0, s14, v3
	v_add_co_ci_u32_e64 v4, null, s15, v4, s0
	flat_load_dword v10, v[3:4]
	v_cmpx_gt_i32_e64 s9, v2
	s_cbranch_execz .LBB202_37
; %bb.32:
	v_mul_lo_u32 v3, v2, s4
	v_mov_b32_e32 v21, 0
	v_mov_b32_e32 v12, 0
	s_mov_b32 s3, exec_lo
	v_ashrrev_i32_e32 v4, 31, v3
	v_lshlrev_b64 v[3:4], 2, v[3:4]
	v_add_co_u32 v3, s0, s14, v3
	v_add_co_ci_u32_e64 v4, null, s15, v4, s0
	flat_load_dword v11, v[3:4]
	v_or_b32_e32 v3, 2, v20
	v_cmpx_gt_i32_e64 s9, v3
	s_cbranch_execz .LBB202_36
; %bb.33:
	v_mul_lo_u32 v3, v3, s4
	v_mov_b32_e32 v12, 0
	s_mov_b32 s6, exec_lo
	v_ashrrev_i32_e32 v4, 31, v3
	v_lshlrev_b64 v[3:4], 2, v[3:4]
	v_add_co_u32 v3, s0, s14, v3
	v_add_co_ci_u32_e64 v4, null, s15, v4, s0
	flat_load_dword v21, v[3:4]
	v_or_b32_e32 v3, 3, v20
	v_cmpx_gt_i32_e64 s9, v3
	s_cbranch_execz .LBB202_35
; %bb.34:
	v_mul_lo_u32 v3, v3, s4
	v_ashrrev_i32_e32 v4, 31, v3
	v_lshlrev_b64 v[3:4], 2, v[3:4]
	v_add_co_u32 v3, s0, s14, v3
	v_add_co_ci_u32_e64 v4, null, s15, v4, s0
	flat_load_dword v12, v[3:4]
.LBB202_35:
	s_or_b32 exec_lo, exec_lo, s6
.LBB202_36:
	s_or_b32 exec_lo, exec_lo, s3
.LBB202_37:
	s_or_b32 exec_lo, exec_lo, s2
.LBB202_38:
	s_or_b32 exec_lo, exec_lo, s1
	s_mov_b32 s1, exec_lo
	v_cmpx_gt_i32_e64 s8, v19
	s_cbranch_execz .LBB202_46
; %bb.39:
	s_waitcnt lgkmcnt(0)
	v_mul_lo_u32 v3, v20, s19
	v_or_b32_e32 v4, 2, v20
	v_mul_lo_u32 v5, v2, s19
	v_or_b32_e32 v6, 3, v20
	s_mov_b32 s0, exec_lo
	v_mul_lo_u32 v7, v4, s19
	v_mul_lo_u32 v8, v6, s19
	v_cndmask_b32_e32 v3, 0, v3, vcc_lo
	v_cmp_gt_i32_e32 vcc_lo, s9, v2
	v_add_nc_u32_e32 v2, v3, v19
	v_cndmask_b32_e32 v5, 0, v5, vcc_lo
	v_cmp_gt_i32_e32 vcc_lo, s9, v4
	v_ashrrev_i32_e32 v3, 31, v2
	v_add_nc_u32_e32 v4, v5, v19
	v_cndmask_b32_e32 v7, 0, v7, vcc_lo
	v_cmp_gt_i32_e32 vcc_lo, s9, v6
	v_lshlrev_b64 v[2:3], 2, v[2:3]
	v_ashrrev_i32_e32 v5, 31, v4
	v_add_nc_u32_e32 v6, v7, v19
	v_cndmask_b32_e32 v8, 0, v8, vcc_lo
	v_lshlrev_b64 v[4:5], 2, v[4:5]
	v_ashrrev_i32_e32 v7, 31, v6
	v_add_nc_u32_e32 v8, v8, v19
	v_lshlrev_b64 v[22:23], 2, v[6:7]
	v_add_co_u32 v6, vcc_lo, s12, v2
	v_add_co_ci_u32_e64 v7, null, s13, v3, vcc_lo
	v_ashrrev_i32_e32 v9, 31, v8
	v_add_co_u32 v2, vcc_lo, s12, v4
	v_add_co_ci_u32_e64 v3, null, s13, v5, vcc_lo
	flat_load_dword v24, v[6:7]
	v_add_co_u32 v4, vcc_lo, s12, v22
	v_add_co_ci_u32_e64 v5, null, s13, v23, vcc_lo
	v_lshlrev_b64 v[8:9], 2, v[8:9]
	s_clause 0x1
	flat_load_dword v22, v[2:3]
	flat_load_dword v23, v[4:5]
	v_add_co_u32 v8, vcc_lo, s12, v8
	v_add_co_ci_u32_e64 v9, null, s13, v9, vcc_lo
	flat_load_dword v20, v[8:9]
	s_waitcnt vmcnt(3) lgkmcnt(3)
	v_fmac_f32_e32 v15, v10, v24
	s_waitcnt vmcnt(2) lgkmcnt(2)
	v_fmac_f32_e32 v15, v11, v22
	v_add_nc_u32_e32 v22, 32, v19
	s_waitcnt vmcnt(1) lgkmcnt(1)
	v_fmac_f32_e32 v15, v21, v23
	v_cmpx_gt_i32_e64 s8, v22
	s_cbranch_execz .LBB202_45
; %bb.40:
	s_clause 0x3
	flat_load_dword v23, v[6:7] offset:128
	flat_load_dword v24, v[2:3] offset:128
	flat_load_dword v25, v[4:5] offset:128
	flat_load_dword v22, v[8:9] offset:128
	s_mov_b32 s2, exec_lo
	s_waitcnt vmcnt(3) lgkmcnt(3)
	v_fmac_f32_e32 v16, v10, v23
	v_add_nc_u32_e32 v23, 64, v19
	s_waitcnt vmcnt(2) lgkmcnt(2)
	v_fmac_f32_e32 v16, v11, v24
	s_waitcnt vmcnt(1) lgkmcnt(1)
	v_fmac_f32_e32 v16, v21, v25
	v_cmpx_gt_i32_e64 s8, v23
	s_cbranch_execz .LBB202_44
; %bb.41:
	s_clause 0x3
	flat_load_dword v24, v[6:7] offset:256
	flat_load_dword v25, v[2:3] offset:256
	;; [unrolled: 1-line block ×4, first 2 shown]
	v_add_nc_u32_e32 v19, 0x60, v19
	s_mov_b32 s3, exec_lo
	s_waitcnt vmcnt(3) lgkmcnt(3)
	v_fmac_f32_e32 v17, v10, v24
	s_waitcnt vmcnt(2) lgkmcnt(2)
	v_fmac_f32_e32 v17, v11, v25
	;; [unrolled: 2-line block ×3, first 2 shown]
	v_cmpx_gt_i32_e64 s8, v19
	s_cbranch_execz .LBB202_43
; %bb.42:
	s_clause 0x3
	flat_load_dword v6, v[6:7] offset:384
	flat_load_dword v2, v[2:3] offset:384
	;; [unrolled: 1-line block ×4, first 2 shown]
	s_waitcnt vmcnt(3) lgkmcnt(3)
	v_fmac_f32_e32 v18, v10, v6
	s_waitcnt vmcnt(2) lgkmcnt(2)
	v_fmac_f32_e32 v18, v11, v2
	;; [unrolled: 2-line block ×4, first 2 shown]
.LBB202_43:
	s_or_b32 exec_lo, exec_lo, s3
	s_waitcnt vmcnt(0) lgkmcnt(0)
	v_fmac_f32_e32 v17, v12, v23
.LBB202_44:
	s_or_b32 exec_lo, exec_lo, s2
	s_waitcnt vmcnt(0) lgkmcnt(0)
	v_fmac_f32_e32 v16, v12, v22
.LBB202_45:
	s_or_b32 exec_lo, exec_lo, s0
	s_waitcnt vmcnt(0) lgkmcnt(0)
	v_fmac_f32_e32 v15, v12, v20
.LBB202_46:
	s_or_b32 exec_lo, exec_lo, s1
.LBB202_47:
	v_lshlrev_b32_e32 v0, 2, v0
	s_mov_b32 s0, exec_lo
                                        ; implicit-def: $vgpr3
                                        ; implicit-def: $vgpr4_vgpr5
	v_lshl_add_u32 v1, v1, 9, v0
	ds_write2_b32 v1, v15, v16 offset1:32
	ds_write2_b32 v1, v17, v18 offset0:64 offset1:96
	s_waitcnt vmcnt(0) lgkmcnt(0)
	s_barrier
	buffer_gl0_inv
	v_cmpx_gt_u32_e32 0x80, v13
	s_cbranch_execz .LBB202_53
; %bb.48:
	v_lshl_add_u32 v6, v14, 2, v0
	s_mov_b32 s2, s18
	s_mov_b32 s1, exec_lo
	ds_read2st64_b32 v[0:1], v6 offset1:2
	ds_read2st64_b32 v[2:3], v6 offset0:4 offset1:6
	ds_read2st64_b32 v[4:5], v6 offset0:8 offset1:10
	s_waitcnt lgkmcnt(2)
	v_add_f32_e32 v7, v0, v1
	ds_read2st64_b32 v[0:1], v6 offset0:12 offset1:14
	s_waitcnt lgkmcnt(2)
	v_add_f32_e32 v2, v2, v7
	v_add_f32_e32 v7, v3, v2
	ds_read2st64_b32 v[2:3], v6 offset0:16 offset1:18
	s_waitcnt lgkmcnt(2)
	v_add_f32_e32 v4, v4, v7
	;; [unrolled: 4-line block ×3, first 2 shown]
	v_add_f32_e32 v0, v1, v0
	s_waitcnt lgkmcnt(1)
	v_add_f32_e32 v2, v2, v0
	ds_read2st64_b32 v[0:1], v6 offset0:24 offset1:26
	v_add_f32_e32 v2, v3, v2
	s_waitcnt lgkmcnt(1)
	v_add_f32_e32 v4, v4, v2
	ds_read2st64_b32 v[2:3], v6 offset0:28 offset1:30
	v_add_f32_e32 v4, v5, v4
	s_waitcnt lgkmcnt(1)
	v_add_f32_e32 v0, v0, v4
                                        ; implicit-def: $vgpr4_vgpr5
	v_add_f32_e32 v0, v1, v0
	v_or_b32_e32 v1, s5, v13
	s_waitcnt lgkmcnt(0)
	v_add_f32_e32 v0, v2, v0
	v_add_f32_e32 v0, v3, v0
                                        ; implicit-def: $vgpr3
	ds_write_b32 v6, v0
	v_cmpx_gt_i32_e64 s8, v1
	s_cbranch_execz .LBB202_52
; %bb.49:
	v_mul_lo_u32 v4, s17, v1
	v_cmp_eq_f32_e64 s2, s7, 0
	v_mul_f32_e32 v3, s10, v0
	s_and_b32 vcc_lo, exec_lo, s2
	v_ashrrev_i32_e32 v5, 31, v4
	s_cbranch_vccnz .LBB202_51
; %bb.50:
	v_lshlrev_b64 v[0:1], 2, v[4:5]
	v_add_co_u32 v0, vcc_lo, s11, v0
	v_add_co_ci_u32_e64 v1, null, s16, v1, vcc_lo
	flat_load_dword v0, v[0:1]
	s_waitcnt vmcnt(0) lgkmcnt(0)
	v_fmac_f32_e32 v3, s7, v0
.LBB202_51:
	s_or_b32 s2, s18, exec_lo
.LBB202_52:
	s_or_b32 exec_lo, exec_lo, s1
	s_andn2_b32 s1, s18, exec_lo
	s_and_b32 s2, s2, exec_lo
	s_or_b32 s18, s1, s2
.LBB202_53:
	s_or_b32 exec_lo, exec_lo, s0
.LBB202_54:
	s_and_saveexec_b32 s0, s18
	s_cbranch_execz .LBB202_56
; %bb.55:
	v_lshlrev_b64 v[0:1], 2, v[4:5]
	v_add_co_u32 v0, vcc_lo, s11, v0
	v_add_co_ci_u32_e64 v1, null, s16, v1, vcc_lo
	flat_store_dword v[0:1], v3
.LBB202_56:
	s_endpgm
	.section	.rodata,"a",@progbits
	.p2align	6, 0x0
	.amdhsa_kernel _ZL20rocblas_gemvn_kernelILi32ELi16EiPKffKPfEviiT3_lPKT2_lT1_lS7_lS8_lS4_lPT4_lS8_li
		.amdhsa_group_segment_fixed_size 8192
		.amdhsa_private_segment_fixed_size 0
		.amdhsa_kernarg_size 400
		.amdhsa_user_sgpr_count 6
		.amdhsa_user_sgpr_private_segment_buffer 1
		.amdhsa_user_sgpr_dispatch_ptr 0
		.amdhsa_user_sgpr_queue_ptr 0
		.amdhsa_user_sgpr_kernarg_segment_ptr 1
		.amdhsa_user_sgpr_dispatch_id 0
		.amdhsa_user_sgpr_flat_scratch_init 0
		.amdhsa_user_sgpr_private_segment_size 0
		.amdhsa_wavefront_size32 1
		.amdhsa_uses_dynamic_stack 0
		.amdhsa_system_sgpr_private_segment_wavefront_offset 0
		.amdhsa_system_sgpr_workgroup_id_x 1
		.amdhsa_system_sgpr_workgroup_id_y 0
		.amdhsa_system_sgpr_workgroup_id_z 1
		.amdhsa_system_sgpr_workgroup_info 0
		.amdhsa_system_vgpr_workitem_id 1
		.amdhsa_next_free_vgpr 42
		.amdhsa_next_free_sgpr 28
		.amdhsa_reserve_vcc 1
		.amdhsa_reserve_flat_scratch 1
		.amdhsa_float_round_mode_32 0
		.amdhsa_float_round_mode_16_64 0
		.amdhsa_float_denorm_mode_32 3
		.amdhsa_float_denorm_mode_16_64 3
		.amdhsa_dx10_clamp 1
		.amdhsa_ieee_mode 1
		.amdhsa_fp16_overflow 0
		.amdhsa_workgroup_processor_mode 1
		.amdhsa_memory_ordered 1
		.amdhsa_forward_progress 1
		.amdhsa_shared_vgpr_count 0
		.amdhsa_exception_fp_ieee_invalid_op 0
		.amdhsa_exception_fp_denorm_src 0
		.amdhsa_exception_fp_ieee_div_zero 0
		.amdhsa_exception_fp_ieee_overflow 0
		.amdhsa_exception_fp_ieee_underflow 0
		.amdhsa_exception_fp_ieee_inexact 0
		.amdhsa_exception_int_div_zero 0
	.end_amdhsa_kernel
	.section	.text._ZL20rocblas_gemvn_kernelILi32ELi16EiPKffKPfEviiT3_lPKT2_lT1_lS7_lS8_lS4_lPT4_lS8_li,"axG",@progbits,_ZL20rocblas_gemvn_kernelILi32ELi16EiPKffKPfEviiT3_lPKT2_lT1_lS7_lS8_lS4_lPT4_lS8_li,comdat
.Lfunc_end202:
	.size	_ZL20rocblas_gemvn_kernelILi32ELi16EiPKffKPfEviiT3_lPKT2_lT1_lS7_lS8_lS4_lPT4_lS8_li, .Lfunc_end202-_ZL20rocblas_gemvn_kernelILi32ELi16EiPKffKPfEviiT3_lPKT2_lT1_lS7_lS8_lS4_lPT4_lS8_li
                                        ; -- End function
	.set _ZL20rocblas_gemvn_kernelILi32ELi16EiPKffKPfEviiT3_lPKT2_lT1_lS7_lS8_lS4_lPT4_lS8_li.num_vgpr, 42
	.set _ZL20rocblas_gemvn_kernelILi32ELi16EiPKffKPfEviiT3_lPKT2_lT1_lS7_lS8_lS4_lPT4_lS8_li.num_agpr, 0
	.set _ZL20rocblas_gemvn_kernelILi32ELi16EiPKffKPfEviiT3_lPKT2_lT1_lS7_lS8_lS4_lPT4_lS8_li.numbered_sgpr, 28
	.set _ZL20rocblas_gemvn_kernelILi32ELi16EiPKffKPfEviiT3_lPKT2_lT1_lS7_lS8_lS4_lPT4_lS8_li.num_named_barrier, 0
	.set _ZL20rocblas_gemvn_kernelILi32ELi16EiPKffKPfEviiT3_lPKT2_lT1_lS7_lS8_lS4_lPT4_lS8_li.private_seg_size, 0
	.set _ZL20rocblas_gemvn_kernelILi32ELi16EiPKffKPfEviiT3_lPKT2_lT1_lS7_lS8_lS4_lPT4_lS8_li.uses_vcc, 1
	.set _ZL20rocblas_gemvn_kernelILi32ELi16EiPKffKPfEviiT3_lPKT2_lT1_lS7_lS8_lS4_lPT4_lS8_li.uses_flat_scratch, 1
	.set _ZL20rocblas_gemvn_kernelILi32ELi16EiPKffKPfEviiT3_lPKT2_lT1_lS7_lS8_lS4_lPT4_lS8_li.has_dyn_sized_stack, 0
	.set _ZL20rocblas_gemvn_kernelILi32ELi16EiPKffKPfEviiT3_lPKT2_lT1_lS7_lS8_lS4_lPT4_lS8_li.has_recursion, 0
	.set _ZL20rocblas_gemvn_kernelILi32ELi16EiPKffKPfEviiT3_lPKT2_lT1_lS7_lS8_lS4_lPT4_lS8_li.has_indirect_call, 0
	.section	.AMDGPU.csdata,"",@progbits
; Kernel info:
; codeLenInByte = 2756
; TotalNumSgprs: 30
; NumVgprs: 42
; ScratchSize: 0
; MemoryBound: 0
; FloatMode: 240
; IeeeMode: 1
; LDSByteSize: 8192 bytes/workgroup (compile time only)
; SGPRBlocks: 0
; VGPRBlocks: 5
; NumSGPRsForWavesPerEU: 30
; NumVGPRsForWavesPerEU: 42
; Occupancy: 16
; WaveLimiterHint : 1
; COMPUTE_PGM_RSRC2:SCRATCH_EN: 0
; COMPUTE_PGM_RSRC2:USER_SGPR: 6
; COMPUTE_PGM_RSRC2:TRAP_HANDLER: 0
; COMPUTE_PGM_RSRC2:TGID_X_EN: 1
; COMPUTE_PGM_RSRC2:TGID_Y_EN: 0
; COMPUTE_PGM_RSRC2:TGID_Z_EN: 1
; COMPUTE_PGM_RSRC2:TIDIG_COMP_CNT: 1
	.section	.text._ZL20rocblas_gemvn_kernelILi32ELi16ElPKffKPfEviiT3_lPKT2_lT1_lS7_lS8_lS4_lPT4_lS8_li,"axG",@progbits,_ZL20rocblas_gemvn_kernelILi32ELi16ElPKffKPfEviiT3_lPKT2_lT1_lS7_lS8_lS4_lPT4_lS8_li,comdat
	.globl	_ZL20rocblas_gemvn_kernelILi32ELi16ElPKffKPfEviiT3_lPKT2_lT1_lS7_lS8_lS4_lPT4_lS8_li ; -- Begin function _ZL20rocblas_gemvn_kernelILi32ELi16ElPKffKPfEviiT3_lPKT2_lT1_lS7_lS8_lS4_lPT4_lS8_li
	.p2align	8
	.type	_ZL20rocblas_gemvn_kernelILi32ELi16ElPKffKPfEviiT3_lPKT2_lT1_lS7_lS8_lS4_lPT4_lS8_li,@function
_ZL20rocblas_gemvn_kernelILi32ELi16ElPKffKPfEviiT3_lPKT2_lT1_lS7_lS8_lS4_lPT4_lS8_li: ; @_ZL20rocblas_gemvn_kernelILi32ELi16ElPKffKPfEviiT3_lPKT2_lT1_lS7_lS8_lS4_lPT4_lS8_li
; %bb.0:
	s_load_dwordx2 s[0:1], s[4:5], 0x9c
	s_waitcnt lgkmcnt(0)
	s_lshr_b32 s2, s0, 16
	s_and_b32 s0, s0, 0xffff
	s_and_b32 s1, s1, 0xffff
	s_mul_i32 s0, s2, s0
	s_mul_i32 s0, s0, s1
	s_cmpk_lg_i32 s0, 0x200
	s_cbranch_scc1 .LBB203_56
; %bb.1:
	s_load_dwordx4 s[8:11], s[4:5], 0x0
	s_waitcnt lgkmcnt(0)
	s_load_dword s11, s[4:5], 0x58
	s_mov_b32 s20, s7
	s_mov_b32 s21, 0
	v_cmp_eq_f32_e64 s7, s10, 0
	s_waitcnt lgkmcnt(0)
	v_cmp_eq_f32_e64 s0, s11, 1.0
	s_and_b32 s0, s7, s0
	s_and_b32 vcc_lo, exec_lo, s0
	s_cbranch_vccnz .LBB203_56
; %bb.2:
	s_clause 0x1
	s_load_dwordx4 s[0:3], s[4:5], 0x18
	s_load_dwordx2 s[14:15], s[4:5], 0x28
	v_cmp_neq_f32_e64 s22, s10, 0
	s_and_b32 vcc_lo, exec_lo, s22
	s_cbranch_vccnz .LBB203_4
; %bb.3:
	s_mov_b32 s13, 0
	s_mov_b32 s12, s20
	;; [unrolled: 1-line block ×3, first 2 shown]
	s_mov_b64 s[18:19], 0
	s_andn2_b32 vcc_lo, exec_lo, s16
	s_mov_b64 s[16:17], 0
	s_cbranch_vccz .LBB203_5
	s_branch .LBB203_6
.LBB203_4:
	s_mov_b64 s[12:13], s[20:21]
	s_mov_b64 s[18:19], 0
	;; [unrolled: 1-line block ×3, first 2 shown]
.LBB203_5:
	s_lshl_b64 s[16:17], s[20:21], 3
	s_waitcnt lgkmcnt(0)
	s_add_u32 s0, s0, s16
	s_addc_u32 s1, s1, s17
	s_lshl_b64 s[2:3], s[2:3], 2
	s_load_dwordx2 s[0:1], s[0:1], 0x0
	s_waitcnt lgkmcnt(0)
	s_add_u32 s16, s0, s2
	s_addc_u32 s17, s1, s3
.LBB203_6:
	s_waitcnt lgkmcnt(0)
	s_clause 0x1
	s_load_dwordx4 s[0:3], s[4:5], 0x38
	s_load_dwordx2 s[20:21], s[4:5], 0x48
	s_andn2_b32 vcc_lo, exec_lo, s22
	s_cbranch_vccnz .LBB203_8
; %bb.7:
	s_lshl_b64 s[18:19], s[12:13], 3
	s_waitcnt lgkmcnt(0)
	s_add_u32 s0, s0, s18
	s_addc_u32 s1, s1, s19
	s_lshl_b64 s[2:3], s[2:3], 2
	s_load_dwordx2 s[0:1], s[0:1], 0x0
	s_waitcnt lgkmcnt(0)
	s_add_u32 s18, s0, s2
	s_addc_u32 s19, s1, s3
.LBB203_8:
	s_waitcnt lgkmcnt(0)
	s_load_dwordx4 s[0:3], s[4:5], 0x68
	s_lshl_b64 s[22:23], s[12:13], 3
	s_load_dwordx2 s[12:13], s[4:5], 0x78
	v_lshlrev_b32_e32 v22, 5, v1
	v_add_nc_u32_e32 v21, v22, v0
	s_waitcnt lgkmcnt(0)
	s_add_u32 s0, s0, s22
	s_addc_u32 s1, s1, s23
	s_lshl_b64 s[2:3], s[2:3], 2
	s_load_dwordx2 s[22:23], s[0:1], 0x0
	v_cmp_gt_u32_e64 s0, 0x80, v21
	s_waitcnt lgkmcnt(0)
	s_add_u32 s5, s22, s2
	s_addc_u32 s26, s23, s3
	s_andn2_b32 vcc_lo, exec_lo, s7
	s_cbranch_vccnz .LBB203_15
; %bb.9:
	s_mov_b32 s1, 0
	s_mov_b32 s27, 0
                                        ; implicit-def: $vgpr3
                                        ; implicit-def: $vgpr4_vgpr5
	s_and_saveexec_b32 s2, s0
	s_cbranch_execz .LBB203_16
; %bb.10:
	v_lshl_or_b32 v2, s6, 7, v21
	v_mov_b32_e32 v3, 0
	s_ashr_i32 s23, s8, 31
	s_mov_b32 s22, s8
	s_mov_b32 s3, 0
	s_mov_b32 s0, exec_lo
                                        ; implicit-def: $vgpr4_vgpr5
	v_cmpx_gt_i64_e64 s[22:23], v[2:3]
	s_cbranch_execz .LBB203_14
; %bb.11:
	v_mad_u64_u32 v[4:5], null, s12, v2, 0
	v_cmp_eq_f32_e64 s3, s11, 0
	s_and_b32 vcc_lo, exec_lo, s3
	v_mad_u64_u32 v[5:6], null, s13, v2, v[5:6]
	s_cbranch_vccnz .LBB203_13
; %bb.12:
	v_lshlrev_b64 v[2:3], 2, v[4:5]
	v_add_co_u32 v2, vcc_lo, s5, v2
	v_add_co_ci_u32_e64 v3, null, s26, v3, vcc_lo
	flat_load_dword v2, v[2:3]
	s_waitcnt vmcnt(0) lgkmcnt(0)
	v_mul_f32_e32 v3, s11, v2
.LBB203_13:
	s_mov_b32 s3, exec_lo
.LBB203_14:
	s_or_b32 exec_lo, exec_lo, s0
	s_and_b32 s27, s3, exec_lo
	s_or_b32 exec_lo, exec_lo, s2
	s_and_b32 vcc_lo, exec_lo, s1
	s_cbranch_vccnz .LBB203_17
	s_branch .LBB203_54
.LBB203_15:
	s_mov_b32 s27, 0
                                        ; implicit-def: $vgpr3
                                        ; implicit-def: $vgpr4_vgpr5
	s_cbranch_execnz .LBB203_17
	s_branch .LBB203_54
.LBB203_16:
	s_or_b32 exec_lo, exec_lo, s2
	s_and_b32 vcc_lo, exec_lo, s1
	s_cbranch_vccz .LBB203_54
.LBB203_17:
	s_ashr_i32 s0, s9, 31
	s_lshl_b32 s28, s6, 7
	s_lshr_b32 s0, s0, 26
	v_lshlrev_b32_e32 v27, 2, v1
	v_mov_b32_e32 v23, 0
	v_add_nc_u32_e32 v2, s28, v0
	v_mov_b32_e32 v24, 0
	v_mov_b32_e32 v25, 0
	;; [unrolled: 1-line block ×3, first 2 shown]
	s_add_i32 s29, s9, s0
	s_mov_b32 s30, exec_lo
	s_andn2_b32 s29, s29, 63
	v_cmpx_gt_i32_e64 s29, v27
	s_cbranch_execz .LBB203_29
; %bb.18:
	v_lshlrev_b32_e32 v25, 2, v1
	v_add_nc_u32_e32 v4, 32, v2
	v_mad_u64_u32 v[7:8], null, s20, v1, 0
	v_mad_u64_u32 v[9:10], null, s14, v1, 0
	v_or_b32_e32 v26, 3, v25
	v_add_nc_u32_e32 v11, 64, v2
	v_add_nc_u32_e32 v12, 0x60, v2
	v_cmp_gt_i32_e64 s0, s8, v4
	v_or_b32_e32 v32, 2, v25
	v_mad_u64_u32 v[5:6], null, s14, v26, 0
	v_cmp_gt_i32_e64 s1, s8, v11
	v_cmp_gt_i32_e64 s2, s8, v12
	v_mad_u64_u32 v[16:17], null, s14, v32, 0
	v_mad_u64_u32 v[18:19], null, s20, v26, 0
	v_mov_b32_e32 v4, v6
	v_mov_b32_e32 v6, v8
	;; [unrolled: 1-line block ×3, first 2 shown]
	v_ashrrev_i32_e32 v3, 31, v2
	s_lshl_b64 s[6:7], s[14:15], 8
	v_mad_u64_u32 v[11:12], null, s15, v26, v[4:5]
	v_mad_u64_u32 v[12:13], null, s21, v1, v[6:7]
	v_mad_u64_u32 v[13:14], null, s15, v1, v[8:9]
	v_mad_u64_u32 v[14:15], null, s20, v25, s[20:21]
	v_mov_b32_e32 v6, v11
	v_lshlrev_b64 v[3:4], 2, v[2:3]
	v_mov_b32_e32 v8, v12
	s_lshl_b64 s[22:23], s[20:21], 8
	v_mov_b32_e32 v10, v13
	v_lshlrev_b64 v[11:12], 2, v[5:6]
	s_mov_b32 s31, 0
	v_lshlrev_b64 v[5:6], 4, v[7:8]
	v_mov_b32_e32 v7, v17
	v_mov_b32_e32 v8, v15
	v_lshlrev_b64 v[9:10], 4, v[9:10]
	v_add_co_u32 v28, s3, s16, v11
	v_add_co_ci_u32_e64 v29, null, s17, v12, s3
	v_mad_u64_u32 v[11:12], null, s14, v25, s[14:15]
	v_mad_u64_u32 v[23:24], null, s15, v32, v[7:8]
	v_mov_b32_e32 v7, v19
	v_mad_u64_u32 v[19:20], null, s21, v25, v[8:9]
	v_add_co_u32 v30, s3, s16, v9
	v_mad_u64_u32 v[7:8], null, s21, v26, v[7:8]
	v_mov_b32_e32 v8, v12
	v_mov_b32_e32 v17, v23
	v_mad_u64_u32 v[23:24], null, s20, v32, 0
	v_mov_b32_e32 v15, v19
	v_mad_u64_u32 v[12:13], null, s15, v25, v[8:9]
	v_lshlrev_b64 v[16:17], 2, v[16:17]
	v_mov_b32_e32 v19, v7
	v_add_co_ci_u32_e64 v31, null, s17, v10, s3
	v_mov_b32_e32 v8, v24
	v_mov_b32_e32 v26, 0
	v_lshlrev_b64 v[11:12], 2, v[11:12]
	s_mov_b64 s[24:25], s[18:19]
	v_cmp_gt_i32_e32 vcc_lo, s8, v2
	v_mad_u64_u32 v[24:25], null, s21, v32, v[8:9]
	v_add_co_u32 v32, s3, s16, v16
	v_add_co_ci_u32_e64 v33, null, s17, v17, s3
	v_add_co_u32 v34, s3, s16, v11
	v_lshlrev_b64 v[7:8], 2, v[14:15]
	v_lshlrev_b64 v[9:10], 2, v[18:19]
	v_add_co_ci_u32_e64 v35, null, s17, v12, s3
	v_lshlrev_b64 v[11:12], 2, v[23:24]
	v_mov_b32_e32 v23, 0
	v_mov_b32_e32 v24, 0
	;; [unrolled: 1-line block ×3, first 2 shown]
	s_branch .LBB203_23
.LBB203_19:                             ;   in Loop: Header=BB203_23 Depth=1
	s_or_b32 exec_lo, exec_lo, s34
	s_waitcnt vmcnt(3) lgkmcnt(3)
	v_fmac_f32_e32 v25, v39, v51
	s_waitcnt vmcnt(2) lgkmcnt(2)
	v_fmac_f32_e32 v25, v38, v50
	;; [unrolled: 2-line block ×4, first 2 shown]
.LBB203_20:                             ;   in Loop: Header=BB203_23 Depth=1
	s_or_b32 exec_lo, exec_lo, s33
	s_waitcnt vmcnt(3) lgkmcnt(3)
	v_fmac_f32_e32 v24, v39, v47
	s_waitcnt vmcnt(2) lgkmcnt(2)
	v_fmac_f32_e32 v24, v38, v46
	;; [unrolled: 2-line block ×4, first 2 shown]
.LBB203_21:                             ;   in Loop: Header=BB203_23 Depth=1
	s_or_b32 exec_lo, exec_lo, s3
	s_waitcnt vmcnt(3) lgkmcnt(3)
	v_fmac_f32_e32 v23, v39, v43
	s_waitcnt vmcnt(2) lgkmcnt(2)
	v_fmac_f32_e32 v23, v38, v41
	;; [unrolled: 2-line block ×4, first 2 shown]
.LBB203_22:                             ;   in Loop: Header=BB203_23 Depth=1
	s_or_b32 exec_lo, exec_lo, s4
	v_add_co_u32 v28, s3, v28, s6
	v_add_nc_u32_e32 v27, 64, v27
	v_add_co_ci_u32_e64 v29, null, s7, v29, s3
	v_add_co_u32 v30, s3, v30, s6
	v_add_co_ci_u32_e64 v31, null, s7, v31, s3
	v_add_co_u32 v32, s3, v32, s6
	v_add_co_ci_u32_e64 v33, null, s7, v33, s3
	v_cmp_le_i32_e64 s3, s29, v27
	v_add_co_u32 v34, s4, v34, s6
	v_add_co_ci_u32_e64 v35, null, s7, v35, s4
	s_add_u32 s24, s24, s22
	s_addc_u32 s25, s25, s23
	s_or_b32 s31, s3, s31
	s_andn2_b32 exec_lo, exec_lo, s31
	s_cbranch_execz .LBB203_28
.LBB203_23:                             ; =>This Inner Loop Header: Depth=1
	s_and_saveexec_b32 s4, vcc_lo
	s_cbranch_execz .LBB203_22
; %bb.24:                               ;   in Loop: Header=BB203_23 Depth=1
	v_add_co_u32 v36, s3, s24, v5
	v_add_co_ci_u32_e64 v37, null, s25, v6, s3
	v_add_co_u32 v40, s3, s24, v7
	v_add_co_ci_u32_e64 v41, null, s25, v8, s3
	;; [unrolled: 2-line block ×8, first 2 shown]
	s_clause 0x3
	flat_load_dword v39, v[36:37]
	flat_load_dword v38, v[40:41]
	;; [unrolled: 1-line block ×8, first 2 shown]
	s_and_saveexec_b32 s3, s0
	s_cbranch_execz .LBB203_21
; %bb.25:                               ;   in Loop: Header=BB203_23 Depth=1
	flat_load_dword v47, v[13:14] offset:128
	flat_load_dword v46, v[15:16] offset:128
	flat_load_dword v45, v[17:18] offset:128
	flat_load_dword v44, v[19:20] offset:128
	s_and_saveexec_b32 s33, s1
	s_cbranch_execz .LBB203_20
; %bb.26:                               ;   in Loop: Header=BB203_23 Depth=1
	flat_load_dword v51, v[13:14] offset:256
	flat_load_dword v50, v[15:16] offset:256
	flat_load_dword v49, v[17:18] offset:256
	flat_load_dword v48, v[19:20] offset:256
	s_and_saveexec_b32 s34, s2
	s_cbranch_execz .LBB203_19
; %bb.27:                               ;   in Loop: Header=BB203_23 Depth=1
	flat_load_dword v13, v[13:14] offset:384
	flat_load_dword v14, v[15:16] offset:384
	flat_load_dword v15, v[17:18] offset:384
	flat_load_dword v16, v[19:20] offset:384
	s_waitcnt vmcnt(3) lgkmcnt(3)
	v_fmac_f32_e32 v26, v39, v13
	s_waitcnt vmcnt(2) lgkmcnt(2)
	v_fmac_f32_e32 v26, v38, v14
	s_waitcnt vmcnt(1) lgkmcnt(1)
	v_fmac_f32_e32 v26, v37, v15
	s_waitcnt vmcnt(0) lgkmcnt(0)
	v_fmac_f32_e32 v26, v36, v16
	s_branch .LBB203_19
.LBB203_28:
	s_or_b32 exec_lo, exec_lo, s31
.LBB203_29:
	s_or_b32 exec_lo, exec_lo, s30
	s_sub_i32 s0, s9, s29
	s_cmp_lt_i32 s0, 1
	s_cbranch_scc1 .LBB203_47
; %bb.30:
	v_cmp_gt_i32_e32 vcc_lo, s9, v27
	v_mov_b32_e32 v13, 0
	v_or_b32_e32 v4, 1, v27
	v_mov_b32_e32 v14, 0
	v_mov_b32_e32 v12, 0
	;; [unrolled: 1-line block ×3, first 2 shown]
	s_and_saveexec_b32 s1, vcc_lo
	s_cbranch_execz .LBB203_38
; %bb.31:
	v_mad_u64_u32 v[5:6], null, s20, v27, 0
	v_mov_b32_e32 v12, 0
	v_mov_b32_e32 v14, 0
	;; [unrolled: 1-line block ×3, first 2 shown]
	s_mov_b32 s2, exec_lo
	v_mov_b32_e32 v3, v6
	v_mad_u64_u32 v[6:7], null, s21, v27, v[3:4]
	v_lshlrev_b64 v[5:6], 2, v[5:6]
	v_add_co_u32 v5, s0, s18, v5
	v_add_co_ci_u32_e64 v6, null, s19, v6, s0
	flat_load_dword v11, v[5:6]
	v_cmpx_gt_i32_e64 s9, v4
	s_cbranch_execz .LBB203_37
; %bb.32:
	v_mad_u64_u32 v[5:6], null, s20, v4, 0
	v_mov_b32_e32 v14, 0
	v_mov_b32_e32 v13, 0
	s_mov_b32 s3, exec_lo
	v_mov_b32_e32 v3, v6
	v_mad_u64_u32 v[6:7], null, s21, v4, v[3:4]
	v_or_b32_e32 v3, 2, v27
	v_lshlrev_b64 v[5:6], 2, v[5:6]
	v_add_co_u32 v5, s0, s18, v5
	v_add_co_ci_u32_e64 v6, null, s19, v6, s0
	flat_load_dword v12, v[5:6]
	v_cmpx_gt_i32_e64 s9, v3
	s_cbranch_execz .LBB203_36
; %bb.33:
	v_mad_u64_u32 v[5:6], null, s20, v3, 0
	v_mov_b32_e32 v13, 0
	s_mov_b32 s4, exec_lo
	v_mad_u64_u32 v[6:7], null, s21, v3, v[6:7]
	v_or_b32_e32 v3, 3, v27
	v_lshlrev_b64 v[5:6], 2, v[5:6]
	v_add_co_u32 v5, s0, s18, v5
	v_add_co_ci_u32_e64 v6, null, s19, v6, s0
	flat_load_dword v14, v[5:6]
	v_cmpx_gt_i32_e64 s9, v3
	s_cbranch_execz .LBB203_35
; %bb.34:
	v_mad_u64_u32 v[5:6], null, s20, v3, 0
	v_mad_u64_u32 v[6:7], null, s21, v3, v[6:7]
	v_lshlrev_b64 v[5:6], 2, v[5:6]
	v_add_co_u32 v5, s0, s18, v5
	v_add_co_ci_u32_e64 v6, null, s19, v6, s0
	flat_load_dword v13, v[5:6]
.LBB203_35:
	s_or_b32 exec_lo, exec_lo, s4
.LBB203_36:
	s_or_b32 exec_lo, exec_lo, s3
.LBB203_37:
	s_or_b32 exec_lo, exec_lo, s2
.LBB203_38:
	s_or_b32 exec_lo, exec_lo, s1
	s_mov_b32 s1, exec_lo
	v_cmpx_gt_i32_e64 s8, v2
	s_cbranch_execz .LBB203_46
; %bb.39:
	v_mad_u64_u32 v[5:6], null, s14, v27, 0
	v_mad_u64_u32 v[7:8], null, s14, v4, 0
	v_ashrrev_i32_e32 v3, 31, v2
	v_or_b32_e32 v20, 2, v27
	v_or_b32_e32 v29, 3, v27
	v_cndmask_b32_e32 v5, 0, v5, vcc_lo
	v_lshlrev_b64 v[9:10], 2, v[2:3]
	v_mad_u64_u32 v[15:16], null, s15, v27, v[6:7]
	v_mov_b32_e32 v3, v8
	v_mad_u64_u32 v[16:17], null, s14, v20, 0
	v_mad_u64_u32 v[18:19], null, s14, v29, 0
	;; [unrolled: 1-line block ×3, first 2 shown]
	v_cndmask_b32_e32 v6, 0, v15, vcc_lo
	v_cmp_gt_i32_e32 vcc_lo, s9, v4
	v_mov_b32_e32 v3, v17
	v_cmp_gt_i32_e64 s0, s9, v20
	v_mov_b32_e32 v8, v19
	v_cndmask_b32_e32 v4, 0, v7, vcc_lo
	v_lshlrev_b64 v[6:7], 2, v[5:6]
	v_cndmask_b32_e32 v5, 0, v27, vcc_lo
	v_cndmask_b32_e64 v15, 0, v16, s0
	v_mad_u64_u32 v[19:20], null, s15, v20, v[3:4]
	v_add_co_u32 v3, vcc_lo, s16, v6
	v_lshlrev_b64 v[5:6], 2, v[4:5]
	v_add_co_ci_u32_e64 v7, null, s17, v7, vcc_lo
	v_add_co_u32 v3, vcc_lo, v3, v9
	v_cndmask_b32_e64 v16, 0, v19, s0
	v_add_co_ci_u32_e64 v4, null, v7, v10, vcc_lo
	v_add_co_u32 v5, vcc_lo, s16, v5
	v_add_co_ci_u32_e64 v6, null, s17, v6, vcc_lo
	v_mad_u64_u32 v[7:8], null, s15, v29, v[8:9]
	v_add_co_u32 v5, vcc_lo, v5, v9
	v_add_co_ci_u32_e64 v6, null, v6, v10, vcc_lo
	v_cmp_gt_i32_e32 vcc_lo, s9, v29
	v_lshlrev_b64 v[15:16], 2, v[15:16]
	s_clause 0x1
	flat_load_dword v19, v[3:4]
	flat_load_dword v20, v[5:6]
	s_mov_b32 s0, exec_lo
	v_cndmask_b32_e32 v17, 0, v18, vcc_lo
	v_cndmask_b32_e32 v18, 0, v7, vcc_lo
	v_add_co_u32 v7, vcc_lo, s16, v15
	v_add_co_ci_u32_e64 v8, null, s17, v16, vcc_lo
	v_lshlrev_b64 v[15:16], 2, v[17:18]
	v_add_co_u32 v7, vcc_lo, v7, v9
	v_add_co_ci_u32_e64 v8, null, v8, v10, vcc_lo
	v_add_co_u32 v15, vcc_lo, s16, v15
	v_add_co_ci_u32_e64 v16, null, s17, v16, vcc_lo
	flat_load_dword v17, v[7:8]
	v_add_co_u32 v9, vcc_lo, v15, v9
	v_add_co_ci_u32_e64 v10, null, v16, v10, vcc_lo
	v_add_nc_u32_e32 v16, 32, v2
	flat_load_dword v15, v[9:10]
	s_waitcnt vmcnt(3) lgkmcnt(3)
	v_fmac_f32_e32 v23, v11, v19
	s_waitcnt vmcnt(2) lgkmcnt(2)
	v_fmac_f32_e32 v23, v12, v20
	;; [unrolled: 2-line block ×3, first 2 shown]
	v_cmpx_gt_i32_e64 s8, v16
	s_cbranch_execz .LBB203_45
; %bb.40:
	s_clause 0x3
	flat_load_dword v17, v[3:4] offset:128
	flat_load_dword v18, v[5:6] offset:128
	;; [unrolled: 1-line block ×4, first 2 shown]
	s_mov_b32 s2, exec_lo
	s_waitcnt vmcnt(3) lgkmcnt(3)
	v_fmac_f32_e32 v24, v11, v17
	v_add_nc_u32_e32 v17, 64, v2
	s_waitcnt vmcnt(2) lgkmcnt(2)
	v_fmac_f32_e32 v24, v12, v18
	s_waitcnt vmcnt(1) lgkmcnt(1)
	v_fmac_f32_e32 v24, v14, v19
	v_cmpx_gt_i32_e64 s8, v17
	s_cbranch_execz .LBB203_44
; %bb.41:
	s_clause 0x3
	flat_load_dword v18, v[3:4] offset:256
	flat_load_dword v19, v[5:6] offset:256
	;; [unrolled: 1-line block ×4, first 2 shown]
	v_add_nc_u32_e32 v2, 0x60, v2
	s_mov_b32 s3, exec_lo
	s_waitcnt vmcnt(3) lgkmcnt(3)
	v_fmac_f32_e32 v25, v11, v18
	s_waitcnt vmcnt(2) lgkmcnt(2)
	v_fmac_f32_e32 v25, v12, v19
	s_waitcnt vmcnt(1) lgkmcnt(1)
	v_fmac_f32_e32 v25, v14, v20
	v_cmpx_gt_i32_e64 s8, v2
	s_cbranch_execz .LBB203_43
; %bb.42:
	s_clause 0x3
	flat_load_dword v2, v[3:4] offset:384
	flat_load_dword v3, v[5:6] offset:384
	;; [unrolled: 1-line block ×4, first 2 shown]
	s_waitcnt vmcnt(3) lgkmcnt(3)
	v_fmac_f32_e32 v26, v11, v2
	s_waitcnt vmcnt(2) lgkmcnt(2)
	v_fmac_f32_e32 v26, v12, v3
	;; [unrolled: 2-line block ×4, first 2 shown]
.LBB203_43:
	s_or_b32 exec_lo, exec_lo, s3
	s_waitcnt vmcnt(0) lgkmcnt(0)
	v_fmac_f32_e32 v25, v13, v17
.LBB203_44:
	s_or_b32 exec_lo, exec_lo, s2
	s_waitcnt vmcnt(0) lgkmcnt(0)
	v_fmac_f32_e32 v24, v13, v16
.LBB203_45:
	s_or_b32 exec_lo, exec_lo, s0
	s_waitcnt vmcnt(0) lgkmcnt(0)
	v_fmac_f32_e32 v23, v13, v15
.LBB203_46:
	s_or_b32 exec_lo, exec_lo, s1
.LBB203_47:
	v_lshlrev_b32_e32 v0, 2, v0
	s_mov_b32 s0, exec_lo
                                        ; implicit-def: $vgpr3
                                        ; implicit-def: $vgpr4_vgpr5
	v_lshl_add_u32 v1, v1, 9, v0
	ds_write2_b32 v1, v23, v24 offset1:32
	ds_write2_b32 v1, v25, v26 offset0:64 offset1:96
	s_waitcnt vmcnt(0) lgkmcnt(0)
	s_barrier
	buffer_gl0_inv
	v_cmpx_gt_u32_e32 0x80, v21
	s_cbranch_execz .LBB203_53
; %bb.48:
	v_lshl_add_u32 v6, v22, 2, v0
	s_mov_b32 s2, s27
	s_mov_b32 s1, exec_lo
	ds_read2st64_b32 v[0:1], v6 offset1:2
	ds_read2st64_b32 v[2:3], v6 offset0:4 offset1:6
	ds_read2st64_b32 v[4:5], v6 offset0:8 offset1:10
	s_waitcnt lgkmcnt(2)
	v_add_f32_e32 v7, v0, v1
	ds_read2st64_b32 v[0:1], v6 offset0:12 offset1:14
	s_waitcnt lgkmcnt(2)
	v_add_f32_e32 v2, v2, v7
	v_add_f32_e32 v7, v3, v2
	ds_read2st64_b32 v[2:3], v6 offset0:16 offset1:18
	s_waitcnt lgkmcnt(2)
	v_add_f32_e32 v4, v4, v7
	v_add_f32_e32 v7, v5, v4
	ds_read2st64_b32 v[4:5], v6 offset0:20 offset1:22
	s_waitcnt lgkmcnt(2)
	v_add_f32_e32 v0, v0, v7
	v_add_f32_e32 v0, v1, v0
	s_waitcnt lgkmcnt(1)
	v_add_f32_e32 v2, v2, v0
	ds_read2st64_b32 v[0:1], v6 offset0:24 offset1:26
	v_add_f32_e32 v2, v3, v2
	s_waitcnt lgkmcnt(1)
	v_add_f32_e32 v4, v4, v2
	ds_read2st64_b32 v[2:3], v6 offset0:28 offset1:30
	v_add_f32_e32 v4, v5, v4
	s_waitcnt lgkmcnt(1)
	v_add_f32_e32 v0, v0, v4
                                        ; implicit-def: $vgpr4_vgpr5
	v_add_f32_e32 v0, v1, v0
	v_or_b32_e32 v1, s28, v21
	s_waitcnt lgkmcnt(0)
	v_add_f32_e32 v0, v2, v0
	v_add_f32_e32 v0, v3, v0
                                        ; implicit-def: $vgpr3
	ds_write_b32 v6, v0
	v_cmpx_gt_i32_e64 s8, v1
	s_cbranch_execz .LBB203_52
; %bb.49:
	v_ashrrev_i32_e32 v2, 31, v1
	v_mul_lo_u32 v6, s13, v1
	v_mad_u64_u32 v[4:5], null, s12, v1, 0
	v_cmp_eq_f32_e64 s2, s11, 0
	v_mul_lo_u32 v1, s12, v2
	v_mul_f32_e32 v3, s10, v0
	s_and_b32 vcc_lo, exec_lo, s2
	v_add3_u32 v5, v5, v1, v6
	s_cbranch_vccnz .LBB203_51
; %bb.50:
	v_lshlrev_b64 v[0:1], 2, v[4:5]
	v_add_co_u32 v0, vcc_lo, s5, v0
	v_add_co_ci_u32_e64 v1, null, s26, v1, vcc_lo
	flat_load_dword v0, v[0:1]
	s_waitcnt vmcnt(0) lgkmcnt(0)
	v_fmac_f32_e32 v3, s11, v0
.LBB203_51:
	s_or_b32 s2, s27, exec_lo
.LBB203_52:
	s_or_b32 exec_lo, exec_lo, s1
	s_andn2_b32 s1, s27, exec_lo
	s_and_b32 s2, s2, exec_lo
	s_or_b32 s27, s1, s2
.LBB203_53:
	s_or_b32 exec_lo, exec_lo, s0
.LBB203_54:
	s_and_saveexec_b32 s0, s27
	s_cbranch_execz .LBB203_56
; %bb.55:
	v_lshlrev_b64 v[0:1], 2, v[4:5]
	v_add_co_u32 v0, vcc_lo, s5, v0
	v_add_co_ci_u32_e64 v1, null, s26, v1, vcc_lo
	flat_store_dword v[0:1], v3
.LBB203_56:
	s_endpgm
	.section	.rodata,"a",@progbits
	.p2align	6, 0x0
	.amdhsa_kernel _ZL20rocblas_gemvn_kernelILi32ELi16ElPKffKPfEviiT3_lPKT2_lT1_lS7_lS8_lS4_lPT4_lS8_li
		.amdhsa_group_segment_fixed_size 8192
		.amdhsa_private_segment_fixed_size 0
		.amdhsa_kernarg_size 400
		.amdhsa_user_sgpr_count 6
		.amdhsa_user_sgpr_private_segment_buffer 1
		.amdhsa_user_sgpr_dispatch_ptr 0
		.amdhsa_user_sgpr_queue_ptr 0
		.amdhsa_user_sgpr_kernarg_segment_ptr 1
		.amdhsa_user_sgpr_dispatch_id 0
		.amdhsa_user_sgpr_flat_scratch_init 0
		.amdhsa_user_sgpr_private_segment_size 0
		.amdhsa_wavefront_size32 1
		.amdhsa_uses_dynamic_stack 0
		.amdhsa_system_sgpr_private_segment_wavefront_offset 0
		.amdhsa_system_sgpr_workgroup_id_x 1
		.amdhsa_system_sgpr_workgroup_id_y 0
		.amdhsa_system_sgpr_workgroup_id_z 1
		.amdhsa_system_sgpr_workgroup_info 0
		.amdhsa_system_vgpr_workitem_id 1
		.amdhsa_next_free_vgpr 52
		.amdhsa_next_free_sgpr 35
		.amdhsa_reserve_vcc 1
		.amdhsa_reserve_flat_scratch 1
		.amdhsa_float_round_mode_32 0
		.amdhsa_float_round_mode_16_64 0
		.amdhsa_float_denorm_mode_32 3
		.amdhsa_float_denorm_mode_16_64 3
		.amdhsa_dx10_clamp 1
		.amdhsa_ieee_mode 1
		.amdhsa_fp16_overflow 0
		.amdhsa_workgroup_processor_mode 1
		.amdhsa_memory_ordered 1
		.amdhsa_forward_progress 1
		.amdhsa_shared_vgpr_count 0
		.amdhsa_exception_fp_ieee_invalid_op 0
		.amdhsa_exception_fp_denorm_src 0
		.amdhsa_exception_fp_ieee_div_zero 0
		.amdhsa_exception_fp_ieee_overflow 0
		.amdhsa_exception_fp_ieee_underflow 0
		.amdhsa_exception_fp_ieee_inexact 0
		.amdhsa_exception_int_div_zero 0
	.end_amdhsa_kernel
	.section	.text._ZL20rocblas_gemvn_kernelILi32ELi16ElPKffKPfEviiT3_lPKT2_lT1_lS7_lS8_lS4_lPT4_lS8_li,"axG",@progbits,_ZL20rocblas_gemvn_kernelILi32ELi16ElPKffKPfEviiT3_lPKT2_lT1_lS7_lS8_lS4_lPT4_lS8_li,comdat
.Lfunc_end203:
	.size	_ZL20rocblas_gemvn_kernelILi32ELi16ElPKffKPfEviiT3_lPKT2_lT1_lS7_lS8_lS4_lPT4_lS8_li, .Lfunc_end203-_ZL20rocblas_gemvn_kernelILi32ELi16ElPKffKPfEviiT3_lPKT2_lT1_lS7_lS8_lS4_lPT4_lS8_li
                                        ; -- End function
	.set _ZL20rocblas_gemvn_kernelILi32ELi16ElPKffKPfEviiT3_lPKT2_lT1_lS7_lS8_lS4_lPT4_lS8_li.num_vgpr, 52
	.set _ZL20rocblas_gemvn_kernelILi32ELi16ElPKffKPfEviiT3_lPKT2_lT1_lS7_lS8_lS4_lPT4_lS8_li.num_agpr, 0
	.set _ZL20rocblas_gemvn_kernelILi32ELi16ElPKffKPfEviiT3_lPKT2_lT1_lS7_lS8_lS4_lPT4_lS8_li.numbered_sgpr, 35
	.set _ZL20rocblas_gemvn_kernelILi32ELi16ElPKffKPfEviiT3_lPKT2_lT1_lS7_lS8_lS4_lPT4_lS8_li.num_named_barrier, 0
	.set _ZL20rocblas_gemvn_kernelILi32ELi16ElPKffKPfEviiT3_lPKT2_lT1_lS7_lS8_lS4_lPT4_lS8_li.private_seg_size, 0
	.set _ZL20rocblas_gemvn_kernelILi32ELi16ElPKffKPfEviiT3_lPKT2_lT1_lS7_lS8_lS4_lPT4_lS8_li.uses_vcc, 1
	.set _ZL20rocblas_gemvn_kernelILi32ELi16ElPKffKPfEviiT3_lPKT2_lT1_lS7_lS8_lS4_lPT4_lS8_li.uses_flat_scratch, 1
	.set _ZL20rocblas_gemvn_kernelILi32ELi16ElPKffKPfEviiT3_lPKT2_lT1_lS7_lS8_lS4_lPT4_lS8_li.has_dyn_sized_stack, 0
	.set _ZL20rocblas_gemvn_kernelILi32ELi16ElPKffKPfEviiT3_lPKT2_lT1_lS7_lS8_lS4_lPT4_lS8_li.has_recursion, 0
	.set _ZL20rocblas_gemvn_kernelILi32ELi16ElPKffKPfEviiT3_lPKT2_lT1_lS7_lS8_lS4_lPT4_lS8_li.has_indirect_call, 0
	.section	.AMDGPU.csdata,"",@progbits
; Kernel info:
; codeLenInByte = 3060
; TotalNumSgprs: 37
; NumVgprs: 52
; ScratchSize: 0
; MemoryBound: 0
; FloatMode: 240
; IeeeMode: 1
; LDSByteSize: 8192 bytes/workgroup (compile time only)
; SGPRBlocks: 0
; VGPRBlocks: 6
; NumSGPRsForWavesPerEU: 37
; NumVGPRsForWavesPerEU: 52
; Occupancy: 16
; WaveLimiterHint : 1
; COMPUTE_PGM_RSRC2:SCRATCH_EN: 0
; COMPUTE_PGM_RSRC2:USER_SGPR: 6
; COMPUTE_PGM_RSRC2:TRAP_HANDLER: 0
; COMPUTE_PGM_RSRC2:TGID_X_EN: 1
; COMPUTE_PGM_RSRC2:TGID_Y_EN: 0
; COMPUTE_PGM_RSRC2:TGID_Z_EN: 1
; COMPUTE_PGM_RSRC2:TIDIG_COMP_CNT: 1
	.section	.text._ZL20rocblas_gemvn_kernelILi64ELi16EiPKfS1_KPfEviiT3_lPKT2_lT1_lS7_lS8_lS4_lPT4_lS8_li,"axG",@progbits,_ZL20rocblas_gemvn_kernelILi64ELi16EiPKfS1_KPfEviiT3_lPKT2_lT1_lS7_lS8_lS4_lPT4_lS8_li,comdat
	.globl	_ZL20rocblas_gemvn_kernelILi64ELi16EiPKfS1_KPfEviiT3_lPKT2_lT1_lS7_lS8_lS4_lPT4_lS8_li ; -- Begin function _ZL20rocblas_gemvn_kernelILi64ELi16EiPKfS1_KPfEviiT3_lPKT2_lT1_lS7_lS8_lS4_lPT4_lS8_li
	.p2align	8
	.type	_ZL20rocblas_gemvn_kernelILi64ELi16EiPKfS1_KPfEviiT3_lPKT2_lT1_lS7_lS8_lS4_lPT4_lS8_li,@function
_ZL20rocblas_gemvn_kernelILi64ELi16EiPKfS1_KPfEviiT3_lPKT2_lT1_lS7_lS8_lS4_lPT4_lS8_li: ; @_ZL20rocblas_gemvn_kernelILi64ELi16EiPKfS1_KPfEviiT3_lPKT2_lT1_lS7_lS8_lS4_lPT4_lS8_li
; %bb.0:
	s_load_dwordx2 s[2:3], s[4:5], 0x9c
	s_waitcnt lgkmcnt(0)
	s_lshr_b32 s1, s2, 16
	s_and_b32 s2, s2, 0xffff
	s_and_b32 s3, s3, 0xffff
	s_mul_i32 s1, s1, s2
	s_mul_i32 s1, s1, s3
	s_cmpk_lg_i32 s1, 0x400
	s_cbranch_scc1 .LBB204_54
; %bb.1:
	s_clause 0x1
	s_load_dwordx8 s[16:23], s[4:5], 0x8
	s_load_dwordx8 s[8:15], s[4:5], 0x58
	s_mov_b32 s0, s7
	s_waitcnt lgkmcnt(0)
	s_mul_i32 s1, s19, s7
	s_mul_hi_u32 s3, s18, s7
	s_mul_i32 s2, s18, s7
	s_add_i32 s3, s3, s1
	s_mul_i32 s1, s11, s7
	s_lshl_b64 s[2:3], s[2:3], 2
	s_mul_hi_u32 s7, s10, s7
	s_add_u32 s2, s16, s2
	s_addc_u32 s3, s17, s3
	s_add_i32 s11, s7, s1
	s_mul_i32 s10, s10, s0
	s_lshl_b64 s[10:11], s[10:11], 2
	s_add_u32 s8, s8, s10
	s_addc_u32 s9, s9, s11
	s_load_dword s18, s[2:3], 0x0
	s_load_dword s7, s[8:9], 0x0
	s_waitcnt lgkmcnt(0)
	v_cmp_eq_f32_e64 s2, s18, 0
	v_cmp_eq_f32_e64 s1, s7, 1.0
	s_and_b32 s1, s2, s1
	s_and_b32 vcc_lo, exec_lo, s1
	s_mov_b32 s1, 0
	s_cbranch_vccnz .LBB204_54
; %bb.2:
	v_cmp_neq_f32_e64 s3, s18, 0
	s_mov_b64 s[16:17], 0
	s_and_b32 vcc_lo, exec_lo, s2
	s_mov_b64 s[10:11], 0
	s_cbranch_vccnz .LBB204_4
; %bb.3:
	s_lshl_b64 s[8:9], s[0:1], 3
	s_add_u32 s8, s20, s8
	s_addc_u32 s9, s21, s9
	s_lshl_b64 s[10:11], s[22:23], 2
	s_load_dwordx2 s[8:9], s[8:9], 0x0
	s_waitcnt lgkmcnt(0)
	s_add_u32 s10, s8, s10
	s_addc_u32 s11, s9, s11
.LBB204_4:
	s_andn2_b32 vcc_lo, exec_lo, s3
	s_cbranch_vccnz .LBB204_6
; %bb.5:
	s_load_dwordx4 s[20:23], s[4:5], 0x38
	s_lshl_b64 s[8:9], s[0:1], 3
	s_waitcnt lgkmcnt(0)
	s_add_u32 s8, s20, s8
	s_addc_u32 s9, s21, s9
	s_lshl_b64 s[16:17], s[22:23], 2
	s_load_dwordx2 s[8:9], s[8:9], 0x0
	s_waitcnt lgkmcnt(0)
	s_add_u32 s16, s8, s16
	s_addc_u32 s17, s9, s17
.LBB204_6:
	s_lshl_b64 s[0:1], s[0:1], 3
	v_lshlrev_b32_e32 v14, 6, v1
	s_add_u32 s0, s12, s0
	s_addc_u32 s1, s13, s1
	s_lshl_b64 s[14:15], s[14:15], 2
	s_load_dwordx2 s[12:13], s[0:1], 0x0
	s_clause 0x1
	s_load_dwordx2 s[8:9], s[4:5], 0x0
	s_load_dword s19, s[4:5], 0x78
	v_add_nc_u32_e32 v13, v14, v0
	v_cmp_gt_u32_e64 s0, 0x100, v13
	s_waitcnt lgkmcnt(0)
	s_add_u32 s12, s12, s14
	s_addc_u32 s13, s13, s15
	s_andn2_b32 vcc_lo, exec_lo, s2
	s_cbranch_vccnz .LBB204_13
; %bb.7:
	s_mov_b32 s1, 0
	s_mov_b32 s14, 0
                                        ; implicit-def: $vgpr3
                                        ; implicit-def: $vgpr4_vgpr5
	s_and_saveexec_b32 s2, s0
	s_cbranch_execz .LBB204_14
; %bb.8:
	v_lshl_or_b32 v2, s6, 8, v13
	v_mov_b32_e32 v3, 0
	s_ashr_i32 s15, s8, 31
	s_mov_b32 s14, s8
	s_mov_b32 s3, 0
	s_mov_b32 s0, exec_lo
                                        ; implicit-def: $vgpr4_vgpr5
	v_cmpx_gt_i64_e64 s[14:15], v[2:3]
	s_cbranch_execz .LBB204_12
; %bb.9:
	v_mad_u64_u32 v[4:5], null, s19, v2, 0
	s_ashr_i32 s3, s19, 31
	v_mad_u64_u32 v[5:6], null, s3, v2, v[5:6]
	v_cmp_eq_f32_e64 s3, s7, 0
	s_and_b32 vcc_lo, exec_lo, s3
	s_cbranch_vccnz .LBB204_11
; %bb.10:
	v_lshlrev_b64 v[2:3], 2, v[4:5]
	v_add_co_u32 v2, vcc_lo, s12, v2
	v_add_co_ci_u32_e64 v3, null, s13, v3, vcc_lo
	flat_load_dword v2, v[2:3]
	s_waitcnt vmcnt(0) lgkmcnt(0)
	v_mul_f32_e32 v3, s7, v2
.LBB204_11:
	s_mov_b32 s3, exec_lo
.LBB204_12:
	s_or_b32 exec_lo, exec_lo, s0
	s_and_b32 s14, s3, exec_lo
	s_or_b32 exec_lo, exec_lo, s2
	s_and_b32 vcc_lo, exec_lo, s1
	s_cbranch_vccnz .LBB204_15
	s_branch .LBB204_52
.LBB204_13:
	s_mov_b32 s14, 0
                                        ; implicit-def: $vgpr3
                                        ; implicit-def: $vgpr4_vgpr5
	s_cbranch_execnz .LBB204_15
	s_branch .LBB204_52
.LBB204_14:
	s_or_b32 exec_lo, exec_lo, s2
	s_and_b32 vcc_lo, exec_lo, s1
	s_cbranch_vccz .LBB204_52
.LBB204_15:
	s_clause 0x1
	s_load_dword s15, s[4:5], 0x28
	s_load_dword s4, s[4:5], 0x48
	s_ashr_i32 s0, s9, 31
	s_lshl_b32 s5, s6, 8
	s_lshr_b32 s0, s0, 26
	v_lshlrev_b32_e32 v20, 2, v1
	v_add_nc_u32_e32 v19, s5, v0
	v_mov_b32_e32 v15, 0
	v_mov_b32_e32 v16, 0
	;; [unrolled: 1-line block ×4, first 2 shown]
	s_add_i32 s0, s9, s0
	s_mov_b32 s20, exec_lo
	s_and_b32 s6, s0, 0xffffffc0
	v_cmpx_gt_i32_e64 s6, v20
	s_cbranch_execz .LBB204_27
; %bb.16:
	v_add_nc_u32_e32 v5, 0xc0, v19
	s_waitcnt lgkmcnt(0)
	v_mul_lo_u32 v3, s15, v20
	v_add_nc_u32_e32 v2, 64, v19
	v_add_nc_u32_e32 v6, 2, v20
	;; [unrolled: 1-line block ×3, first 2 shown]
	v_cmp_gt_i32_e64 s2, s8, v5
	v_mul_lo_u32 v5, v1, s15
	v_add_nc_u32_e32 v7, 3, v20
	v_mul_lo_u32 v8, v1, s4
	v_cmp_gt_i32_e64 s0, s8, v2
	v_add3_u32 v21, v3, s15, v0
	v_mad_u64_u32 v[2:3], null, s15, v6, v[0:1]
	v_cmp_gt_i32_e64 s1, s8, v4
	v_mad_u64_u32 v[3:4], null, s15, v7, v[0:1]
	v_lshl_add_u32 v22, v5, 2, v0
	v_mad_u64_u32 v[4:5], null, s4, v20, s[4:5]
	v_mul_lo_u32 v23, s4, v6
	v_mul_lo_u32 v24, s4, v7
	v_lshlrev_b32_e32 v25, 2, v8
	v_mov_b32_e32 v15, 0
	v_mov_b32_e32 v16, 0
	;; [unrolled: 1-line block ×4, first 2 shown]
	s_lshl_b32 s21, s15, 6
	s_lshl_b32 s23, s4, 6
	s_mov_b32 s22, 0
	s_mov_b32 s24, 0
	v_cmp_gt_i32_e32 vcc_lo, s8, v19
	s_branch .LBB204_21
.LBB204_17:                             ;   in Loop: Header=BB204_21 Depth=1
	s_or_b32 exec_lo, exec_lo, s27
	s_waitcnt vmcnt(3) lgkmcnt(3)
	v_fmac_f32_e32 v17, v29, v41
	s_waitcnt vmcnt(2) lgkmcnt(2)
	v_fmac_f32_e32 v17, v28, v40
	;; [unrolled: 2-line block ×4, first 2 shown]
.LBB204_18:                             ;   in Loop: Header=BB204_21 Depth=1
	s_or_b32 exec_lo, exec_lo, s26
	s_waitcnt vmcnt(3) lgkmcnt(3)
	v_fmac_f32_e32 v16, v29, v37
	s_waitcnt vmcnt(2) lgkmcnt(2)
	v_fmac_f32_e32 v16, v28, v36
	;; [unrolled: 2-line block ×4, first 2 shown]
.LBB204_19:                             ;   in Loop: Header=BB204_21 Depth=1
	s_or_b32 exec_lo, exec_lo, s3
	s_waitcnt vmcnt(3) lgkmcnt(3)
	v_fmac_f32_e32 v15, v29, v33
	s_waitcnt vmcnt(2) lgkmcnt(2)
	v_fmac_f32_e32 v15, v28, v31
	;; [unrolled: 2-line block ×4, first 2 shown]
.LBB204_20:                             ;   in Loop: Header=BB204_21 Depth=1
	s_or_b32 exec_lo, exec_lo, s25
	v_add_nc_u32_e32 v20, 64, v20
	v_add_nc_u32_e32 v21, s21, v21
	;; [unrolled: 1-line block ×5, first 2 shown]
	v_cmp_le_i32_e64 s3, s6, v20
	s_add_i32 s24, s24, s23
	s_or_b32 s22, s3, s22
	s_andn2_b32 exec_lo, exec_lo, s22
	s_cbranch_execz .LBB204_26
.LBB204_21:                             ; =>This Inner Loop Header: Depth=1
	s_and_saveexec_b32 s25, vcc_lo
	s_cbranch_execz .LBB204_20
; %bb.22:                               ;   in Loop: Header=BB204_21 Depth=1
	v_add_nc_u32_e32 v5, s24, v25
	v_add_nc_u32_e32 v7, s24, v4
	;; [unrolled: 1-line block ×5, first 2 shown]
	v_ashrrev_i32_e32 v6, 31, v5
	v_ashrrev_i32_e32 v8, 31, v7
	;; [unrolled: 1-line block ×5, first 2 shown]
	v_lshlrev_b64 v[5:6], 2, v[5:6]
	v_lshlrev_b64 v[7:8], 2, v[7:8]
	;; [unrolled: 1-line block ×3, first 2 shown]
	v_add_co_u32 v28, s3, s16, v5
	v_add_co_ci_u32_e64 v29, null, s17, v6, s3
	v_add_co_u32 v30, s3, s16, v7
	v_add_nc_u32_e32 v7, s5, v21
	v_add_co_ci_u32_e64 v31, null, s17, v8, s3
	v_lshlrev_b64 v[5:6], 2, v[11:12]
	v_add_co_u32 v32, s3, s16, v9
	v_add_nc_u32_e32 v11, s5, v2
	v_add_co_ci_u32_e64 v33, null, s17, v10, s3
	v_lshlrev_b64 v[9:10], 2, v[26:27]
	v_add_nc_u32_e32 v26, s5, v3
	v_ashrrev_i32_e32 v8, 31, v7
	v_ashrrev_i32_e32 v12, 31, v11
	v_add_co_u32 v34, s3, s16, v5
	v_ashrrev_i32_e32 v27, 31, v26
	v_add_co_ci_u32_e64 v35, null, s17, v6, s3
	v_lshlrev_b64 v[7:8], 2, v[7:8]
	v_add_co_u32 v5, s3, s10, v9
	v_add_co_ci_u32_e64 v6, null, s11, v10, s3
	v_lshlrev_b64 v[9:10], 2, v[11:12]
	v_lshlrev_b64 v[26:27], 2, v[26:27]
	v_add_co_u32 v7, s3, s10, v7
	v_add_co_ci_u32_e64 v8, null, s11, v8, s3
	v_add_co_u32 v11, s3, s10, v9
	v_add_co_ci_u32_e64 v12, null, s11, v10, s3
	;; [unrolled: 2-line block ×3, first 2 shown]
	s_clause 0x3
	flat_load_dword v29, v[28:29]
	flat_load_dword v28, v[30:31]
	;; [unrolled: 1-line block ×4, first 2 shown]
	s_clause 0x3
	flat_load_dword v33, v[5:6]
	flat_load_dword v31, v[7:8]
	;; [unrolled: 1-line block ×4, first 2 shown]
	s_and_saveexec_b32 s3, s0
	s_cbranch_execz .LBB204_19
; %bb.23:                               ;   in Loop: Header=BB204_21 Depth=1
	s_clause 0x3
	flat_load_dword v37, v[5:6] offset:256
	flat_load_dword v36, v[7:8] offset:256
	flat_load_dword v35, v[11:12] offset:256
	flat_load_dword v34, v[9:10] offset:256
	s_and_saveexec_b32 s26, s1
	s_cbranch_execz .LBB204_18
; %bb.24:                               ;   in Loop: Header=BB204_21 Depth=1
	s_clause 0x3
	flat_load_dword v41, v[5:6] offset:512
	flat_load_dword v40, v[7:8] offset:512
	flat_load_dword v39, v[11:12] offset:512
	flat_load_dword v38, v[9:10] offset:512
	;; [unrolled: 8-line block ×3, first 2 shown]
	s_waitcnt vmcnt(3) lgkmcnt(3)
	v_fmac_f32_e32 v18, v29, v5
	s_waitcnt vmcnt(2) lgkmcnt(2)
	v_fmac_f32_e32 v18, v28, v6
	;; [unrolled: 2-line block ×4, first 2 shown]
	s_branch .LBB204_17
.LBB204_26:
	s_or_b32 exec_lo, exec_lo, s22
.LBB204_27:
	s_or_b32 exec_lo, exec_lo, s20
	s_sub_i32 s0, s9, s6
	s_cmp_lt_i32 s0, 1
	s_cbranch_scc1 .LBB204_45
; %bb.28:
	v_cmp_gt_i32_e32 vcc_lo, s9, v20
	v_mov_b32_e32 v12, 0
	v_or_b32_e32 v2, 1, v20
	v_mov_b32_e32 v21, 0
	v_mov_b32_e32 v11, 0
	;; [unrolled: 1-line block ×3, first 2 shown]
	s_and_saveexec_b32 s1, vcc_lo
	s_cbranch_execz .LBB204_36
; %bb.29:
	s_waitcnt lgkmcnt(0)
	v_mul_lo_u32 v3, v20, s4
	v_mov_b32_e32 v11, 0
	v_mov_b32_e32 v21, 0
	;; [unrolled: 1-line block ×3, first 2 shown]
	s_mov_b32 s2, exec_lo
	v_ashrrev_i32_e32 v4, 31, v3
	v_lshlrev_b64 v[3:4], 2, v[3:4]
	v_add_co_u32 v3, s0, s16, v3
	v_add_co_ci_u32_e64 v4, null, s17, v4, s0
	flat_load_dword v10, v[3:4]
	v_cmpx_gt_i32_e64 s9, v2
	s_cbranch_execz .LBB204_35
; %bb.30:
	v_mul_lo_u32 v3, v2, s4
	v_mov_b32_e32 v21, 0
	v_mov_b32_e32 v12, 0
	s_mov_b32 s3, exec_lo
	v_ashrrev_i32_e32 v4, 31, v3
	v_lshlrev_b64 v[3:4], 2, v[3:4]
	v_add_co_u32 v3, s0, s16, v3
	v_add_co_ci_u32_e64 v4, null, s17, v4, s0
	flat_load_dword v11, v[3:4]
	v_or_b32_e32 v3, 2, v20
	v_cmpx_gt_i32_e64 s9, v3
	s_cbranch_execz .LBB204_34
; %bb.31:
	v_mul_lo_u32 v3, v3, s4
	v_mov_b32_e32 v12, 0
	s_mov_b32 s6, exec_lo
	v_ashrrev_i32_e32 v4, 31, v3
	v_lshlrev_b64 v[3:4], 2, v[3:4]
	v_add_co_u32 v3, s0, s16, v3
	v_add_co_ci_u32_e64 v4, null, s17, v4, s0
	flat_load_dword v21, v[3:4]
	v_or_b32_e32 v3, 3, v20
	v_cmpx_gt_i32_e64 s9, v3
	s_cbranch_execz .LBB204_33
; %bb.32:
	v_mul_lo_u32 v3, v3, s4
	v_ashrrev_i32_e32 v4, 31, v3
	v_lshlrev_b64 v[3:4], 2, v[3:4]
	v_add_co_u32 v3, s0, s16, v3
	v_add_co_ci_u32_e64 v4, null, s17, v4, s0
	flat_load_dword v12, v[3:4]
.LBB204_33:
	s_or_b32 exec_lo, exec_lo, s6
.LBB204_34:
	s_or_b32 exec_lo, exec_lo, s3
.LBB204_35:
	s_or_b32 exec_lo, exec_lo, s2
.LBB204_36:
	s_or_b32 exec_lo, exec_lo, s1
	s_mov_b32 s1, exec_lo
	v_cmpx_gt_i32_e64 s8, v19
	s_cbranch_execz .LBB204_44
; %bb.37:
	s_waitcnt lgkmcnt(0)
	v_mul_lo_u32 v3, v20, s15
	v_or_b32_e32 v4, 2, v20
	v_mul_lo_u32 v5, v2, s15
	v_or_b32_e32 v6, 3, v20
	s_mov_b32 s0, exec_lo
	v_mul_lo_u32 v7, v4, s15
	v_mul_lo_u32 v8, v6, s15
	v_cndmask_b32_e32 v3, 0, v3, vcc_lo
	v_cmp_gt_i32_e32 vcc_lo, s9, v2
	v_add_nc_u32_e32 v2, v3, v19
	v_cndmask_b32_e32 v5, 0, v5, vcc_lo
	v_cmp_gt_i32_e32 vcc_lo, s9, v4
	v_ashrrev_i32_e32 v3, 31, v2
	v_add_nc_u32_e32 v4, v5, v19
	v_cndmask_b32_e32 v7, 0, v7, vcc_lo
	v_cmp_gt_i32_e32 vcc_lo, s9, v6
	v_lshlrev_b64 v[2:3], 2, v[2:3]
	v_ashrrev_i32_e32 v5, 31, v4
	v_add_nc_u32_e32 v6, v7, v19
	v_cndmask_b32_e32 v8, 0, v8, vcc_lo
	v_lshlrev_b64 v[4:5], 2, v[4:5]
	v_ashrrev_i32_e32 v7, 31, v6
	v_add_nc_u32_e32 v8, v8, v19
	v_lshlrev_b64 v[22:23], 2, v[6:7]
	v_add_co_u32 v6, vcc_lo, s10, v2
	v_add_co_ci_u32_e64 v7, null, s11, v3, vcc_lo
	v_ashrrev_i32_e32 v9, 31, v8
	v_add_co_u32 v2, vcc_lo, s10, v4
	v_add_co_ci_u32_e64 v3, null, s11, v5, vcc_lo
	flat_load_dword v24, v[6:7]
	v_add_co_u32 v4, vcc_lo, s10, v22
	v_add_co_ci_u32_e64 v5, null, s11, v23, vcc_lo
	v_lshlrev_b64 v[8:9], 2, v[8:9]
	s_clause 0x1
	flat_load_dword v22, v[2:3]
	flat_load_dword v23, v[4:5]
	v_add_co_u32 v8, vcc_lo, s10, v8
	v_add_co_ci_u32_e64 v9, null, s11, v9, vcc_lo
	flat_load_dword v20, v[8:9]
	s_waitcnt vmcnt(3) lgkmcnt(3)
	v_fmac_f32_e32 v15, v10, v24
	s_waitcnt vmcnt(2) lgkmcnt(2)
	v_fmac_f32_e32 v15, v11, v22
	v_add_nc_u32_e32 v22, 64, v19
	s_waitcnt vmcnt(1) lgkmcnt(1)
	v_fmac_f32_e32 v15, v21, v23
	v_cmpx_gt_i32_e64 s8, v22
	s_cbranch_execz .LBB204_43
; %bb.38:
	s_clause 0x3
	flat_load_dword v23, v[6:7] offset:256
	flat_load_dword v24, v[2:3] offset:256
	;; [unrolled: 1-line block ×4, first 2 shown]
	s_mov_b32 s2, exec_lo
	s_waitcnt vmcnt(3) lgkmcnt(3)
	v_fmac_f32_e32 v16, v10, v23
	v_add_nc_u32_e32 v23, 0x80, v19
	s_waitcnt vmcnt(2) lgkmcnt(2)
	v_fmac_f32_e32 v16, v11, v24
	s_waitcnt vmcnt(1) lgkmcnt(1)
	v_fmac_f32_e32 v16, v21, v25
	v_cmpx_gt_i32_e64 s8, v23
	s_cbranch_execz .LBB204_42
; %bb.39:
	s_clause 0x3
	flat_load_dword v24, v[6:7] offset:512
	flat_load_dword v25, v[2:3] offset:512
	;; [unrolled: 1-line block ×4, first 2 shown]
	v_add_nc_u32_e32 v19, 0xc0, v19
	s_mov_b32 s3, exec_lo
	s_waitcnt vmcnt(3) lgkmcnt(3)
	v_fmac_f32_e32 v17, v10, v24
	s_waitcnt vmcnt(2) lgkmcnt(2)
	v_fmac_f32_e32 v17, v11, v25
	;; [unrolled: 2-line block ×3, first 2 shown]
	v_cmpx_gt_i32_e64 s8, v19
	s_cbranch_execz .LBB204_41
; %bb.40:
	s_clause 0x3
	flat_load_dword v6, v[6:7] offset:768
	flat_load_dword v2, v[2:3] offset:768
	;; [unrolled: 1-line block ×4, first 2 shown]
	s_waitcnt vmcnt(3) lgkmcnt(3)
	v_fmac_f32_e32 v18, v10, v6
	s_waitcnt vmcnt(2) lgkmcnt(2)
	v_fmac_f32_e32 v18, v11, v2
	;; [unrolled: 2-line block ×4, first 2 shown]
.LBB204_41:
	s_or_b32 exec_lo, exec_lo, s3
	s_waitcnt vmcnt(0) lgkmcnt(0)
	v_fmac_f32_e32 v17, v12, v23
.LBB204_42:
	s_or_b32 exec_lo, exec_lo, s2
	s_waitcnt vmcnt(0) lgkmcnt(0)
	v_fmac_f32_e32 v16, v12, v22
.LBB204_43:
	s_or_b32 exec_lo, exec_lo, s0
	s_waitcnt vmcnt(0) lgkmcnt(0)
	v_fmac_f32_e32 v15, v12, v20
.LBB204_44:
	s_or_b32 exec_lo, exec_lo, s1
.LBB204_45:
	v_lshlrev_b32_e32 v0, 2, v0
	s_mov_b32 s0, exec_lo
                                        ; implicit-def: $vgpr3
                                        ; implicit-def: $vgpr4_vgpr5
	v_lshl_add_u32 v1, v1, 10, v0
	ds_write2st64_b32 v1, v15, v16 offset1:1
	ds_write2st64_b32 v1, v17, v18 offset0:2 offset1:3
	s_waitcnt vmcnt(0) lgkmcnt(0)
	s_barrier
	buffer_gl0_inv
	v_cmpx_gt_u32_e32 0x100, v13
	s_cbranch_execz .LBB204_51
; %bb.46:
	v_lshl_add_u32 v6, v14, 2, v0
	s_mov_b32 s2, s14
	s_mov_b32 s1, exec_lo
	ds_read2st64_b32 v[0:1], v6 offset1:4
	ds_read2st64_b32 v[2:3], v6 offset0:8 offset1:12
	ds_read2st64_b32 v[4:5], v6 offset0:16 offset1:20
	s_waitcnt lgkmcnt(2)
	v_add_f32_e32 v7, v0, v1
	ds_read2st64_b32 v[0:1], v6 offset0:24 offset1:28
	s_waitcnt lgkmcnt(2)
	v_add_f32_e32 v2, v2, v7
	v_add_f32_e32 v7, v3, v2
	ds_read2st64_b32 v[2:3], v6 offset0:32 offset1:36
	s_waitcnt lgkmcnt(2)
	v_add_f32_e32 v4, v4, v7
	;; [unrolled: 4-line block ×3, first 2 shown]
	v_add_f32_e32 v0, v1, v0
	s_waitcnt lgkmcnt(1)
	v_add_f32_e32 v2, v2, v0
	ds_read2st64_b32 v[0:1], v6 offset0:48 offset1:52
	v_add_f32_e32 v2, v3, v2
	s_waitcnt lgkmcnt(1)
	v_add_f32_e32 v4, v4, v2
	ds_read2st64_b32 v[2:3], v6 offset0:56 offset1:60
	v_add_f32_e32 v4, v5, v4
	s_waitcnt lgkmcnt(1)
	v_add_f32_e32 v0, v0, v4
                                        ; implicit-def: $vgpr4_vgpr5
	v_add_f32_e32 v0, v1, v0
	v_or_b32_e32 v1, s5, v13
	s_waitcnt lgkmcnt(0)
	v_add_f32_e32 v0, v2, v0
	v_add_f32_e32 v0, v3, v0
                                        ; implicit-def: $vgpr3
	ds_write_b32 v6, v0
	v_cmpx_gt_i32_e64 s8, v1
	s_cbranch_execz .LBB204_50
; %bb.47:
	v_mul_lo_u32 v4, s19, v1
	v_cmp_eq_f32_e64 s2, s7, 0
	v_mul_f32_e32 v3, s18, v0
	s_and_b32 vcc_lo, exec_lo, s2
	v_ashrrev_i32_e32 v5, 31, v4
	s_cbranch_vccnz .LBB204_49
; %bb.48:
	v_lshlrev_b64 v[0:1], 2, v[4:5]
	v_add_co_u32 v0, vcc_lo, s12, v0
	v_add_co_ci_u32_e64 v1, null, s13, v1, vcc_lo
	flat_load_dword v0, v[0:1]
	s_waitcnt vmcnt(0) lgkmcnt(0)
	v_fmac_f32_e32 v3, s7, v0
.LBB204_49:
	s_or_b32 s2, s14, exec_lo
.LBB204_50:
	s_or_b32 exec_lo, exec_lo, s1
	s_andn2_b32 s1, s14, exec_lo
	s_and_b32 s2, s2, exec_lo
	s_or_b32 s14, s1, s2
.LBB204_51:
	s_or_b32 exec_lo, exec_lo, s0
.LBB204_52:
	s_and_saveexec_b32 s0, s14
	s_cbranch_execz .LBB204_54
; %bb.53:
	v_lshlrev_b64 v[0:1], 2, v[4:5]
	v_add_co_u32 v0, vcc_lo, s12, v0
	v_add_co_ci_u32_e64 v1, null, s13, v1, vcc_lo
	flat_store_dword v[0:1], v3
.LBB204_54:
	s_endpgm
	.section	.rodata,"a",@progbits
	.p2align	6, 0x0
	.amdhsa_kernel _ZL20rocblas_gemvn_kernelILi64ELi16EiPKfS1_KPfEviiT3_lPKT2_lT1_lS7_lS8_lS4_lPT4_lS8_li
		.amdhsa_group_segment_fixed_size 16384
		.amdhsa_private_segment_fixed_size 0
		.amdhsa_kernarg_size 400
		.amdhsa_user_sgpr_count 6
		.amdhsa_user_sgpr_private_segment_buffer 1
		.amdhsa_user_sgpr_dispatch_ptr 0
		.amdhsa_user_sgpr_queue_ptr 0
		.amdhsa_user_sgpr_kernarg_segment_ptr 1
		.amdhsa_user_sgpr_dispatch_id 0
		.amdhsa_user_sgpr_flat_scratch_init 0
		.amdhsa_user_sgpr_private_segment_size 0
		.amdhsa_wavefront_size32 1
		.amdhsa_uses_dynamic_stack 0
		.amdhsa_system_sgpr_private_segment_wavefront_offset 0
		.amdhsa_system_sgpr_workgroup_id_x 1
		.amdhsa_system_sgpr_workgroup_id_y 0
		.amdhsa_system_sgpr_workgroup_id_z 1
		.amdhsa_system_sgpr_workgroup_info 0
		.amdhsa_system_vgpr_workitem_id 1
		.amdhsa_next_free_vgpr 42
		.amdhsa_next_free_sgpr 28
		.amdhsa_reserve_vcc 1
		.amdhsa_reserve_flat_scratch 1
		.amdhsa_float_round_mode_32 0
		.amdhsa_float_round_mode_16_64 0
		.amdhsa_float_denorm_mode_32 3
		.amdhsa_float_denorm_mode_16_64 3
		.amdhsa_dx10_clamp 1
		.amdhsa_ieee_mode 1
		.amdhsa_fp16_overflow 0
		.amdhsa_workgroup_processor_mode 1
		.amdhsa_memory_ordered 1
		.amdhsa_forward_progress 1
		.amdhsa_shared_vgpr_count 0
		.amdhsa_exception_fp_ieee_invalid_op 0
		.amdhsa_exception_fp_denorm_src 0
		.amdhsa_exception_fp_ieee_div_zero 0
		.amdhsa_exception_fp_ieee_overflow 0
		.amdhsa_exception_fp_ieee_underflow 0
		.amdhsa_exception_fp_ieee_inexact 0
		.amdhsa_exception_int_div_zero 0
	.end_amdhsa_kernel
	.section	.text._ZL20rocblas_gemvn_kernelILi64ELi16EiPKfS1_KPfEviiT3_lPKT2_lT1_lS7_lS8_lS4_lPT4_lS8_li,"axG",@progbits,_ZL20rocblas_gemvn_kernelILi64ELi16EiPKfS1_KPfEviiT3_lPKT2_lT1_lS7_lS8_lS4_lPT4_lS8_li,comdat
.Lfunc_end204:
	.size	_ZL20rocblas_gemvn_kernelILi64ELi16EiPKfS1_KPfEviiT3_lPKT2_lT1_lS7_lS8_lS4_lPT4_lS8_li, .Lfunc_end204-_ZL20rocblas_gemvn_kernelILi64ELi16EiPKfS1_KPfEviiT3_lPKT2_lT1_lS7_lS8_lS4_lPT4_lS8_li
                                        ; -- End function
	.set _ZL20rocblas_gemvn_kernelILi64ELi16EiPKfS1_KPfEviiT3_lPKT2_lT1_lS7_lS8_lS4_lPT4_lS8_li.num_vgpr, 42
	.set _ZL20rocblas_gemvn_kernelILi64ELi16EiPKfS1_KPfEviiT3_lPKT2_lT1_lS7_lS8_lS4_lPT4_lS8_li.num_agpr, 0
	.set _ZL20rocblas_gemvn_kernelILi64ELi16EiPKfS1_KPfEviiT3_lPKT2_lT1_lS7_lS8_lS4_lPT4_lS8_li.numbered_sgpr, 28
	.set _ZL20rocblas_gemvn_kernelILi64ELi16EiPKfS1_KPfEviiT3_lPKT2_lT1_lS7_lS8_lS4_lPT4_lS8_li.num_named_barrier, 0
	.set _ZL20rocblas_gemvn_kernelILi64ELi16EiPKfS1_KPfEviiT3_lPKT2_lT1_lS7_lS8_lS4_lPT4_lS8_li.private_seg_size, 0
	.set _ZL20rocblas_gemvn_kernelILi64ELi16EiPKfS1_KPfEviiT3_lPKT2_lT1_lS7_lS8_lS4_lPT4_lS8_li.uses_vcc, 1
	.set _ZL20rocblas_gemvn_kernelILi64ELi16EiPKfS1_KPfEviiT3_lPKT2_lT1_lS7_lS8_lS4_lPT4_lS8_li.uses_flat_scratch, 1
	.set _ZL20rocblas_gemvn_kernelILi64ELi16EiPKfS1_KPfEviiT3_lPKT2_lT1_lS7_lS8_lS4_lPT4_lS8_li.has_dyn_sized_stack, 0
	.set _ZL20rocblas_gemvn_kernelILi64ELi16EiPKfS1_KPfEviiT3_lPKT2_lT1_lS7_lS8_lS4_lPT4_lS8_li.has_recursion, 0
	.set _ZL20rocblas_gemvn_kernelILi64ELi16EiPKfS1_KPfEviiT3_lPKT2_lT1_lS7_lS8_lS4_lPT4_lS8_li.has_indirect_call, 0
	.section	.AMDGPU.csdata,"",@progbits
; Kernel info:
; codeLenInByte = 2788
; TotalNumSgprs: 30
; NumVgprs: 42
; ScratchSize: 0
; MemoryBound: 0
; FloatMode: 240
; IeeeMode: 1
; LDSByteSize: 16384 bytes/workgroup (compile time only)
; SGPRBlocks: 0
; VGPRBlocks: 5
; NumSGPRsForWavesPerEU: 30
; NumVGPRsForWavesPerEU: 42
; Occupancy: 16
; WaveLimiterHint : 1
; COMPUTE_PGM_RSRC2:SCRATCH_EN: 0
; COMPUTE_PGM_RSRC2:USER_SGPR: 6
; COMPUTE_PGM_RSRC2:TRAP_HANDLER: 0
; COMPUTE_PGM_RSRC2:TGID_X_EN: 1
; COMPUTE_PGM_RSRC2:TGID_Y_EN: 0
; COMPUTE_PGM_RSRC2:TGID_Z_EN: 1
; COMPUTE_PGM_RSRC2:TIDIG_COMP_CNT: 1
	.section	.text._ZL20rocblas_gemvn_kernelILi64ELi16ElPKfS1_KPfEviiT3_lPKT2_lT1_lS7_lS8_lS4_lPT4_lS8_li,"axG",@progbits,_ZL20rocblas_gemvn_kernelILi64ELi16ElPKfS1_KPfEviiT3_lPKT2_lT1_lS7_lS8_lS4_lPT4_lS8_li,comdat
	.globl	_ZL20rocblas_gemvn_kernelILi64ELi16ElPKfS1_KPfEviiT3_lPKT2_lT1_lS7_lS8_lS4_lPT4_lS8_li ; -- Begin function _ZL20rocblas_gemvn_kernelILi64ELi16ElPKfS1_KPfEviiT3_lPKT2_lT1_lS7_lS8_lS4_lPT4_lS8_li
	.p2align	8
	.type	_ZL20rocblas_gemvn_kernelILi64ELi16ElPKfS1_KPfEviiT3_lPKT2_lT1_lS7_lS8_lS4_lPT4_lS8_li,@function
_ZL20rocblas_gemvn_kernelILi64ELi16ElPKfS1_KPfEviiT3_lPKT2_lT1_lS7_lS8_lS4_lPT4_lS8_li: ; @_ZL20rocblas_gemvn_kernelILi64ELi16ElPKfS1_KPfEviiT3_lPKT2_lT1_lS7_lS8_lS4_lPT4_lS8_li
; %bb.0:
	s_load_dwordx2 s[0:1], s[4:5], 0x9c
	s_waitcnt lgkmcnt(0)
	s_lshr_b32 s2, s0, 16
	s_and_b32 s0, s0, 0xffff
	s_and_b32 s1, s1, 0xffff
	s_mul_i32 s0, s2, s0
	s_mul_i32 s0, s0, s1
	s_cmpk_lg_i32 s0, 0x400
	s_cbranch_scc1 .LBB205_54
; %bb.1:
	s_clause 0x1
	s_load_dwordx8 s[16:23], s[4:5], 0x8
	s_load_dwordx8 s[8:15], s[4:5], 0x58
	s_mov_b32 s26, s7
	s_mov_b32 s27, 0
	s_waitcnt lgkmcnt(0)
	s_mul_i32 s1, s19, s7
	s_mul_hi_u32 s2, s18, s7
	s_mul_i32 s0, s18, s7
	s_add_i32 s1, s2, s1
	s_mul_i32 s2, s11, s7
	s_lshl_b64 s[0:1], s[0:1], 2
	s_mul_hi_u32 s3, s10, s7
	s_add_u32 s0, s16, s0
	s_addc_u32 s1, s17, s1
	s_add_i32 s3, s3, s2
	s_mul_i32 s2, s10, s7
	s_lshl_b64 s[2:3], s[2:3], 2
	s_add_u32 s2, s8, s2
	s_addc_u32 s3, s9, s3
	s_load_dword s29, s[0:1], 0x0
	s_load_dword s28, s[2:3], 0x0
	s_waitcnt lgkmcnt(0)
	v_cmp_eq_f32_e64 s7, s29, 0
	v_cmp_eq_f32_e64 s0, s28, 1.0
	s_and_b32 s0, s7, s0
	s_and_b32 vcc_lo, exec_lo, s0
	s_cbranch_vccnz .LBB205_54
; %bb.2:
	s_clause 0x1
	s_load_dwordx2 s[16:17], s[4:5], 0x28
	s_load_dwordx2 s[8:9], s[4:5], 0x78
	v_cmp_neq_f32_e64 s10, s29, 0
	s_mov_b64 s[24:25], 0
	s_and_b32 vcc_lo, exec_lo, s7
	s_mov_b64 s[18:19], 0
	s_cbranch_vccnz .LBB205_4
; %bb.3:
	s_lshl_b64 s[0:1], s[26:27], 3
	s_add_u32 s0, s20, s0
	s_addc_u32 s1, s21, s1
	s_lshl_b64 s[2:3], s[22:23], 2
	s_load_dwordx2 s[0:1], s[0:1], 0x0
	s_waitcnt lgkmcnt(0)
	s_add_u32 s18, s0, s2
	s_addc_u32 s19, s1, s3
.LBB205_4:
	s_clause 0x1
	s_load_dwordx4 s[0:3], s[4:5], 0x38
	s_load_dwordx2 s[20:21], s[4:5], 0x48
	s_andn2_b32 vcc_lo, exec_lo, s10
	s_cbranch_vccnz .LBB205_6
; %bb.5:
	s_lshl_b64 s[10:11], s[26:27], 3
	s_waitcnt lgkmcnt(0)
	s_add_u32 s0, s0, s10
	s_addc_u32 s1, s1, s11
	s_lshl_b64 s[2:3], s[2:3], 2
	s_load_dwordx2 s[0:1], s[0:1], 0x0
	s_waitcnt lgkmcnt(0)
	s_add_u32 s24, s0, s2
	s_addc_u32 s25, s1, s3
.LBB205_6:
	s_waitcnt lgkmcnt(0)
	s_lshl_b64 s[0:1], s[26:27], 3
	v_lshlrev_b32_e32 v22, 6, v1
	s_add_u32 s0, s12, s0
	s_addc_u32 s1, s13, s1
	s_lshl_b64 s[12:13], s[14:15], 2
	s_load_dwordx2 s[2:3], s[0:1], 0x0
	s_load_dwordx2 s[10:11], s[4:5], 0x0
	v_add_nc_u32_e32 v21, v22, v0
	v_cmp_gt_u32_e64 s0, 0x100, v21
	s_waitcnt lgkmcnt(0)
	s_add_u32 s5, s2, s12
	s_addc_u32 s22, s3, s13
	s_andn2_b32 vcc_lo, exec_lo, s7
	s_cbranch_vccnz .LBB205_13
; %bb.7:
	s_mov_b32 s1, 0
	s_mov_b32 s23, 0
                                        ; implicit-def: $vgpr3
                                        ; implicit-def: $vgpr4_vgpr5
	s_and_saveexec_b32 s2, s0
	s_cbranch_execz .LBB205_14
; %bb.8:
	v_lshl_or_b32 v2, s6, 8, v21
	v_mov_b32_e32 v3, 0
	s_ashr_i32 s13, s10, 31
	s_mov_b32 s12, s10
	s_mov_b32 s3, 0
	s_mov_b32 s0, exec_lo
                                        ; implicit-def: $vgpr4_vgpr5
	v_cmpx_gt_i64_e64 s[12:13], v[2:3]
	s_cbranch_execz .LBB205_12
; %bb.9:
	v_mad_u64_u32 v[4:5], null, s8, v2, 0
	v_cmp_eq_f32_e64 s3, s28, 0
	s_and_b32 vcc_lo, exec_lo, s3
	v_mad_u64_u32 v[5:6], null, s9, v2, v[5:6]
	s_cbranch_vccnz .LBB205_11
; %bb.10:
	v_lshlrev_b64 v[2:3], 2, v[4:5]
	v_add_co_u32 v2, vcc_lo, s5, v2
	v_add_co_ci_u32_e64 v3, null, s22, v3, vcc_lo
	flat_load_dword v2, v[2:3]
	s_waitcnt vmcnt(0) lgkmcnt(0)
	v_mul_f32_e32 v3, s28, v2
.LBB205_11:
	s_mov_b32 s3, exec_lo
.LBB205_12:
	s_or_b32 exec_lo, exec_lo, s0
	s_and_b32 s23, s3, exec_lo
	s_or_b32 exec_lo, exec_lo, s2
	s_and_b32 vcc_lo, exec_lo, s1
	s_cbranch_vccnz .LBB205_15
	s_branch .LBB205_52
.LBB205_13:
	s_mov_b32 s23, 0
                                        ; implicit-def: $vgpr3
                                        ; implicit-def: $vgpr4_vgpr5
	s_cbranch_execnz .LBB205_15
	s_branch .LBB205_52
.LBB205_14:
	s_or_b32 exec_lo, exec_lo, s2
	s_and_b32 vcc_lo, exec_lo, s1
	s_cbranch_vccz .LBB205_52
.LBB205_15:
	s_ashr_i32 s0, s11, 31
	s_lshl_b32 s26, s6, 8
	s_lshr_b32 s0, s0, 26
	v_lshlrev_b32_e32 v27, 2, v1
	v_mov_b32_e32 v23, 0
	v_add_nc_u32_e32 v2, s26, v0
	v_mov_b32_e32 v24, 0
	v_mov_b32_e32 v25, 0
	;; [unrolled: 1-line block ×3, first 2 shown]
	s_add_i32 s27, s11, s0
	s_mov_b32 s30, exec_lo
	s_andn2_b32 s27, s27, 63
	v_cmpx_gt_i32_e64 s27, v27
	s_cbranch_execz .LBB205_27
; %bb.16:
	v_lshlrev_b32_e32 v25, 2, v1
	v_add_nc_u32_e32 v4, 64, v2
	v_mad_u64_u32 v[7:8], null, s20, v1, 0
	v_mad_u64_u32 v[9:10], null, s16, v1, 0
	v_or_b32_e32 v26, 3, v25
	v_add_nc_u32_e32 v11, 0x80, v2
	v_add_nc_u32_e32 v12, 0xc0, v2
	v_cmp_gt_i32_e64 s0, s10, v4
	v_or_b32_e32 v32, 2, v25
	v_mad_u64_u32 v[5:6], null, s16, v26, 0
	v_cmp_gt_i32_e64 s1, s10, v11
	v_cmp_gt_i32_e64 s2, s10, v12
	v_mad_u64_u32 v[16:17], null, s16, v32, 0
	v_mad_u64_u32 v[18:19], null, s20, v26, 0
	v_mov_b32_e32 v4, v6
	v_mov_b32_e32 v6, v8
	;; [unrolled: 1-line block ×3, first 2 shown]
	v_ashrrev_i32_e32 v3, 31, v2
	s_lshl_b64 s[6:7], s[16:17], 8
	v_mad_u64_u32 v[11:12], null, s17, v26, v[4:5]
	v_mad_u64_u32 v[12:13], null, s21, v1, v[6:7]
	;; [unrolled: 1-line block ×4, first 2 shown]
	v_mov_b32_e32 v6, v11
	v_lshlrev_b64 v[3:4], 2, v[2:3]
	v_mov_b32_e32 v8, v12
	s_lshl_b64 s[12:13], s[20:21], 8
	v_mov_b32_e32 v10, v13
	v_lshlrev_b64 v[11:12], 2, v[5:6]
	s_mov_b32 s31, 0
	v_lshlrev_b64 v[5:6], 4, v[7:8]
	v_mov_b32_e32 v7, v17
	v_mov_b32_e32 v8, v15
	v_lshlrev_b64 v[9:10], 4, v[9:10]
	v_add_co_u32 v28, s3, s18, v11
	v_add_co_ci_u32_e64 v29, null, s19, v12, s3
	v_mad_u64_u32 v[11:12], null, s16, v25, s[16:17]
	v_mad_u64_u32 v[23:24], null, s17, v32, v[7:8]
	v_mov_b32_e32 v7, v19
	v_mad_u64_u32 v[19:20], null, s21, v25, v[8:9]
	v_add_co_u32 v30, s3, s18, v9
	v_mad_u64_u32 v[7:8], null, s21, v26, v[7:8]
	v_mov_b32_e32 v8, v12
	v_mov_b32_e32 v17, v23
	v_mad_u64_u32 v[23:24], null, s20, v32, 0
	v_mov_b32_e32 v15, v19
	v_mad_u64_u32 v[12:13], null, s17, v25, v[8:9]
	v_lshlrev_b64 v[16:17], 2, v[16:17]
	v_mov_b32_e32 v19, v7
	v_add_co_ci_u32_e64 v31, null, s19, v10, s3
	v_mov_b32_e32 v8, v24
	v_mov_b32_e32 v26, 0
	v_lshlrev_b64 v[11:12], 2, v[11:12]
	s_mov_b64 s[14:15], s[24:25]
	v_cmp_gt_i32_e32 vcc_lo, s10, v2
	v_mad_u64_u32 v[24:25], null, s21, v32, v[8:9]
	v_add_co_u32 v32, s3, s18, v16
	v_add_co_ci_u32_e64 v33, null, s19, v17, s3
	v_add_co_u32 v34, s3, s18, v11
	v_lshlrev_b64 v[7:8], 2, v[14:15]
	v_lshlrev_b64 v[9:10], 2, v[18:19]
	v_add_co_ci_u32_e64 v35, null, s19, v12, s3
	v_lshlrev_b64 v[11:12], 2, v[23:24]
	v_mov_b32_e32 v23, 0
	v_mov_b32_e32 v24, 0
	;; [unrolled: 1-line block ×3, first 2 shown]
	s_branch .LBB205_21
.LBB205_17:                             ;   in Loop: Header=BB205_21 Depth=1
	s_or_b32 exec_lo, exec_lo, s34
	s_waitcnt vmcnt(3) lgkmcnt(3)
	v_fmac_f32_e32 v25, v39, v51
	s_waitcnt vmcnt(2) lgkmcnt(2)
	v_fmac_f32_e32 v25, v38, v50
	;; [unrolled: 2-line block ×4, first 2 shown]
.LBB205_18:                             ;   in Loop: Header=BB205_21 Depth=1
	s_or_b32 exec_lo, exec_lo, s33
	s_waitcnt vmcnt(3) lgkmcnt(3)
	v_fmac_f32_e32 v24, v39, v47
	s_waitcnt vmcnt(2) lgkmcnt(2)
	v_fmac_f32_e32 v24, v38, v46
	;; [unrolled: 2-line block ×4, first 2 shown]
.LBB205_19:                             ;   in Loop: Header=BB205_21 Depth=1
	s_or_b32 exec_lo, exec_lo, s3
	s_waitcnt vmcnt(3) lgkmcnt(3)
	v_fmac_f32_e32 v23, v39, v43
	s_waitcnt vmcnt(2) lgkmcnt(2)
	v_fmac_f32_e32 v23, v38, v41
	;; [unrolled: 2-line block ×4, first 2 shown]
.LBB205_20:                             ;   in Loop: Header=BB205_21 Depth=1
	s_or_b32 exec_lo, exec_lo, s4
	v_add_co_u32 v28, s3, v28, s6
	v_add_nc_u32_e32 v27, 64, v27
	v_add_co_ci_u32_e64 v29, null, s7, v29, s3
	v_add_co_u32 v30, s3, v30, s6
	v_add_co_ci_u32_e64 v31, null, s7, v31, s3
	v_add_co_u32 v32, s3, v32, s6
	v_add_co_ci_u32_e64 v33, null, s7, v33, s3
	v_cmp_le_i32_e64 s3, s27, v27
	v_add_co_u32 v34, s4, v34, s6
	v_add_co_ci_u32_e64 v35, null, s7, v35, s4
	s_add_u32 s14, s14, s12
	s_addc_u32 s15, s15, s13
	s_or_b32 s31, s3, s31
	s_andn2_b32 exec_lo, exec_lo, s31
	s_cbranch_execz .LBB205_26
.LBB205_21:                             ; =>This Inner Loop Header: Depth=1
	s_and_saveexec_b32 s4, vcc_lo
	s_cbranch_execz .LBB205_20
; %bb.22:                               ;   in Loop: Header=BB205_21 Depth=1
	v_add_co_u32 v36, s3, s14, v5
	v_add_co_ci_u32_e64 v37, null, s15, v6, s3
	v_add_co_u32 v40, s3, s14, v7
	v_add_co_ci_u32_e64 v41, null, s15, v8, s3
	;; [unrolled: 2-line block ×8, first 2 shown]
	s_clause 0x3
	flat_load_dword v39, v[36:37]
	flat_load_dword v38, v[40:41]
	;; [unrolled: 1-line block ×8, first 2 shown]
	s_and_saveexec_b32 s3, s0
	s_cbranch_execz .LBB205_19
; %bb.23:                               ;   in Loop: Header=BB205_21 Depth=1
	flat_load_dword v47, v[13:14] offset:256
	flat_load_dword v46, v[15:16] offset:256
	flat_load_dword v45, v[17:18] offset:256
	flat_load_dword v44, v[19:20] offset:256
	s_and_saveexec_b32 s33, s1
	s_cbranch_execz .LBB205_18
; %bb.24:                               ;   in Loop: Header=BB205_21 Depth=1
	flat_load_dword v51, v[13:14] offset:512
	flat_load_dword v50, v[15:16] offset:512
	flat_load_dword v49, v[17:18] offset:512
	flat_load_dword v48, v[19:20] offset:512
	;; [unrolled: 7-line block ×3, first 2 shown]
	s_waitcnt vmcnt(3) lgkmcnt(3)
	v_fmac_f32_e32 v26, v39, v13
	s_waitcnt vmcnt(2) lgkmcnt(2)
	v_fmac_f32_e32 v26, v38, v14
	;; [unrolled: 2-line block ×4, first 2 shown]
	s_branch .LBB205_17
.LBB205_26:
	s_or_b32 exec_lo, exec_lo, s31
.LBB205_27:
	s_or_b32 exec_lo, exec_lo, s30
	s_sub_i32 s0, s11, s27
	s_cmp_lt_i32 s0, 1
	s_cbranch_scc1 .LBB205_45
; %bb.28:
	v_cmp_gt_i32_e32 vcc_lo, s11, v27
	v_mov_b32_e32 v13, 0
	v_or_b32_e32 v4, 1, v27
	v_mov_b32_e32 v14, 0
	v_mov_b32_e32 v12, 0
	;; [unrolled: 1-line block ×3, first 2 shown]
	s_and_saveexec_b32 s1, vcc_lo
	s_cbranch_execz .LBB205_36
; %bb.29:
	v_mad_u64_u32 v[5:6], null, s20, v27, 0
	v_mov_b32_e32 v12, 0
	v_mov_b32_e32 v14, 0
	;; [unrolled: 1-line block ×3, first 2 shown]
	s_mov_b32 s2, exec_lo
	v_mov_b32_e32 v3, v6
	v_mad_u64_u32 v[6:7], null, s21, v27, v[3:4]
	v_lshlrev_b64 v[5:6], 2, v[5:6]
	v_add_co_u32 v5, s0, s24, v5
	v_add_co_ci_u32_e64 v6, null, s25, v6, s0
	flat_load_dword v11, v[5:6]
	v_cmpx_gt_i32_e64 s11, v4
	s_cbranch_execz .LBB205_35
; %bb.30:
	v_mad_u64_u32 v[5:6], null, s20, v4, 0
	v_mov_b32_e32 v14, 0
	v_mov_b32_e32 v13, 0
	s_mov_b32 s3, exec_lo
	v_mov_b32_e32 v3, v6
	v_mad_u64_u32 v[6:7], null, s21, v4, v[3:4]
	v_or_b32_e32 v3, 2, v27
	v_lshlrev_b64 v[5:6], 2, v[5:6]
	v_add_co_u32 v5, s0, s24, v5
	v_add_co_ci_u32_e64 v6, null, s25, v6, s0
	flat_load_dword v12, v[5:6]
	v_cmpx_gt_i32_e64 s11, v3
	s_cbranch_execz .LBB205_34
; %bb.31:
	v_mad_u64_u32 v[5:6], null, s20, v3, 0
	v_mov_b32_e32 v13, 0
	s_mov_b32 s4, exec_lo
	v_mad_u64_u32 v[6:7], null, s21, v3, v[6:7]
	v_or_b32_e32 v3, 3, v27
	v_lshlrev_b64 v[5:6], 2, v[5:6]
	v_add_co_u32 v5, s0, s24, v5
	v_add_co_ci_u32_e64 v6, null, s25, v6, s0
	flat_load_dword v14, v[5:6]
	v_cmpx_gt_i32_e64 s11, v3
	s_cbranch_execz .LBB205_33
; %bb.32:
	v_mad_u64_u32 v[5:6], null, s20, v3, 0
	v_mad_u64_u32 v[6:7], null, s21, v3, v[6:7]
	v_lshlrev_b64 v[5:6], 2, v[5:6]
	v_add_co_u32 v5, s0, s24, v5
	v_add_co_ci_u32_e64 v6, null, s25, v6, s0
	flat_load_dword v13, v[5:6]
.LBB205_33:
	s_or_b32 exec_lo, exec_lo, s4
.LBB205_34:
	s_or_b32 exec_lo, exec_lo, s3
.LBB205_35:
	s_or_b32 exec_lo, exec_lo, s2
.LBB205_36:
	s_or_b32 exec_lo, exec_lo, s1
	s_mov_b32 s1, exec_lo
	v_cmpx_gt_i32_e64 s10, v2
	s_cbranch_execz .LBB205_44
; %bb.37:
	v_mad_u64_u32 v[5:6], null, s16, v27, 0
	v_mad_u64_u32 v[7:8], null, s16, v4, 0
	v_ashrrev_i32_e32 v3, 31, v2
	v_or_b32_e32 v20, 2, v27
	v_or_b32_e32 v29, 3, v27
	v_cndmask_b32_e32 v5, 0, v5, vcc_lo
	v_lshlrev_b64 v[9:10], 2, v[2:3]
	v_mad_u64_u32 v[15:16], null, s17, v27, v[6:7]
	v_mov_b32_e32 v3, v8
	v_mad_u64_u32 v[16:17], null, s16, v20, 0
	v_mad_u64_u32 v[18:19], null, s16, v29, 0
	;; [unrolled: 1-line block ×3, first 2 shown]
	v_cndmask_b32_e32 v6, 0, v15, vcc_lo
	v_cmp_gt_i32_e32 vcc_lo, s11, v4
	v_mov_b32_e32 v3, v17
	v_cmp_gt_i32_e64 s0, s11, v20
	v_mov_b32_e32 v8, v19
	v_cndmask_b32_e32 v4, 0, v7, vcc_lo
	v_lshlrev_b64 v[6:7], 2, v[5:6]
	v_cndmask_b32_e32 v5, 0, v27, vcc_lo
	v_cndmask_b32_e64 v15, 0, v16, s0
	v_mad_u64_u32 v[19:20], null, s17, v20, v[3:4]
	v_add_co_u32 v3, vcc_lo, s18, v6
	v_lshlrev_b64 v[5:6], 2, v[4:5]
	v_add_co_ci_u32_e64 v7, null, s19, v7, vcc_lo
	v_add_co_u32 v3, vcc_lo, v3, v9
	v_cndmask_b32_e64 v16, 0, v19, s0
	v_add_co_ci_u32_e64 v4, null, v7, v10, vcc_lo
	v_add_co_u32 v5, vcc_lo, s18, v5
	v_add_co_ci_u32_e64 v6, null, s19, v6, vcc_lo
	v_mad_u64_u32 v[7:8], null, s17, v29, v[8:9]
	v_add_co_u32 v5, vcc_lo, v5, v9
	v_add_co_ci_u32_e64 v6, null, v6, v10, vcc_lo
	v_cmp_gt_i32_e32 vcc_lo, s11, v29
	v_lshlrev_b64 v[15:16], 2, v[15:16]
	s_clause 0x1
	flat_load_dword v19, v[3:4]
	flat_load_dword v20, v[5:6]
	s_mov_b32 s0, exec_lo
	v_cndmask_b32_e32 v17, 0, v18, vcc_lo
	v_cndmask_b32_e32 v18, 0, v7, vcc_lo
	v_add_co_u32 v7, vcc_lo, s18, v15
	v_add_co_ci_u32_e64 v8, null, s19, v16, vcc_lo
	v_lshlrev_b64 v[15:16], 2, v[17:18]
	v_add_co_u32 v7, vcc_lo, v7, v9
	v_add_co_ci_u32_e64 v8, null, v8, v10, vcc_lo
	v_add_co_u32 v15, vcc_lo, s18, v15
	v_add_co_ci_u32_e64 v16, null, s19, v16, vcc_lo
	flat_load_dword v17, v[7:8]
	v_add_co_u32 v9, vcc_lo, v15, v9
	v_add_co_ci_u32_e64 v10, null, v16, v10, vcc_lo
	v_add_nc_u32_e32 v16, 64, v2
	flat_load_dword v15, v[9:10]
	s_waitcnt vmcnt(3) lgkmcnt(3)
	v_fmac_f32_e32 v23, v11, v19
	s_waitcnt vmcnt(2) lgkmcnt(2)
	v_fmac_f32_e32 v23, v12, v20
	;; [unrolled: 2-line block ×3, first 2 shown]
	v_cmpx_gt_i32_e64 s10, v16
	s_cbranch_execz .LBB205_43
; %bb.38:
	s_clause 0x3
	flat_load_dword v17, v[3:4] offset:256
	flat_load_dword v18, v[5:6] offset:256
	;; [unrolled: 1-line block ×4, first 2 shown]
	s_mov_b32 s2, exec_lo
	s_waitcnt vmcnt(3) lgkmcnt(3)
	v_fmac_f32_e32 v24, v11, v17
	v_add_nc_u32_e32 v17, 0x80, v2
	s_waitcnt vmcnt(2) lgkmcnt(2)
	v_fmac_f32_e32 v24, v12, v18
	s_waitcnt vmcnt(1) lgkmcnt(1)
	v_fmac_f32_e32 v24, v14, v19
	v_cmpx_gt_i32_e64 s10, v17
	s_cbranch_execz .LBB205_42
; %bb.39:
	s_clause 0x3
	flat_load_dword v18, v[3:4] offset:512
	flat_load_dword v19, v[5:6] offset:512
	;; [unrolled: 1-line block ×4, first 2 shown]
	v_add_nc_u32_e32 v2, 0xc0, v2
	s_mov_b32 s3, exec_lo
	s_waitcnt vmcnt(3) lgkmcnt(3)
	v_fmac_f32_e32 v25, v11, v18
	s_waitcnt vmcnt(2) lgkmcnt(2)
	v_fmac_f32_e32 v25, v12, v19
	;; [unrolled: 2-line block ×3, first 2 shown]
	v_cmpx_gt_i32_e64 s10, v2
	s_cbranch_execz .LBB205_41
; %bb.40:
	s_clause 0x3
	flat_load_dword v2, v[3:4] offset:768
	flat_load_dword v3, v[5:6] offset:768
	flat_load_dword v4, v[7:8] offset:768
	flat_load_dword v5, v[9:10] offset:768
	s_waitcnt vmcnt(3) lgkmcnt(3)
	v_fmac_f32_e32 v26, v11, v2
	s_waitcnt vmcnt(2) lgkmcnt(2)
	v_fmac_f32_e32 v26, v12, v3
	s_waitcnt vmcnt(1) lgkmcnt(1)
	v_fmac_f32_e32 v26, v14, v4
	s_waitcnt vmcnt(0) lgkmcnt(0)
	v_fmac_f32_e32 v26, v13, v5
.LBB205_41:
	s_or_b32 exec_lo, exec_lo, s3
	s_waitcnt vmcnt(0) lgkmcnt(0)
	v_fmac_f32_e32 v25, v13, v17
.LBB205_42:
	s_or_b32 exec_lo, exec_lo, s2
	s_waitcnt vmcnt(0) lgkmcnt(0)
	v_fmac_f32_e32 v24, v13, v16
.LBB205_43:
	s_or_b32 exec_lo, exec_lo, s0
	s_waitcnt vmcnt(0) lgkmcnt(0)
	v_fmac_f32_e32 v23, v13, v15
.LBB205_44:
	s_or_b32 exec_lo, exec_lo, s1
.LBB205_45:
	v_lshlrev_b32_e32 v0, 2, v0
	s_mov_b32 s0, exec_lo
                                        ; implicit-def: $vgpr3
                                        ; implicit-def: $vgpr4_vgpr5
	v_lshl_add_u32 v1, v1, 10, v0
	ds_write2st64_b32 v1, v23, v24 offset1:1
	ds_write2st64_b32 v1, v25, v26 offset0:2 offset1:3
	s_waitcnt vmcnt(0) lgkmcnt(0)
	s_barrier
	buffer_gl0_inv
	v_cmpx_gt_u32_e32 0x100, v21
	s_cbranch_execz .LBB205_51
; %bb.46:
	v_lshl_add_u32 v6, v22, 2, v0
	s_mov_b32 s2, s23
	s_mov_b32 s1, exec_lo
	ds_read2st64_b32 v[0:1], v6 offset1:4
	ds_read2st64_b32 v[2:3], v6 offset0:8 offset1:12
	ds_read2st64_b32 v[4:5], v6 offset0:16 offset1:20
	s_waitcnt lgkmcnt(2)
	v_add_f32_e32 v7, v0, v1
	ds_read2st64_b32 v[0:1], v6 offset0:24 offset1:28
	s_waitcnt lgkmcnt(2)
	v_add_f32_e32 v2, v2, v7
	v_add_f32_e32 v7, v3, v2
	ds_read2st64_b32 v[2:3], v6 offset0:32 offset1:36
	s_waitcnt lgkmcnt(2)
	v_add_f32_e32 v4, v4, v7
	;; [unrolled: 4-line block ×3, first 2 shown]
	v_add_f32_e32 v0, v1, v0
	s_waitcnt lgkmcnt(1)
	v_add_f32_e32 v2, v2, v0
	ds_read2st64_b32 v[0:1], v6 offset0:48 offset1:52
	v_add_f32_e32 v2, v3, v2
	s_waitcnt lgkmcnt(1)
	v_add_f32_e32 v4, v4, v2
	ds_read2st64_b32 v[2:3], v6 offset0:56 offset1:60
	v_add_f32_e32 v4, v5, v4
	s_waitcnt lgkmcnt(1)
	v_add_f32_e32 v0, v0, v4
                                        ; implicit-def: $vgpr4_vgpr5
	v_add_f32_e32 v0, v1, v0
	v_or_b32_e32 v1, s26, v21
	s_waitcnt lgkmcnt(0)
	v_add_f32_e32 v0, v2, v0
	v_add_f32_e32 v0, v3, v0
                                        ; implicit-def: $vgpr3
	ds_write_b32 v6, v0
	v_cmpx_gt_i32_e64 s10, v1
	s_cbranch_execz .LBB205_50
; %bb.47:
	v_ashrrev_i32_e32 v2, 31, v1
	v_mul_lo_u32 v6, s9, v1
	v_mad_u64_u32 v[4:5], null, s8, v1, 0
	v_cmp_eq_f32_e64 s2, s28, 0
	v_mul_lo_u32 v1, s8, v2
	v_mul_f32_e32 v3, s29, v0
	s_and_b32 vcc_lo, exec_lo, s2
	v_add3_u32 v5, v5, v1, v6
	s_cbranch_vccnz .LBB205_49
; %bb.48:
	v_lshlrev_b64 v[0:1], 2, v[4:5]
	v_add_co_u32 v0, vcc_lo, s5, v0
	v_add_co_ci_u32_e64 v1, null, s22, v1, vcc_lo
	flat_load_dword v0, v[0:1]
	s_waitcnt vmcnt(0) lgkmcnt(0)
	v_fmac_f32_e32 v3, s28, v0
.LBB205_49:
	s_or_b32 s2, s23, exec_lo
.LBB205_50:
	s_or_b32 exec_lo, exec_lo, s1
	s_andn2_b32 s1, s23, exec_lo
	s_and_b32 s2, s2, exec_lo
	s_or_b32 s23, s1, s2
.LBB205_51:
	s_or_b32 exec_lo, exec_lo, s0
.LBB205_52:
	s_and_saveexec_b32 s0, s23
	s_cbranch_execz .LBB205_54
; %bb.53:
	v_lshlrev_b64 v[0:1], 2, v[4:5]
	v_add_co_u32 v0, vcc_lo, s5, v0
	v_add_co_ci_u32_e64 v1, null, s22, v1, vcc_lo
	flat_store_dword v[0:1], v3
.LBB205_54:
	s_endpgm
	.section	.rodata,"a",@progbits
	.p2align	6, 0x0
	.amdhsa_kernel _ZL20rocblas_gemvn_kernelILi64ELi16ElPKfS1_KPfEviiT3_lPKT2_lT1_lS7_lS8_lS4_lPT4_lS8_li
		.amdhsa_group_segment_fixed_size 16384
		.amdhsa_private_segment_fixed_size 0
		.amdhsa_kernarg_size 400
		.amdhsa_user_sgpr_count 6
		.amdhsa_user_sgpr_private_segment_buffer 1
		.amdhsa_user_sgpr_dispatch_ptr 0
		.amdhsa_user_sgpr_queue_ptr 0
		.amdhsa_user_sgpr_kernarg_segment_ptr 1
		.amdhsa_user_sgpr_dispatch_id 0
		.amdhsa_user_sgpr_flat_scratch_init 0
		.amdhsa_user_sgpr_private_segment_size 0
		.amdhsa_wavefront_size32 1
		.amdhsa_uses_dynamic_stack 0
		.amdhsa_system_sgpr_private_segment_wavefront_offset 0
		.amdhsa_system_sgpr_workgroup_id_x 1
		.amdhsa_system_sgpr_workgroup_id_y 0
		.amdhsa_system_sgpr_workgroup_id_z 1
		.amdhsa_system_sgpr_workgroup_info 0
		.amdhsa_system_vgpr_workitem_id 1
		.amdhsa_next_free_vgpr 52
		.amdhsa_next_free_sgpr 35
		.amdhsa_reserve_vcc 1
		.amdhsa_reserve_flat_scratch 1
		.amdhsa_float_round_mode_32 0
		.amdhsa_float_round_mode_16_64 0
		.amdhsa_float_denorm_mode_32 3
		.amdhsa_float_denorm_mode_16_64 3
		.amdhsa_dx10_clamp 1
		.amdhsa_ieee_mode 1
		.amdhsa_fp16_overflow 0
		.amdhsa_workgroup_processor_mode 1
		.amdhsa_memory_ordered 1
		.amdhsa_forward_progress 1
		.amdhsa_shared_vgpr_count 0
		.amdhsa_exception_fp_ieee_invalid_op 0
		.amdhsa_exception_fp_denorm_src 0
		.amdhsa_exception_fp_ieee_div_zero 0
		.amdhsa_exception_fp_ieee_overflow 0
		.amdhsa_exception_fp_ieee_underflow 0
		.amdhsa_exception_fp_ieee_inexact 0
		.amdhsa_exception_int_div_zero 0
	.end_amdhsa_kernel
	.section	.text._ZL20rocblas_gemvn_kernelILi64ELi16ElPKfS1_KPfEviiT3_lPKT2_lT1_lS7_lS8_lS4_lPT4_lS8_li,"axG",@progbits,_ZL20rocblas_gemvn_kernelILi64ELi16ElPKfS1_KPfEviiT3_lPKT2_lT1_lS7_lS8_lS4_lPT4_lS8_li,comdat
.Lfunc_end205:
	.size	_ZL20rocblas_gemvn_kernelILi64ELi16ElPKfS1_KPfEviiT3_lPKT2_lT1_lS7_lS8_lS4_lPT4_lS8_li, .Lfunc_end205-_ZL20rocblas_gemvn_kernelILi64ELi16ElPKfS1_KPfEviiT3_lPKT2_lT1_lS7_lS8_lS4_lPT4_lS8_li
                                        ; -- End function
	.set _ZL20rocblas_gemvn_kernelILi64ELi16ElPKfS1_KPfEviiT3_lPKT2_lT1_lS7_lS8_lS4_lPT4_lS8_li.num_vgpr, 52
	.set _ZL20rocblas_gemvn_kernelILi64ELi16ElPKfS1_KPfEviiT3_lPKT2_lT1_lS7_lS8_lS4_lPT4_lS8_li.num_agpr, 0
	.set _ZL20rocblas_gemvn_kernelILi64ELi16ElPKfS1_KPfEviiT3_lPKT2_lT1_lS7_lS8_lS4_lPT4_lS8_li.numbered_sgpr, 35
	.set _ZL20rocblas_gemvn_kernelILi64ELi16ElPKfS1_KPfEviiT3_lPKT2_lT1_lS7_lS8_lS4_lPT4_lS8_li.num_named_barrier, 0
	.set _ZL20rocblas_gemvn_kernelILi64ELi16ElPKfS1_KPfEviiT3_lPKT2_lT1_lS7_lS8_lS4_lPT4_lS8_li.private_seg_size, 0
	.set _ZL20rocblas_gemvn_kernelILi64ELi16ElPKfS1_KPfEviiT3_lPKT2_lT1_lS7_lS8_lS4_lPT4_lS8_li.uses_vcc, 1
	.set _ZL20rocblas_gemvn_kernelILi64ELi16ElPKfS1_KPfEviiT3_lPKT2_lT1_lS7_lS8_lS4_lPT4_lS8_li.uses_flat_scratch, 1
	.set _ZL20rocblas_gemvn_kernelILi64ELi16ElPKfS1_KPfEviiT3_lPKT2_lT1_lS7_lS8_lS4_lPT4_lS8_li.has_dyn_sized_stack, 0
	.set _ZL20rocblas_gemvn_kernelILi64ELi16ElPKfS1_KPfEviiT3_lPKT2_lT1_lS7_lS8_lS4_lPT4_lS8_li.has_recursion, 0
	.set _ZL20rocblas_gemvn_kernelILi64ELi16ElPKfS1_KPfEviiT3_lPKT2_lT1_lS7_lS8_lS4_lPT4_lS8_li.has_indirect_call, 0
	.section	.AMDGPU.csdata,"",@progbits
; Kernel info:
; codeLenInByte = 3088
; TotalNumSgprs: 37
; NumVgprs: 52
; ScratchSize: 0
; MemoryBound: 0
; FloatMode: 240
; IeeeMode: 1
; LDSByteSize: 16384 bytes/workgroup (compile time only)
; SGPRBlocks: 0
; VGPRBlocks: 6
; NumSGPRsForWavesPerEU: 37
; NumVGPRsForWavesPerEU: 52
; Occupancy: 16
; WaveLimiterHint : 1
; COMPUTE_PGM_RSRC2:SCRATCH_EN: 0
; COMPUTE_PGM_RSRC2:USER_SGPR: 6
; COMPUTE_PGM_RSRC2:TRAP_HANDLER: 0
; COMPUTE_PGM_RSRC2:TGID_X_EN: 1
; COMPUTE_PGM_RSRC2:TGID_Y_EN: 0
; COMPUTE_PGM_RSRC2:TGID_Z_EN: 1
; COMPUTE_PGM_RSRC2:TIDIG_COMP_CNT: 1
	.section	.text._ZL20rocblas_gemvn_kernelILi64ELi16EiPKffKPfEviiT3_lPKT2_lT1_lS7_lS8_lS4_lPT4_lS8_li,"axG",@progbits,_ZL20rocblas_gemvn_kernelILi64ELi16EiPKffKPfEviiT3_lPKT2_lT1_lS7_lS8_lS4_lPT4_lS8_li,comdat
	.globl	_ZL20rocblas_gemvn_kernelILi64ELi16EiPKffKPfEviiT3_lPKT2_lT1_lS7_lS8_lS4_lPT4_lS8_li ; -- Begin function _ZL20rocblas_gemvn_kernelILi64ELi16EiPKffKPfEviiT3_lPKT2_lT1_lS7_lS8_lS4_lPT4_lS8_li
	.p2align	8
	.type	_ZL20rocblas_gemvn_kernelILi64ELi16EiPKffKPfEviiT3_lPKT2_lT1_lS7_lS8_lS4_lPT4_lS8_li,@function
_ZL20rocblas_gemvn_kernelILi64ELi16EiPKffKPfEviiT3_lPKT2_lT1_lS7_lS8_lS4_lPT4_lS8_li: ; @_ZL20rocblas_gemvn_kernelILi64ELi16EiPKffKPfEviiT3_lPKT2_lT1_lS7_lS8_lS4_lPT4_lS8_li
; %bb.0:
	s_load_dwordx2 s[0:1], s[4:5], 0x9c
	s_waitcnt lgkmcnt(0)
	s_lshr_b32 s3, s0, 16
	s_and_b32 s0, s0, 0xffff
	s_and_b32 s1, s1, 0xffff
	s_mul_i32 s0, s3, s0
	s_mul_i32 s0, s0, s1
	s_cmpk_lg_i32 s0, 0x400
	s_cbranch_scc1 .LBB206_56
; %bb.1:
	s_mov_b32 s2, s7
	s_clause 0x1
	s_load_dwordx4 s[8:11], s[4:5], 0x0
	s_load_dword s7, s[4:5], 0x58
	s_mov_b32 s3, 0
	s_waitcnt lgkmcnt(0)
	v_cmp_eq_f32_e64 s18, s10, 0
	v_cmp_eq_f32_e64 s0, s7, 1.0
	s_and_b32 s0, s18, s0
	s_and_b32 vcc_lo, exec_lo, s0
	s_cbranch_vccnz .LBB206_56
; %bb.2:
	v_cmp_neq_f32_e64 s11, s10, 0
	s_and_b32 vcc_lo, exec_lo, s11
	s_cbranch_vccnz .LBB206_4
; %bb.3:
	s_mov_b32 s1, 0
	s_mov_b32 s0, s2
	;; [unrolled: 1-line block ×3, first 2 shown]
	s_mov_b64 s[14:15], 0
	s_andn2_b32 vcc_lo, exec_lo, s12
	s_mov_b64 s[12:13], 0
	s_cbranch_vccz .LBB206_5
	s_branch .LBB206_6
.LBB206_4:
	s_mov_b64 s[0:1], s[2:3]
	s_mov_b64 s[14:15], 0
	;; [unrolled: 1-line block ×3, first 2 shown]
.LBB206_5:
	s_load_dwordx4 s[20:23], s[4:5], 0x18
	s_lshl_b64 s[2:3], s[2:3], 3
	s_waitcnt lgkmcnt(0)
	s_add_u32 s2, s20, s2
	s_addc_u32 s3, s21, s3
	s_lshl_b64 s[12:13], s[22:23], 2
	s_load_dwordx2 s[2:3], s[2:3], 0x0
	s_waitcnt lgkmcnt(0)
	s_add_u32 s12, s2, s12
	s_addc_u32 s13, s3, s13
.LBB206_6:
	s_andn2_b32 vcc_lo, exec_lo, s11
	s_cbranch_vccnz .LBB206_8
; %bb.7:
	s_load_dwordx4 s[20:23], s[4:5], 0x38
	s_lshl_b64 s[2:3], s[0:1], 3
	s_waitcnt lgkmcnt(0)
	s_add_u32 s2, s20, s2
	s_addc_u32 s3, s21, s3
	s_lshl_b64 s[14:15], s[22:23], 2
	s_load_dwordx2 s[2:3], s[2:3], 0x0
	s_waitcnt lgkmcnt(0)
	s_add_u32 s14, s2, s14
	s_addc_u32 s15, s3, s15
.LBB206_8:
	s_clause 0x1
	s_load_dwordx4 s[20:23], s[4:5], 0x68
	s_load_dword s17, s[4:5], 0x78
	s_lshl_b64 s[0:1], s[0:1], 3
	v_lshlrev_b32_e32 v14, 6, v1
	v_add_nc_u32_e32 v13, v14, v0
	s_waitcnt lgkmcnt(0)
	s_add_u32 s0, s20, s0
	s_addc_u32 s1, s21, s1
	s_lshl_b64 s[20:21], s[22:23], 2
	s_load_dwordx2 s[2:3], s[0:1], 0x0
	v_cmp_gt_u32_e64 s0, 0x100, v13
	s_waitcnt lgkmcnt(0)
	s_add_u32 s11, s2, s20
	s_addc_u32 s16, s3, s21
	s_andn2_b32 vcc_lo, exec_lo, s18
	s_cbranch_vccnz .LBB206_15
; %bb.9:
	s_mov_b32 s1, 0
	s_mov_b32 s18, 0
                                        ; implicit-def: $vgpr3
                                        ; implicit-def: $vgpr4_vgpr5
	s_and_saveexec_b32 s2, s0
	s_cbranch_execz .LBB206_16
; %bb.10:
	v_lshl_or_b32 v2, s6, 8, v13
	v_mov_b32_e32 v3, 0
	s_ashr_i32 s19, s8, 31
	s_mov_b32 s18, s8
	s_mov_b32 s3, 0
	s_mov_b32 s0, exec_lo
                                        ; implicit-def: $vgpr4_vgpr5
	v_cmpx_gt_i64_e64 s[18:19], v[2:3]
	s_cbranch_execz .LBB206_14
; %bb.11:
	v_mad_u64_u32 v[4:5], null, s17, v2, 0
	s_ashr_i32 s3, s17, 31
	v_mad_u64_u32 v[5:6], null, s3, v2, v[5:6]
	v_cmp_eq_f32_e64 s3, s7, 0
	s_and_b32 vcc_lo, exec_lo, s3
	s_cbranch_vccnz .LBB206_13
; %bb.12:
	v_lshlrev_b64 v[2:3], 2, v[4:5]
	v_add_co_u32 v2, vcc_lo, s11, v2
	v_add_co_ci_u32_e64 v3, null, s16, v3, vcc_lo
	flat_load_dword v2, v[2:3]
	s_waitcnt vmcnt(0) lgkmcnt(0)
	v_mul_f32_e32 v3, s7, v2
.LBB206_13:
	s_mov_b32 s3, exec_lo
.LBB206_14:
	s_or_b32 exec_lo, exec_lo, s0
	s_and_b32 s18, s3, exec_lo
	s_or_b32 exec_lo, exec_lo, s2
	s_and_b32 vcc_lo, exec_lo, s1
	s_cbranch_vccnz .LBB206_17
	s_branch .LBB206_54
.LBB206_15:
	s_mov_b32 s18, 0
                                        ; implicit-def: $vgpr3
                                        ; implicit-def: $vgpr4_vgpr5
	s_cbranch_execnz .LBB206_17
	s_branch .LBB206_54
.LBB206_16:
	s_or_b32 exec_lo, exec_lo, s2
	s_and_b32 vcc_lo, exec_lo, s1
	s_cbranch_vccz .LBB206_54
.LBB206_17:
	s_clause 0x1
	s_load_dword s19, s[4:5], 0x28
	s_load_dword s4, s[4:5], 0x48
	s_ashr_i32 s0, s9, 31
	s_lshl_b32 s5, s6, 8
	s_lshr_b32 s0, s0, 26
	v_lshlrev_b32_e32 v20, 2, v1
	v_add_nc_u32_e32 v19, s5, v0
	v_mov_b32_e32 v15, 0
	v_mov_b32_e32 v16, 0
	;; [unrolled: 1-line block ×4, first 2 shown]
	s_add_i32 s0, s9, s0
	s_mov_b32 s20, exec_lo
	s_and_b32 s6, s0, 0xffffffc0
	v_cmpx_gt_i32_e64 s6, v20
	s_cbranch_execz .LBB206_29
; %bb.18:
	v_add_nc_u32_e32 v5, 0xc0, v19
	s_waitcnt lgkmcnt(0)
	v_mul_lo_u32 v3, s19, v20
	v_add_nc_u32_e32 v2, 64, v19
	v_add_nc_u32_e32 v6, 2, v20
	;; [unrolled: 1-line block ×3, first 2 shown]
	v_cmp_gt_i32_e64 s2, s8, v5
	v_mul_lo_u32 v5, v1, s19
	v_add_nc_u32_e32 v7, 3, v20
	v_mul_lo_u32 v8, v1, s4
	v_cmp_gt_i32_e64 s0, s8, v2
	v_add3_u32 v21, v3, s19, v0
	v_mad_u64_u32 v[2:3], null, s19, v6, v[0:1]
	v_cmp_gt_i32_e64 s1, s8, v4
	v_mad_u64_u32 v[3:4], null, s19, v7, v[0:1]
	v_lshl_add_u32 v22, v5, 2, v0
	v_mad_u64_u32 v[4:5], null, s4, v20, s[4:5]
	v_mul_lo_u32 v23, s4, v6
	v_mul_lo_u32 v24, s4, v7
	v_lshlrev_b32_e32 v25, 2, v8
	v_mov_b32_e32 v15, 0
	v_mov_b32_e32 v16, 0
	v_mov_b32_e32 v17, 0
	v_mov_b32_e32 v18, 0
	s_lshl_b32 s21, s19, 6
	s_lshl_b32 s23, s4, 6
	s_mov_b32 s22, 0
	s_mov_b32 s24, 0
	v_cmp_gt_i32_e32 vcc_lo, s8, v19
	s_branch .LBB206_23
.LBB206_19:                             ;   in Loop: Header=BB206_23 Depth=1
	s_or_b32 exec_lo, exec_lo, s27
	s_waitcnt vmcnt(3) lgkmcnt(3)
	v_fmac_f32_e32 v17, v29, v41
	s_waitcnt vmcnt(2) lgkmcnt(2)
	v_fmac_f32_e32 v17, v28, v40
	;; [unrolled: 2-line block ×4, first 2 shown]
.LBB206_20:                             ;   in Loop: Header=BB206_23 Depth=1
	s_or_b32 exec_lo, exec_lo, s26
	s_waitcnt vmcnt(3) lgkmcnt(3)
	v_fmac_f32_e32 v16, v29, v37
	s_waitcnt vmcnt(2) lgkmcnt(2)
	v_fmac_f32_e32 v16, v28, v36
	;; [unrolled: 2-line block ×4, first 2 shown]
.LBB206_21:                             ;   in Loop: Header=BB206_23 Depth=1
	s_or_b32 exec_lo, exec_lo, s3
	s_waitcnt vmcnt(3) lgkmcnt(3)
	v_fmac_f32_e32 v15, v29, v33
	s_waitcnt vmcnt(2) lgkmcnt(2)
	v_fmac_f32_e32 v15, v28, v31
	;; [unrolled: 2-line block ×4, first 2 shown]
.LBB206_22:                             ;   in Loop: Header=BB206_23 Depth=1
	s_or_b32 exec_lo, exec_lo, s25
	v_add_nc_u32_e32 v20, 64, v20
	v_add_nc_u32_e32 v21, s21, v21
	;; [unrolled: 1-line block ×5, first 2 shown]
	v_cmp_le_i32_e64 s3, s6, v20
	s_add_i32 s24, s24, s23
	s_or_b32 s22, s3, s22
	s_andn2_b32 exec_lo, exec_lo, s22
	s_cbranch_execz .LBB206_28
.LBB206_23:                             ; =>This Inner Loop Header: Depth=1
	s_and_saveexec_b32 s25, vcc_lo
	s_cbranch_execz .LBB206_22
; %bb.24:                               ;   in Loop: Header=BB206_23 Depth=1
	v_add_nc_u32_e32 v5, s24, v25
	v_add_nc_u32_e32 v7, s24, v4
	;; [unrolled: 1-line block ×5, first 2 shown]
	v_ashrrev_i32_e32 v6, 31, v5
	v_ashrrev_i32_e32 v8, 31, v7
	;; [unrolled: 1-line block ×5, first 2 shown]
	v_lshlrev_b64 v[5:6], 2, v[5:6]
	v_lshlrev_b64 v[7:8], 2, v[7:8]
	v_lshlrev_b64 v[9:10], 2, v[9:10]
	v_add_co_u32 v28, s3, s14, v5
	v_add_co_ci_u32_e64 v29, null, s15, v6, s3
	v_add_co_u32 v30, s3, s14, v7
	v_add_nc_u32_e32 v7, s5, v21
	v_add_co_ci_u32_e64 v31, null, s15, v8, s3
	v_lshlrev_b64 v[5:6], 2, v[11:12]
	v_add_co_u32 v32, s3, s14, v9
	v_add_nc_u32_e32 v11, s5, v2
	v_add_co_ci_u32_e64 v33, null, s15, v10, s3
	v_lshlrev_b64 v[9:10], 2, v[26:27]
	v_add_nc_u32_e32 v26, s5, v3
	v_ashrrev_i32_e32 v8, 31, v7
	v_ashrrev_i32_e32 v12, 31, v11
	v_add_co_u32 v34, s3, s14, v5
	v_ashrrev_i32_e32 v27, 31, v26
	v_add_co_ci_u32_e64 v35, null, s15, v6, s3
	v_lshlrev_b64 v[7:8], 2, v[7:8]
	v_add_co_u32 v5, s3, s12, v9
	v_add_co_ci_u32_e64 v6, null, s13, v10, s3
	v_lshlrev_b64 v[9:10], 2, v[11:12]
	v_lshlrev_b64 v[26:27], 2, v[26:27]
	v_add_co_u32 v7, s3, s12, v7
	v_add_co_ci_u32_e64 v8, null, s13, v8, s3
	v_add_co_u32 v11, s3, s12, v9
	v_add_co_ci_u32_e64 v12, null, s13, v10, s3
	;; [unrolled: 2-line block ×3, first 2 shown]
	s_clause 0x3
	flat_load_dword v29, v[28:29]
	flat_load_dword v28, v[30:31]
	;; [unrolled: 1-line block ×4, first 2 shown]
	s_clause 0x3
	flat_load_dword v33, v[5:6]
	flat_load_dword v31, v[7:8]
	;; [unrolled: 1-line block ×4, first 2 shown]
	s_and_saveexec_b32 s3, s0
	s_cbranch_execz .LBB206_21
; %bb.25:                               ;   in Loop: Header=BB206_23 Depth=1
	s_clause 0x3
	flat_load_dword v37, v[5:6] offset:256
	flat_load_dword v36, v[7:8] offset:256
	flat_load_dword v35, v[11:12] offset:256
	flat_load_dword v34, v[9:10] offset:256
	s_and_saveexec_b32 s26, s1
	s_cbranch_execz .LBB206_20
; %bb.26:                               ;   in Loop: Header=BB206_23 Depth=1
	s_clause 0x3
	flat_load_dword v41, v[5:6] offset:512
	flat_load_dword v40, v[7:8] offset:512
	flat_load_dword v39, v[11:12] offset:512
	flat_load_dword v38, v[9:10] offset:512
	;; [unrolled: 8-line block ×3, first 2 shown]
	s_waitcnt vmcnt(3) lgkmcnt(3)
	v_fmac_f32_e32 v18, v29, v5
	s_waitcnt vmcnt(2) lgkmcnt(2)
	v_fmac_f32_e32 v18, v28, v6
	;; [unrolled: 2-line block ×4, first 2 shown]
	s_branch .LBB206_19
.LBB206_28:
	s_or_b32 exec_lo, exec_lo, s22
.LBB206_29:
	s_or_b32 exec_lo, exec_lo, s20
	s_sub_i32 s0, s9, s6
	s_cmp_lt_i32 s0, 1
	s_cbranch_scc1 .LBB206_47
; %bb.30:
	v_cmp_gt_i32_e32 vcc_lo, s9, v20
	v_mov_b32_e32 v12, 0
	v_or_b32_e32 v2, 1, v20
	v_mov_b32_e32 v21, 0
	v_mov_b32_e32 v11, 0
	;; [unrolled: 1-line block ×3, first 2 shown]
	s_and_saveexec_b32 s1, vcc_lo
	s_cbranch_execz .LBB206_38
; %bb.31:
	s_waitcnt lgkmcnt(0)
	v_mul_lo_u32 v3, v20, s4
	v_mov_b32_e32 v11, 0
	v_mov_b32_e32 v21, 0
	;; [unrolled: 1-line block ×3, first 2 shown]
	s_mov_b32 s2, exec_lo
	v_ashrrev_i32_e32 v4, 31, v3
	v_lshlrev_b64 v[3:4], 2, v[3:4]
	v_add_co_u32 v3, s0, s14, v3
	v_add_co_ci_u32_e64 v4, null, s15, v4, s0
	flat_load_dword v10, v[3:4]
	v_cmpx_gt_i32_e64 s9, v2
	s_cbranch_execz .LBB206_37
; %bb.32:
	v_mul_lo_u32 v3, v2, s4
	v_mov_b32_e32 v21, 0
	v_mov_b32_e32 v12, 0
	s_mov_b32 s3, exec_lo
	v_ashrrev_i32_e32 v4, 31, v3
	v_lshlrev_b64 v[3:4], 2, v[3:4]
	v_add_co_u32 v3, s0, s14, v3
	v_add_co_ci_u32_e64 v4, null, s15, v4, s0
	flat_load_dword v11, v[3:4]
	v_or_b32_e32 v3, 2, v20
	v_cmpx_gt_i32_e64 s9, v3
	s_cbranch_execz .LBB206_36
; %bb.33:
	v_mul_lo_u32 v3, v3, s4
	v_mov_b32_e32 v12, 0
	s_mov_b32 s6, exec_lo
	v_ashrrev_i32_e32 v4, 31, v3
	v_lshlrev_b64 v[3:4], 2, v[3:4]
	v_add_co_u32 v3, s0, s14, v3
	v_add_co_ci_u32_e64 v4, null, s15, v4, s0
	flat_load_dword v21, v[3:4]
	v_or_b32_e32 v3, 3, v20
	v_cmpx_gt_i32_e64 s9, v3
	s_cbranch_execz .LBB206_35
; %bb.34:
	v_mul_lo_u32 v3, v3, s4
	v_ashrrev_i32_e32 v4, 31, v3
	v_lshlrev_b64 v[3:4], 2, v[3:4]
	v_add_co_u32 v3, s0, s14, v3
	v_add_co_ci_u32_e64 v4, null, s15, v4, s0
	flat_load_dword v12, v[3:4]
.LBB206_35:
	s_or_b32 exec_lo, exec_lo, s6
.LBB206_36:
	s_or_b32 exec_lo, exec_lo, s3
.LBB206_37:
	s_or_b32 exec_lo, exec_lo, s2
.LBB206_38:
	s_or_b32 exec_lo, exec_lo, s1
	s_mov_b32 s1, exec_lo
	v_cmpx_gt_i32_e64 s8, v19
	s_cbranch_execz .LBB206_46
; %bb.39:
	s_waitcnt lgkmcnt(0)
	v_mul_lo_u32 v3, v20, s19
	v_or_b32_e32 v4, 2, v20
	v_mul_lo_u32 v5, v2, s19
	v_or_b32_e32 v6, 3, v20
	s_mov_b32 s0, exec_lo
	v_mul_lo_u32 v7, v4, s19
	v_mul_lo_u32 v8, v6, s19
	v_cndmask_b32_e32 v3, 0, v3, vcc_lo
	v_cmp_gt_i32_e32 vcc_lo, s9, v2
	v_add_nc_u32_e32 v2, v3, v19
	v_cndmask_b32_e32 v5, 0, v5, vcc_lo
	v_cmp_gt_i32_e32 vcc_lo, s9, v4
	v_ashrrev_i32_e32 v3, 31, v2
	v_add_nc_u32_e32 v4, v5, v19
	v_cndmask_b32_e32 v7, 0, v7, vcc_lo
	v_cmp_gt_i32_e32 vcc_lo, s9, v6
	v_lshlrev_b64 v[2:3], 2, v[2:3]
	v_ashrrev_i32_e32 v5, 31, v4
	v_add_nc_u32_e32 v6, v7, v19
	v_cndmask_b32_e32 v8, 0, v8, vcc_lo
	v_lshlrev_b64 v[4:5], 2, v[4:5]
	v_ashrrev_i32_e32 v7, 31, v6
	v_add_nc_u32_e32 v8, v8, v19
	v_lshlrev_b64 v[22:23], 2, v[6:7]
	v_add_co_u32 v6, vcc_lo, s12, v2
	v_add_co_ci_u32_e64 v7, null, s13, v3, vcc_lo
	v_ashrrev_i32_e32 v9, 31, v8
	v_add_co_u32 v2, vcc_lo, s12, v4
	v_add_co_ci_u32_e64 v3, null, s13, v5, vcc_lo
	flat_load_dword v24, v[6:7]
	v_add_co_u32 v4, vcc_lo, s12, v22
	v_add_co_ci_u32_e64 v5, null, s13, v23, vcc_lo
	v_lshlrev_b64 v[8:9], 2, v[8:9]
	s_clause 0x1
	flat_load_dword v22, v[2:3]
	flat_load_dword v23, v[4:5]
	v_add_co_u32 v8, vcc_lo, s12, v8
	v_add_co_ci_u32_e64 v9, null, s13, v9, vcc_lo
	flat_load_dword v20, v[8:9]
	s_waitcnt vmcnt(3) lgkmcnt(3)
	v_fmac_f32_e32 v15, v10, v24
	s_waitcnt vmcnt(2) lgkmcnt(2)
	v_fmac_f32_e32 v15, v11, v22
	v_add_nc_u32_e32 v22, 64, v19
	s_waitcnt vmcnt(1) lgkmcnt(1)
	v_fmac_f32_e32 v15, v21, v23
	v_cmpx_gt_i32_e64 s8, v22
	s_cbranch_execz .LBB206_45
; %bb.40:
	s_clause 0x3
	flat_load_dword v23, v[6:7] offset:256
	flat_load_dword v24, v[2:3] offset:256
	;; [unrolled: 1-line block ×4, first 2 shown]
	s_mov_b32 s2, exec_lo
	s_waitcnt vmcnt(3) lgkmcnt(3)
	v_fmac_f32_e32 v16, v10, v23
	v_add_nc_u32_e32 v23, 0x80, v19
	s_waitcnt vmcnt(2) lgkmcnt(2)
	v_fmac_f32_e32 v16, v11, v24
	s_waitcnt vmcnt(1) lgkmcnt(1)
	v_fmac_f32_e32 v16, v21, v25
	v_cmpx_gt_i32_e64 s8, v23
	s_cbranch_execz .LBB206_44
; %bb.41:
	s_clause 0x3
	flat_load_dword v24, v[6:7] offset:512
	flat_load_dword v25, v[2:3] offset:512
	;; [unrolled: 1-line block ×4, first 2 shown]
	v_add_nc_u32_e32 v19, 0xc0, v19
	s_mov_b32 s3, exec_lo
	s_waitcnt vmcnt(3) lgkmcnt(3)
	v_fmac_f32_e32 v17, v10, v24
	s_waitcnt vmcnt(2) lgkmcnt(2)
	v_fmac_f32_e32 v17, v11, v25
	;; [unrolled: 2-line block ×3, first 2 shown]
	v_cmpx_gt_i32_e64 s8, v19
	s_cbranch_execz .LBB206_43
; %bb.42:
	s_clause 0x3
	flat_load_dword v6, v[6:7] offset:768
	flat_load_dword v2, v[2:3] offset:768
	;; [unrolled: 1-line block ×4, first 2 shown]
	s_waitcnt vmcnt(3) lgkmcnt(3)
	v_fmac_f32_e32 v18, v10, v6
	s_waitcnt vmcnt(2) lgkmcnt(2)
	v_fmac_f32_e32 v18, v11, v2
	;; [unrolled: 2-line block ×4, first 2 shown]
.LBB206_43:
	s_or_b32 exec_lo, exec_lo, s3
	s_waitcnt vmcnt(0) lgkmcnt(0)
	v_fmac_f32_e32 v17, v12, v23
.LBB206_44:
	s_or_b32 exec_lo, exec_lo, s2
	s_waitcnt vmcnt(0) lgkmcnt(0)
	v_fmac_f32_e32 v16, v12, v22
.LBB206_45:
	s_or_b32 exec_lo, exec_lo, s0
	s_waitcnt vmcnt(0) lgkmcnt(0)
	v_fmac_f32_e32 v15, v12, v20
.LBB206_46:
	s_or_b32 exec_lo, exec_lo, s1
.LBB206_47:
	v_lshlrev_b32_e32 v0, 2, v0
	s_mov_b32 s0, exec_lo
                                        ; implicit-def: $vgpr3
                                        ; implicit-def: $vgpr4_vgpr5
	v_lshl_add_u32 v1, v1, 10, v0
	ds_write2st64_b32 v1, v15, v16 offset1:1
	ds_write2st64_b32 v1, v17, v18 offset0:2 offset1:3
	s_waitcnt vmcnt(0) lgkmcnt(0)
	s_barrier
	buffer_gl0_inv
	v_cmpx_gt_u32_e32 0x100, v13
	s_cbranch_execz .LBB206_53
; %bb.48:
	v_lshl_add_u32 v6, v14, 2, v0
	s_mov_b32 s2, s18
	s_mov_b32 s1, exec_lo
	ds_read2st64_b32 v[0:1], v6 offset1:4
	ds_read2st64_b32 v[2:3], v6 offset0:8 offset1:12
	ds_read2st64_b32 v[4:5], v6 offset0:16 offset1:20
	s_waitcnt lgkmcnt(2)
	v_add_f32_e32 v7, v0, v1
	ds_read2st64_b32 v[0:1], v6 offset0:24 offset1:28
	s_waitcnt lgkmcnt(2)
	v_add_f32_e32 v2, v2, v7
	v_add_f32_e32 v7, v3, v2
	ds_read2st64_b32 v[2:3], v6 offset0:32 offset1:36
	s_waitcnt lgkmcnt(2)
	v_add_f32_e32 v4, v4, v7
	;; [unrolled: 4-line block ×3, first 2 shown]
	v_add_f32_e32 v0, v1, v0
	s_waitcnt lgkmcnt(1)
	v_add_f32_e32 v2, v2, v0
	ds_read2st64_b32 v[0:1], v6 offset0:48 offset1:52
	v_add_f32_e32 v2, v3, v2
	s_waitcnt lgkmcnt(1)
	v_add_f32_e32 v4, v4, v2
	ds_read2st64_b32 v[2:3], v6 offset0:56 offset1:60
	v_add_f32_e32 v4, v5, v4
	s_waitcnt lgkmcnt(1)
	v_add_f32_e32 v0, v0, v4
                                        ; implicit-def: $vgpr4_vgpr5
	v_add_f32_e32 v0, v1, v0
	v_or_b32_e32 v1, s5, v13
	s_waitcnt lgkmcnt(0)
	v_add_f32_e32 v0, v2, v0
	v_add_f32_e32 v0, v3, v0
                                        ; implicit-def: $vgpr3
	ds_write_b32 v6, v0
	v_cmpx_gt_i32_e64 s8, v1
	s_cbranch_execz .LBB206_52
; %bb.49:
	v_mul_lo_u32 v4, s17, v1
	v_cmp_eq_f32_e64 s2, s7, 0
	v_mul_f32_e32 v3, s10, v0
	s_and_b32 vcc_lo, exec_lo, s2
	v_ashrrev_i32_e32 v5, 31, v4
	s_cbranch_vccnz .LBB206_51
; %bb.50:
	v_lshlrev_b64 v[0:1], 2, v[4:5]
	v_add_co_u32 v0, vcc_lo, s11, v0
	v_add_co_ci_u32_e64 v1, null, s16, v1, vcc_lo
	flat_load_dword v0, v[0:1]
	s_waitcnt vmcnt(0) lgkmcnt(0)
	v_fmac_f32_e32 v3, s7, v0
.LBB206_51:
	s_or_b32 s2, s18, exec_lo
.LBB206_52:
	s_or_b32 exec_lo, exec_lo, s1
	s_andn2_b32 s1, s18, exec_lo
	s_and_b32 s2, s2, exec_lo
	s_or_b32 s18, s1, s2
.LBB206_53:
	s_or_b32 exec_lo, exec_lo, s0
.LBB206_54:
	s_and_saveexec_b32 s0, s18
	s_cbranch_execz .LBB206_56
; %bb.55:
	v_lshlrev_b64 v[0:1], 2, v[4:5]
	v_add_co_u32 v0, vcc_lo, s11, v0
	v_add_co_ci_u32_e64 v1, null, s16, v1, vcc_lo
	flat_store_dword v[0:1], v3
.LBB206_56:
	s_endpgm
	.section	.rodata,"a",@progbits
	.p2align	6, 0x0
	.amdhsa_kernel _ZL20rocblas_gemvn_kernelILi64ELi16EiPKffKPfEviiT3_lPKT2_lT1_lS7_lS8_lS4_lPT4_lS8_li
		.amdhsa_group_segment_fixed_size 16384
		.amdhsa_private_segment_fixed_size 0
		.amdhsa_kernarg_size 400
		.amdhsa_user_sgpr_count 6
		.amdhsa_user_sgpr_private_segment_buffer 1
		.amdhsa_user_sgpr_dispatch_ptr 0
		.amdhsa_user_sgpr_queue_ptr 0
		.amdhsa_user_sgpr_kernarg_segment_ptr 1
		.amdhsa_user_sgpr_dispatch_id 0
		.amdhsa_user_sgpr_flat_scratch_init 0
		.amdhsa_user_sgpr_private_segment_size 0
		.amdhsa_wavefront_size32 1
		.amdhsa_uses_dynamic_stack 0
		.amdhsa_system_sgpr_private_segment_wavefront_offset 0
		.amdhsa_system_sgpr_workgroup_id_x 1
		.amdhsa_system_sgpr_workgroup_id_y 0
		.amdhsa_system_sgpr_workgroup_id_z 1
		.amdhsa_system_sgpr_workgroup_info 0
		.amdhsa_system_vgpr_workitem_id 1
		.amdhsa_next_free_vgpr 42
		.amdhsa_next_free_sgpr 28
		.amdhsa_reserve_vcc 1
		.amdhsa_reserve_flat_scratch 1
		.amdhsa_float_round_mode_32 0
		.amdhsa_float_round_mode_16_64 0
		.amdhsa_float_denorm_mode_32 3
		.amdhsa_float_denorm_mode_16_64 3
		.amdhsa_dx10_clamp 1
		.amdhsa_ieee_mode 1
		.amdhsa_fp16_overflow 0
		.amdhsa_workgroup_processor_mode 1
		.amdhsa_memory_ordered 1
		.amdhsa_forward_progress 1
		.amdhsa_shared_vgpr_count 0
		.amdhsa_exception_fp_ieee_invalid_op 0
		.amdhsa_exception_fp_denorm_src 0
		.amdhsa_exception_fp_ieee_div_zero 0
		.amdhsa_exception_fp_ieee_overflow 0
		.amdhsa_exception_fp_ieee_underflow 0
		.amdhsa_exception_fp_ieee_inexact 0
		.amdhsa_exception_int_div_zero 0
	.end_amdhsa_kernel
	.section	.text._ZL20rocblas_gemvn_kernelILi64ELi16EiPKffKPfEviiT3_lPKT2_lT1_lS7_lS8_lS4_lPT4_lS8_li,"axG",@progbits,_ZL20rocblas_gemvn_kernelILi64ELi16EiPKffKPfEviiT3_lPKT2_lT1_lS7_lS8_lS4_lPT4_lS8_li,comdat
.Lfunc_end206:
	.size	_ZL20rocblas_gemvn_kernelILi64ELi16EiPKffKPfEviiT3_lPKT2_lT1_lS7_lS8_lS4_lPT4_lS8_li, .Lfunc_end206-_ZL20rocblas_gemvn_kernelILi64ELi16EiPKffKPfEviiT3_lPKT2_lT1_lS7_lS8_lS4_lPT4_lS8_li
                                        ; -- End function
	.set _ZL20rocblas_gemvn_kernelILi64ELi16EiPKffKPfEviiT3_lPKT2_lT1_lS7_lS8_lS4_lPT4_lS8_li.num_vgpr, 42
	.set _ZL20rocblas_gemvn_kernelILi64ELi16EiPKffKPfEviiT3_lPKT2_lT1_lS7_lS8_lS4_lPT4_lS8_li.num_agpr, 0
	.set _ZL20rocblas_gemvn_kernelILi64ELi16EiPKffKPfEviiT3_lPKT2_lT1_lS7_lS8_lS4_lPT4_lS8_li.numbered_sgpr, 28
	.set _ZL20rocblas_gemvn_kernelILi64ELi16EiPKffKPfEviiT3_lPKT2_lT1_lS7_lS8_lS4_lPT4_lS8_li.num_named_barrier, 0
	.set _ZL20rocblas_gemvn_kernelILi64ELi16EiPKffKPfEviiT3_lPKT2_lT1_lS7_lS8_lS4_lPT4_lS8_li.private_seg_size, 0
	.set _ZL20rocblas_gemvn_kernelILi64ELi16EiPKffKPfEviiT3_lPKT2_lT1_lS7_lS8_lS4_lPT4_lS8_li.uses_vcc, 1
	.set _ZL20rocblas_gemvn_kernelILi64ELi16EiPKffKPfEviiT3_lPKT2_lT1_lS7_lS8_lS4_lPT4_lS8_li.uses_flat_scratch, 1
	.set _ZL20rocblas_gemvn_kernelILi64ELi16EiPKffKPfEviiT3_lPKT2_lT1_lS7_lS8_lS4_lPT4_lS8_li.has_dyn_sized_stack, 0
	.set _ZL20rocblas_gemvn_kernelILi64ELi16EiPKffKPfEviiT3_lPKT2_lT1_lS7_lS8_lS4_lPT4_lS8_li.has_recursion, 0
	.set _ZL20rocblas_gemvn_kernelILi64ELi16EiPKffKPfEviiT3_lPKT2_lT1_lS7_lS8_lS4_lPT4_lS8_li.has_indirect_call, 0
	.section	.AMDGPU.csdata,"",@progbits
; Kernel info:
; codeLenInByte = 2764
; TotalNumSgprs: 30
; NumVgprs: 42
; ScratchSize: 0
; MemoryBound: 0
; FloatMode: 240
; IeeeMode: 1
; LDSByteSize: 16384 bytes/workgroup (compile time only)
; SGPRBlocks: 0
; VGPRBlocks: 5
; NumSGPRsForWavesPerEU: 30
; NumVGPRsForWavesPerEU: 42
; Occupancy: 16
; WaveLimiterHint : 1
; COMPUTE_PGM_RSRC2:SCRATCH_EN: 0
; COMPUTE_PGM_RSRC2:USER_SGPR: 6
; COMPUTE_PGM_RSRC2:TRAP_HANDLER: 0
; COMPUTE_PGM_RSRC2:TGID_X_EN: 1
; COMPUTE_PGM_RSRC2:TGID_Y_EN: 0
; COMPUTE_PGM_RSRC2:TGID_Z_EN: 1
; COMPUTE_PGM_RSRC2:TIDIG_COMP_CNT: 1
	.section	.text._ZL20rocblas_gemvn_kernelILi64ELi16ElPKffKPfEviiT3_lPKT2_lT1_lS7_lS8_lS4_lPT4_lS8_li,"axG",@progbits,_ZL20rocblas_gemvn_kernelILi64ELi16ElPKffKPfEviiT3_lPKT2_lT1_lS7_lS8_lS4_lPT4_lS8_li,comdat
	.globl	_ZL20rocblas_gemvn_kernelILi64ELi16ElPKffKPfEviiT3_lPKT2_lT1_lS7_lS8_lS4_lPT4_lS8_li ; -- Begin function _ZL20rocblas_gemvn_kernelILi64ELi16ElPKffKPfEviiT3_lPKT2_lT1_lS7_lS8_lS4_lPT4_lS8_li
	.p2align	8
	.type	_ZL20rocblas_gemvn_kernelILi64ELi16ElPKffKPfEviiT3_lPKT2_lT1_lS7_lS8_lS4_lPT4_lS8_li,@function
_ZL20rocblas_gemvn_kernelILi64ELi16ElPKffKPfEviiT3_lPKT2_lT1_lS7_lS8_lS4_lPT4_lS8_li: ; @_ZL20rocblas_gemvn_kernelILi64ELi16ElPKffKPfEviiT3_lPKT2_lT1_lS7_lS8_lS4_lPT4_lS8_li
; %bb.0:
	s_load_dwordx2 s[0:1], s[4:5], 0x9c
	s_waitcnt lgkmcnt(0)
	s_lshr_b32 s2, s0, 16
	s_and_b32 s0, s0, 0xffff
	s_and_b32 s1, s1, 0xffff
	s_mul_i32 s0, s2, s0
	s_mul_i32 s0, s0, s1
	s_cmpk_lg_i32 s0, 0x400
	s_cbranch_scc1 .LBB207_56
; %bb.1:
	s_load_dwordx4 s[8:11], s[4:5], 0x0
	s_waitcnt lgkmcnt(0)
	s_load_dword s11, s[4:5], 0x58
	s_mov_b32 s20, s7
	s_mov_b32 s21, 0
	v_cmp_eq_f32_e64 s7, s10, 0
	s_waitcnt lgkmcnt(0)
	v_cmp_eq_f32_e64 s0, s11, 1.0
	s_and_b32 s0, s7, s0
	s_and_b32 vcc_lo, exec_lo, s0
	s_cbranch_vccnz .LBB207_56
; %bb.2:
	s_clause 0x1
	s_load_dwordx4 s[0:3], s[4:5], 0x18
	s_load_dwordx2 s[14:15], s[4:5], 0x28
	v_cmp_neq_f32_e64 s22, s10, 0
	s_and_b32 vcc_lo, exec_lo, s22
	s_cbranch_vccnz .LBB207_4
; %bb.3:
	s_mov_b32 s13, 0
	s_mov_b32 s12, s20
	;; [unrolled: 1-line block ×3, first 2 shown]
	s_mov_b64 s[18:19], 0
	s_andn2_b32 vcc_lo, exec_lo, s16
	s_mov_b64 s[16:17], 0
	s_cbranch_vccz .LBB207_5
	s_branch .LBB207_6
.LBB207_4:
	s_mov_b64 s[12:13], s[20:21]
	s_mov_b64 s[18:19], 0
	s_mov_b64 s[16:17], 0
.LBB207_5:
	s_lshl_b64 s[16:17], s[20:21], 3
	s_waitcnt lgkmcnt(0)
	s_add_u32 s0, s0, s16
	s_addc_u32 s1, s1, s17
	s_lshl_b64 s[2:3], s[2:3], 2
	s_load_dwordx2 s[0:1], s[0:1], 0x0
	s_waitcnt lgkmcnt(0)
	s_add_u32 s16, s0, s2
	s_addc_u32 s17, s1, s3
.LBB207_6:
	s_waitcnt lgkmcnt(0)
	s_clause 0x1
	s_load_dwordx4 s[0:3], s[4:5], 0x38
	s_load_dwordx2 s[20:21], s[4:5], 0x48
	s_andn2_b32 vcc_lo, exec_lo, s22
	s_cbranch_vccnz .LBB207_8
; %bb.7:
	s_lshl_b64 s[18:19], s[12:13], 3
	s_waitcnt lgkmcnt(0)
	s_add_u32 s0, s0, s18
	s_addc_u32 s1, s1, s19
	s_lshl_b64 s[2:3], s[2:3], 2
	s_load_dwordx2 s[0:1], s[0:1], 0x0
	s_waitcnt lgkmcnt(0)
	s_add_u32 s18, s0, s2
	s_addc_u32 s19, s1, s3
.LBB207_8:
	s_waitcnt lgkmcnt(0)
	s_load_dwordx4 s[0:3], s[4:5], 0x68
	s_lshl_b64 s[22:23], s[12:13], 3
	s_load_dwordx2 s[12:13], s[4:5], 0x78
	v_lshlrev_b32_e32 v22, 6, v1
	v_add_nc_u32_e32 v21, v22, v0
	s_waitcnt lgkmcnt(0)
	s_add_u32 s0, s0, s22
	s_addc_u32 s1, s1, s23
	s_lshl_b64 s[2:3], s[2:3], 2
	s_load_dwordx2 s[22:23], s[0:1], 0x0
	v_cmp_gt_u32_e64 s0, 0x100, v21
	s_waitcnt lgkmcnt(0)
	s_add_u32 s5, s22, s2
	s_addc_u32 s26, s23, s3
	s_andn2_b32 vcc_lo, exec_lo, s7
	s_cbranch_vccnz .LBB207_15
; %bb.9:
	s_mov_b32 s1, 0
	s_mov_b32 s27, 0
                                        ; implicit-def: $vgpr3
                                        ; implicit-def: $vgpr4_vgpr5
	s_and_saveexec_b32 s2, s0
	s_cbranch_execz .LBB207_16
; %bb.10:
	v_lshl_or_b32 v2, s6, 8, v21
	v_mov_b32_e32 v3, 0
	s_ashr_i32 s23, s8, 31
	s_mov_b32 s22, s8
	s_mov_b32 s3, 0
	s_mov_b32 s0, exec_lo
                                        ; implicit-def: $vgpr4_vgpr5
	v_cmpx_gt_i64_e64 s[22:23], v[2:3]
	s_cbranch_execz .LBB207_14
; %bb.11:
	v_mad_u64_u32 v[4:5], null, s12, v2, 0
	v_cmp_eq_f32_e64 s3, s11, 0
	s_and_b32 vcc_lo, exec_lo, s3
	v_mad_u64_u32 v[5:6], null, s13, v2, v[5:6]
	s_cbranch_vccnz .LBB207_13
; %bb.12:
	v_lshlrev_b64 v[2:3], 2, v[4:5]
	v_add_co_u32 v2, vcc_lo, s5, v2
	v_add_co_ci_u32_e64 v3, null, s26, v3, vcc_lo
	flat_load_dword v2, v[2:3]
	s_waitcnt vmcnt(0) lgkmcnt(0)
	v_mul_f32_e32 v3, s11, v2
.LBB207_13:
	s_mov_b32 s3, exec_lo
.LBB207_14:
	s_or_b32 exec_lo, exec_lo, s0
	s_and_b32 s27, s3, exec_lo
	s_or_b32 exec_lo, exec_lo, s2
	s_and_b32 vcc_lo, exec_lo, s1
	s_cbranch_vccnz .LBB207_17
	s_branch .LBB207_54
.LBB207_15:
	s_mov_b32 s27, 0
                                        ; implicit-def: $vgpr3
                                        ; implicit-def: $vgpr4_vgpr5
	s_cbranch_execnz .LBB207_17
	s_branch .LBB207_54
.LBB207_16:
	s_or_b32 exec_lo, exec_lo, s2
	s_and_b32 vcc_lo, exec_lo, s1
	s_cbranch_vccz .LBB207_54
.LBB207_17:
	s_ashr_i32 s0, s9, 31
	s_lshl_b32 s28, s6, 8
	s_lshr_b32 s0, s0, 26
	v_lshlrev_b32_e32 v27, 2, v1
	v_mov_b32_e32 v23, 0
	v_add_nc_u32_e32 v2, s28, v0
	v_mov_b32_e32 v24, 0
	v_mov_b32_e32 v25, 0
	;; [unrolled: 1-line block ×3, first 2 shown]
	s_add_i32 s29, s9, s0
	s_mov_b32 s30, exec_lo
	s_andn2_b32 s29, s29, 63
	v_cmpx_gt_i32_e64 s29, v27
	s_cbranch_execz .LBB207_29
; %bb.18:
	v_lshlrev_b32_e32 v25, 2, v1
	v_add_nc_u32_e32 v4, 64, v2
	v_mad_u64_u32 v[7:8], null, s20, v1, 0
	v_mad_u64_u32 v[9:10], null, s14, v1, 0
	v_or_b32_e32 v26, 3, v25
	v_add_nc_u32_e32 v11, 0x80, v2
	v_add_nc_u32_e32 v12, 0xc0, v2
	v_cmp_gt_i32_e64 s0, s8, v4
	v_or_b32_e32 v32, 2, v25
	v_mad_u64_u32 v[5:6], null, s14, v26, 0
	v_cmp_gt_i32_e64 s1, s8, v11
	v_cmp_gt_i32_e64 s2, s8, v12
	v_mad_u64_u32 v[16:17], null, s14, v32, 0
	v_mad_u64_u32 v[18:19], null, s20, v26, 0
	v_mov_b32_e32 v4, v6
	v_mov_b32_e32 v6, v8
	;; [unrolled: 1-line block ×3, first 2 shown]
	v_ashrrev_i32_e32 v3, 31, v2
	s_lshl_b64 s[6:7], s[14:15], 8
	v_mad_u64_u32 v[11:12], null, s15, v26, v[4:5]
	v_mad_u64_u32 v[12:13], null, s21, v1, v[6:7]
	;; [unrolled: 1-line block ×4, first 2 shown]
	v_mov_b32_e32 v6, v11
	v_lshlrev_b64 v[3:4], 2, v[2:3]
	v_mov_b32_e32 v8, v12
	s_lshl_b64 s[22:23], s[20:21], 8
	v_mov_b32_e32 v10, v13
	v_lshlrev_b64 v[11:12], 2, v[5:6]
	s_mov_b32 s31, 0
	v_lshlrev_b64 v[5:6], 4, v[7:8]
	v_mov_b32_e32 v7, v17
	v_mov_b32_e32 v8, v15
	v_lshlrev_b64 v[9:10], 4, v[9:10]
	v_add_co_u32 v28, s3, s16, v11
	v_add_co_ci_u32_e64 v29, null, s17, v12, s3
	v_mad_u64_u32 v[11:12], null, s14, v25, s[14:15]
	v_mad_u64_u32 v[23:24], null, s15, v32, v[7:8]
	v_mov_b32_e32 v7, v19
	v_mad_u64_u32 v[19:20], null, s21, v25, v[8:9]
	v_add_co_u32 v30, s3, s16, v9
	v_mad_u64_u32 v[7:8], null, s21, v26, v[7:8]
	v_mov_b32_e32 v8, v12
	v_mov_b32_e32 v17, v23
	v_mad_u64_u32 v[23:24], null, s20, v32, 0
	v_mov_b32_e32 v15, v19
	v_mad_u64_u32 v[12:13], null, s15, v25, v[8:9]
	v_lshlrev_b64 v[16:17], 2, v[16:17]
	v_mov_b32_e32 v19, v7
	v_add_co_ci_u32_e64 v31, null, s17, v10, s3
	v_mov_b32_e32 v8, v24
	v_mov_b32_e32 v26, 0
	v_lshlrev_b64 v[11:12], 2, v[11:12]
	s_mov_b64 s[24:25], s[18:19]
	v_cmp_gt_i32_e32 vcc_lo, s8, v2
	v_mad_u64_u32 v[24:25], null, s21, v32, v[8:9]
	v_add_co_u32 v32, s3, s16, v16
	v_add_co_ci_u32_e64 v33, null, s17, v17, s3
	v_add_co_u32 v34, s3, s16, v11
	v_lshlrev_b64 v[7:8], 2, v[14:15]
	v_lshlrev_b64 v[9:10], 2, v[18:19]
	v_add_co_ci_u32_e64 v35, null, s17, v12, s3
	v_lshlrev_b64 v[11:12], 2, v[23:24]
	v_mov_b32_e32 v23, 0
	v_mov_b32_e32 v24, 0
	;; [unrolled: 1-line block ×3, first 2 shown]
	s_branch .LBB207_23
.LBB207_19:                             ;   in Loop: Header=BB207_23 Depth=1
	s_or_b32 exec_lo, exec_lo, s34
	s_waitcnt vmcnt(3) lgkmcnt(3)
	v_fmac_f32_e32 v25, v39, v51
	s_waitcnt vmcnt(2) lgkmcnt(2)
	v_fmac_f32_e32 v25, v38, v50
	;; [unrolled: 2-line block ×4, first 2 shown]
.LBB207_20:                             ;   in Loop: Header=BB207_23 Depth=1
	s_or_b32 exec_lo, exec_lo, s33
	s_waitcnt vmcnt(3) lgkmcnt(3)
	v_fmac_f32_e32 v24, v39, v47
	s_waitcnt vmcnt(2) lgkmcnt(2)
	v_fmac_f32_e32 v24, v38, v46
	;; [unrolled: 2-line block ×4, first 2 shown]
.LBB207_21:                             ;   in Loop: Header=BB207_23 Depth=1
	s_or_b32 exec_lo, exec_lo, s3
	s_waitcnt vmcnt(3) lgkmcnt(3)
	v_fmac_f32_e32 v23, v39, v43
	s_waitcnt vmcnt(2) lgkmcnt(2)
	v_fmac_f32_e32 v23, v38, v41
	;; [unrolled: 2-line block ×4, first 2 shown]
.LBB207_22:                             ;   in Loop: Header=BB207_23 Depth=1
	s_or_b32 exec_lo, exec_lo, s4
	v_add_co_u32 v28, s3, v28, s6
	v_add_nc_u32_e32 v27, 64, v27
	v_add_co_ci_u32_e64 v29, null, s7, v29, s3
	v_add_co_u32 v30, s3, v30, s6
	v_add_co_ci_u32_e64 v31, null, s7, v31, s3
	v_add_co_u32 v32, s3, v32, s6
	v_add_co_ci_u32_e64 v33, null, s7, v33, s3
	v_cmp_le_i32_e64 s3, s29, v27
	v_add_co_u32 v34, s4, v34, s6
	v_add_co_ci_u32_e64 v35, null, s7, v35, s4
	s_add_u32 s24, s24, s22
	s_addc_u32 s25, s25, s23
	s_or_b32 s31, s3, s31
	s_andn2_b32 exec_lo, exec_lo, s31
	s_cbranch_execz .LBB207_28
.LBB207_23:                             ; =>This Inner Loop Header: Depth=1
	s_and_saveexec_b32 s4, vcc_lo
	s_cbranch_execz .LBB207_22
; %bb.24:                               ;   in Loop: Header=BB207_23 Depth=1
	v_add_co_u32 v36, s3, s24, v5
	v_add_co_ci_u32_e64 v37, null, s25, v6, s3
	v_add_co_u32 v40, s3, s24, v7
	v_add_co_ci_u32_e64 v41, null, s25, v8, s3
	v_add_co_u32 v42, s3, s24, v11
	v_add_co_ci_u32_e64 v43, null, s25, v12, s3
	v_add_co_u32 v44, s3, s24, v9
	v_add_co_ci_u32_e64 v45, null, s25, v10, s3
	v_add_co_u32 v13, s3, v30, v3
	v_add_co_ci_u32_e64 v14, null, v31, v4, s3
	v_add_co_u32 v15, s3, v34, v3
	v_add_co_ci_u32_e64 v16, null, v35, v4, s3
	v_add_co_u32 v17, s3, v32, v3
	v_add_co_ci_u32_e64 v18, null, v33, v4, s3
	v_add_co_u32 v19, s3, v28, v3
	v_add_co_ci_u32_e64 v20, null, v29, v4, s3
	s_clause 0x3
	flat_load_dword v39, v[36:37]
	flat_load_dword v38, v[40:41]
	;; [unrolled: 1-line block ×8, first 2 shown]
	s_and_saveexec_b32 s3, s0
	s_cbranch_execz .LBB207_21
; %bb.25:                               ;   in Loop: Header=BB207_23 Depth=1
	flat_load_dword v47, v[13:14] offset:256
	flat_load_dword v46, v[15:16] offset:256
	flat_load_dword v45, v[17:18] offset:256
	flat_load_dword v44, v[19:20] offset:256
	s_and_saveexec_b32 s33, s1
	s_cbranch_execz .LBB207_20
; %bb.26:                               ;   in Loop: Header=BB207_23 Depth=1
	flat_load_dword v51, v[13:14] offset:512
	flat_load_dword v50, v[15:16] offset:512
	flat_load_dword v49, v[17:18] offset:512
	flat_load_dword v48, v[19:20] offset:512
	s_and_saveexec_b32 s34, s2
	s_cbranch_execz .LBB207_19
; %bb.27:                               ;   in Loop: Header=BB207_23 Depth=1
	flat_load_dword v13, v[13:14] offset:768
	flat_load_dword v14, v[15:16] offset:768
	flat_load_dword v15, v[17:18] offset:768
	flat_load_dword v16, v[19:20] offset:768
	s_waitcnt vmcnt(3) lgkmcnt(3)
	v_fmac_f32_e32 v26, v39, v13
	s_waitcnt vmcnt(2) lgkmcnt(2)
	v_fmac_f32_e32 v26, v38, v14
	;; [unrolled: 2-line block ×4, first 2 shown]
	s_branch .LBB207_19
.LBB207_28:
	s_or_b32 exec_lo, exec_lo, s31
.LBB207_29:
	s_or_b32 exec_lo, exec_lo, s30
	s_sub_i32 s0, s9, s29
	s_cmp_lt_i32 s0, 1
	s_cbranch_scc1 .LBB207_47
; %bb.30:
	v_cmp_gt_i32_e32 vcc_lo, s9, v27
	v_mov_b32_e32 v13, 0
	v_or_b32_e32 v4, 1, v27
	v_mov_b32_e32 v14, 0
	v_mov_b32_e32 v12, 0
	;; [unrolled: 1-line block ×3, first 2 shown]
	s_and_saveexec_b32 s1, vcc_lo
	s_cbranch_execz .LBB207_38
; %bb.31:
	v_mad_u64_u32 v[5:6], null, s20, v27, 0
	v_mov_b32_e32 v12, 0
	v_mov_b32_e32 v14, 0
	;; [unrolled: 1-line block ×3, first 2 shown]
	s_mov_b32 s2, exec_lo
	v_mov_b32_e32 v3, v6
	v_mad_u64_u32 v[6:7], null, s21, v27, v[3:4]
	v_lshlrev_b64 v[5:6], 2, v[5:6]
	v_add_co_u32 v5, s0, s18, v5
	v_add_co_ci_u32_e64 v6, null, s19, v6, s0
	flat_load_dword v11, v[5:6]
	v_cmpx_gt_i32_e64 s9, v4
	s_cbranch_execz .LBB207_37
; %bb.32:
	v_mad_u64_u32 v[5:6], null, s20, v4, 0
	v_mov_b32_e32 v14, 0
	v_mov_b32_e32 v13, 0
	s_mov_b32 s3, exec_lo
	v_mov_b32_e32 v3, v6
	v_mad_u64_u32 v[6:7], null, s21, v4, v[3:4]
	v_or_b32_e32 v3, 2, v27
	v_lshlrev_b64 v[5:6], 2, v[5:6]
	v_add_co_u32 v5, s0, s18, v5
	v_add_co_ci_u32_e64 v6, null, s19, v6, s0
	flat_load_dword v12, v[5:6]
	v_cmpx_gt_i32_e64 s9, v3
	s_cbranch_execz .LBB207_36
; %bb.33:
	v_mad_u64_u32 v[5:6], null, s20, v3, 0
	v_mov_b32_e32 v13, 0
	s_mov_b32 s4, exec_lo
	v_mad_u64_u32 v[6:7], null, s21, v3, v[6:7]
	v_or_b32_e32 v3, 3, v27
	v_lshlrev_b64 v[5:6], 2, v[5:6]
	v_add_co_u32 v5, s0, s18, v5
	v_add_co_ci_u32_e64 v6, null, s19, v6, s0
	flat_load_dword v14, v[5:6]
	v_cmpx_gt_i32_e64 s9, v3
	s_cbranch_execz .LBB207_35
; %bb.34:
	v_mad_u64_u32 v[5:6], null, s20, v3, 0
	v_mad_u64_u32 v[6:7], null, s21, v3, v[6:7]
	v_lshlrev_b64 v[5:6], 2, v[5:6]
	v_add_co_u32 v5, s0, s18, v5
	v_add_co_ci_u32_e64 v6, null, s19, v6, s0
	flat_load_dword v13, v[5:6]
.LBB207_35:
	s_or_b32 exec_lo, exec_lo, s4
.LBB207_36:
	s_or_b32 exec_lo, exec_lo, s3
.LBB207_37:
	s_or_b32 exec_lo, exec_lo, s2
.LBB207_38:
	s_or_b32 exec_lo, exec_lo, s1
	s_mov_b32 s1, exec_lo
	v_cmpx_gt_i32_e64 s8, v2
	s_cbranch_execz .LBB207_46
; %bb.39:
	v_mad_u64_u32 v[5:6], null, s14, v27, 0
	v_mad_u64_u32 v[7:8], null, s14, v4, 0
	v_ashrrev_i32_e32 v3, 31, v2
	v_or_b32_e32 v20, 2, v27
	v_or_b32_e32 v29, 3, v27
	v_cndmask_b32_e32 v5, 0, v5, vcc_lo
	v_lshlrev_b64 v[9:10], 2, v[2:3]
	v_mad_u64_u32 v[15:16], null, s15, v27, v[6:7]
	v_mov_b32_e32 v3, v8
	v_mad_u64_u32 v[16:17], null, s14, v20, 0
	v_mad_u64_u32 v[18:19], null, s14, v29, 0
	;; [unrolled: 1-line block ×3, first 2 shown]
	v_cndmask_b32_e32 v6, 0, v15, vcc_lo
	v_cmp_gt_i32_e32 vcc_lo, s9, v4
	v_mov_b32_e32 v3, v17
	v_cmp_gt_i32_e64 s0, s9, v20
	v_mov_b32_e32 v8, v19
	v_cndmask_b32_e32 v4, 0, v7, vcc_lo
	v_lshlrev_b64 v[6:7], 2, v[5:6]
	v_cndmask_b32_e32 v5, 0, v27, vcc_lo
	v_cndmask_b32_e64 v15, 0, v16, s0
	v_mad_u64_u32 v[19:20], null, s15, v20, v[3:4]
	v_add_co_u32 v3, vcc_lo, s16, v6
	v_lshlrev_b64 v[5:6], 2, v[4:5]
	v_add_co_ci_u32_e64 v7, null, s17, v7, vcc_lo
	v_add_co_u32 v3, vcc_lo, v3, v9
	v_cndmask_b32_e64 v16, 0, v19, s0
	v_add_co_ci_u32_e64 v4, null, v7, v10, vcc_lo
	v_add_co_u32 v5, vcc_lo, s16, v5
	v_add_co_ci_u32_e64 v6, null, s17, v6, vcc_lo
	v_mad_u64_u32 v[7:8], null, s15, v29, v[8:9]
	v_add_co_u32 v5, vcc_lo, v5, v9
	v_add_co_ci_u32_e64 v6, null, v6, v10, vcc_lo
	v_cmp_gt_i32_e32 vcc_lo, s9, v29
	v_lshlrev_b64 v[15:16], 2, v[15:16]
	s_clause 0x1
	flat_load_dword v19, v[3:4]
	flat_load_dword v20, v[5:6]
	s_mov_b32 s0, exec_lo
	v_cndmask_b32_e32 v17, 0, v18, vcc_lo
	v_cndmask_b32_e32 v18, 0, v7, vcc_lo
	v_add_co_u32 v7, vcc_lo, s16, v15
	v_add_co_ci_u32_e64 v8, null, s17, v16, vcc_lo
	v_lshlrev_b64 v[15:16], 2, v[17:18]
	v_add_co_u32 v7, vcc_lo, v7, v9
	v_add_co_ci_u32_e64 v8, null, v8, v10, vcc_lo
	v_add_co_u32 v15, vcc_lo, s16, v15
	v_add_co_ci_u32_e64 v16, null, s17, v16, vcc_lo
	flat_load_dword v17, v[7:8]
	v_add_co_u32 v9, vcc_lo, v15, v9
	v_add_co_ci_u32_e64 v10, null, v16, v10, vcc_lo
	v_add_nc_u32_e32 v16, 64, v2
	flat_load_dword v15, v[9:10]
	s_waitcnt vmcnt(3) lgkmcnt(3)
	v_fmac_f32_e32 v23, v11, v19
	s_waitcnt vmcnt(2) lgkmcnt(2)
	v_fmac_f32_e32 v23, v12, v20
	;; [unrolled: 2-line block ×3, first 2 shown]
	v_cmpx_gt_i32_e64 s8, v16
	s_cbranch_execz .LBB207_45
; %bb.40:
	s_clause 0x3
	flat_load_dword v17, v[3:4] offset:256
	flat_load_dword v18, v[5:6] offset:256
	;; [unrolled: 1-line block ×4, first 2 shown]
	s_mov_b32 s2, exec_lo
	s_waitcnt vmcnt(3) lgkmcnt(3)
	v_fmac_f32_e32 v24, v11, v17
	v_add_nc_u32_e32 v17, 0x80, v2
	s_waitcnt vmcnt(2) lgkmcnt(2)
	v_fmac_f32_e32 v24, v12, v18
	s_waitcnt vmcnt(1) lgkmcnt(1)
	v_fmac_f32_e32 v24, v14, v19
	v_cmpx_gt_i32_e64 s8, v17
	s_cbranch_execz .LBB207_44
; %bb.41:
	s_clause 0x3
	flat_load_dword v18, v[3:4] offset:512
	flat_load_dword v19, v[5:6] offset:512
	flat_load_dword v20, v[7:8] offset:512
	flat_load_dword v17, v[9:10] offset:512
	v_add_nc_u32_e32 v2, 0xc0, v2
	s_mov_b32 s3, exec_lo
	s_waitcnt vmcnt(3) lgkmcnt(3)
	v_fmac_f32_e32 v25, v11, v18
	s_waitcnt vmcnt(2) lgkmcnt(2)
	v_fmac_f32_e32 v25, v12, v19
	;; [unrolled: 2-line block ×3, first 2 shown]
	v_cmpx_gt_i32_e64 s8, v2
	s_cbranch_execz .LBB207_43
; %bb.42:
	s_clause 0x3
	flat_load_dword v2, v[3:4] offset:768
	flat_load_dword v3, v[5:6] offset:768
	;; [unrolled: 1-line block ×4, first 2 shown]
	s_waitcnt vmcnt(3) lgkmcnt(3)
	v_fmac_f32_e32 v26, v11, v2
	s_waitcnt vmcnt(2) lgkmcnt(2)
	v_fmac_f32_e32 v26, v12, v3
	;; [unrolled: 2-line block ×4, first 2 shown]
.LBB207_43:
	s_or_b32 exec_lo, exec_lo, s3
	s_waitcnt vmcnt(0) lgkmcnt(0)
	v_fmac_f32_e32 v25, v13, v17
.LBB207_44:
	s_or_b32 exec_lo, exec_lo, s2
	s_waitcnt vmcnt(0) lgkmcnt(0)
	v_fmac_f32_e32 v24, v13, v16
.LBB207_45:
	s_or_b32 exec_lo, exec_lo, s0
	s_waitcnt vmcnt(0) lgkmcnt(0)
	v_fmac_f32_e32 v23, v13, v15
.LBB207_46:
	s_or_b32 exec_lo, exec_lo, s1
.LBB207_47:
	v_lshlrev_b32_e32 v0, 2, v0
	s_mov_b32 s0, exec_lo
                                        ; implicit-def: $vgpr3
                                        ; implicit-def: $vgpr4_vgpr5
	v_lshl_add_u32 v1, v1, 10, v0
	ds_write2st64_b32 v1, v23, v24 offset1:1
	ds_write2st64_b32 v1, v25, v26 offset0:2 offset1:3
	s_waitcnt vmcnt(0) lgkmcnt(0)
	s_barrier
	buffer_gl0_inv
	v_cmpx_gt_u32_e32 0x100, v21
	s_cbranch_execz .LBB207_53
; %bb.48:
	v_lshl_add_u32 v6, v22, 2, v0
	s_mov_b32 s2, s27
	s_mov_b32 s1, exec_lo
	ds_read2st64_b32 v[0:1], v6 offset1:4
	ds_read2st64_b32 v[2:3], v6 offset0:8 offset1:12
	ds_read2st64_b32 v[4:5], v6 offset0:16 offset1:20
	s_waitcnt lgkmcnt(2)
	v_add_f32_e32 v7, v0, v1
	ds_read2st64_b32 v[0:1], v6 offset0:24 offset1:28
	s_waitcnt lgkmcnt(2)
	v_add_f32_e32 v2, v2, v7
	v_add_f32_e32 v7, v3, v2
	ds_read2st64_b32 v[2:3], v6 offset0:32 offset1:36
	s_waitcnt lgkmcnt(2)
	v_add_f32_e32 v4, v4, v7
	;; [unrolled: 4-line block ×3, first 2 shown]
	v_add_f32_e32 v0, v1, v0
	s_waitcnt lgkmcnt(1)
	v_add_f32_e32 v2, v2, v0
	ds_read2st64_b32 v[0:1], v6 offset0:48 offset1:52
	v_add_f32_e32 v2, v3, v2
	s_waitcnt lgkmcnt(1)
	v_add_f32_e32 v4, v4, v2
	ds_read2st64_b32 v[2:3], v6 offset0:56 offset1:60
	v_add_f32_e32 v4, v5, v4
	s_waitcnt lgkmcnt(1)
	v_add_f32_e32 v0, v0, v4
                                        ; implicit-def: $vgpr4_vgpr5
	v_add_f32_e32 v0, v1, v0
	v_or_b32_e32 v1, s28, v21
	s_waitcnt lgkmcnt(0)
	v_add_f32_e32 v0, v2, v0
	v_add_f32_e32 v0, v3, v0
                                        ; implicit-def: $vgpr3
	ds_write_b32 v6, v0
	v_cmpx_gt_i32_e64 s8, v1
	s_cbranch_execz .LBB207_52
; %bb.49:
	v_ashrrev_i32_e32 v2, 31, v1
	v_mul_lo_u32 v6, s13, v1
	v_mad_u64_u32 v[4:5], null, s12, v1, 0
	v_cmp_eq_f32_e64 s2, s11, 0
	v_mul_lo_u32 v1, s12, v2
	v_mul_f32_e32 v3, s10, v0
	s_and_b32 vcc_lo, exec_lo, s2
	v_add3_u32 v5, v5, v1, v6
	s_cbranch_vccnz .LBB207_51
; %bb.50:
	v_lshlrev_b64 v[0:1], 2, v[4:5]
	v_add_co_u32 v0, vcc_lo, s5, v0
	v_add_co_ci_u32_e64 v1, null, s26, v1, vcc_lo
	flat_load_dword v0, v[0:1]
	s_waitcnt vmcnt(0) lgkmcnt(0)
	v_fmac_f32_e32 v3, s11, v0
.LBB207_51:
	s_or_b32 s2, s27, exec_lo
.LBB207_52:
	s_or_b32 exec_lo, exec_lo, s1
	s_andn2_b32 s1, s27, exec_lo
	s_and_b32 s2, s2, exec_lo
	s_or_b32 s27, s1, s2
.LBB207_53:
	s_or_b32 exec_lo, exec_lo, s0
.LBB207_54:
	s_and_saveexec_b32 s0, s27
	s_cbranch_execz .LBB207_56
; %bb.55:
	v_lshlrev_b64 v[0:1], 2, v[4:5]
	v_add_co_u32 v0, vcc_lo, s5, v0
	v_add_co_ci_u32_e64 v1, null, s26, v1, vcc_lo
	flat_store_dword v[0:1], v3
.LBB207_56:
	s_endpgm
	.section	.rodata,"a",@progbits
	.p2align	6, 0x0
	.amdhsa_kernel _ZL20rocblas_gemvn_kernelILi64ELi16ElPKffKPfEviiT3_lPKT2_lT1_lS7_lS8_lS4_lPT4_lS8_li
		.amdhsa_group_segment_fixed_size 16384
		.amdhsa_private_segment_fixed_size 0
		.amdhsa_kernarg_size 400
		.amdhsa_user_sgpr_count 6
		.amdhsa_user_sgpr_private_segment_buffer 1
		.amdhsa_user_sgpr_dispatch_ptr 0
		.amdhsa_user_sgpr_queue_ptr 0
		.amdhsa_user_sgpr_kernarg_segment_ptr 1
		.amdhsa_user_sgpr_dispatch_id 0
		.amdhsa_user_sgpr_flat_scratch_init 0
		.amdhsa_user_sgpr_private_segment_size 0
		.amdhsa_wavefront_size32 1
		.amdhsa_uses_dynamic_stack 0
		.amdhsa_system_sgpr_private_segment_wavefront_offset 0
		.amdhsa_system_sgpr_workgroup_id_x 1
		.amdhsa_system_sgpr_workgroup_id_y 0
		.amdhsa_system_sgpr_workgroup_id_z 1
		.amdhsa_system_sgpr_workgroup_info 0
		.amdhsa_system_vgpr_workitem_id 1
		.amdhsa_next_free_vgpr 52
		.amdhsa_next_free_sgpr 35
		.amdhsa_reserve_vcc 1
		.amdhsa_reserve_flat_scratch 1
		.amdhsa_float_round_mode_32 0
		.amdhsa_float_round_mode_16_64 0
		.amdhsa_float_denorm_mode_32 3
		.amdhsa_float_denorm_mode_16_64 3
		.amdhsa_dx10_clamp 1
		.amdhsa_ieee_mode 1
		.amdhsa_fp16_overflow 0
		.amdhsa_workgroup_processor_mode 1
		.amdhsa_memory_ordered 1
		.amdhsa_forward_progress 1
		.amdhsa_shared_vgpr_count 0
		.amdhsa_exception_fp_ieee_invalid_op 0
		.amdhsa_exception_fp_denorm_src 0
		.amdhsa_exception_fp_ieee_div_zero 0
		.amdhsa_exception_fp_ieee_overflow 0
		.amdhsa_exception_fp_ieee_underflow 0
		.amdhsa_exception_fp_ieee_inexact 0
		.amdhsa_exception_int_div_zero 0
	.end_amdhsa_kernel
	.section	.text._ZL20rocblas_gemvn_kernelILi64ELi16ElPKffKPfEviiT3_lPKT2_lT1_lS7_lS8_lS4_lPT4_lS8_li,"axG",@progbits,_ZL20rocblas_gemvn_kernelILi64ELi16ElPKffKPfEviiT3_lPKT2_lT1_lS7_lS8_lS4_lPT4_lS8_li,comdat
.Lfunc_end207:
	.size	_ZL20rocblas_gemvn_kernelILi64ELi16ElPKffKPfEviiT3_lPKT2_lT1_lS7_lS8_lS4_lPT4_lS8_li, .Lfunc_end207-_ZL20rocblas_gemvn_kernelILi64ELi16ElPKffKPfEviiT3_lPKT2_lT1_lS7_lS8_lS4_lPT4_lS8_li
                                        ; -- End function
	.set _ZL20rocblas_gemvn_kernelILi64ELi16ElPKffKPfEviiT3_lPKT2_lT1_lS7_lS8_lS4_lPT4_lS8_li.num_vgpr, 52
	.set _ZL20rocblas_gemvn_kernelILi64ELi16ElPKffKPfEviiT3_lPKT2_lT1_lS7_lS8_lS4_lPT4_lS8_li.num_agpr, 0
	.set _ZL20rocblas_gemvn_kernelILi64ELi16ElPKffKPfEviiT3_lPKT2_lT1_lS7_lS8_lS4_lPT4_lS8_li.numbered_sgpr, 35
	.set _ZL20rocblas_gemvn_kernelILi64ELi16ElPKffKPfEviiT3_lPKT2_lT1_lS7_lS8_lS4_lPT4_lS8_li.num_named_barrier, 0
	.set _ZL20rocblas_gemvn_kernelILi64ELi16ElPKffKPfEviiT3_lPKT2_lT1_lS7_lS8_lS4_lPT4_lS8_li.private_seg_size, 0
	.set _ZL20rocblas_gemvn_kernelILi64ELi16ElPKffKPfEviiT3_lPKT2_lT1_lS7_lS8_lS4_lPT4_lS8_li.uses_vcc, 1
	.set _ZL20rocblas_gemvn_kernelILi64ELi16ElPKffKPfEviiT3_lPKT2_lT1_lS7_lS8_lS4_lPT4_lS8_li.uses_flat_scratch, 1
	.set _ZL20rocblas_gemvn_kernelILi64ELi16ElPKffKPfEviiT3_lPKT2_lT1_lS7_lS8_lS4_lPT4_lS8_li.has_dyn_sized_stack, 0
	.set _ZL20rocblas_gemvn_kernelILi64ELi16ElPKffKPfEviiT3_lPKT2_lT1_lS7_lS8_lS4_lPT4_lS8_li.has_recursion, 0
	.set _ZL20rocblas_gemvn_kernelILi64ELi16ElPKffKPfEviiT3_lPKT2_lT1_lS7_lS8_lS4_lPT4_lS8_li.has_indirect_call, 0
	.section	.AMDGPU.csdata,"",@progbits
; Kernel info:
; codeLenInByte = 3068
; TotalNumSgprs: 37
; NumVgprs: 52
; ScratchSize: 0
; MemoryBound: 0
; FloatMode: 240
; IeeeMode: 1
; LDSByteSize: 16384 bytes/workgroup (compile time only)
; SGPRBlocks: 0
; VGPRBlocks: 6
; NumSGPRsForWavesPerEU: 37
; NumVGPRsForWavesPerEU: 52
; Occupancy: 16
; WaveLimiterHint : 1
; COMPUTE_PGM_RSRC2:SCRATCH_EN: 0
; COMPUTE_PGM_RSRC2:USER_SGPR: 6
; COMPUTE_PGM_RSRC2:TRAP_HANDLER: 0
; COMPUTE_PGM_RSRC2:TGID_X_EN: 1
; COMPUTE_PGM_RSRC2:TGID_Y_EN: 0
; COMPUTE_PGM_RSRC2:TGID_Z_EN: 1
; COMPUTE_PGM_RSRC2:TIDIG_COMP_CNT: 1
	.section	.text._ZL22rocblas_gemvtsm_kernelILb0ELi256EPKfS1_KPfEviiT2_lPKT1_lilS7_lilS4_lPT3_lil,"axG",@progbits,_ZL22rocblas_gemvtsm_kernelILb0ELi256EPKfS1_KPfEviiT2_lPKT1_lilS7_lilS4_lPT3_lil,comdat
	.globl	_ZL22rocblas_gemvtsm_kernelILb0ELi256EPKfS1_KPfEviiT2_lPKT1_lilS7_lilS4_lPT3_lil ; -- Begin function _ZL22rocblas_gemvtsm_kernelILb0ELi256EPKfS1_KPfEviiT2_lPKT1_lilS7_lilS4_lPT3_lil
	.p2align	8
	.type	_ZL22rocblas_gemvtsm_kernelILb0ELi256EPKfS1_KPfEviiT2_lPKT1_lilS7_lilS4_lPT3_lil,@function
_ZL22rocblas_gemvtsm_kernelILb0ELi256EPKfS1_KPfEviiT2_lPKT1_lilS7_lilS4_lPT3_lil: ; @_ZL22rocblas_gemvtsm_kernelILb0ELi256EPKfS1_KPfEviiT2_lPKT1_lilS7_lilS4_lPT3_lil
; %bb.0:
	s_clause 0x1
	s_load_dwordx8 s[16:23], s[4:5], 0x8
	s_load_dwordx8 s[8:15], s[4:5], 0x58
	s_mov_b32 s7, 0
	s_waitcnt lgkmcnt(0)
	s_mul_i32 s1, s19, s6
	s_mul_hi_u32 s2, s18, s6
	s_mul_i32 s0, s18, s6
	s_add_i32 s1, s2, s1
	s_mul_i32 s2, s11, s6
	s_lshl_b64 s[0:1], s[0:1], 2
	s_mul_hi_u32 s3, s10, s6
	s_add_u32 s0, s16, s0
	s_addc_u32 s1, s17, s1
	s_add_i32 s3, s3, s2
	s_mul_i32 s2, s10, s6
	s_lshl_b64 s[2:3], s[2:3], 2
	s_add_u32 s2, s8, s2
	s_addc_u32 s3, s9, s3
	s_load_dword s17, s[0:1], 0x0
	s_load_dword s16, s[2:3], 0x0
	s_waitcnt lgkmcnt(0)
	v_cmp_eq_f32_e64 s0, s17, 0
	v_cmp_eq_f32_e64 s1, s16, 1.0
	s_and_b32 s1, s0, s1
	s_and_b32 vcc_lo, exec_lo, s1
	s_cbranch_vccnz .LBB208_38
; %bb.1:
	v_cmp_neq_f32_e64 s1, s17, 0
	s_mov_b64 s[10:11], 0
	s_and_b32 vcc_lo, exec_lo, s0
	s_mov_b64 s[8:9], 0
	s_cbranch_vccnz .LBB208_3
; %bb.2:
	s_lshl_b64 s[2:3], s[6:7], 3
	s_add_u32 s2, s20, s2
	s_addc_u32 s3, s21, s3
	s_lshl_b64 s[8:9], s[22:23], 2
	s_load_dwordx2 s[2:3], s[2:3], 0x0
	s_waitcnt lgkmcnt(0)
	s_add_u32 s8, s2, s8
	s_addc_u32 s9, s3, s9
.LBB208_3:
	s_andn2_b32 vcc_lo, exec_lo, s1
	s_cbranch_vccnz .LBB208_5
; %bb.4:
	s_load_dwordx4 s[20:23], s[4:5], 0x38
	s_lshl_b64 s[2:3], s[6:7], 3
	s_waitcnt lgkmcnt(0)
	s_add_u32 s2, s20, s2
	s_addc_u32 s3, s21, s3
	s_lshl_b64 s[10:11], s[22:23], 2
	s_load_dwordx2 s[2:3], s[2:3], 0x0
	s_waitcnt lgkmcnt(0)
	s_add_u32 s10, s2, s10
	s_addc_u32 s11, s3, s11
.LBB208_5:
	s_lshl_b64 s[2:3], s[6:7], 3
	s_add_u32 s12, s12, s2
	s_addc_u32 s13, s13, s3
	s_clause 0x1
	s_load_dwordx2 s[2:3], s[4:5], 0x0
	s_load_dword s6, s[4:5], 0x78
	s_load_dwordx2 s[12:13], s[12:13], 0x0
	s_andn2_b32 vcc_lo, exec_lo, s0
	s_mov_b32 s0, -1
	s_cbranch_vccnz .LBB208_20
; %bb.6:
	s_waitcnt lgkmcnt(0)
	s_cmp_gt_i32 s3, 0
	v_cmp_neq_f32_e64 s0, s16, 0
	s_cselect_b32 s18, -1, 0
	v_cndmask_b32_e64 v1, 0, 1, s18
	s_and_b32 vcc_lo, exec_lo, s0
	v_cmp_ne_u32_e64 s0, 1, v1
	s_cbranch_vccnz .LBB208_13
; %bb.7:
	s_and_b32 vcc_lo, exec_lo, s0
	s_cbranch_vccnz .LBB208_12
; %bb.8:
	v_mad_i64_i32 v[1:2], null, s6, v0, 0
	s_lshl_b64 s[0:1], s[14:15], 2
	s_ashr_i32 s7, s6, 31
	s_add_u32 s0, s12, s0
	s_addc_u32 s1, s13, s1
	v_mov_b32_e32 v3, 0
	v_lshlrev_b64 v[1:2], 2, v[1:2]
	v_add_co_u32 v1, vcc_lo, s0, v1
	v_add_co_ci_u32_e64 v2, null, s1, v2, vcc_lo
	s_lshl_b64 s[0:1], s[6:7], 10
	s_mov_b32 s7, 0
	s_branch .LBB208_10
.LBB208_9:                              ;   in Loop: Header=BB208_10 Depth=1
	s_or_b32 exec_lo, exec_lo, s19
	v_add_co_u32 v1, vcc_lo, v1, s0
	v_add_co_ci_u32_e64 v2, null, s1, v2, vcc_lo
	s_addk_i32 s7, 0x100
	s_cmp_ge_i32 s7, s3
	s_cbranch_scc1 .LBB208_12
.LBB208_10:                             ; =>This Inner Loop Header: Depth=1
	v_add_nc_u32_e32 v4, s7, v0
	s_mov_b32 s19, exec_lo
	v_cmpx_gt_i32_e64 s3, v4
	s_cbranch_execz .LBB208_9
; %bb.11:                               ;   in Loop: Header=BB208_10 Depth=1
	flat_store_dword v[1:2], v3
	s_branch .LBB208_9
.LBB208_12:
	s_cbranch_execz .LBB208_14
	s_branch .LBB208_19
.LBB208_13:
.LBB208_14:
	s_andn2_b32 vcc_lo, exec_lo, s18
	s_cbranch_vccnz .LBB208_19
; %bb.15:
	v_mad_i64_i32 v[1:2], null, s6, v0, 0
	s_lshl_b64 s[0:1], s[14:15], 2
	s_ashr_i32 s7, s6, 31
	s_add_u32 s0, s12, s0
	s_addc_u32 s1, s13, s1
	v_lshlrev_b64 v[1:2], 2, v[1:2]
	v_add_co_u32 v1, vcc_lo, s0, v1
	v_add_co_ci_u32_e64 v2, null, s1, v2, vcc_lo
	s_lshl_b64 s[0:1], s[6:7], 10
	s_mov_b32 s7, 0
	s_branch .LBB208_17
	.p2align	6
.LBB208_16:                             ;   in Loop: Header=BB208_17 Depth=1
	s_or_b32 exec_lo, exec_lo, s18
	v_add_co_u32 v1, vcc_lo, v1, s0
	v_add_co_ci_u32_e64 v2, null, s1, v2, vcc_lo
	s_addk_i32 s7, 0x100
	s_cmp_ge_i32 s7, s3
	s_cbranch_scc1 .LBB208_19
.LBB208_17:                             ; =>This Inner Loop Header: Depth=1
	v_add_nc_u32_e32 v3, s7, v0
	s_mov_b32 s18, exec_lo
	v_cmpx_gt_i32_e64 s3, v3
	s_cbranch_execz .LBB208_16
; %bb.18:                               ;   in Loop: Header=BB208_17 Depth=1
	flat_load_dword v3, v[1:2]
	s_waitcnt vmcnt(0) lgkmcnt(0)
	v_mul_f32_e32 v3, s16, v3
	flat_store_dword v[1:2], v3
	s_branch .LBB208_16
.LBB208_19:
	s_mov_b32 s0, 0
.LBB208_20:
	s_andn2_b32 vcc_lo, exec_lo, s0
	s_cbranch_vccnz .LBB208_38
; %bb.21:
	s_mov_b32 s0, exec_lo
	s_waitcnt lgkmcnt(0)
	v_cmpx_gt_i32_e64 s2, v0
	s_cbranch_execz .LBB208_23
; %bb.22:
	s_load_dword s1, s[4:5], 0x48
	s_waitcnt lgkmcnt(0)
	v_mad_i64_i32 v[1:2], null, s1, v0, 0
	v_lshlrev_b64 v[1:2], 2, v[1:2]
	v_add_co_u32 v1, vcc_lo, s10, v1
	v_add_co_ci_u32_e64 v2, null, s11, v2, vcc_lo
	flat_load_dword v1, v[1:2]
	v_lshlrev_b32_e32 v2, 2, v0
	s_waitcnt vmcnt(0) lgkmcnt(0)
	v_mul_f32_e32 v1, s17, v1
	ds_write_b32 v2, v1
.LBB208_23:
	s_or_b32 exec_lo, exec_lo, s0
	s_cmp_lt_i32 s3, 1
	s_waitcnt lgkmcnt(0)
	s_waitcnt_vscnt null, 0x0
	s_barrier
	buffer_gl0_inv
	s_cbranch_scc1 .LBB208_38
; %bb.24:
	s_load_dword s4, s[4:5], 0x28
	s_lshl_b64 s[0:1], s[14:15], 2
	s_add_u32 s7, s12, s0
	s_addc_u32 s10, s13, s1
	s_ashr_i32 s11, s6, 31
	v_cmp_neq_f32_e64 s12, s16, 0
	s_mov_b32 s1, 0
	s_waitcnt lgkmcnt(0)
	v_mad_i64_i32 v[1:2], null, s4, v0, 0
	s_ashr_i32 s5, s4, 31
	s_cmp_gt_i32 s2, 0
	s_cselect_b32 s13, -1, 0
	s_and_b32 s14, s2, 7
	s_cmp_gt_u32 s2, 7
	v_lshlrev_b64 v[1:2], 2, v[1:2]
	s_cselect_b32 s15, -1, 0
	s_and_b32 s2, s2, 0x7ffffff8
	s_cmp_lg_u32 s14, 0
	v_add_co_u32 v1, vcc_lo, s8, v1
	v_add_co_ci_u32_e64 v2, null, s9, v2, vcc_lo
	s_cselect_b32 s8, -1, 0
	s_lshl_b64 s[4:5], s[4:5], 10
	s_mov_b32 s9, 0
	s_branch .LBB208_27
.LBB208_25:                             ;   in Loop: Header=BB208_27 Depth=1
	v_add_co_u32 v3, vcc_lo, s7, v3
	v_add_co_ci_u32_e64 v4, null, s10, v4, vcc_lo
	flat_store_dword v[3:4], v7
.LBB208_26:                             ;   in Loop: Header=BB208_27 Depth=1
	s_or_b32 exec_lo, exec_lo, s17
	v_add_co_u32 v1, vcc_lo, v1, s4
	v_add_co_ci_u32_e64 v2, null, s5, v2, vcc_lo
	s_addk_i32 s9, 0x100
	s_cmp_ge_i32 s9, s3
	s_cbranch_scc1 .LBB208_38
.LBB208_27:                             ; =>This Loop Header: Depth=1
                                        ;     Child Loop BB208_33 Depth 2
                                        ;     Child Loop BB208_37 Depth 2
	v_add_nc_u32_e32 v3, s9, v0
	s_mov_b32 s17, exec_lo
	v_cmpx_gt_i32_e64 s3, v3
	s_cbranch_execz .LBB208_26
; %bb.28:                               ;   in Loop: Header=BB208_27 Depth=1
	v_mad_u64_u32 v[4:5], null, v3, s6, 0
	s_andn2_b32 vcc_lo, exec_lo, s12
	v_mad_u64_u32 v[5:6], null, v3, s11, v[5:6]
	v_lshlrev_b64 v[3:4], 2, v[4:5]
	s_cbranch_vccnz .LBB208_30
; %bb.29:                               ;   in Loop: Header=BB208_27 Depth=1
	v_add_co_u32 v5, vcc_lo, s7, v3
	v_add_co_ci_u32_e64 v6, null, s10, v4, vcc_lo
	flat_load_dword v5, v[5:6]
	s_waitcnt vmcnt(0) lgkmcnt(0)
	v_mul_f32_e32 v7, s16, v5
	s_andn2_b32 vcc_lo, exec_lo, s13
	s_cbranch_vccz .LBB208_31
	s_branch .LBB208_25
.LBB208_30:                             ;   in Loop: Header=BB208_27 Depth=1
	v_mov_b32_e32 v7, 0
	s_andn2_b32 vcc_lo, exec_lo, s13
	s_cbranch_vccnz .LBB208_25
.LBB208_31:                             ;   in Loop: Header=BB208_27 Depth=1
	s_andn2_b32 vcc_lo, exec_lo, s15
	s_mov_b32 s0, 0
	s_cbranch_vccnz .LBB208_35
; %bb.32:                               ;   in Loop: Header=BB208_27 Depth=1
	v_mov_b32_e32 v6, v2
	v_mov_b32_e32 v5, v1
	s_mov_b32 s18, 0
	.p2align	6
.LBB208_33:                             ;   Parent Loop BB208_27 Depth=1
                                        ; =>  This Inner Loop Header: Depth=2
	s_clause 0x1
	flat_load_dwordx4 v[8:11], v[5:6]
	flat_load_dwordx4 v[12:15], v[5:6] offset:16
	v_mov_b32_e32 v20, s0
	v_add_co_u32 v5, vcc_lo, v5, 32
	v_add_co_ci_u32_e64 v6, null, 0, v6, vcc_lo
	ds_read_b128 v[16:19], v20
	ds_read_b128 v[20:23], v20 offset:16
	s_add_i32 s18, s18, 8
	s_add_i32 s0, s0, 32
	s_cmp_eq_u32 s2, s18
	s_waitcnt vmcnt(1) lgkmcnt(1)
	v_fmac_f32_e32 v7, v16, v8
	v_fmac_f32_e32 v7, v17, v9
	v_fmac_f32_e32 v7, v18, v10
	v_fmac_f32_e32 v7, v19, v11
	s_waitcnt vmcnt(0) lgkmcnt(0)
	v_fmac_f32_e32 v7, v20, v12
	v_fmac_f32_e32 v7, v21, v13
	;; [unrolled: 1-line block ×4, first 2 shown]
	s_cbranch_scc0 .LBB208_33
; %bb.34:                               ;   in Loop: Header=BB208_27 Depth=1
	s_mov_b32 s0, s2
.LBB208_35:                             ;   in Loop: Header=BB208_27 Depth=1
	s_andn2_b32 vcc_lo, exec_lo, s8
	s_cbranch_vccnz .LBB208_25
; %bb.36:                               ;   in Loop: Header=BB208_27 Depth=1
	s_lshl_b64 s[18:19], s[0:1], 2
	s_lshl_b32 s0, s0, 2
	v_add_co_u32 v5, vcc_lo, v1, s18
	v_add_co_ci_u32_e64 v6, null, s19, v2, vcc_lo
	s_mov_b32 s18, s14
.LBB208_37:                             ;   Parent Loop BB208_27 Depth=1
                                        ; =>  This Inner Loop Header: Depth=2
	flat_load_dword v8, v[5:6]
	v_mov_b32_e32 v9, s0
	v_add_co_u32 v5, vcc_lo, v5, 4
	v_add_co_ci_u32_e64 v6, null, 0, v6, vcc_lo
	ds_read_b32 v9, v9
	s_add_i32 s18, s18, -1
	s_add_i32 s0, s0, 4
	s_cmp_lg_u32 s18, 0
	s_waitcnt vmcnt(0) lgkmcnt(0)
	v_fmac_f32_e32 v7, v9, v8
	s_cbranch_scc1 .LBB208_37
	s_branch .LBB208_25
.LBB208_38:
	s_endpgm
	.section	.rodata,"a",@progbits
	.p2align	6, 0x0
	.amdhsa_kernel _ZL22rocblas_gemvtsm_kernelILb0ELi256EPKfS1_KPfEviiT2_lPKT1_lilS7_lilS4_lPT3_lil
		.amdhsa_group_segment_fixed_size 256
		.amdhsa_private_segment_fixed_size 0
		.amdhsa_kernarg_size 136
		.amdhsa_user_sgpr_count 6
		.amdhsa_user_sgpr_private_segment_buffer 1
		.amdhsa_user_sgpr_dispatch_ptr 0
		.amdhsa_user_sgpr_queue_ptr 0
		.amdhsa_user_sgpr_kernarg_segment_ptr 1
		.amdhsa_user_sgpr_dispatch_id 0
		.amdhsa_user_sgpr_flat_scratch_init 0
		.amdhsa_user_sgpr_private_segment_size 0
		.amdhsa_wavefront_size32 1
		.amdhsa_uses_dynamic_stack 0
		.amdhsa_system_sgpr_private_segment_wavefront_offset 0
		.amdhsa_system_sgpr_workgroup_id_x 1
		.amdhsa_system_sgpr_workgroup_id_y 0
		.amdhsa_system_sgpr_workgroup_id_z 0
		.amdhsa_system_sgpr_workgroup_info 0
		.amdhsa_system_vgpr_workitem_id 0
		.amdhsa_next_free_vgpr 24
		.amdhsa_next_free_sgpr 24
		.amdhsa_reserve_vcc 1
		.amdhsa_reserve_flat_scratch 1
		.amdhsa_float_round_mode_32 0
		.amdhsa_float_round_mode_16_64 0
		.amdhsa_float_denorm_mode_32 3
		.amdhsa_float_denorm_mode_16_64 3
		.amdhsa_dx10_clamp 1
		.amdhsa_ieee_mode 1
		.amdhsa_fp16_overflow 0
		.amdhsa_workgroup_processor_mode 1
		.amdhsa_memory_ordered 1
		.amdhsa_forward_progress 1
		.amdhsa_shared_vgpr_count 0
		.amdhsa_exception_fp_ieee_invalid_op 0
		.amdhsa_exception_fp_denorm_src 0
		.amdhsa_exception_fp_ieee_div_zero 0
		.amdhsa_exception_fp_ieee_overflow 0
		.amdhsa_exception_fp_ieee_underflow 0
		.amdhsa_exception_fp_ieee_inexact 0
		.amdhsa_exception_int_div_zero 0
	.end_amdhsa_kernel
	.section	.text._ZL22rocblas_gemvtsm_kernelILb0ELi256EPKfS1_KPfEviiT2_lPKT1_lilS7_lilS4_lPT3_lil,"axG",@progbits,_ZL22rocblas_gemvtsm_kernelILb0ELi256EPKfS1_KPfEviiT2_lPKT1_lilS7_lilS4_lPT3_lil,comdat
.Lfunc_end208:
	.size	_ZL22rocblas_gemvtsm_kernelILb0ELi256EPKfS1_KPfEviiT2_lPKT1_lilS7_lilS4_lPT3_lil, .Lfunc_end208-_ZL22rocblas_gemvtsm_kernelILb0ELi256EPKfS1_KPfEviiT2_lPKT1_lilS7_lilS4_lPT3_lil
                                        ; -- End function
	.set _ZL22rocblas_gemvtsm_kernelILb0ELi256EPKfS1_KPfEviiT2_lPKT1_lilS7_lilS4_lPT3_lil.num_vgpr, 24
	.set _ZL22rocblas_gemvtsm_kernelILb0ELi256EPKfS1_KPfEviiT2_lPKT1_lilS7_lilS4_lPT3_lil.num_agpr, 0
	.set _ZL22rocblas_gemvtsm_kernelILb0ELi256EPKfS1_KPfEviiT2_lPKT1_lilS7_lilS4_lPT3_lil.numbered_sgpr, 24
	.set _ZL22rocblas_gemvtsm_kernelILb0ELi256EPKfS1_KPfEviiT2_lPKT1_lilS7_lilS4_lPT3_lil.num_named_barrier, 0
	.set _ZL22rocblas_gemvtsm_kernelILb0ELi256EPKfS1_KPfEviiT2_lPKT1_lilS7_lilS4_lPT3_lil.private_seg_size, 0
	.set _ZL22rocblas_gemvtsm_kernelILb0ELi256EPKfS1_KPfEviiT2_lPKT1_lilS7_lilS4_lPT3_lil.uses_vcc, 1
	.set _ZL22rocblas_gemvtsm_kernelILb0ELi256EPKfS1_KPfEviiT2_lPKT1_lilS7_lilS4_lPT3_lil.uses_flat_scratch, 1
	.set _ZL22rocblas_gemvtsm_kernelILb0ELi256EPKfS1_KPfEviiT2_lPKT1_lilS7_lilS4_lPT3_lil.has_dyn_sized_stack, 0
	.set _ZL22rocblas_gemvtsm_kernelILb0ELi256EPKfS1_KPfEviiT2_lPKT1_lilS7_lilS4_lPT3_lil.has_recursion, 0
	.set _ZL22rocblas_gemvtsm_kernelILb0ELi256EPKfS1_KPfEviiT2_lPKT1_lilS7_lilS4_lPT3_lil.has_indirect_call, 0
	.section	.AMDGPU.csdata,"",@progbits
; Kernel info:
; codeLenInByte = 1372
; TotalNumSgprs: 26
; NumVgprs: 24
; ScratchSize: 0
; MemoryBound: 0
; FloatMode: 240
; IeeeMode: 1
; LDSByteSize: 256 bytes/workgroup (compile time only)
; SGPRBlocks: 0
; VGPRBlocks: 2
; NumSGPRsForWavesPerEU: 26
; NumVGPRsForWavesPerEU: 24
; Occupancy: 16
; WaveLimiterHint : 1
; COMPUTE_PGM_RSRC2:SCRATCH_EN: 0
; COMPUTE_PGM_RSRC2:USER_SGPR: 6
; COMPUTE_PGM_RSRC2:TRAP_HANDLER: 0
; COMPUTE_PGM_RSRC2:TGID_X_EN: 1
; COMPUTE_PGM_RSRC2:TGID_Y_EN: 0
; COMPUTE_PGM_RSRC2:TGID_Z_EN: 0
; COMPUTE_PGM_RSRC2:TIDIG_COMP_CNT: 0
	.section	.text._ZL22rocblas_gemvtsm_kernelILb0ELi256EPKffKPfEviiT2_lPKT1_lilS7_lilS4_lPT3_lil,"axG",@progbits,_ZL22rocblas_gemvtsm_kernelILb0ELi256EPKffKPfEviiT2_lPKT1_lilS7_lilS4_lPT3_lil,comdat
	.globl	_ZL22rocblas_gemvtsm_kernelILb0ELi256EPKffKPfEviiT2_lPKT1_lilS7_lilS4_lPT3_lil ; -- Begin function _ZL22rocblas_gemvtsm_kernelILb0ELi256EPKffKPfEviiT2_lPKT1_lilS7_lilS4_lPT3_lil
	.p2align	8
	.type	_ZL22rocblas_gemvtsm_kernelILb0ELi256EPKffKPfEviiT2_lPKT1_lilS7_lilS4_lPT3_lil,@function
_ZL22rocblas_gemvtsm_kernelILb0ELi256EPKffKPfEviiT2_lPKT1_lilS7_lilS4_lPT3_lil: ; @_ZL22rocblas_gemvtsm_kernelILb0ELi256EPKffKPfEviiT2_lPKT1_lilS7_lilS4_lPT3_lil
; %bb.0:
	s_load_dwordx4 s[8:11], s[4:5], 0x0
	s_waitcnt lgkmcnt(0)
	s_load_dword s11, s[4:5], 0x58
	s_mov_b32 s7, 0
	v_cmp_eq_f32_e64 s18, s10, 0
	s_waitcnt lgkmcnt(0)
	v_cmp_eq_f32_e64 s0, s11, 1.0
	s_and_b32 s0, s18, s0
	s_and_b32 vcc_lo, exec_lo, s0
	s_cbranch_vccnz .LBB209_40
; %bb.1:
	v_cmp_neq_f32_e64 s0, s10, 0
	s_and_b32 vcc_lo, exec_lo, s0
	s_cbranch_vccnz .LBB209_3
; %bb.2:
	s_mov_b32 s17, 0
	s_mov_b32 s16, s6
	;; [unrolled: 1-line block ×3, first 2 shown]
	s_mov_b64 s[14:15], 0
	s_andn2_b32 vcc_lo, exec_lo, s1
	s_mov_b64 s[12:13], 0
	s_cbranch_vccz .LBB209_4
	s_branch .LBB209_5
.LBB209_3:
	s_mov_b64 s[16:17], s[6:7]
	s_mov_b64 s[14:15], 0
	;; [unrolled: 1-line block ×3, first 2 shown]
.LBB209_4:
	s_load_dwordx4 s[20:23], s[4:5], 0x18
	s_lshl_b64 s[2:3], s[6:7], 3
	s_waitcnt lgkmcnt(0)
	s_add_u32 s2, s20, s2
	s_addc_u32 s3, s21, s3
	s_lshl_b64 s[6:7], s[22:23], 2
	s_load_dwordx2 s[2:3], s[2:3], 0x0
	s_waitcnt lgkmcnt(0)
	s_add_u32 s12, s2, s6
	s_addc_u32 s13, s3, s7
.LBB209_5:
	s_andn2_b32 vcc_lo, exec_lo, s0
	s_cbranch_vccnz .LBB209_7
; %bb.6:
	s_load_dwordx4 s[0:3], s[4:5], 0x38
	s_lshl_b64 s[6:7], s[16:17], 3
	s_waitcnt lgkmcnt(0)
	s_add_u32 s0, s0, s6
	s_addc_u32 s1, s1, s7
	s_lshl_b64 s[2:3], s[2:3], 2
	s_load_dwordx2 s[0:1], s[0:1], 0x0
	s_waitcnt lgkmcnt(0)
	s_add_u32 s14, s0, s2
	s_addc_u32 s15, s1, s3
.LBB209_7:
	s_clause 0x1
	s_load_dwordx4 s[0:3], s[4:5], 0x68
	s_load_dword s6, s[4:5], 0x78
	s_lshl_b64 s[16:17], s[16:17], 3
	s_waitcnt lgkmcnt(0)
	s_add_u32 s0, s0, s16
	s_addc_u32 s1, s1, s17
	s_andn2_b32 vcc_lo, exec_lo, s18
	s_load_dwordx2 s[16:17], s[0:1], 0x0
	s_mov_b32 s0, -1
	s_cbranch_vccnz .LBB209_22
; %bb.8:
	s_cmp_gt_i32 s9, 0
	v_cmp_neq_f32_e64 s0, s11, 0
	s_cselect_b32 s18, -1, 0
	v_cndmask_b32_e64 v1, 0, 1, s18
	s_and_b32 vcc_lo, exec_lo, s0
	v_cmp_ne_u32_e64 s0, 1, v1
	s_cbranch_vccnz .LBB209_15
; %bb.9:
	s_and_b32 vcc_lo, exec_lo, s0
	s_cbranch_vccnz .LBB209_14
; %bb.10:
	v_mad_i64_i32 v[1:2], null, s6, v0, 0
	s_lshl_b64 s[0:1], s[2:3], 2
	s_ashr_i32 s7, s6, 31
	s_waitcnt lgkmcnt(0)
	s_add_u32 s0, s16, s0
	s_addc_u32 s1, s17, s1
	v_mov_b32_e32 v3, 0
	v_lshlrev_b64 v[1:2], 2, v[1:2]
	v_add_co_u32 v1, vcc_lo, s0, v1
	v_add_co_ci_u32_e64 v2, null, s1, v2, vcc_lo
	s_lshl_b64 s[0:1], s[6:7], 10
	s_mov_b32 s7, 0
	s_branch .LBB209_12
.LBB209_11:                             ;   in Loop: Header=BB209_12 Depth=1
	s_or_b32 exec_lo, exec_lo, s19
	v_add_co_u32 v1, vcc_lo, v1, s0
	v_add_co_ci_u32_e64 v2, null, s1, v2, vcc_lo
	s_addk_i32 s7, 0x100
	s_cmp_ge_i32 s7, s9
	s_cbranch_scc1 .LBB209_14
.LBB209_12:                             ; =>This Inner Loop Header: Depth=1
	v_add_nc_u32_e32 v4, s7, v0
	s_mov_b32 s19, exec_lo
	v_cmpx_gt_i32_e64 s9, v4
	s_cbranch_execz .LBB209_11
; %bb.13:                               ;   in Loop: Header=BB209_12 Depth=1
	flat_store_dword v[1:2], v3
	s_branch .LBB209_11
.LBB209_14:
	s_cbranch_execz .LBB209_16
	s_branch .LBB209_21
.LBB209_15:
.LBB209_16:
	s_andn2_b32 vcc_lo, exec_lo, s18
	s_cbranch_vccnz .LBB209_21
; %bb.17:
	v_mad_i64_i32 v[1:2], null, s6, v0, 0
	s_lshl_b64 s[0:1], s[2:3], 2
	s_ashr_i32 s7, s6, 31
	s_waitcnt lgkmcnt(0)
	s_add_u32 s0, s16, s0
	s_addc_u32 s1, s17, s1
	v_lshlrev_b64 v[1:2], 2, v[1:2]
	v_add_co_u32 v1, vcc_lo, s0, v1
	v_add_co_ci_u32_e64 v2, null, s1, v2, vcc_lo
	s_lshl_b64 s[0:1], s[6:7], 10
	s_mov_b32 s7, 0
	s_branch .LBB209_19
	.p2align	6
.LBB209_18:                             ;   in Loop: Header=BB209_19 Depth=1
	s_or_b32 exec_lo, exec_lo, s18
	v_add_co_u32 v1, vcc_lo, v1, s0
	v_add_co_ci_u32_e64 v2, null, s1, v2, vcc_lo
	s_addk_i32 s7, 0x100
	s_cmp_ge_i32 s7, s9
	s_cbranch_scc1 .LBB209_21
.LBB209_19:                             ; =>This Inner Loop Header: Depth=1
	v_add_nc_u32_e32 v3, s7, v0
	s_mov_b32 s18, exec_lo
	v_cmpx_gt_i32_e64 s9, v3
	s_cbranch_execz .LBB209_18
; %bb.20:                               ;   in Loop: Header=BB209_19 Depth=1
	flat_load_dword v3, v[1:2]
	s_waitcnt vmcnt(0) lgkmcnt(0)
	v_mul_f32_e32 v3, s11, v3
	flat_store_dword v[1:2], v3
	s_branch .LBB209_18
.LBB209_21:
	s_mov_b32 s0, 0
.LBB209_22:
	s_andn2_b32 vcc_lo, exec_lo, s0
	s_cbranch_vccnz .LBB209_40
; %bb.23:
	s_mov_b32 s0, exec_lo
	v_cmpx_gt_i32_e64 s8, v0
	s_cbranch_execz .LBB209_25
; %bb.24:
	s_load_dword s1, s[4:5], 0x48
	s_waitcnt lgkmcnt(0)
	v_mad_i64_i32 v[1:2], null, s1, v0, 0
	v_lshlrev_b64 v[1:2], 2, v[1:2]
	v_add_co_u32 v1, vcc_lo, s14, v1
	v_add_co_ci_u32_e64 v2, null, s15, v2, vcc_lo
	flat_load_dword v1, v[1:2]
	v_lshlrev_b32_e32 v2, 2, v0
	s_waitcnt vmcnt(0) lgkmcnt(0)
	v_mul_f32_e32 v1, s10, v1
	ds_write_b32 v2, v1
.LBB209_25:
	s_or_b32 exec_lo, exec_lo, s0
	s_cmp_lt_i32 s9, 1
	s_waitcnt lgkmcnt(0)
	s_waitcnt_vscnt null, 0x0
	s_barrier
	buffer_gl0_inv
	s_cbranch_scc1 .LBB209_40
; %bb.26:
	s_load_dword s18, s[4:5], 0x28
	s_lshl_b64 s[0:1], s[2:3], 2
	v_cmp_neq_f32_e64 s10, s11, 0
	s_add_u32 s4, s16, s0
	s_addc_u32 s5, s17, s1
	s_ashr_i32 s7, s6, 31
	s_mov_b32 s1, 0
	s_waitcnt lgkmcnt(0)
	v_mad_i64_i32 v[1:2], null, s18, v0, 0
	s_ashr_i32 s19, s18, 31
	s_cmp_gt_i32 s8, 0
	s_cselect_b32 s14, -1, 0
	s_and_b32 s15, s8, 7
	s_cmp_gt_u32 s8, 7
	v_lshlrev_b64 v[1:2], 2, v[1:2]
	s_cselect_b32 s16, -1, 0
	s_and_b32 s8, s8, 0x7ffffff8
	s_cmp_lg_u32 s15, 0
	v_add_co_u32 v1, vcc_lo, s12, v1
	v_add_co_ci_u32_e64 v2, null, s13, v2, vcc_lo
	s_cselect_b32 s12, -1, 0
	s_lshl_b64 s[2:3], s[18:19], 10
	s_mov_b32 s13, 0
	s_branch .LBB209_29
.LBB209_27:                             ;   in Loop: Header=BB209_29 Depth=1
	v_add_co_u32 v3, vcc_lo, s4, v3
	v_add_co_ci_u32_e64 v4, null, s5, v4, vcc_lo
	flat_store_dword v[3:4], v7
.LBB209_28:                             ;   in Loop: Header=BB209_29 Depth=1
	s_or_b32 exec_lo, exec_lo, s17
	v_add_co_u32 v1, vcc_lo, v1, s2
	v_add_co_ci_u32_e64 v2, null, s3, v2, vcc_lo
	s_addk_i32 s13, 0x100
	s_cmp_ge_i32 s13, s9
	s_cbranch_scc1 .LBB209_40
.LBB209_29:                             ; =>This Loop Header: Depth=1
                                        ;     Child Loop BB209_35 Depth 2
                                        ;     Child Loop BB209_39 Depth 2
	v_add_nc_u32_e32 v3, s13, v0
	s_mov_b32 s17, exec_lo
	v_cmpx_gt_i32_e64 s9, v3
	s_cbranch_execz .LBB209_28
; %bb.30:                               ;   in Loop: Header=BB209_29 Depth=1
	v_mad_u64_u32 v[4:5], null, v3, s6, 0
	s_andn2_b32 vcc_lo, exec_lo, s10
	v_mad_u64_u32 v[5:6], null, v3, s7, v[5:6]
	v_lshlrev_b64 v[3:4], 2, v[4:5]
	s_cbranch_vccnz .LBB209_32
; %bb.31:                               ;   in Loop: Header=BB209_29 Depth=1
	v_add_co_u32 v5, vcc_lo, s4, v3
	v_add_co_ci_u32_e64 v6, null, s5, v4, vcc_lo
	flat_load_dword v5, v[5:6]
	s_waitcnt vmcnt(0) lgkmcnt(0)
	v_mul_f32_e32 v7, s11, v5
	s_andn2_b32 vcc_lo, exec_lo, s14
	s_cbranch_vccz .LBB209_33
	s_branch .LBB209_27
.LBB209_32:                             ;   in Loop: Header=BB209_29 Depth=1
	v_mov_b32_e32 v7, 0
	s_andn2_b32 vcc_lo, exec_lo, s14
	s_cbranch_vccnz .LBB209_27
.LBB209_33:                             ;   in Loop: Header=BB209_29 Depth=1
	s_andn2_b32 vcc_lo, exec_lo, s16
	s_mov_b32 s0, 0
	s_cbranch_vccnz .LBB209_37
; %bb.34:                               ;   in Loop: Header=BB209_29 Depth=1
	v_mov_b32_e32 v6, v2
	v_mov_b32_e32 v5, v1
	s_mov_b32 s18, 0
	.p2align	6
.LBB209_35:                             ;   Parent Loop BB209_29 Depth=1
                                        ; =>  This Inner Loop Header: Depth=2
	s_clause 0x1
	flat_load_dwordx4 v[8:11], v[5:6]
	flat_load_dwordx4 v[12:15], v[5:6] offset:16
	v_mov_b32_e32 v20, s0
	v_add_co_u32 v5, vcc_lo, v5, 32
	v_add_co_ci_u32_e64 v6, null, 0, v6, vcc_lo
	ds_read_b128 v[16:19], v20
	ds_read_b128 v[20:23], v20 offset:16
	s_add_i32 s18, s18, 8
	s_add_i32 s0, s0, 32
	s_cmp_eq_u32 s8, s18
	s_waitcnt vmcnt(1) lgkmcnt(1)
	v_fmac_f32_e32 v7, v16, v8
	v_fmac_f32_e32 v7, v17, v9
	;; [unrolled: 1-line block ×4, first 2 shown]
	s_waitcnt vmcnt(0) lgkmcnt(0)
	v_fmac_f32_e32 v7, v20, v12
	v_fmac_f32_e32 v7, v21, v13
	;; [unrolled: 1-line block ×4, first 2 shown]
	s_cbranch_scc0 .LBB209_35
; %bb.36:                               ;   in Loop: Header=BB209_29 Depth=1
	s_mov_b32 s0, s8
.LBB209_37:                             ;   in Loop: Header=BB209_29 Depth=1
	s_andn2_b32 vcc_lo, exec_lo, s12
	s_cbranch_vccnz .LBB209_27
; %bb.38:                               ;   in Loop: Header=BB209_29 Depth=1
	s_lshl_b64 s[18:19], s[0:1], 2
	s_lshl_b32 s0, s0, 2
	v_add_co_u32 v5, vcc_lo, v1, s18
	v_add_co_ci_u32_e64 v6, null, s19, v2, vcc_lo
	s_mov_b32 s18, s15
.LBB209_39:                             ;   Parent Loop BB209_29 Depth=1
                                        ; =>  This Inner Loop Header: Depth=2
	flat_load_dword v8, v[5:6]
	v_mov_b32_e32 v9, s0
	v_add_co_u32 v5, vcc_lo, v5, 4
	v_add_co_ci_u32_e64 v6, null, 0, v6, vcc_lo
	ds_read_b32 v9, v9
	s_add_i32 s18, s18, -1
	s_add_i32 s0, s0, 4
	s_cmp_lg_u32 s18, 0
	s_waitcnt vmcnt(0) lgkmcnt(0)
	v_fmac_f32_e32 v7, v9, v8
	s_cbranch_scc1 .LBB209_39
	s_branch .LBB209_27
.LBB209_40:
	s_endpgm
	.section	.rodata,"a",@progbits
	.p2align	6, 0x0
	.amdhsa_kernel _ZL22rocblas_gemvtsm_kernelILb0ELi256EPKffKPfEviiT2_lPKT1_lilS7_lilS4_lPT3_lil
		.amdhsa_group_segment_fixed_size 256
		.amdhsa_private_segment_fixed_size 0
		.amdhsa_kernarg_size 136
		.amdhsa_user_sgpr_count 6
		.amdhsa_user_sgpr_private_segment_buffer 1
		.amdhsa_user_sgpr_dispatch_ptr 0
		.amdhsa_user_sgpr_queue_ptr 0
		.amdhsa_user_sgpr_kernarg_segment_ptr 1
		.amdhsa_user_sgpr_dispatch_id 0
		.amdhsa_user_sgpr_flat_scratch_init 0
		.amdhsa_user_sgpr_private_segment_size 0
		.amdhsa_wavefront_size32 1
		.amdhsa_uses_dynamic_stack 0
		.amdhsa_system_sgpr_private_segment_wavefront_offset 0
		.amdhsa_system_sgpr_workgroup_id_x 1
		.amdhsa_system_sgpr_workgroup_id_y 0
		.amdhsa_system_sgpr_workgroup_id_z 0
		.amdhsa_system_sgpr_workgroup_info 0
		.amdhsa_system_vgpr_workitem_id 0
		.amdhsa_next_free_vgpr 24
		.amdhsa_next_free_sgpr 24
		.amdhsa_reserve_vcc 1
		.amdhsa_reserve_flat_scratch 1
		.amdhsa_float_round_mode_32 0
		.amdhsa_float_round_mode_16_64 0
		.amdhsa_float_denorm_mode_32 3
		.amdhsa_float_denorm_mode_16_64 3
		.amdhsa_dx10_clamp 1
		.amdhsa_ieee_mode 1
		.amdhsa_fp16_overflow 0
		.amdhsa_workgroup_processor_mode 1
		.amdhsa_memory_ordered 1
		.amdhsa_forward_progress 1
		.amdhsa_shared_vgpr_count 0
		.amdhsa_exception_fp_ieee_invalid_op 0
		.amdhsa_exception_fp_denorm_src 0
		.amdhsa_exception_fp_ieee_div_zero 0
		.amdhsa_exception_fp_ieee_overflow 0
		.amdhsa_exception_fp_ieee_underflow 0
		.amdhsa_exception_fp_ieee_inexact 0
		.amdhsa_exception_int_div_zero 0
	.end_amdhsa_kernel
	.section	.text._ZL22rocblas_gemvtsm_kernelILb0ELi256EPKffKPfEviiT2_lPKT1_lilS7_lilS4_lPT3_lil,"axG",@progbits,_ZL22rocblas_gemvtsm_kernelILb0ELi256EPKffKPfEviiT2_lPKT1_lilS7_lilS4_lPT3_lil,comdat
.Lfunc_end209:
	.size	_ZL22rocblas_gemvtsm_kernelILb0ELi256EPKffKPfEviiT2_lPKT1_lilS7_lilS4_lPT3_lil, .Lfunc_end209-_ZL22rocblas_gemvtsm_kernelILb0ELi256EPKffKPfEviiT2_lPKT1_lilS7_lilS4_lPT3_lil
                                        ; -- End function
	.set _ZL22rocblas_gemvtsm_kernelILb0ELi256EPKffKPfEviiT2_lPKT1_lilS7_lilS4_lPT3_lil.num_vgpr, 24
	.set _ZL22rocblas_gemvtsm_kernelILb0ELi256EPKffKPfEviiT2_lPKT1_lilS7_lilS4_lPT3_lil.num_agpr, 0
	.set _ZL22rocblas_gemvtsm_kernelILb0ELi256EPKffKPfEviiT2_lPKT1_lilS7_lilS4_lPT3_lil.numbered_sgpr, 24
	.set _ZL22rocblas_gemvtsm_kernelILb0ELi256EPKffKPfEviiT2_lPKT1_lilS7_lilS4_lPT3_lil.num_named_barrier, 0
	.set _ZL22rocblas_gemvtsm_kernelILb0ELi256EPKffKPfEviiT2_lPKT1_lilS7_lilS4_lPT3_lil.private_seg_size, 0
	.set _ZL22rocblas_gemvtsm_kernelILb0ELi256EPKffKPfEviiT2_lPKT1_lilS7_lilS4_lPT3_lil.uses_vcc, 1
	.set _ZL22rocblas_gemvtsm_kernelILb0ELi256EPKffKPfEviiT2_lPKT1_lilS7_lilS4_lPT3_lil.uses_flat_scratch, 1
	.set _ZL22rocblas_gemvtsm_kernelILb0ELi256EPKffKPfEviiT2_lPKT1_lilS7_lilS4_lPT3_lil.has_dyn_sized_stack, 0
	.set _ZL22rocblas_gemvtsm_kernelILb0ELi256EPKffKPfEviiT2_lPKT1_lilS7_lilS4_lPT3_lil.has_recursion, 0
	.set _ZL22rocblas_gemvtsm_kernelILb0ELi256EPKffKPfEviiT2_lPKT1_lilS7_lilS4_lPT3_lil.has_indirect_call, 0
	.section	.AMDGPU.csdata,"",@progbits
; Kernel info:
; codeLenInByte = 1372
; TotalNumSgprs: 26
; NumVgprs: 24
; ScratchSize: 0
; MemoryBound: 0
; FloatMode: 240
; IeeeMode: 1
; LDSByteSize: 256 bytes/workgroup (compile time only)
; SGPRBlocks: 0
; VGPRBlocks: 2
; NumSGPRsForWavesPerEU: 26
; NumVGPRsForWavesPerEU: 24
; Occupancy: 16
; WaveLimiterHint : 1
; COMPUTE_PGM_RSRC2:SCRATCH_EN: 0
; COMPUTE_PGM_RSRC2:USER_SGPR: 6
; COMPUTE_PGM_RSRC2:TRAP_HANDLER: 0
; COMPUTE_PGM_RSRC2:TGID_X_EN: 1
; COMPUTE_PGM_RSRC2:TGID_Y_EN: 0
; COMPUTE_PGM_RSRC2:TGID_Z_EN: 0
; COMPUTE_PGM_RSRC2:TIDIG_COMP_CNT: 0
	.section	.text._ZL23rocblas_gemvt_sn_kernelILb0ELi256ELi4EiPKfS1_fEviiT4_lPKT3_lilS5_lilPT5_i,"axG",@progbits,_ZL23rocblas_gemvt_sn_kernelILb0ELi256ELi4EiPKfS1_fEviiT4_lPKT3_lilS5_lilPT5_i,comdat
	.globl	_ZL23rocblas_gemvt_sn_kernelILb0ELi256ELi4EiPKfS1_fEviiT4_lPKT3_lilS5_lilPT5_i ; -- Begin function _ZL23rocblas_gemvt_sn_kernelILb0ELi256ELi4EiPKfS1_fEviiT4_lPKT3_lilS5_lilPT5_i
	.p2align	8
	.type	_ZL23rocblas_gemvt_sn_kernelILb0ELi256ELi4EiPKfS1_fEviiT4_lPKT3_lilS5_lilPT5_i,@function
_ZL23rocblas_gemvt_sn_kernelILb0ELi256ELi4EiPKfS1_fEviiT4_lPKT3_lilS5_lilPT5_i: ; @_ZL23rocblas_gemvt_sn_kernelILb0ELi256ELi4EiPKfS1_fEviiT4_lPKT3_lilS5_lilPT5_i
; %bb.0:
	s_load_dwordx8 s[8:15], s[4:5], 0x8
	s_mov_b32 s2, s7
	s_mov_b32 s3, 0
	s_waitcnt lgkmcnt(0)
	s_mul_i32 s0, s11, s7
	s_mul_hi_u32 s1, s10, s7
	s_add_i32 s1, s1, s0
	s_mul_i32 s0, s10, s7
	s_mov_b64 s[10:11], 0
	s_lshl_b64 s[0:1], s[0:1], 2
	s_add_u32 s0, s8, s0
	s_addc_u32 s1, s9, s1
	s_load_dword s28, s[0:1], 0x0
	s_mov_b64 s[0:1], 0
	s_waitcnt lgkmcnt(0)
	v_cmp_eq_f32_e64 s7, s28, 0
	v_cmp_neq_f32_e64 s8, s28, 0
	s_and_b32 vcc_lo, exec_lo, s7
	s_cbranch_vccnz .LBB210_2
; %bb.1:
	s_lshl_b64 s[0:1], s[2:3], 3
	s_add_u32 s0, s12, s0
	s_addc_u32 s1, s13, s1
	s_lshl_b64 s[12:13], s[14:15], 2
	s_load_dwordx2 s[0:1], s[0:1], 0x0
	s_waitcnt lgkmcnt(0)
	s_add_u32 s0, s0, s12
	s_addc_u32 s1, s1, s13
.LBB210_2:
	s_andn2_b32 vcc_lo, exec_lo, s8
	s_cbranch_vccnz .LBB210_4
; %bb.3:
	s_load_dwordx4 s[8:11], s[4:5], 0x38
	s_lshl_b64 s[12:13], s[2:3], 3
	s_waitcnt lgkmcnt(0)
	s_add_u32 s8, s8, s12
	s_addc_u32 s9, s9, s13
	s_lshl_b64 s[10:11], s[10:11], 2
	s_load_dwordx2 s[8:9], s[8:9], 0x0
	s_waitcnt lgkmcnt(0)
	s_add_u32 s10, s8, s10
	s_addc_u32 s11, s9, s11
.LBB210_4:
	s_clause 0x2
	s_load_dwordx2 s[12:13], s[4:5], 0x0
	s_load_dword s14, s[4:5], 0x68
	s_load_dwordx2 s[8:9], s[4:5], 0x58
	s_waitcnt lgkmcnt(0)
	s_ashr_i32 s17, s13, 31
	s_mul_hi_u32 s3, s13, s2
	s_mul_i32 s15, s17, s2
	s_mul_i32 s2, s13, s2
	s_add_i32 s3, s3, s15
	s_mul_hi_u32 s15, s2, s14
	s_mul_i32 s3, s3, s14
	s_mul_i32 s2, s2, s14
	s_add_i32 s3, s15, s3
	s_mov_b32 s15, 0
	s_lshl_b64 s[2:3], s[2:3], 2
	s_add_u32 s30, s8, s2
	s_addc_u32 s31, s9, s3
	s_andn2_b32 vcc_lo, exec_lo, s7
	s_mov_b32 s2, -1
	s_cbranch_vccnz .LBB210_9
; %bb.5:
	v_cmp_eq_u32_e32 vcc_lo, 0, v0
	s_cmp_gt_i32 s13, 0
	s_cselect_b32 s2, -1, 0
	s_and_b32 s2, vcc_lo, s2
	s_and_saveexec_b32 s16, s2
	s_cbranch_execz .LBB210_8
; %bb.6:
	s_mov_b32 s7, 0
	v_mov_b32_e32 v1, 0
	s_lshl_b64 s[2:3], s[6:7], 2
	s_mov_b32 s7, s13
	s_add_u32 s2, s30, s2
	s_addc_u32 s3, s31, s3
	s_lshl_b64 s[8:9], s[14:15], 2
.LBB210_7:                              ; =>This Inner Loop Header: Depth=1
	s_add_i32 s7, s7, -1
	global_store_dword v1, v1, s[2:3]
	s_add_u32 s2, s2, s8
	s_addc_u32 s3, s3, s9
	s_cmp_eq_u32 s7, 0
	s_cbranch_scc0 .LBB210_7
.LBB210_8:
	s_or_b32 exec_lo, exec_lo, s16
	s_mov_b32 s2, 0
.LBB210_9:
	s_andn2_b32 vcc_lo, exec_lo, s2
	s_cbranch_vccnz .LBB210_84
; %bb.10:
	s_clause 0x1
	s_load_dword s16, s[4:5], 0x28
	s_load_dword s15, s[4:5], 0x48
	s_lshl_b32 s2, s6, 10
	s_lshr_b32 s3, s17, 30
	v_lshl_or_b32 v1, v0, 2, s2
	s_ashr_i32 s2, s12, 31
	s_add_i32 s3, s13, s3
	s_lshr_b32 s2, s2, 30
	v_and_b32_e32 v21, 31, v0
	v_ashrrev_i32_e32 v2, 31, v1
	s_add_i32 s2, s12, s2
	v_add_nc_u32_e32 v24, 4, v1
	s_and_b32 s2, s2, -4
	v_mbcnt_lo_u32_b32 v23, -1, 0
	v_lshlrev_b64 v[2:3], 2, v[1:2]
	s_sub_i32 s29, s12, s2
	v_lshrrev_b32_e32 v22, 3, v0
	v_add_nc_u32_e32 v25, s29, v1
	v_cmp_eq_u32_e64 s2, 0, v0
	s_and_b32 s33, s3, -4
	v_add_co_u32 v19, vcc_lo, s0, v2
	s_waitcnt lgkmcnt(0)
	v_mul_lo_u32 v9, s15, v1
	v_add_co_ci_u32_e64 v20, null, s1, v3, vcc_lo
	v_cmp_gt_u32_e64 s0, 32, v0
	v_cmp_gt_u32_e64 s1, 8, v0
	s_cmp_lt_i32 s33, 1
	s_cbranch_scc1 .LBB210_59
; %bb.11:
	v_cmp_gt_u32_e32 vcc_lo, 24, v23
	v_mul_lo_u32 v10, s15, v1
	s_cmp_gt_i32 s29, 0
	s_mov_b32 s19, 0
	v_cmp_ge_i32_e64 s3, s12, v24
	v_cndmask_b32_e64 v2, 0, 8, vcc_lo
	v_cmp_gt_u32_e32 vcc_lo, 28, v23
	v_cmp_ge_i32_e64 s4, s12, v25
	v_lshl_or_b32 v26, v23, 2, 64
	v_add_nc_u32_e32 v1, s15, v10
	v_ashrrev_i32_e32 v11, 31, v10
	v_cndmask_b32_e64 v3, 0, 4, vcc_lo
	v_cmp_gt_u32_e32 vcc_lo, 30, v23
	v_add_lshl_u32 v27, v2, v23, 2
	v_ashrrev_i32_e32 v2, 31, v1
	v_cmp_eq_u32_e64 s5, 0, v21
	v_add_lshl_u32 v28, v3, v23, 2
	v_cndmask_b32_e64 v4, 0, 2, vcc_lo
	v_cmp_ne_u32_e32 vcc_lo, 31, v23
	v_add_nc_u32_e32 v3, s15, v1
	v_lshlrev_b64 v[1:2], 2, v[1:2]
	v_lshlrev_b32_e32 v31, 2, v21
	v_add_lshl_u32 v29, v4, v23, 2
	v_add_co_ci_u32_e64 v5, null, 0, v23, vcc_lo
	v_add_nc_u32_e32 v7, s15, v3
	v_ashrrev_i32_e32 v4, 31, v3
	v_and_b32_e32 v32, 28, v22
	v_lshlrev_b32_e32 v30, 2, v5
	v_lshlrev_b64 v[5:6], 2, v[10:11]
	v_ashrrev_i32_e32 v8, 31, v7
	v_lshlrev_b64 v[3:4], 2, v[3:4]
	s_cselect_b32 s34, -1, 0
	s_mov_b32 s17, s19
	s_lshl_b32 s18, s16, 1
	v_add_co_u32 v11, vcc_lo, s10, v5
	v_add_co_ci_u32_e64 v12, null, s11, v6, vcc_lo
	v_add_co_u32 v13, vcc_lo, s10, v1
	v_mov_b32_e32 v5, 0
	v_add_co_ci_u32_e64 v14, null, s11, v2, vcc_lo
	v_lshlrev_b64 v[1:2], 2, v[7:8]
	v_add_co_u32 v15, vcc_lo, s10, v3
	v_mov_b32_e32 v6, v5
	v_mov_b32_e32 v7, v5
	v_mov_b32_e32 v8, v5
	v_add_co_ci_u32_e64 v16, null, s11, v4, vcc_lo
	v_add_co_u32 v17, vcc_lo, s10, v1
	v_add_co_ci_u32_e64 v18, null, s11, v2, vcc_lo
	v_mov_b32_e32 v1, v5
	v_mov_b32_e32 v2, v6
	;; [unrolled: 1-line block ×4, first 2 shown]
	s_lshl_b32 s35, s16, 2
	s_mul_i32 s36, s16, 3
	s_mov_b32 s37, s19
	s_mov_b32 s20, s19
	s_mov_b64 s[22:23], s[18:19]
	s_mov_b64 s[24:25], s[16:17]
	s_mov_b32 s17, 0
	s_branch .LBB210_13
.LBB210_12:                             ;   in Loop: Header=BB210_13 Depth=1
	s_or_b32 exec_lo, exec_lo, s7
	s_add_i32 s17, s17, 4
	s_add_u32 s24, s24, s35
	s_addc_u32 s25, s25, 0
	s_add_u32 s22, s22, s35
	s_addc_u32 s23, s23, 0
	;; [unrolled: 2-line block ×3, first 2 shown]
	s_add_i32 s20, s20, s35
	s_cmp_ge_i32 s17, s33
	s_cbranch_scc1 .LBB210_60
.LBB210_13:                             ; =>This Loop Header: Depth=1
                                        ;     Child Loop BB210_44 Depth 2
                                        ;     Child Loop BB210_47 Depth 2
                                        ; implicit-def: $vgpr8
                                        ; implicit-def: $vgpr33
                                        ; implicit-def: $vgpr34
                                        ; implicit-def: $vgpr35
	s_and_saveexec_b32 s7, s3
	s_xor_b32 s7, exec_lo, s7
	s_cbranch_execnz .LBB210_40
; %bb.14:                               ;   in Loop: Header=BB210_13 Depth=1
	s_andn2_saveexec_b32 s18, s7
	s_cbranch_execnz .LBB210_41
.LBB210_15:                             ;   in Loop: Header=BB210_13 Depth=1
	s_or_b32 exec_lo, exec_lo, s18
	s_and_saveexec_b32 s7, s0
.LBB210_16:                             ;   in Loop: Header=BB210_13 Depth=1
	ds_write_b32 v31, v5
.LBB210_17:                             ;   in Loop: Header=BB210_13 Depth=1
	s_or_b32 exec_lo, exec_lo, s7
	ds_bpermute_b32 v6, v26, v35
	s_waitcnt lgkmcnt(0)
	s_waitcnt_vscnt null, 0x0
	s_barrier
	buffer_gl0_inv
	v_add_f32_e32 v6, v35, v6
	ds_bpermute_b32 v7, v27, v6
	s_waitcnt lgkmcnt(0)
	v_add_f32_e32 v6, v6, v7
	ds_bpermute_b32 v7, v28, v6
	s_waitcnt lgkmcnt(0)
	;; [unrolled: 3-line block ×3, first 2 shown]
	v_add_f32_e32 v6, v6, v7
	ds_bpermute_b32 v7, v30, v6
	s_and_saveexec_b32 s7, s5
	s_cbranch_execz .LBB210_19
; %bb.18:                               ;   in Loop: Header=BB210_13 Depth=1
	s_waitcnt lgkmcnt(0)
	v_add_f32_e32 v6, v6, v7
	ds_write_b32 v32, v6
.LBB210_19:                             ;   in Loop: Header=BB210_13 Depth=1
	s_or_b32 exec_lo, exec_lo, s7
	v_mov_b32_e32 v6, 0
	s_waitcnt lgkmcnt(0)
	s_barrier
	buffer_gl0_inv
	s_and_saveexec_b32 s7, s1
	s_cbranch_execnz .LBB210_48
; %bb.20:                               ;   in Loop: Header=BB210_13 Depth=1
	s_or_b32 exec_lo, exec_lo, s7
	s_and_saveexec_b32 s7, s0
	s_cbranch_execnz .LBB210_49
.LBB210_21:                             ;   in Loop: Header=BB210_13 Depth=1
	s_or_b32 exec_lo, exec_lo, s7
	s_and_saveexec_b32 s7, s0
.LBB210_22:                             ;   in Loop: Header=BB210_13 Depth=1
	ds_write_b32 v31, v5
.LBB210_23:                             ;   in Loop: Header=BB210_13 Depth=1
	s_or_b32 exec_lo, exec_lo, s7
	ds_bpermute_b32 v7, v26, v34
	s_waitcnt lgkmcnt(0)
	s_barrier
	buffer_gl0_inv
	v_add_f32_e32 v7, v34, v7
	ds_bpermute_b32 v34, v27, v7
	s_waitcnt lgkmcnt(0)
	v_add_f32_e32 v7, v7, v34
	ds_bpermute_b32 v34, v28, v7
	s_waitcnt lgkmcnt(0)
	;; [unrolled: 3-line block ×3, first 2 shown]
	v_add_f32_e32 v7, v7, v34
	ds_bpermute_b32 v34, v30, v7
	s_and_saveexec_b32 s7, s5
	s_cbranch_execz .LBB210_25
; %bb.24:                               ;   in Loop: Header=BB210_13 Depth=1
	s_waitcnt lgkmcnt(0)
	v_add_f32_e32 v7, v7, v34
	ds_write_b32 v32, v7
.LBB210_25:                             ;   in Loop: Header=BB210_13 Depth=1
	s_or_b32 exec_lo, exec_lo, s7
	v_mov_b32_e32 v7, 0
	s_waitcnt lgkmcnt(0)
	s_barrier
	buffer_gl0_inv
	s_and_saveexec_b32 s7, s1
	s_cbranch_execnz .LBB210_50
; %bb.26:                               ;   in Loop: Header=BB210_13 Depth=1
	s_or_b32 exec_lo, exec_lo, s7
	s_and_saveexec_b32 s7, s0
	s_cbranch_execnz .LBB210_51
.LBB210_27:                             ;   in Loop: Header=BB210_13 Depth=1
	s_or_b32 exec_lo, exec_lo, s7
	s_and_saveexec_b32 s7, s0
.LBB210_28:                             ;   in Loop: Header=BB210_13 Depth=1
	ds_write_b32 v31, v5
.LBB210_29:                             ;   in Loop: Header=BB210_13 Depth=1
	s_or_b32 exec_lo, exec_lo, s7
	ds_bpermute_b32 v34, v26, v33
	s_waitcnt lgkmcnt(0)
	s_barrier
	buffer_gl0_inv
	v_add_f32_e32 v33, v33, v34
	ds_bpermute_b32 v34, v27, v33
	s_waitcnt lgkmcnt(0)
	v_add_f32_e32 v33, v33, v34
	ds_bpermute_b32 v34, v28, v33
	s_waitcnt lgkmcnt(0)
	;; [unrolled: 3-line block ×3, first 2 shown]
	v_add_f32_e32 v33, v33, v34
	ds_bpermute_b32 v34, v30, v33
	s_and_saveexec_b32 s7, s5
	s_cbranch_execz .LBB210_31
; %bb.30:                               ;   in Loop: Header=BB210_13 Depth=1
	s_waitcnt lgkmcnt(0)
	v_add_f32_e32 v33, v33, v34
	ds_write_b32 v32, v33
.LBB210_31:                             ;   in Loop: Header=BB210_13 Depth=1
	s_or_b32 exec_lo, exec_lo, s7
	v_mov_b32_e32 v33, 0
	s_waitcnt lgkmcnt(0)
	s_barrier
	buffer_gl0_inv
	s_and_saveexec_b32 s7, s1
	s_cbranch_execnz .LBB210_52
; %bb.32:                               ;   in Loop: Header=BB210_13 Depth=1
	s_or_b32 exec_lo, exec_lo, s7
	s_and_saveexec_b32 s7, s0
	s_cbranch_execnz .LBB210_53
.LBB210_33:                             ;   in Loop: Header=BB210_13 Depth=1
	s_or_b32 exec_lo, exec_lo, s7
	s_and_saveexec_b32 s7, s0
.LBB210_34:                             ;   in Loop: Header=BB210_13 Depth=1
	ds_write_b32 v31, v5
.LBB210_35:                             ;   in Loop: Header=BB210_13 Depth=1
	s_or_b32 exec_lo, exec_lo, s7
	ds_bpermute_b32 v34, v26, v8
	s_waitcnt lgkmcnt(0)
	s_barrier
	buffer_gl0_inv
	v_add_f32_e32 v8, v8, v34
	ds_bpermute_b32 v34, v27, v8
	s_waitcnt lgkmcnt(0)
	v_add_f32_e32 v8, v8, v34
	ds_bpermute_b32 v34, v28, v8
	s_waitcnt lgkmcnt(0)
	;; [unrolled: 3-line block ×3, first 2 shown]
	v_add_f32_e32 v8, v8, v34
	ds_bpermute_b32 v34, v30, v8
	s_and_saveexec_b32 s7, s5
	s_cbranch_execz .LBB210_37
; %bb.36:                               ;   in Loop: Header=BB210_13 Depth=1
	s_waitcnt lgkmcnt(0)
	v_add_f32_e32 v8, v8, v34
	ds_write_b32 v32, v8
.LBB210_37:                             ;   in Loop: Header=BB210_13 Depth=1
	s_or_b32 exec_lo, exec_lo, s7
	v_mov_b32_e32 v8, 0
	s_waitcnt lgkmcnt(0)
	s_barrier
	buffer_gl0_inv
	s_and_saveexec_b32 s7, s1
	s_cbranch_execnz .LBB210_54
; %bb.38:                               ;   in Loop: Header=BB210_13 Depth=1
	s_or_b32 exec_lo, exec_lo, s7
	s_and_saveexec_b32 s7, s0
	s_cbranch_execnz .LBB210_55
.LBB210_39:                             ;   in Loop: Header=BB210_13 Depth=1
	s_or_b32 exec_lo, exec_lo, s7
	s_and_saveexec_b32 s7, s2
	s_cbranch_execz .LBB210_12
	s_branch .LBB210_56
.LBB210_40:                             ;   in Loop: Header=BB210_13 Depth=1
	s_mul_i32 s8, s17, s16
	s_ashr_i32 s9, s8, 31
	s_add_i32 s26, s8, s16
	s_lshl_b64 s[8:9], s[8:9], 2
	s_ashr_i32 s27, s26, 31
	v_add_co_u32 v2, vcc_lo, v19, s8
	v_add_co_ci_u32_e64 v3, null, s9, v20, vcc_lo
	s_lshl_b64 s[8:9], s[26:27], 2
	s_add_i32 s26, s26, s16
	v_add_co_u32 v6, vcc_lo, v19, s8
	s_ashr_i32 s27, s26, 31
	s_add_i32 s8, s26, s16
	v_add_co_ci_u32_e64 v7, null, s9, v20, vcc_lo
	s_lshl_b64 s[26:27], s[26:27], 2
	s_ashr_i32 s9, s8, 31
	v_add_co_u32 v33, vcc_lo, v19, s26
	s_lshl_b64 s[8:9], s[8:9], 2
	v_add_co_ci_u32_e64 v34, null, s27, v20, vcc_lo
	v_add_co_u32 v47, vcc_lo, v19, s8
	v_add_co_ci_u32_e64 v48, null, s9, v20, vcc_lo
	flat_load_dword v1, v[11:12]
	s_clause 0x3
	flat_load_dwordx4 v[35:38], v[2:3]
	flat_load_dwordx4 v[39:42], v[6:7]
	;; [unrolled: 1-line block ×4, first 2 shown]
	s_clause 0x2
	flat_load_dword v2, v[13:14]
	flat_load_dword v3, v[15:16]
	;; [unrolled: 1-line block ×3, first 2 shown]
	s_waitcnt vmcnt(6) lgkmcnt(6)
	v_fma_f32 v35, v1, v35, 0
	s_waitcnt vmcnt(5) lgkmcnt(5)
	v_fma_f32 v34, v1, v39, 0
	;; [unrolled: 2-line block ×4, first 2 shown]
	s_waitcnt vmcnt(2) lgkmcnt(2)
	v_fmac_f32_e32 v35, v2, v36
	v_fmac_f32_e32 v34, v2, v40
	v_fmac_f32_e32 v33, v2, v44
	v_fmac_f32_e32 v8, v2, v48
	s_waitcnt vmcnt(1) lgkmcnt(1)
	v_fmac_f32_e32 v35, v3, v37
	v_fmac_f32_e32 v34, v3, v41
	v_fmac_f32_e32 v33, v3, v45
	v_fmac_f32_e32 v8, v3, v49
	;; [unrolled: 5-line block ×3, first 2 shown]
	s_andn2_saveexec_b32 s18, s7
	s_cbranch_execz .LBB210_15
.LBB210_41:                             ;   in Loop: Header=BB210_13 Depth=1
	s_waitcnt lgkmcnt(0)
	v_mov_b32_e32 v8, 0
	v_mov_b32_e32 v33, 0
	;; [unrolled: 1-line block ×4, first 2 shown]
	s_and_saveexec_b32 s38, s4
	s_cbranch_execz .LBB210_58
; %bb.42:                               ;   in Loop: Header=BB210_13 Depth=1
	s_andn2_b32 vcc_lo, exec_lo, s34
	s_cbranch_vccnz .LBB210_45
; %bb.43:                               ;   in Loop: Header=BB210_13 Depth=1
	v_mov_b32_e32 v6, v10
	s_mov_b64 s[26:27], 0
	.p2align	6
.LBB210_44:                             ;   Parent Loop BB210_13 Depth=1
                                        ; =>  This Inner Loop Header: Depth=2
	v_ashrrev_i32_e32 v7, 31, v6
	s_cmp_eq_u32 s26, 3
	v_lshlrev_b64 v[7:8], 2, v[6:7]
	v_add_nc_u32_e32 v6, s15, v6
	v_add_co_u32 v7, vcc_lo, s10, v7
	v_add_co_ci_u32_e64 v8, null, s11, v8, vcc_lo
	s_cselect_b32 vcc_lo, -1, 0
	s_cmp_eq_u32 s26, 2
	s_cselect_b32 s7, -1, 0
	flat_load_dword v7, v[7:8]
	s_cmp_eq_u32 s26, 1
	s_cselect_b32 s8, -1, 0
	s_cmp_eq_u32 s26, 0
	s_cselect_b32 s9, -1, 0
	s_add_u32 s26, s26, 1
	s_addc_u32 s27, s27, 0
	s_cmp_eq_u32 s29, s26
	s_waitcnt vmcnt(0) lgkmcnt(0)
	v_cndmask_b32_e32 v4, v4, v7, vcc_lo
	v_cndmask_b32_e64 v3, v3, v7, s7
	v_cndmask_b32_e64 v2, v2, v7, s8
	v_cndmask_b32_e64 v1, v1, v7, s9
	s_cbranch_scc0 .LBB210_44
.LBB210_45:                             ;   in Loop: Header=BB210_13 Depth=1
	s_andn2_b32 vcc_lo, exec_lo, s34
	s_cbranch_vccnz .LBB210_57
; %bb.46:                               ;   in Loop: Header=BB210_13 Depth=1
	s_ashr_i32 s21, s20, 31
	v_mov_b32_e32 v35, 0
	s_lshl_b64 s[8:9], s[20:21], 2
	v_mov_b32_e32 v34, 0
	v_add_co_u32 v6, vcc_lo, v19, s8
	v_add_co_ci_u32_e64 v7, null, s9, v20, vcc_lo
	v_mov_b32_e32 v33, 0
	v_mov_b32_e32 v8, 0
	s_mov_b64 s[8:9], 0
.LBB210_47:                             ;   Parent Loop BB210_13 Depth=1
                                        ; =>  This Inner Loop Header: Depth=2
	s_cmp_eq_u32 s8, 1
	s_cselect_b32 vcc_lo, -1, 0
	s_cmp_eq_u32 s8, 2
	v_cndmask_b32_e32 v36, v1, v2, vcc_lo
	s_cselect_b32 vcc_lo, -1, 0
	s_cmp_eq_u32 s8, 3
	v_cndmask_b32_e32 v42, v36, v3, vcc_lo
	s_cselect_b32 vcc_lo, -1, 0
	s_add_i32 s26, s24, s8
	s_add_i32 s40, s22, s8
	s_ashr_i32 s27, s26, 31
	s_add_i32 s42, s36, s8
	s_ashr_i32 s41, s40, 31
	s_lshl_b64 s[26:27], s[26:27], 2
	s_ashr_i32 s43, s42, 31
	s_lshl_b64 s[40:41], s[40:41], 2
	v_add_co_u32 v36, s7, v19, s26
	s_lshl_b64 s[42:43], s[42:43], 2
	v_add_co_ci_u32_e64 v37, null, s27, v20, s7
	v_add_co_u32 v38, s7, v19, s40
	v_add_co_ci_u32_e64 v39, null, s41, v20, s7
	v_add_co_u32 v40, s7, v19, s42
	v_add_co_ci_u32_e64 v41, null, s43, v20, s7
	flat_load_dword v43, v[6:7]
	s_clause 0x2
	flat_load_dword v36, v[36:37]
	flat_load_dword v37, v[38:39]
	;; [unrolled: 1-line block ×3, first 2 shown]
	v_cndmask_b32_e32 v39, v42, v4, vcc_lo
	v_add_co_u32 v6, s7, v6, 4
	v_add_co_ci_u32_e64 v7, null, 0, v7, s7
	s_add_u32 s8, s8, 1
	s_addc_u32 s9, s9, 0
	s_cmp_lg_u32 s29, s8
	s_waitcnt vmcnt(3) lgkmcnt(3)
	v_fmac_f32_e32 v35, v39, v43
	s_waitcnt vmcnt(2) lgkmcnt(2)
	v_fmac_f32_e32 v34, v39, v36
	;; [unrolled: 2-line block ×4, first 2 shown]
	s_cbranch_scc1 .LBB210_47
	s_branch .LBB210_58
.LBB210_48:                             ;   in Loop: Header=BB210_13 Depth=1
	ds_read_b32 v6, v31
	s_or_b32 exec_lo, exec_lo, s7
	s_and_saveexec_b32 s7, s0
	s_cbranch_execz .LBB210_21
.LBB210_49:                             ;   in Loop: Header=BB210_13 Depth=1
	s_waitcnt lgkmcnt(0)
	ds_bpermute_b32 v7, v28, v6
	s_waitcnt lgkmcnt(0)
	v_add_f32_e32 v6, v6, v7
	ds_bpermute_b32 v7, v29, v6
	s_waitcnt lgkmcnt(0)
	v_add_f32_e32 v6, v6, v7
	;; [unrolled: 3-line block ×3, first 2 shown]
	s_or_b32 exec_lo, exec_lo, s7
	s_and_saveexec_b32 s7, s0
	s_cbranch_execnz .LBB210_22
	s_branch .LBB210_23
.LBB210_50:                             ;   in Loop: Header=BB210_13 Depth=1
	ds_read_b32 v7, v31
	s_or_b32 exec_lo, exec_lo, s7
	s_and_saveexec_b32 s7, s0
	s_cbranch_execz .LBB210_27
.LBB210_51:                             ;   in Loop: Header=BB210_13 Depth=1
	s_waitcnt lgkmcnt(0)
	ds_bpermute_b32 v34, v28, v7
	s_waitcnt lgkmcnt(0)
	v_add_f32_e32 v7, v7, v34
	ds_bpermute_b32 v34, v29, v7
	s_waitcnt lgkmcnt(0)
	v_add_f32_e32 v7, v7, v34
	;; [unrolled: 3-line block ×3, first 2 shown]
	s_or_b32 exec_lo, exec_lo, s7
	s_and_saveexec_b32 s7, s0
	s_cbranch_execnz .LBB210_28
	s_branch .LBB210_29
.LBB210_52:                             ;   in Loop: Header=BB210_13 Depth=1
	ds_read_b32 v33, v31
	s_or_b32 exec_lo, exec_lo, s7
	s_and_saveexec_b32 s7, s0
	s_cbranch_execz .LBB210_33
.LBB210_53:                             ;   in Loop: Header=BB210_13 Depth=1
	s_waitcnt lgkmcnt(0)
	ds_bpermute_b32 v34, v28, v33
	s_waitcnt lgkmcnt(0)
	v_add_f32_e32 v33, v33, v34
	ds_bpermute_b32 v34, v29, v33
	s_waitcnt lgkmcnt(0)
	v_add_f32_e32 v33, v33, v34
	;; [unrolled: 3-line block ×3, first 2 shown]
	s_or_b32 exec_lo, exec_lo, s7
	s_and_saveexec_b32 s7, s0
	s_cbranch_execnz .LBB210_34
	s_branch .LBB210_35
.LBB210_54:                             ;   in Loop: Header=BB210_13 Depth=1
	ds_read_b32 v8, v31
	s_or_b32 exec_lo, exec_lo, s7
	s_and_saveexec_b32 s7, s0
	s_cbranch_execz .LBB210_39
.LBB210_55:                             ;   in Loop: Header=BB210_13 Depth=1
	s_waitcnt lgkmcnt(0)
	ds_bpermute_b32 v34, v28, v8
	s_waitcnt lgkmcnt(0)
	v_add_f32_e32 v8, v8, v34
	ds_bpermute_b32 v34, v29, v8
	s_waitcnt lgkmcnt(0)
	v_add_f32_e32 v8, v8, v34
	;; [unrolled: 3-line block ×3, first 2 shown]
	s_or_b32 exec_lo, exec_lo, s7
	s_and_saveexec_b32 s7, s2
	s_cbranch_execz .LBB210_12
.LBB210_56:                             ;   in Loop: Header=BB210_13 Depth=1
	s_mul_i32 s8, s17, s14
	v_mul_f32_e32 v6, s28, v6
	s_add_i32 s18, s8, s6
	v_mul_f32_e32 v7, s28, v7
	s_lshl_b64 s[8:9], s[18:19], 2
	v_mul_f32_e32 v33, s28, v33
	s_add_u32 s8, s30, s8
	s_addc_u32 s9, s31, s9
	s_add_i32 s18, s18, s14
	global_store_dword v5, v6, s[8:9]
	s_lshl_b64 s[26:27], s[18:19], 2
	s_waitcnt lgkmcnt(0)
	v_mul_f32_e32 v6, s28, v8
	s_add_u32 s26, s30, s26
	s_addc_u32 s27, s31, s27
	s_add_i32 s18, s18, s14
	global_store_dword v5, v7, s[26:27]
	s_lshl_b64 s[38:39], s[18:19], 2
	s_add_u32 s8, s30, s38
	s_addc_u32 s9, s31, s39
	s_add_i32 s18, s18, s14
	s_lshl_b64 s[38:39], s[18:19], 2
	s_add_u32 s26, s30, s38
	s_addc_u32 s27, s31, s39
	global_store_dword v5, v33, s[8:9]
	global_store_dword v5, v6, s[26:27]
	s_branch .LBB210_12
.LBB210_57:                             ;   in Loop: Header=BB210_13 Depth=1
	v_mov_b32_e32 v8, 0
	v_mov_b32_e32 v33, 0
	v_mov_b32_e32 v34, 0
	v_mov_b32_e32 v35, 0
.LBB210_58:                             ;   in Loop: Header=BB210_13 Depth=1
	s_or_b32 exec_lo, exec_lo, s38
	s_or_b32 exec_lo, exec_lo, s18
	s_and_saveexec_b32 s7, s0
	s_cbranch_execnz .LBB210_16
	s_branch .LBB210_17
.LBB210_59:
	v_mov_b32_e32 v1, 0
	s_mov_b32 s17, 0
	v_mov_b32_e32 v2, v1
	v_mov_b32_e32 v3, v1
	v_mov_b32_e32 v4, v1
.LBB210_60:
	s_cmp_ge_i32 s17, s13
	s_cbranch_scc1 .LBB210_84
; %bb.61:
	v_cmp_gt_u32_e32 vcc_lo, 24, v23
	v_cmp_ge_i32_e64 s0, s12, v24
	v_lshl_or_b32 v17, v23, 2, 64
	v_ashrrev_i32_e32 v10, 31, v9
	v_cmp_ge_i32_e64 s1, s12, v25
	v_cndmask_b32_e64 v5, 0, 8, vcc_lo
	v_cmp_gt_u32_e32 vcc_lo, 28, v23
	s_cmp_gt_i32 s29, 0
	v_lshlrev_b64 v[10:11], 2, v[9:10]
	s_mov_b32 s7, 0
	v_add_lshl_u32 v18, v5, v23, 2
	v_cndmask_b32_e64 v6, 0, 4, vcc_lo
	v_cmp_gt_u32_e32 vcc_lo, 30, v23
	v_add_nc_u32_e32 v5, s15, v9
	s_cselect_b32 s12, -1, 0
	v_cmp_gt_u32_e64 s2, 32, v0
	v_add_lshl_u32 v24, v6, v23, 2
	v_cndmask_b32_e64 v7, 0, 2, vcc_lo
	v_cmp_ne_u32_e32 vcc_lo, 31, v23
	v_ashrrev_i32_e32 v6, 31, v5
	v_lshlrev_b32_e32 v16, 2, v21
	v_cmp_eq_u32_e64 s3, 0, v21
	v_and_b32_e32 v21, 28, v22
	s_waitcnt lgkmcnt(0)
	v_add_co_ci_u32_e64 v8, null, 0, v23, vcc_lo
	v_add_lshl_u32 v23, v7, v23, 2
	v_add_nc_u32_e32 v7, s15, v5
	v_lshlrev_b64 v[12:13], 2, v[5:6]
	v_lshlrev_b32_e32 v25, 2, v8
	v_add_co_u32 v5, vcc_lo, s10, v10
	v_add_nc_u32_e32 v14, s15, v7
	v_ashrrev_i32_e32 v8, 31, v7
	v_add_co_ci_u32_e64 v6, null, s11, v11, vcc_lo
	v_cmp_gt_u32_e64 s4, 8, v0
	v_ashrrev_i32_e32 v15, 31, v14
	v_lshlrev_b64 v[10:11], 2, v[7:8]
	v_add_co_u32 v7, vcc_lo, s10, v12
	v_add_co_ci_u32_e64 v8, null, s11, v13, vcc_lo
	v_lshlrev_b64 v[12:13], 2, v[14:15]
	v_add_co_u32 v10, vcc_lo, s10, v10
	v_add_co_ci_u32_e64 v11, null, s11, v11, vcc_lo
	v_cmp_eq_u32_e64 s5, 0, v0
	v_add_co_u32 v12, vcc_lo, s10, v12
	s_lshl_b64 s[8:9], s[6:7], 2
	v_add_co_ci_u32_e64 v13, null, s11, v13, vcc_lo
	v_mov_b32_e32 v0, 0
	s_add_u32 s22, s30, s8
	s_addc_u32 s23, s31, s9
	s_mul_i32 s18, s17, s16
	s_branch .LBB210_63
.LBB210_62:                             ;   in Loop: Header=BB210_63 Depth=1
	s_or_b32 exec_lo, exec_lo, s6
	s_add_i32 s17, s17, 1
	s_add_i32 s18, s18, s16
	s_cmp_ge_i32 s17, s13
	s_cbranch_scc1 .LBB210_84
.LBB210_63:                             ; =>This Loop Header: Depth=1
                                        ;     Child Loop BB210_76 Depth 2
                                        ;     Child Loop BB210_79 Depth 2
	v_mov_b32_e32 v22, s7
	s_and_saveexec_b32 s6, s0
	s_xor_b32 s6, exec_lo, s6
	s_cbranch_execnz .LBB210_72
; %bb.64:                               ;   in Loop: Header=BB210_63 Depth=1
	s_andn2_saveexec_b32 s24, s6
	s_cbranch_execnz .LBB210_73
.LBB210_65:                             ;   in Loop: Header=BB210_63 Depth=1
	s_or_b32 exec_lo, exec_lo, s24
	s_and_saveexec_b32 s6, s2
.LBB210_66:                             ;   in Loop: Header=BB210_63 Depth=1
	ds_write_b32 v16, v0
.LBB210_67:                             ;   in Loop: Header=BB210_63 Depth=1
	s_or_b32 exec_lo, exec_lo, s6
	s_waitcnt lgkmcnt(0)
	ds_bpermute_b32 v14, v17, v22
	s_waitcnt lgkmcnt(0)
	s_waitcnt_vscnt null, 0x0
	s_barrier
	buffer_gl0_inv
	v_add_f32_e32 v14, v22, v14
	ds_bpermute_b32 v15, v18, v14
	s_waitcnt lgkmcnt(0)
	v_add_f32_e32 v14, v14, v15
	ds_bpermute_b32 v15, v24, v14
	s_waitcnt lgkmcnt(0)
	;; [unrolled: 3-line block ×3, first 2 shown]
	v_add_f32_e32 v14, v14, v15
	ds_bpermute_b32 v15, v25, v14
	s_and_saveexec_b32 s6, s3
	s_cbranch_execz .LBB210_69
; %bb.68:                               ;   in Loop: Header=BB210_63 Depth=1
	s_waitcnt lgkmcnt(0)
	v_add_f32_e32 v14, v14, v15
	ds_write_b32 v21, v14
.LBB210_69:                             ;   in Loop: Header=BB210_63 Depth=1
	s_or_b32 exec_lo, exec_lo, s6
	v_mov_b32_e32 v14, 0
	s_waitcnt lgkmcnt(0)
	s_barrier
	buffer_gl0_inv
	s_and_saveexec_b32 s6, s4
	s_cbranch_execnz .LBB210_81
; %bb.70:                               ;   in Loop: Header=BB210_63 Depth=1
	s_or_b32 exec_lo, exec_lo, s6
	s_and_saveexec_b32 s6, s2
	s_cbranch_execnz .LBB210_82
.LBB210_71:                             ;   in Loop: Header=BB210_63 Depth=1
	s_or_b32 exec_lo, exec_lo, s6
	s_and_saveexec_b32 s6, s5
	s_cbranch_execz .LBB210_62
	s_branch .LBB210_83
.LBB210_72:                             ;   in Loop: Header=BB210_63 Depth=1
	s_mul_i32 s8, s17, s16
	s_ashr_i32 s9, s8, 31
	s_lshl_b64 s[8:9], s[8:9], 2
	v_add_co_u32 v1, vcc_lo, v19, s8
	v_add_co_ci_u32_e64 v2, null, s9, v20, vcc_lo
	flat_load_dwordx4 v[26:29], v[1:2]
	s_clause 0x3
	flat_load_dword v1, v[5:6]
	flat_load_dword v2, v[7:8]
	;; [unrolled: 1-line block ×4, first 2 shown]
	s_waitcnt vmcnt(3) lgkmcnt(3)
	v_fma_f32 v22, v1, v26, 0
	s_waitcnt vmcnt(2) lgkmcnt(2)
	v_fmac_f32_e32 v22, v2, v27
	s_waitcnt vmcnt(1) lgkmcnt(1)
	v_fmac_f32_e32 v22, v3, v28
	;; [unrolled: 2-line block ×3, first 2 shown]
	s_andn2_saveexec_b32 s24, s6
	s_cbranch_execz .LBB210_65
.LBB210_73:                             ;   in Loop: Header=BB210_63 Depth=1
	s_and_saveexec_b32 s25, s1
	s_cbranch_execz .LBB210_80
; %bb.74:                               ;   in Loop: Header=BB210_63 Depth=1
	s_andn2_b32 vcc_lo, exec_lo, s12
	s_cbranch_vccnz .LBB210_77
; %bb.75:                               ;   in Loop: Header=BB210_63 Depth=1
	s_waitcnt lgkmcnt(0)
	v_mov_b32_e32 v14, v9
	s_mov_b64 s[20:21], 0
	.p2align	6
.LBB210_76:                             ;   Parent Loop BB210_63 Depth=1
                                        ; =>  This Inner Loop Header: Depth=2
	v_ashrrev_i32_e32 v15, 31, v14
	s_cmp_eq_u32 s20, 3
	v_lshlrev_b64 v[26:27], 2, v[14:15]
	v_add_nc_u32_e32 v14, s15, v14
	v_add_co_u32 v26, vcc_lo, s10, v26
	v_add_co_ci_u32_e64 v27, null, s11, v27, vcc_lo
	s_cselect_b32 vcc_lo, -1, 0
	s_cmp_eq_u32 s20, 2
	s_cselect_b32 s6, -1, 0
	flat_load_dword v15, v[26:27]
	s_cmp_eq_u32 s20, 1
	s_cselect_b32 s8, -1, 0
	s_cmp_eq_u32 s20, 0
	s_cselect_b32 s9, -1, 0
	s_add_u32 s20, s20, 1
	s_addc_u32 s21, s21, 0
	s_cmp_eq_u32 s29, s20
	s_waitcnt vmcnt(0) lgkmcnt(0)
	v_cndmask_b32_e32 v4, v4, v15, vcc_lo
	v_cndmask_b32_e64 v3, v3, v15, s6
	v_cndmask_b32_e64 v2, v2, v15, s8
	;; [unrolled: 1-line block ×3, first 2 shown]
	s_cbranch_scc0 .LBB210_76
.LBB210_77:                             ;   in Loop: Header=BB210_63 Depth=1
	s_andn2_b32 vcc_lo, exec_lo, s12
	s_cbranch_vccnz .LBB210_80
; %bb.78:                               ;   in Loop: Header=BB210_63 Depth=1
	s_ashr_i32 s19, s18, 31
	s_lshl_b64 s[8:9], s[18:19], 2
	s_waitcnt lgkmcnt(0)
	v_add_co_u32 v14, vcc_lo, v19, s8
	v_add_co_ci_u32_e64 v15, null, s9, v20, vcc_lo
	s_mov_b64 s[8:9], 0
	.p2align	6
.LBB210_79:                             ;   Parent Loop BB210_63 Depth=1
                                        ; =>  This Inner Loop Header: Depth=2
	flat_load_dword v26, v[14:15]
	s_cmp_eq_u32 s8, 1
	s_cselect_b32 vcc_lo, -1, 0
	s_cmp_eq_u32 s8, 2
	v_cndmask_b32_e32 v27, v1, v2, vcc_lo
	s_cselect_b32 vcc_lo, -1, 0
	s_cmp_eq_u32 s8, 3
	v_cndmask_b32_e32 v27, v27, v3, vcc_lo
	s_cselect_b32 vcc_lo, -1, 0
	s_add_u32 s8, s8, 1
	s_addc_u32 s9, s9, 0
	s_cmp_lg_u32 s29, s8
	v_cndmask_b32_e32 v27, v27, v4, vcc_lo
	v_add_co_u32 v14, vcc_lo, v14, 4
	v_add_co_ci_u32_e64 v15, null, 0, v15, vcc_lo
	s_waitcnt vmcnt(0) lgkmcnt(0)
	v_fmac_f32_e32 v22, v27, v26
	s_cbranch_scc1 .LBB210_79
.LBB210_80:                             ;   in Loop: Header=BB210_63 Depth=1
	s_or_b32 exec_lo, exec_lo, s25
	s_or_b32 exec_lo, exec_lo, s24
	s_and_saveexec_b32 s6, s2
	s_cbranch_execnz .LBB210_66
	s_branch .LBB210_67
.LBB210_81:                             ;   in Loop: Header=BB210_63 Depth=1
	ds_read_b32 v14, v16
	s_or_b32 exec_lo, exec_lo, s6
	s_and_saveexec_b32 s6, s2
	s_cbranch_execz .LBB210_71
.LBB210_82:                             ;   in Loop: Header=BB210_63 Depth=1
	s_waitcnt lgkmcnt(0)
	ds_bpermute_b32 v15, v24, v14
	s_waitcnt lgkmcnt(0)
	v_add_f32_e32 v14, v14, v15
	ds_bpermute_b32 v15, v23, v14
	s_waitcnt lgkmcnt(0)
	v_add_f32_e32 v14, v14, v15
	;; [unrolled: 3-line block ×3, first 2 shown]
	s_or_b32 exec_lo, exec_lo, s6
	s_and_saveexec_b32 s6, s5
	s_cbranch_execz .LBB210_62
.LBB210_83:                             ;   in Loop: Header=BB210_63 Depth=1
	s_mul_hi_u32 s9, s17, s14
	s_mul_i32 s8, s17, s14
	s_waitcnt lgkmcnt(0)
	v_mul_f32_e32 v14, s28, v14
	s_lshl_b64 s[8:9], s[8:9], 2
	s_add_u32 s8, s22, s8
	s_addc_u32 s9, s23, s9
	global_store_dword v0, v14, s[8:9]
	s_branch .LBB210_62
.LBB210_84:
	s_endpgm
	.section	.rodata,"a",@progbits
	.p2align	6, 0x0
	.amdhsa_kernel _ZL23rocblas_gemvt_sn_kernelILb0ELi256ELi4EiPKfS1_fEviiT4_lPKT3_lilS5_lilPT5_i
		.amdhsa_group_segment_fixed_size 128
		.amdhsa_private_segment_fixed_size 0
		.amdhsa_kernarg_size 360
		.amdhsa_user_sgpr_count 6
		.amdhsa_user_sgpr_private_segment_buffer 1
		.amdhsa_user_sgpr_dispatch_ptr 0
		.amdhsa_user_sgpr_queue_ptr 0
		.amdhsa_user_sgpr_kernarg_segment_ptr 1
		.amdhsa_user_sgpr_dispatch_id 0
		.amdhsa_user_sgpr_flat_scratch_init 0
		.amdhsa_user_sgpr_private_segment_size 0
		.amdhsa_wavefront_size32 1
		.amdhsa_uses_dynamic_stack 0
		.amdhsa_system_sgpr_private_segment_wavefront_offset 0
		.amdhsa_system_sgpr_workgroup_id_x 1
		.amdhsa_system_sgpr_workgroup_id_y 0
		.amdhsa_system_sgpr_workgroup_id_z 1
		.amdhsa_system_sgpr_workgroup_info 0
		.amdhsa_system_vgpr_workitem_id 0
		.amdhsa_next_free_vgpr 51
		.amdhsa_next_free_sgpr 44
		.amdhsa_reserve_vcc 1
		.amdhsa_reserve_flat_scratch 1
		.amdhsa_float_round_mode_32 0
		.amdhsa_float_round_mode_16_64 0
		.amdhsa_float_denorm_mode_32 3
		.amdhsa_float_denorm_mode_16_64 3
		.amdhsa_dx10_clamp 1
		.amdhsa_ieee_mode 1
		.amdhsa_fp16_overflow 0
		.amdhsa_workgroup_processor_mode 1
		.amdhsa_memory_ordered 1
		.amdhsa_forward_progress 1
		.amdhsa_shared_vgpr_count 0
		.amdhsa_exception_fp_ieee_invalid_op 0
		.amdhsa_exception_fp_denorm_src 0
		.amdhsa_exception_fp_ieee_div_zero 0
		.amdhsa_exception_fp_ieee_overflow 0
		.amdhsa_exception_fp_ieee_underflow 0
		.amdhsa_exception_fp_ieee_inexact 0
		.amdhsa_exception_int_div_zero 0
	.end_amdhsa_kernel
	.section	.text._ZL23rocblas_gemvt_sn_kernelILb0ELi256ELi4EiPKfS1_fEviiT4_lPKT3_lilS5_lilPT5_i,"axG",@progbits,_ZL23rocblas_gemvt_sn_kernelILb0ELi256ELi4EiPKfS1_fEviiT4_lPKT3_lilS5_lilPT5_i,comdat
.Lfunc_end210:
	.size	_ZL23rocblas_gemvt_sn_kernelILb0ELi256ELi4EiPKfS1_fEviiT4_lPKT3_lilS5_lilPT5_i, .Lfunc_end210-_ZL23rocblas_gemvt_sn_kernelILb0ELi256ELi4EiPKfS1_fEviiT4_lPKT3_lilS5_lilPT5_i
                                        ; -- End function
	.set _ZL23rocblas_gemvt_sn_kernelILb0ELi256ELi4EiPKfS1_fEviiT4_lPKT3_lilS5_lilPT5_i.num_vgpr, 51
	.set _ZL23rocblas_gemvt_sn_kernelILb0ELi256ELi4EiPKfS1_fEviiT4_lPKT3_lilS5_lilPT5_i.num_agpr, 0
	.set _ZL23rocblas_gemvt_sn_kernelILb0ELi256ELi4EiPKfS1_fEviiT4_lPKT3_lilS5_lilPT5_i.numbered_sgpr, 44
	.set _ZL23rocblas_gemvt_sn_kernelILb0ELi256ELi4EiPKfS1_fEviiT4_lPKT3_lilS5_lilPT5_i.num_named_barrier, 0
	.set _ZL23rocblas_gemvt_sn_kernelILb0ELi256ELi4EiPKfS1_fEviiT4_lPKT3_lilS5_lilPT5_i.private_seg_size, 0
	.set _ZL23rocblas_gemvt_sn_kernelILb0ELi256ELi4EiPKfS1_fEviiT4_lPKT3_lilS5_lilPT5_i.uses_vcc, 1
	.set _ZL23rocblas_gemvt_sn_kernelILb0ELi256ELi4EiPKfS1_fEviiT4_lPKT3_lilS5_lilPT5_i.uses_flat_scratch, 1
	.set _ZL23rocblas_gemvt_sn_kernelILb0ELi256ELi4EiPKfS1_fEviiT4_lPKT3_lilS5_lilPT5_i.has_dyn_sized_stack, 0
	.set _ZL23rocblas_gemvt_sn_kernelILb0ELi256ELi4EiPKfS1_fEviiT4_lPKT3_lilS5_lilPT5_i.has_recursion, 0
	.set _ZL23rocblas_gemvt_sn_kernelILb0ELi256ELi4EiPKfS1_fEviiT4_lPKT3_lilS5_lilPT5_i.has_indirect_call, 0
	.section	.AMDGPU.csdata,"",@progbits
; Kernel info:
; codeLenInByte = 4072
; TotalNumSgprs: 46
; NumVgprs: 51
; ScratchSize: 0
; MemoryBound: 0
; FloatMode: 240
; IeeeMode: 1
; LDSByteSize: 128 bytes/workgroup (compile time only)
; SGPRBlocks: 0
; VGPRBlocks: 6
; NumSGPRsForWavesPerEU: 46
; NumVGPRsForWavesPerEU: 51
; Occupancy: 16
; WaveLimiterHint : 0
; COMPUTE_PGM_RSRC2:SCRATCH_EN: 0
; COMPUTE_PGM_RSRC2:USER_SGPR: 6
; COMPUTE_PGM_RSRC2:TRAP_HANDLER: 0
; COMPUTE_PGM_RSRC2:TGID_X_EN: 1
; COMPUTE_PGM_RSRC2:TGID_Y_EN: 0
; COMPUTE_PGM_RSRC2:TGID_Z_EN: 1
; COMPUTE_PGM_RSRC2:TIDIG_COMP_CNT: 0
	.section	.text._ZL23rocblas_gemvt_sn_kernelILb0ELi256ELi4ElPKfS1_fEviiT4_lPKT3_lilS5_lilPT5_i,"axG",@progbits,_ZL23rocblas_gemvt_sn_kernelILb0ELi256ELi4ElPKfS1_fEviiT4_lPKT3_lilS5_lilPT5_i,comdat
	.globl	_ZL23rocblas_gemvt_sn_kernelILb0ELi256ELi4ElPKfS1_fEviiT4_lPKT3_lilS5_lilPT5_i ; -- Begin function _ZL23rocblas_gemvt_sn_kernelILb0ELi256ELi4ElPKfS1_fEviiT4_lPKT3_lilS5_lilPT5_i
	.p2align	8
	.type	_ZL23rocblas_gemvt_sn_kernelILb0ELi256ELi4ElPKfS1_fEviiT4_lPKT3_lilS5_lilPT5_i,@function
_ZL23rocblas_gemvt_sn_kernelILb0ELi256ELi4ElPKfS1_fEviiT4_lPKT3_lilS5_lilPT5_i: ; @_ZL23rocblas_gemvt_sn_kernelILb0ELi256ELi4ElPKfS1_fEviiT4_lPKT3_lilS5_lilPT5_i
; %bb.0:
	s_load_dwordx8 s[8:15], s[4:5], 0x8
	s_mov_b32 s0, s7
	s_mov_b64 s[20:21], 0
	s_mov_b64 s[18:19], 0
	s_waitcnt lgkmcnt(0)
	s_mul_i32 s1, s11, s7
	s_mul_hi_u32 s2, s10, s7
	s_add_i32 s3, s2, s1
	s_mul_i32 s2, s10, s7
	s_mov_b32 s1, 0
	s_lshl_b64 s[2:3], s[2:3], 2
	s_add_u32 s2, s8, s2
	s_addc_u32 s3, s9, s3
	s_load_dword s33, s[2:3], 0x0
	s_waitcnt lgkmcnt(0)
	v_cmp_eq_f32_e64 s2, s33, 0
	v_cmp_neq_f32_e64 s3, s33, 0
	s_and_b32 vcc_lo, exec_lo, s2
	s_cbranch_vccnz .LBB211_2
; %bb.1:
	s_lshl_b64 s[8:9], s[0:1], 3
	s_add_u32 s8, s12, s8
	s_addc_u32 s9, s13, s9
	s_lshl_b64 s[10:11], s[14:15], 2
	s_load_dwordx2 s[8:9], s[8:9], 0x0
	s_waitcnt lgkmcnt(0)
	s_add_u32 s18, s8, s10
	s_addc_u32 s19, s9, s11
.LBB211_2:
	s_andn2_b32 vcc_lo, exec_lo, s3
	s_cbranch_vccnz .LBB211_4
; %bb.3:
	s_load_dwordx4 s[8:11], s[4:5], 0x38
	s_lshl_b64 s[12:13], s[0:1], 3
	s_waitcnt lgkmcnt(0)
	s_add_u32 s8, s8, s12
	s_addc_u32 s9, s9, s13
	s_lshl_b64 s[10:11], s[10:11], 2
	s_load_dwordx2 s[8:9], s[8:9], 0x0
	s_waitcnt lgkmcnt(0)
	s_add_u32 s20, s8, s10
	s_addc_u32 s21, s9, s11
.LBB211_4:
	s_clause 0x2
	s_load_dwordx2 s[12:13], s[4:5], 0x0
	s_load_dword s14, s[4:5], 0x68
	s_load_dwordx2 s[10:11], s[4:5], 0x58
	s_mov_b32 s15, 0
	s_waitcnt lgkmcnt(0)
	s_ashr_i32 s8, s13, 31
	s_mul_hi_u32 s1, s13, s0
	s_mul_i32 s3, s8, s0
	s_mul_i32 s0, s13, s0
	s_add_i32 s1, s1, s3
	s_mul_hi_u32 s3, s0, s14
	s_mul_i32 s1, s1, s14
	s_mul_i32 s0, s0, s14
	s_add_i32 s1, s3, s1
	s_lshl_b64 s[0:1], s[0:1], 2
	s_add_u32 s36, s10, s0
	s_addc_u32 s37, s11, s1
	s_andn2_b32 vcc_lo, exec_lo, s2
	s_mov_b32 s0, -1
	s_cbranch_vccnz .LBB211_9
; %bb.5:
	v_cmp_eq_u32_e32 vcc_lo, 0, v0
	s_cmp_gt_i32 s13, 0
	s_cselect_b32 s0, -1, 0
	s_and_b32 s0, vcc_lo, s0
	s_and_saveexec_b32 s9, s0
	s_cbranch_execz .LBB211_8
; %bb.6:
	s_mov_b32 s7, 0
	v_mov_b32_e32 v1, 0
	s_lshl_b64 s[0:1], s[6:7], 2
	s_mov_b32 s7, s13
	s_add_u32 s0, s36, s0
	s_addc_u32 s1, s37, s1
	s_lshl_b64 s[2:3], s[14:15], 2
.LBB211_7:                              ; =>This Inner Loop Header: Depth=1
	s_add_i32 s7, s7, -1
	global_store_dword v1, v1, s[0:1]
	s_add_u32 s0, s0, s2
	s_addc_u32 s1, s1, s3
	s_cmp_eq_u32 s7, 0
	s_cbranch_scc0 .LBB211_7
.LBB211_8:
	s_or_b32 exec_lo, exec_lo, s9
	s_mov_b32 s0, 0
.LBB211_9:
	s_andn2_b32 vcc_lo, exec_lo, s0
	s_cbranch_vccnz .LBB211_84
; %bb.10:
	s_lshl_b32 s0, s6, 10
	s_clause 0x1
	s_load_dword s16, s[4:5], 0x28
	s_load_dword s22, s[4:5], 0x48
	v_lshl_or_b32 v13, v0, 2, s0
	s_ashr_i32 s0, s12, 31
	s_lshr_b32 s1, s8, 30
	s_lshr_b32 s0, s0, 30
	s_add_i32 s1, s13, s1
	v_ashrrev_i32_e32 v14, 31, v13
	s_add_i32 s0, s12, s0
	s_and_b32 s38, s1, -4
	s_and_b32 s0, s0, -4
	v_add_nc_u32_e32 v30, 4, v13
	v_lshlrev_b64 v[11:12], 2, v[13:14]
	s_sub_i32 s15, s12, s0
	v_and_b32_e32 v27, 31, v0
	v_add_nc_u32_e32 v31, s15, v13
	v_cmp_gt_u32_e64 s0, 32, v0
	v_mbcnt_lo_u32_b32 v29, -1, 0
	v_add_co_u32 v9, vcc_lo, s18, v11
	v_add_co_ci_u32_e64 v10, null, s19, v12, vcc_lo
	v_cmp_gt_u32_e64 s1, 8, v0
	v_lshrrev_b32_e32 v28, 3, v0
	v_cmp_eq_u32_e64 s2, 0, v0
	v_or_b32_e32 v26, 1, v13
	v_or_b32_e32 v25, 2, v13
	;; [unrolled: 1-line block ×3, first 2 shown]
	s_waitcnt lgkmcnt(0)
	s_ashr_i32 s17, s16, 31
	s_ashr_i32 s23, s22, 31
	s_cmp_lt_i32 s38, 1
	s_cbranch_scc1 .LBB211_59
; %bb.11:
	v_cmp_gt_u32_e32 vcc_lo, 24, v29
	v_mad_i64_i32 v[5:6], null, s22, v25, 0
	v_mad_i64_i32 v[7:8], null, s22, v24, 0
	v_cndmask_b32_e64 v1, 0, 8, vcc_lo
	v_cmp_gt_u32_e32 vcc_lo, 28, v29
	s_cmp_gt_i32 s15, 0
	s_mov_b32 s7, 0
	v_mov_b32_e32 v23, v10
	v_add_lshl_u32 v33, v1, v29, 2
	v_cndmask_b32_e64 v2, 0, 4, vcc_lo
	v_cmp_gt_u32_e32 vcc_lo, 30, v29
	v_cmp_ge_i32_e64 s3, s12, v30
	v_cmp_ge_i32_e64 s4, s12, v31
	s_cselect_b32 s39, -1, 0
	v_add_lshl_u32 v34, v2, v29, 2
	v_cndmask_b32_e64 v3, 0, 2, vcc_lo
	v_cmp_ne_u32_e32 vcc_lo, 31, v29
	v_mad_i64_i32 v[1:2], null, s22, v13, 0
	v_lshl_or_b32 v32, v29, 2, 64
	v_add_lshl_u32 v35, v3, v29, 2
	v_add_co_ci_u32_e64 v4, null, 0, v29, vcc_lo
	v_cmp_eq_u32_e64 s5, 0, v27
	v_lshlrev_b32_e32 v37, 2, v27
	v_lshlrev_b64 v[1:2], 2, v[1:2]
	v_lshlrev_b32_e32 v36, 2, v4
	v_mad_i64_i32 v[3:4], null, s22, v26, 0
	s_lshl_b64 s[8:9], s[6:7], 2
	v_and_b32_e32 v38, 28, v28
	v_add_co_u32 v14, vcc_lo, s20, v1
	v_add_co_ci_u32_e64 v15, null, s21, v2, vcc_lo
	v_lshlrev_b64 v[3:4], 2, v[3:4]
	v_lshlrev_b64 v[1:2], 2, v[5:6]
	v_mov_b32_e32 v5, 0
	v_mov_b32_e32 v22, v9
	s_add_u32 s40, s36, s8
	s_addc_u32 s41, s37, s9
	v_add_co_u32 v16, vcc_lo, s20, v3
	v_add_co_ci_u32_e64 v17, null, s21, v4, vcc_lo
	v_lshlrev_b64 v[3:4], 2, v[7:8]
	v_add_co_u32 v18, vcc_lo, s20, v1
	v_mov_b32_e32 v6, v5
	v_mov_b32_e32 v7, v5
	;; [unrolled: 1-line block ×3, first 2 shown]
	v_add_co_ci_u32_e64 v19, null, s21, v2, vcc_lo
	v_add_co_u32 v20, vcc_lo, s20, v3
	v_add_co_ci_u32_e64 v21, null, s21, v4, vcc_lo
	v_mov_b32_e32 v1, v5
	v_mov_b32_e32 v2, v6
	;; [unrolled: 1-line block ×4, first 2 shown]
	s_lshl_b64 s[24:25], s[22:23], 2
	s_mul_hi_i32 s42, s16, 12
	s_mul_i32 s43, s16, 12
	s_lshl_b64 s[26:27], s[16:17], 4
	s_lshl_b64 s[28:29], s[16:17], 3
	;; [unrolled: 1-line block ×3, first 2 shown]
	s_branch .LBB211_13
.LBB211_12:                             ;   in Loop: Header=BB211_13 Depth=1
	s_or_b32 exec_lo, exec_lo, s8
	v_add_co_u32 v22, vcc_lo, v22, s26
	v_add_co_ci_u32_e64 v23, null, s27, v23, vcc_lo
	s_add_i32 s7, s7, 4
	s_cmp_ge_i32 s7, s38
	s_cbranch_scc1 .LBB211_60
.LBB211_13:                             ; =>This Loop Header: Depth=1
                                        ;     Child Loop BB211_44 Depth 2
                                        ;     Child Loop BB211_47 Depth 2
                                        ; implicit-def: $vgpr8
                                        ; implicit-def: $vgpr39
                                        ; implicit-def: $vgpr40
                                        ; implicit-def: $vgpr41
	s_and_saveexec_b32 s8, s3
	s_xor_b32 s8, exec_lo, s8
	s_cbranch_execnz .LBB211_40
; %bb.14:                               ;   in Loop: Header=BB211_13 Depth=1
	s_andn2_saveexec_b32 s44, s8
	s_cbranch_execnz .LBB211_41
.LBB211_15:                             ;   in Loop: Header=BB211_13 Depth=1
	s_or_b32 exec_lo, exec_lo, s44
	s_and_saveexec_b32 s8, s0
.LBB211_16:                             ;   in Loop: Header=BB211_13 Depth=1
	ds_write_b32 v37, v5
.LBB211_17:                             ;   in Loop: Header=BB211_13 Depth=1
	s_or_b32 exec_lo, exec_lo, s8
	ds_bpermute_b32 v6, v32, v41
	s_waitcnt lgkmcnt(0)
	s_waitcnt_vscnt null, 0x0
	s_barrier
	buffer_gl0_inv
	v_add_f32_e32 v6, v41, v6
	ds_bpermute_b32 v7, v33, v6
	s_waitcnt lgkmcnt(0)
	v_add_f32_e32 v6, v6, v7
	ds_bpermute_b32 v7, v34, v6
	s_waitcnt lgkmcnt(0)
	;; [unrolled: 3-line block ×3, first 2 shown]
	v_add_f32_e32 v6, v6, v7
	ds_bpermute_b32 v7, v36, v6
	s_and_saveexec_b32 s8, s5
	s_cbranch_execz .LBB211_19
; %bb.18:                               ;   in Loop: Header=BB211_13 Depth=1
	s_waitcnt lgkmcnt(0)
	v_add_f32_e32 v6, v6, v7
	ds_write_b32 v38, v6
.LBB211_19:                             ;   in Loop: Header=BB211_13 Depth=1
	s_or_b32 exec_lo, exec_lo, s8
	v_mov_b32_e32 v6, 0
	s_waitcnt lgkmcnt(0)
	s_barrier
	buffer_gl0_inv
	s_and_saveexec_b32 s8, s1
	s_cbranch_execnz .LBB211_48
; %bb.20:                               ;   in Loop: Header=BB211_13 Depth=1
	s_or_b32 exec_lo, exec_lo, s8
	s_and_saveexec_b32 s8, s0
	s_cbranch_execnz .LBB211_49
.LBB211_21:                             ;   in Loop: Header=BB211_13 Depth=1
	s_or_b32 exec_lo, exec_lo, s8
	s_and_saveexec_b32 s8, s0
.LBB211_22:                             ;   in Loop: Header=BB211_13 Depth=1
	ds_write_b32 v37, v5
.LBB211_23:                             ;   in Loop: Header=BB211_13 Depth=1
	s_or_b32 exec_lo, exec_lo, s8
	ds_bpermute_b32 v7, v32, v40
	s_waitcnt lgkmcnt(0)
	s_barrier
	buffer_gl0_inv
	v_add_f32_e32 v7, v40, v7
	ds_bpermute_b32 v40, v33, v7
	s_waitcnt lgkmcnt(0)
	v_add_f32_e32 v7, v7, v40
	ds_bpermute_b32 v40, v34, v7
	s_waitcnt lgkmcnt(0)
	;; [unrolled: 3-line block ×3, first 2 shown]
	v_add_f32_e32 v7, v7, v40
	ds_bpermute_b32 v40, v36, v7
	s_and_saveexec_b32 s8, s5
	s_cbranch_execz .LBB211_25
; %bb.24:                               ;   in Loop: Header=BB211_13 Depth=1
	s_waitcnt lgkmcnt(0)
	v_add_f32_e32 v7, v7, v40
	ds_write_b32 v38, v7
.LBB211_25:                             ;   in Loop: Header=BB211_13 Depth=1
	s_or_b32 exec_lo, exec_lo, s8
	v_mov_b32_e32 v7, 0
	s_waitcnt lgkmcnt(0)
	s_barrier
	buffer_gl0_inv
	s_and_saveexec_b32 s8, s1
	s_cbranch_execnz .LBB211_50
; %bb.26:                               ;   in Loop: Header=BB211_13 Depth=1
	s_or_b32 exec_lo, exec_lo, s8
	s_and_saveexec_b32 s8, s0
	s_cbranch_execnz .LBB211_51
.LBB211_27:                             ;   in Loop: Header=BB211_13 Depth=1
	s_or_b32 exec_lo, exec_lo, s8
	s_and_saveexec_b32 s8, s0
.LBB211_28:                             ;   in Loop: Header=BB211_13 Depth=1
	ds_write_b32 v37, v5
.LBB211_29:                             ;   in Loop: Header=BB211_13 Depth=1
	s_or_b32 exec_lo, exec_lo, s8
	ds_bpermute_b32 v40, v32, v39
	s_waitcnt lgkmcnt(0)
	s_barrier
	buffer_gl0_inv
	v_add_f32_e32 v39, v39, v40
	ds_bpermute_b32 v40, v33, v39
	s_waitcnt lgkmcnt(0)
	v_add_f32_e32 v39, v39, v40
	ds_bpermute_b32 v40, v34, v39
	s_waitcnt lgkmcnt(0)
	v_add_f32_e32 v39, v39, v40
	ds_bpermute_b32 v40, v35, v39
	s_waitcnt lgkmcnt(0)
	v_add_f32_e32 v39, v39, v40
	ds_bpermute_b32 v40, v36, v39
	s_and_saveexec_b32 s8, s5
	s_cbranch_execz .LBB211_31
; %bb.30:                               ;   in Loop: Header=BB211_13 Depth=1
	s_waitcnt lgkmcnt(0)
	v_add_f32_e32 v39, v39, v40
	ds_write_b32 v38, v39
.LBB211_31:                             ;   in Loop: Header=BB211_13 Depth=1
	s_or_b32 exec_lo, exec_lo, s8
	v_mov_b32_e32 v39, 0
	s_waitcnt lgkmcnt(0)
	s_barrier
	buffer_gl0_inv
	s_and_saveexec_b32 s8, s1
	s_cbranch_execnz .LBB211_52
; %bb.32:                               ;   in Loop: Header=BB211_13 Depth=1
	s_or_b32 exec_lo, exec_lo, s8
	s_and_saveexec_b32 s8, s0
	s_cbranch_execnz .LBB211_53
.LBB211_33:                             ;   in Loop: Header=BB211_13 Depth=1
	s_or_b32 exec_lo, exec_lo, s8
	s_and_saveexec_b32 s8, s0
.LBB211_34:                             ;   in Loop: Header=BB211_13 Depth=1
	ds_write_b32 v37, v5
.LBB211_35:                             ;   in Loop: Header=BB211_13 Depth=1
	s_or_b32 exec_lo, exec_lo, s8
	ds_bpermute_b32 v40, v32, v8
	s_waitcnt lgkmcnt(0)
	s_barrier
	buffer_gl0_inv
	v_add_f32_e32 v8, v8, v40
	ds_bpermute_b32 v40, v33, v8
	s_waitcnt lgkmcnt(0)
	v_add_f32_e32 v8, v8, v40
	ds_bpermute_b32 v40, v34, v8
	s_waitcnt lgkmcnt(0)
	;; [unrolled: 3-line block ×3, first 2 shown]
	v_add_f32_e32 v8, v8, v40
	ds_bpermute_b32 v40, v36, v8
	s_and_saveexec_b32 s8, s5
	s_cbranch_execz .LBB211_37
; %bb.36:                               ;   in Loop: Header=BB211_13 Depth=1
	s_waitcnt lgkmcnt(0)
	v_add_f32_e32 v8, v8, v40
	ds_write_b32 v38, v8
.LBB211_37:                             ;   in Loop: Header=BB211_13 Depth=1
	s_or_b32 exec_lo, exec_lo, s8
	v_mov_b32_e32 v8, 0
	s_waitcnt lgkmcnt(0)
	s_barrier
	buffer_gl0_inv
	s_and_saveexec_b32 s8, s1
	s_cbranch_execnz .LBB211_54
; %bb.38:                               ;   in Loop: Header=BB211_13 Depth=1
	s_or_b32 exec_lo, exec_lo, s8
	s_and_saveexec_b32 s8, s0
	s_cbranch_execnz .LBB211_55
.LBB211_39:                             ;   in Loop: Header=BB211_13 Depth=1
	s_or_b32 exec_lo, exec_lo, s8
	s_and_saveexec_b32 s8, s2
	s_cbranch_execz .LBB211_12
	s_branch .LBB211_56
.LBB211_40:                             ;   in Loop: Header=BB211_13 Depth=1
	s_mul_i32 s9, s7, s17
	s_mul_hi_u32 s10, s7, s16
	s_add_i32 s11, s10, s9
	s_mul_i32 s10, s7, s16
	s_or_b32 s9, s7, 1
	s_lshl_b64 s[10:11], s[10:11], 2
	s_mul_i32 s34, s9, s17
	s_mul_hi_u32 s35, s9, s16
	v_add_co_u32 v2, vcc_lo, v9, s10
	v_add_co_ci_u32_e64 v3, null, s11, v10, vcc_lo
	s_add_i32 s11, s35, s34
	s_mul_i32 s10, s9, s16
	s_or_b32 s9, s7, 2
	s_lshl_b64 s[10:11], s[10:11], 2
	s_mul_i32 s34, s9, s17
	s_mul_hi_u32 s35, s9, s16
	v_add_co_u32 v6, vcc_lo, v9, s10
	v_add_co_ci_u32_e64 v7, null, s11, v10, vcc_lo
	s_add_i32 s11, s35, s34
	s_or_b32 s34, s7, 3
	s_mul_i32 s10, s9, s16
	s_mul_i32 s9, s34, s17
	s_mul_hi_u32 s35, s34, s16
	s_lshl_b64 s[10:11], s[10:11], 2
	s_add_i32 s35, s35, s9
	s_mul_i32 s34, s34, s16
	v_add_co_u32 v39, vcc_lo, v9, s10
	v_add_co_ci_u32_e64 v40, null, s11, v10, vcc_lo
	s_lshl_b64 s[10:11], s[34:35], 2
	v_add_co_u32 v53, vcc_lo, v9, s10
	v_add_co_ci_u32_e64 v54, null, s11, v10, vcc_lo
	flat_load_dword v1, v[14:15]
	s_clause 0x3
	flat_load_dwordx4 v[41:44], v[2:3]
	flat_load_dwordx4 v[45:48], v[6:7]
	;; [unrolled: 1-line block ×4, first 2 shown]
	s_clause 0x2
	flat_load_dword v2, v[16:17]
	flat_load_dword v3, v[18:19]
	flat_load_dword v4, v[20:21]
	s_waitcnt vmcnt(6) lgkmcnt(6)
	v_fma_f32 v41, v1, v41, 0
	s_waitcnt vmcnt(5) lgkmcnt(5)
	v_fma_f32 v40, v1, v45, 0
	s_waitcnt vmcnt(4) lgkmcnt(4)
	v_fma_f32 v39, v1, v49, 0
	s_waitcnt vmcnt(3) lgkmcnt(3)
	v_fma_f32 v8, v1, v53, 0
	s_waitcnt vmcnt(2) lgkmcnt(2)
	v_fmac_f32_e32 v41, v2, v42
	v_fmac_f32_e32 v40, v2, v46
	v_fmac_f32_e32 v39, v2, v50
	v_fmac_f32_e32 v8, v2, v54
	s_waitcnt vmcnt(1) lgkmcnt(1)
	v_fmac_f32_e32 v41, v3, v43
	v_fmac_f32_e32 v40, v3, v47
	v_fmac_f32_e32 v39, v3, v51
	v_fmac_f32_e32 v8, v3, v55
	;; [unrolled: 5-line block ×3, first 2 shown]
	s_andn2_saveexec_b32 s44, s8
	s_cbranch_execz .LBB211_15
.LBB211_41:                             ;   in Loop: Header=BB211_13 Depth=1
	s_waitcnt lgkmcnt(0)
	v_mov_b32_e32 v8, 0
	v_mov_b32_e32 v39, 0
	;; [unrolled: 1-line block ×4, first 2 shown]
	s_and_saveexec_b32 s45, s4
	s_cbranch_execz .LBB211_58
; %bb.42:                               ;   in Loop: Header=BB211_13 Depth=1
	s_andn2_b32 vcc_lo, exec_lo, s39
	s_cbranch_vccnz .LBB211_45
; %bb.43:                               ;   in Loop: Header=BB211_13 Depth=1
	v_mov_b32_e32 v6, v14
	v_mov_b32_e32 v7, v15
	s_mov_b64 s[34:35], 0
	.p2align	6
.LBB211_44:                             ;   Parent Loop BB211_13 Depth=1
                                        ; =>  This Inner Loop Header: Depth=2
	flat_load_dword v8, v[6:7]
	s_cmp_eq_u32 s34, 3
	v_add_co_u32 v6, vcc_lo, v6, s24
	v_add_co_ci_u32_e64 v7, null, s25, v7, vcc_lo
	s_cselect_b32 vcc_lo, -1, 0
	s_cmp_eq_u32 s34, 2
	s_cselect_b32 s8, -1, 0
	s_cmp_eq_u32 s34, 1
	s_cselect_b32 s9, -1, 0
	;; [unrolled: 2-line block ×3, first 2 shown]
	s_add_u32 s34, s34, 1
	s_addc_u32 s35, s35, 0
	s_cmp_eq_u32 s15, s34
	s_waitcnt vmcnt(0) lgkmcnt(0)
	v_cndmask_b32_e32 v4, v4, v8, vcc_lo
	v_cndmask_b32_e64 v3, v3, v8, s8
	v_cndmask_b32_e64 v2, v2, v8, s9
	;; [unrolled: 1-line block ×3, first 2 shown]
	s_cbranch_scc0 .LBB211_44
.LBB211_45:                             ;   in Loop: Header=BB211_13 Depth=1
	s_andn2_b32 vcc_lo, exec_lo, s39
	s_cbranch_vccnz .LBB211_57
; %bb.46:                               ;   in Loop: Header=BB211_13 Depth=1
	v_mov_b32_e32 v6, v22
	v_mov_b32_e32 v41, 0
	;; [unrolled: 1-line block ×6, first 2 shown]
	s_mov_b64 s[10:11], 0
	s_inst_prefetch 0x1
	.p2align	6
.LBB211_47:                             ;   Parent Loop BB211_13 Depth=1
                                        ; =>  This Inner Loop Header: Depth=2
	v_add_co_u32 v42, vcc_lo, v6, s30
	v_add_co_ci_u32_e64 v43, null, s31, v7, vcc_lo
	v_add_co_u32 v44, vcc_lo, v6, s28
	v_add_co_ci_u32_e64 v45, null, s29, v7, vcc_lo
	;; [unrolled: 2-line block ×3, first 2 shown]
	s_clause 0x3
	flat_load_dword v48, v[6:7]
	flat_load_dword v42, v[42:43]
	;; [unrolled: 1-line block ×4, first 2 shown]
	s_cmp_eq_u32 s10, 1
	v_add_co_u32 v6, s8, v6, 4
	s_cselect_b32 vcc_lo, -1, 0
	s_cmp_eq_u32 s10, 2
	v_cndmask_b32_e32 v45, v1, v2, vcc_lo
	s_cselect_b32 vcc_lo, -1, 0
	s_cmp_eq_u32 s10, 3
	v_add_co_ci_u32_e64 v7, null, 0, v7, s8
	v_cndmask_b32_e32 v45, v45, v3, vcc_lo
	s_cselect_b32 vcc_lo, -1, 0
	s_add_u32 s10, s10, 1
	s_addc_u32 s11, s11, 0
	s_cmp_lg_u32 s15, s10
	v_cndmask_b32_e32 v45, v45, v4, vcc_lo
	s_waitcnt vmcnt(3) lgkmcnt(3)
	v_fmac_f32_e32 v41, v45, v48
	s_waitcnt vmcnt(2) lgkmcnt(2)
	v_fmac_f32_e32 v40, v45, v42
	;; [unrolled: 2-line block ×4, first 2 shown]
	s_cbranch_scc1 .LBB211_47
	s_branch .LBB211_58
.LBB211_48:                             ;   in Loop: Header=BB211_13 Depth=1
	ds_read_b32 v6, v37
	s_or_b32 exec_lo, exec_lo, s8
	s_and_saveexec_b32 s8, s0
	s_cbranch_execz .LBB211_21
.LBB211_49:                             ;   in Loop: Header=BB211_13 Depth=1
	s_waitcnt lgkmcnt(0)
	ds_bpermute_b32 v7, v34, v6
	s_waitcnt lgkmcnt(0)
	v_add_f32_e32 v6, v6, v7
	ds_bpermute_b32 v7, v35, v6
	s_waitcnt lgkmcnt(0)
	v_add_f32_e32 v6, v6, v7
	;; [unrolled: 3-line block ×3, first 2 shown]
	s_or_b32 exec_lo, exec_lo, s8
	s_and_saveexec_b32 s8, s0
	s_cbranch_execnz .LBB211_22
	s_branch .LBB211_23
.LBB211_50:                             ;   in Loop: Header=BB211_13 Depth=1
	ds_read_b32 v7, v37
	s_or_b32 exec_lo, exec_lo, s8
	s_and_saveexec_b32 s8, s0
	s_cbranch_execz .LBB211_27
.LBB211_51:                             ;   in Loop: Header=BB211_13 Depth=1
	s_waitcnt lgkmcnt(0)
	ds_bpermute_b32 v40, v34, v7
	s_waitcnt lgkmcnt(0)
	v_add_f32_e32 v7, v7, v40
	ds_bpermute_b32 v40, v35, v7
	s_waitcnt lgkmcnt(0)
	v_add_f32_e32 v7, v7, v40
	;; [unrolled: 3-line block ×3, first 2 shown]
	s_or_b32 exec_lo, exec_lo, s8
	s_and_saveexec_b32 s8, s0
	s_cbranch_execnz .LBB211_28
	s_branch .LBB211_29
.LBB211_52:                             ;   in Loop: Header=BB211_13 Depth=1
	ds_read_b32 v39, v37
	s_or_b32 exec_lo, exec_lo, s8
	s_and_saveexec_b32 s8, s0
	s_cbranch_execz .LBB211_33
.LBB211_53:                             ;   in Loop: Header=BB211_13 Depth=1
	s_waitcnt lgkmcnt(0)
	ds_bpermute_b32 v40, v34, v39
	s_waitcnt lgkmcnt(0)
	v_add_f32_e32 v39, v39, v40
	ds_bpermute_b32 v40, v35, v39
	s_waitcnt lgkmcnt(0)
	v_add_f32_e32 v39, v39, v40
	;; [unrolled: 3-line block ×3, first 2 shown]
	s_or_b32 exec_lo, exec_lo, s8
	s_and_saveexec_b32 s8, s0
	s_cbranch_execnz .LBB211_34
	s_branch .LBB211_35
.LBB211_54:                             ;   in Loop: Header=BB211_13 Depth=1
	ds_read_b32 v8, v37
	s_or_b32 exec_lo, exec_lo, s8
	s_and_saveexec_b32 s8, s0
	s_cbranch_execz .LBB211_39
.LBB211_55:                             ;   in Loop: Header=BB211_13 Depth=1
	s_waitcnt lgkmcnt(0)
	ds_bpermute_b32 v40, v34, v8
	s_waitcnt lgkmcnt(0)
	v_add_f32_e32 v8, v8, v40
	ds_bpermute_b32 v40, v35, v8
	s_waitcnt lgkmcnt(0)
	v_add_f32_e32 v8, v8, v40
	;; [unrolled: 3-line block ×3, first 2 shown]
	s_or_b32 exec_lo, exec_lo, s8
	s_and_saveexec_b32 s8, s2
	s_cbranch_execz .LBB211_12
.LBB211_56:                             ;   in Loop: Header=BB211_13 Depth=1
	s_mul_hi_u32 s11, s7, s14
	s_mul_i32 s10, s7, s14
	v_mul_f32_e32 v6, s33, v6
	s_lshl_b64 s[10:11], s[10:11], 2
	v_mul_f32_e32 v7, s33, v7
	s_add_u32 s10, s40, s10
	s_addc_u32 s11, s41, s11
	s_or_b32 s9, s7, 1
	global_store_dword v5, v6, s[10:11]
	s_mul_hi_u32 s35, s9, s14
	s_mul_i32 s34, s9, s14
	v_mul_f32_e32 v6, s33, v39
	s_lshl_b64 s[34:35], s[34:35], 2
	s_waitcnt lgkmcnt(0)
	v_mul_f32_e32 v8, s33, v8
	s_add_u32 s34, s40, s34
	s_addc_u32 s35, s41, s35
	s_or_b32 s9, s7, 2
	global_store_dword v5, v7, s[34:35]
	s_mul_hi_u32 s45, s9, s14
	s_mul_i32 s44, s9, s14
	s_lshl_b64 s[44:45], s[44:45], 2
	s_add_u32 s10, s40, s44
	s_addc_u32 s11, s41, s45
	s_or_b32 s9, s7, 3
	s_mul_hi_u32 s45, s9, s14
	s_mul_i32 s44, s9, s14
	s_lshl_b64 s[44:45], s[44:45], 2
	s_add_u32 s34, s40, s44
	s_addc_u32 s35, s41, s45
	global_store_dword v5, v6, s[10:11]
	global_store_dword v5, v8, s[34:35]
	s_branch .LBB211_12
.LBB211_57:                             ;   in Loop: Header=BB211_13 Depth=1
	v_mov_b32_e32 v8, 0
	v_mov_b32_e32 v39, 0
	;; [unrolled: 1-line block ×4, first 2 shown]
.LBB211_58:                             ;   in Loop: Header=BB211_13 Depth=1
	s_inst_prefetch 0x2
	s_or_b32 exec_lo, exec_lo, s45
	s_or_b32 exec_lo, exec_lo, s44
	s_and_saveexec_b32 s8, s0
	s_cbranch_execnz .LBB211_16
	s_branch .LBB211_17
.LBB211_59:
	v_mov_b32_e32 v1, 0
	s_mov_b32 s7, 0
	v_mov_b32_e32 v2, v1
	v_mov_b32_e32 v3, v1
	;; [unrolled: 1-line block ×3, first 2 shown]
.LBB211_60:
	s_cmp_ge_i32 s7, s13
	s_cbranch_scc1 .LBB211_84
; %bb.61:
	v_cmp_gt_u32_e32 vcc_lo, 24, v29
	v_lshl_or_b32 v20, v29, 2, 64
	v_mad_i64_i32 v[15:16], null, s22, v24, 0
	s_cmp_gt_i32 s15, 0
	v_cndmask_b32_e64 v5, 0, 8, vcc_lo
	v_cmp_gt_u32_e32 vcc_lo, 28, v29
	s_mov_b32 s11, 0
	s_mov_b32 s10, s6
	v_cmp_ge_i32_e64 s0, s12, v30
	v_add_lshl_u32 v21, v5, v29, 2
	v_cndmask_b32_e64 v6, 0, 4, vcc_lo
	v_cmp_gt_u32_e32 vcc_lo, 30, v29
	v_lshlrev_b64 v[15:16], 2, v[15:16]
	v_cmp_ge_i32_e64 s1, s12, v31
	s_cselect_b32 s12, -1, 0
	v_add_lshl_u32 v22, v6, v29, 2
	v_cndmask_b32_e64 v7, 0, 2, vcc_lo
	v_cmp_ne_u32_e32 vcc_lo, 31, v29
	v_mad_i64_i32 v[5:6], null, s22, v13, 0
	v_mad_i64_i32 v[13:14], null, s22, v25, 0
	s_waitcnt lgkmcnt(0)
	v_add_co_ci_u32_e64 v8, null, 0, v29, vcc_lo
	v_add_lshl_u32 v23, v7, v29, 2
	s_lshl_b64 s[8:9], s[10:11], 2
	v_lshlrev_b64 v[5:6], 2, v[5:6]
	v_lshlrev_b32_e32 v29, 2, v8
	v_mad_i64_i32 v[7:8], null, s22, v26, 0
	v_lshlrev_b64 v[13:14], 2, v[13:14]
	s_add_u32 s10, s36, s8
	v_add_co_u32 v5, vcc_lo, s20, v5
	v_add_co_ci_u32_e64 v6, null, s21, v6, vcc_lo
	v_lshlrev_b64 v[7:8], 2, v[7:8]
	s_mul_i32 s6, s17, s7
	s_mul_hi_u32 s8, s16, s7
	s_addc_u32 s24, s37, s9
	s_add_i32 s9, s8, s6
	s_mul_i32 s8, s16, s7
	v_add_co_u32 v7, vcc_lo, s20, v7
	v_add_co_ci_u32_e64 v8, null, s21, v8, vcc_lo
	v_add_co_u32 v13, vcc_lo, s20, v13
	v_add_co_ci_u32_e64 v14, null, s21, v14, vcc_lo
	v_add_co_u32 v15, vcc_lo, s20, v15
	s_lshl_b64 s[8:9], s[8:9], 2
	v_add_co_ci_u32_e64 v16, null, s21, v16, vcc_lo
	s_lshl_b64 s[20:21], s[22:23], 2
	s_add_u32 s6, s18, s8
	s_addc_u32 s8, s19, s9
	v_add_co_u32 v11, vcc_lo, s6, v11
	v_cmp_gt_u32_e64 s2, 32, v0
	v_lshlrev_b32_e32 v19, 2, v27
	v_cmp_eq_u32_e64 s3, 0, v27
	v_and_b32_e32 v27, 28, v28
	v_cmp_gt_u32_e64 s4, 8, v0
	v_cmp_eq_u32_e64 s5, 0, v0
	v_add_co_ci_u32_e64 v12, null, s8, v12, vcc_lo
	v_mov_b32_e32 v0, 0
	s_lshl_b64 s[18:19], s[16:17], 2
	s_branch .LBB211_63
.LBB211_62:                             ;   in Loop: Header=BB211_63 Depth=1
	s_or_b32 exec_lo, exec_lo, s6
	v_add_co_u32 v11, vcc_lo, v11, s18
	v_add_co_ci_u32_e64 v12, null, s19, v12, vcc_lo
	s_add_i32 s7, s7, 1
	s_cmp_ge_i32 s7, s13
	s_cbranch_scc1 .LBB211_84
.LBB211_63:                             ; =>This Loop Header: Depth=1
                                        ;     Child Loop BB211_76 Depth 2
                                        ;     Child Loop BB211_79 Depth 2
	v_mov_b32_e32 v24, s11
	s_and_saveexec_b32 s6, s0
	s_xor_b32 s6, exec_lo, s6
	s_cbranch_execnz .LBB211_72
; %bb.64:                               ;   in Loop: Header=BB211_63 Depth=1
	s_andn2_saveexec_b32 s25, s6
	s_cbranch_execnz .LBB211_73
.LBB211_65:                             ;   in Loop: Header=BB211_63 Depth=1
	s_or_b32 exec_lo, exec_lo, s25
	s_and_saveexec_b32 s6, s2
.LBB211_66:                             ;   in Loop: Header=BB211_63 Depth=1
	ds_write_b32 v19, v0
.LBB211_67:                             ;   in Loop: Header=BB211_63 Depth=1
	s_or_b32 exec_lo, exec_lo, s6
	s_waitcnt lgkmcnt(0)
	ds_bpermute_b32 v17, v20, v24
	s_waitcnt lgkmcnt(0)
	s_waitcnt_vscnt null, 0x0
	s_barrier
	buffer_gl0_inv
	v_add_f32_e32 v17, v24, v17
	ds_bpermute_b32 v18, v21, v17
	s_waitcnt lgkmcnt(0)
	v_add_f32_e32 v17, v17, v18
	ds_bpermute_b32 v18, v22, v17
	s_waitcnt lgkmcnt(0)
	;; [unrolled: 3-line block ×3, first 2 shown]
	v_add_f32_e32 v17, v17, v18
	ds_bpermute_b32 v18, v29, v17
	s_and_saveexec_b32 s6, s3
	s_cbranch_execz .LBB211_69
; %bb.68:                               ;   in Loop: Header=BB211_63 Depth=1
	s_waitcnt lgkmcnt(0)
	v_add_f32_e32 v17, v17, v18
	ds_write_b32 v27, v17
.LBB211_69:                             ;   in Loop: Header=BB211_63 Depth=1
	s_or_b32 exec_lo, exec_lo, s6
	v_mov_b32_e32 v17, 0
	s_waitcnt lgkmcnt(0)
	s_barrier
	buffer_gl0_inv
	s_and_saveexec_b32 s6, s4
	s_cbranch_execnz .LBB211_81
; %bb.70:                               ;   in Loop: Header=BB211_63 Depth=1
	s_or_b32 exec_lo, exec_lo, s6
	s_and_saveexec_b32 s6, s2
	s_cbranch_execnz .LBB211_82
.LBB211_71:                             ;   in Loop: Header=BB211_63 Depth=1
	s_or_b32 exec_lo, exec_lo, s6
	s_and_saveexec_b32 s6, s5
	s_cbranch_execz .LBB211_62
	s_branch .LBB211_83
.LBB211_72:                             ;   in Loop: Header=BB211_63 Depth=1
	s_mul_i32 s9, s7, s17
	s_mul_hi_u32 s22, s7, s16
	s_mul_i32 s8, s7, s16
	s_add_i32 s9, s22, s9
	s_lshl_b64 s[8:9], s[8:9], 2
	v_add_co_u32 v1, vcc_lo, v9, s8
	v_add_co_ci_u32_e64 v2, null, s9, v10, vcc_lo
	flat_load_dwordx4 v[30:33], v[1:2]
	s_clause 0x3
	flat_load_dword v1, v[5:6]
	flat_load_dword v2, v[7:8]
	;; [unrolled: 1-line block ×4, first 2 shown]
	s_waitcnt vmcnt(3) lgkmcnt(3)
	v_fma_f32 v24, v1, v30, 0
	s_waitcnt vmcnt(2) lgkmcnt(2)
	v_fmac_f32_e32 v24, v2, v31
	s_waitcnt vmcnt(1) lgkmcnt(1)
	v_fmac_f32_e32 v24, v3, v32
	;; [unrolled: 2-line block ×3, first 2 shown]
	s_andn2_saveexec_b32 s25, s6
	s_cbranch_execz .LBB211_65
.LBB211_73:                             ;   in Loop: Header=BB211_63 Depth=1
	s_and_saveexec_b32 s26, s1
	s_cbranch_execz .LBB211_80
; %bb.74:                               ;   in Loop: Header=BB211_63 Depth=1
	s_andn2_b32 vcc_lo, exec_lo, s12
	s_cbranch_vccnz .LBB211_77
; %bb.75:                               ;   in Loop: Header=BB211_63 Depth=1
	s_waitcnt lgkmcnt(0)
	v_mov_b32_e32 v18, v6
	v_mov_b32_e32 v17, v5
	s_mov_b64 s[22:23], 0
	.p2align	6
.LBB211_76:                             ;   Parent Loop BB211_63 Depth=1
                                        ; =>  This Inner Loop Header: Depth=2
	flat_load_dword v25, v[17:18]
	s_cmp_eq_u32 s22, 3
	v_add_co_u32 v17, vcc_lo, v17, s20
	v_add_co_ci_u32_e64 v18, null, s21, v18, vcc_lo
	s_cselect_b32 vcc_lo, -1, 0
	s_cmp_eq_u32 s22, 2
	s_cselect_b32 s6, -1, 0
	s_cmp_eq_u32 s22, 1
	s_cselect_b32 s8, -1, 0
	;; [unrolled: 2-line block ×3, first 2 shown]
	s_add_u32 s22, s22, 1
	s_addc_u32 s23, s23, 0
	s_cmp_eq_u32 s15, s22
	s_waitcnt vmcnt(0) lgkmcnt(0)
	v_cndmask_b32_e32 v4, v4, v25, vcc_lo
	v_cndmask_b32_e64 v3, v3, v25, s6
	v_cndmask_b32_e64 v2, v2, v25, s8
	;; [unrolled: 1-line block ×3, first 2 shown]
	s_cbranch_scc0 .LBB211_76
.LBB211_77:                             ;   in Loop: Header=BB211_63 Depth=1
	s_andn2_b32 vcc_lo, exec_lo, s12
	s_cbranch_vccnz .LBB211_80
; %bb.78:                               ;   in Loop: Header=BB211_63 Depth=1
	s_waitcnt lgkmcnt(0)
	v_mov_b32_e32 v18, v12
	v_mov_b32_e32 v17, v11
	s_mov_b64 s[8:9], 0
	.p2align	6
.LBB211_79:                             ;   Parent Loop BB211_63 Depth=1
                                        ; =>  This Inner Loop Header: Depth=2
	flat_load_dword v25, v[17:18]
	s_cmp_eq_u32 s8, 1
	s_cselect_b32 vcc_lo, -1, 0
	s_cmp_eq_u32 s8, 2
	v_cndmask_b32_e32 v26, v1, v2, vcc_lo
	s_cselect_b32 vcc_lo, -1, 0
	s_cmp_eq_u32 s8, 3
	v_cndmask_b32_e32 v26, v26, v3, vcc_lo
	s_cselect_b32 vcc_lo, -1, 0
	s_add_u32 s8, s8, 1
	s_addc_u32 s9, s9, 0
	s_cmp_lg_u32 s15, s8
	v_cndmask_b32_e32 v26, v26, v4, vcc_lo
	v_add_co_u32 v17, vcc_lo, v17, 4
	v_add_co_ci_u32_e64 v18, null, 0, v18, vcc_lo
	s_waitcnt vmcnt(0) lgkmcnt(0)
	v_fmac_f32_e32 v24, v26, v25
	s_cbranch_scc1 .LBB211_79
.LBB211_80:                             ;   in Loop: Header=BB211_63 Depth=1
	s_or_b32 exec_lo, exec_lo, s26
	s_or_b32 exec_lo, exec_lo, s25
	s_and_saveexec_b32 s6, s2
	s_cbranch_execnz .LBB211_66
	s_branch .LBB211_67
.LBB211_81:                             ;   in Loop: Header=BB211_63 Depth=1
	ds_read_b32 v17, v19
	s_or_b32 exec_lo, exec_lo, s6
	s_and_saveexec_b32 s6, s2
	s_cbranch_execz .LBB211_71
.LBB211_82:                             ;   in Loop: Header=BB211_63 Depth=1
	s_waitcnt lgkmcnt(0)
	ds_bpermute_b32 v18, v22, v17
	s_waitcnt lgkmcnt(0)
	v_add_f32_e32 v17, v17, v18
	ds_bpermute_b32 v18, v23, v17
	s_waitcnt lgkmcnt(0)
	v_add_f32_e32 v17, v17, v18
	;; [unrolled: 3-line block ×3, first 2 shown]
	s_or_b32 exec_lo, exec_lo, s6
	s_and_saveexec_b32 s6, s5
	s_cbranch_execz .LBB211_62
.LBB211_83:                             ;   in Loop: Header=BB211_63 Depth=1
	s_mul_hi_u32 s9, s7, s14
	s_mul_i32 s8, s7, s14
	s_waitcnt lgkmcnt(0)
	v_mul_f32_e32 v17, s33, v17
	s_lshl_b64 s[8:9], s[8:9], 2
	s_add_u32 s8, s10, s8
	s_addc_u32 s9, s24, s9
	global_store_dword v0, v17, s[8:9]
	s_branch .LBB211_62
.LBB211_84:
	s_endpgm
	.section	.rodata,"a",@progbits
	.p2align	6, 0x0
	.amdhsa_kernel _ZL23rocblas_gemvt_sn_kernelILb0ELi256ELi4ElPKfS1_fEviiT4_lPKT3_lilS5_lilPT5_i
		.amdhsa_group_segment_fixed_size 128
		.amdhsa_private_segment_fixed_size 0
		.amdhsa_kernarg_size 360
		.amdhsa_user_sgpr_count 6
		.amdhsa_user_sgpr_private_segment_buffer 1
		.amdhsa_user_sgpr_dispatch_ptr 0
		.amdhsa_user_sgpr_queue_ptr 0
		.amdhsa_user_sgpr_kernarg_segment_ptr 1
		.amdhsa_user_sgpr_dispatch_id 0
		.amdhsa_user_sgpr_flat_scratch_init 0
		.amdhsa_user_sgpr_private_segment_size 0
		.amdhsa_wavefront_size32 1
		.amdhsa_uses_dynamic_stack 0
		.amdhsa_system_sgpr_private_segment_wavefront_offset 0
		.amdhsa_system_sgpr_workgroup_id_x 1
		.amdhsa_system_sgpr_workgroup_id_y 0
		.amdhsa_system_sgpr_workgroup_id_z 1
		.amdhsa_system_sgpr_workgroup_info 0
		.amdhsa_system_vgpr_workitem_id 0
		.amdhsa_next_free_vgpr 57
		.amdhsa_next_free_sgpr 46
		.amdhsa_reserve_vcc 1
		.amdhsa_reserve_flat_scratch 1
		.amdhsa_float_round_mode_32 0
		.amdhsa_float_round_mode_16_64 0
		.amdhsa_float_denorm_mode_32 3
		.amdhsa_float_denorm_mode_16_64 3
		.amdhsa_dx10_clamp 1
		.amdhsa_ieee_mode 1
		.amdhsa_fp16_overflow 0
		.amdhsa_workgroup_processor_mode 1
		.amdhsa_memory_ordered 1
		.amdhsa_forward_progress 1
		.amdhsa_shared_vgpr_count 0
		.amdhsa_exception_fp_ieee_invalid_op 0
		.amdhsa_exception_fp_denorm_src 0
		.amdhsa_exception_fp_ieee_div_zero 0
		.amdhsa_exception_fp_ieee_overflow 0
		.amdhsa_exception_fp_ieee_underflow 0
		.amdhsa_exception_fp_ieee_inexact 0
		.amdhsa_exception_int_div_zero 0
	.end_amdhsa_kernel
	.section	.text._ZL23rocblas_gemvt_sn_kernelILb0ELi256ELi4ElPKfS1_fEviiT4_lPKT3_lilS5_lilPT5_i,"axG",@progbits,_ZL23rocblas_gemvt_sn_kernelILb0ELi256ELi4ElPKfS1_fEviiT4_lPKT3_lilS5_lilPT5_i,comdat
.Lfunc_end211:
	.size	_ZL23rocblas_gemvt_sn_kernelILb0ELi256ELi4ElPKfS1_fEviiT4_lPKT3_lilS5_lilPT5_i, .Lfunc_end211-_ZL23rocblas_gemvt_sn_kernelILb0ELi256ELi4ElPKfS1_fEviiT4_lPKT3_lilS5_lilPT5_i
                                        ; -- End function
	.set _ZL23rocblas_gemvt_sn_kernelILb0ELi256ELi4ElPKfS1_fEviiT4_lPKT3_lilS5_lilPT5_i.num_vgpr, 57
	.set _ZL23rocblas_gemvt_sn_kernelILb0ELi256ELi4ElPKfS1_fEviiT4_lPKT3_lilS5_lilPT5_i.num_agpr, 0
	.set _ZL23rocblas_gemvt_sn_kernelILb0ELi256ELi4ElPKfS1_fEviiT4_lPKT3_lilS5_lilPT5_i.numbered_sgpr, 46
	.set _ZL23rocblas_gemvt_sn_kernelILb0ELi256ELi4ElPKfS1_fEviiT4_lPKT3_lilS5_lilPT5_i.num_named_barrier, 0
	.set _ZL23rocblas_gemvt_sn_kernelILb0ELi256ELi4ElPKfS1_fEviiT4_lPKT3_lilS5_lilPT5_i.private_seg_size, 0
	.set _ZL23rocblas_gemvt_sn_kernelILb0ELi256ELi4ElPKfS1_fEviiT4_lPKT3_lilS5_lilPT5_i.uses_vcc, 1
	.set _ZL23rocblas_gemvt_sn_kernelILb0ELi256ELi4ElPKfS1_fEviiT4_lPKT3_lilS5_lilPT5_i.uses_flat_scratch, 1
	.set _ZL23rocblas_gemvt_sn_kernelILb0ELi256ELi4ElPKfS1_fEviiT4_lPKT3_lilS5_lilPT5_i.has_dyn_sized_stack, 0
	.set _ZL23rocblas_gemvt_sn_kernelILb0ELi256ELi4ElPKfS1_fEviiT4_lPKT3_lilS5_lilPT5_i.has_recursion, 0
	.set _ZL23rocblas_gemvt_sn_kernelILb0ELi256ELi4ElPKfS1_fEviiT4_lPKT3_lilS5_lilPT5_i.has_indirect_call, 0
	.section	.AMDGPU.csdata,"",@progbits
; Kernel info:
; codeLenInByte = 4136
; TotalNumSgprs: 48
; NumVgprs: 57
; ScratchSize: 0
; MemoryBound: 0
; FloatMode: 240
; IeeeMode: 1
; LDSByteSize: 128 bytes/workgroup (compile time only)
; SGPRBlocks: 0
; VGPRBlocks: 7
; NumSGPRsForWavesPerEU: 48
; NumVGPRsForWavesPerEU: 57
; Occupancy: 16
; WaveLimiterHint : 0
; COMPUTE_PGM_RSRC2:SCRATCH_EN: 0
; COMPUTE_PGM_RSRC2:USER_SGPR: 6
; COMPUTE_PGM_RSRC2:TRAP_HANDLER: 0
; COMPUTE_PGM_RSRC2:TGID_X_EN: 1
; COMPUTE_PGM_RSRC2:TGID_Y_EN: 0
; COMPUTE_PGM_RSRC2:TGID_Z_EN: 1
; COMPUTE_PGM_RSRC2:TIDIG_COMP_CNT: 0
	.section	.text._ZL23rocblas_gemvt_sn_kernelILb0ELi256ELi4EiPKfffEviiT4_lPKT3_lilS5_lilPT5_i,"axG",@progbits,_ZL23rocblas_gemvt_sn_kernelILb0ELi256ELi4EiPKfffEviiT4_lPKT3_lilS5_lilPT5_i,comdat
	.globl	_ZL23rocblas_gemvt_sn_kernelILb0ELi256ELi4EiPKfffEviiT4_lPKT3_lilS5_lilPT5_i ; -- Begin function _ZL23rocblas_gemvt_sn_kernelILb0ELi256ELi4EiPKfffEviiT4_lPKT3_lilS5_lilPT5_i
	.p2align	8
	.type	_ZL23rocblas_gemvt_sn_kernelILb0ELi256ELi4EiPKfffEviiT4_lPKT3_lilS5_lilPT5_i,@function
_ZL23rocblas_gemvt_sn_kernelILb0ELi256ELi4EiPKfffEviiT4_lPKT3_lilS5_lilPT5_i: ; @_ZL23rocblas_gemvt_sn_kernelILb0ELi256ELi4EiPKfffEviiT4_lPKT3_lilS5_lilPT5_i
; %bb.0:
	s_load_dwordx4 s[12:15], s[4:5], 0x0
	s_mov_b32 s2, s7
	s_mov_b32 s3, 0
	s_waitcnt lgkmcnt(0)
	v_cmp_neq_f32_e64 s8, s14, 0
	v_cmp_eq_f32_e64 s7, s14, 0
	s_and_b32 vcc_lo, exec_lo, s8
	s_cbranch_vccnz .LBB212_2
; %bb.1:
	s_mov_b32 s0, s3
	s_mov_b64 s[10:11], 0
	s_andn2_b32 vcc_lo, exec_lo, s0
	s_mov_b64 s[0:1], 0
	s_cbranch_vccz .LBB212_3
	s_branch .LBB212_4
.LBB212_2:
	s_mov_b64 s[10:11], 0
	s_mov_b64 s[0:1], 0
.LBB212_3:
	s_load_dwordx4 s[16:19], s[4:5], 0x18
	s_lshl_b64 s[0:1], s[2:3], 3
	s_waitcnt lgkmcnt(0)
	s_add_u32 s0, s16, s0
	s_addc_u32 s1, s17, s1
	s_lshl_b64 s[16:17], s[18:19], 2
	s_load_dwordx2 s[0:1], s[0:1], 0x0
	s_waitcnt lgkmcnt(0)
	s_add_u32 s0, s0, s16
	s_addc_u32 s1, s1, s17
.LBB212_4:
	s_andn2_b32 vcc_lo, exec_lo, s8
	s_cbranch_vccnz .LBB212_6
; %bb.5:
	s_load_dwordx4 s[8:11], s[4:5], 0x38
	s_lshl_b64 s[16:17], s[2:3], 3
	s_waitcnt lgkmcnt(0)
	s_add_u32 s8, s8, s16
	s_addc_u32 s9, s9, s17
	s_lshl_b64 s[10:11], s[10:11], 2
	s_load_dwordx2 s[8:9], s[8:9], 0x0
	s_waitcnt lgkmcnt(0)
	s_add_u32 s10, s8, s10
	s_addc_u32 s11, s9, s11
.LBB212_6:
	s_clause 0x1
	s_load_dword s16, s[4:5], 0x68
	s_load_dwordx2 s[8:9], s[4:5], 0x58
	s_ashr_i32 s19, s13, 31
	s_mul_hi_u32 s3, s2, s13
	s_mul_i32 s15, s2, s19
	s_mul_i32 s2, s2, s13
	s_add_i32 s3, s3, s15
	s_mov_b32 s17, 0
	s_waitcnt lgkmcnt(0)
	s_mul_i32 s3, s3, s16
	s_mul_hi_u32 s15, s2, s16
	s_mul_i32 s2, s2, s16
	s_add_i32 s3, s15, s3
	s_lshl_b64 s[2:3], s[2:3], 2
	s_add_u32 s30, s8, s2
	s_addc_u32 s31, s9, s3
	s_andn2_b32 vcc_lo, exec_lo, s7
	s_mov_b32 s2, -1
	s_cbranch_vccnz .LBB212_11
; %bb.7:
	v_cmp_eq_u32_e32 vcc_lo, 0, v0
	s_cmp_gt_i32 s13, 0
	s_cselect_b32 s2, -1, 0
	s_and_b32 s2, vcc_lo, s2
	s_and_saveexec_b32 s15, s2
	s_cbranch_execz .LBB212_10
; %bb.8:
	s_mov_b32 s7, 0
	v_mov_b32_e32 v1, 0
	s_lshl_b64 s[2:3], s[6:7], 2
	s_mov_b32 s7, s13
	s_add_u32 s2, s30, s2
	s_addc_u32 s3, s31, s3
	s_lshl_b64 s[8:9], s[16:17], 2
.LBB212_9:                              ; =>This Inner Loop Header: Depth=1
	s_add_i32 s7, s7, -1
	global_store_dword v1, v1, s[2:3]
	s_add_u32 s2, s2, s8
	s_addc_u32 s3, s3, s9
	s_cmp_eq_u32 s7, 0
	s_cbranch_scc0 .LBB212_9
.LBB212_10:
	s_or_b32 exec_lo, exec_lo, s15
	s_mov_b32 s2, 0
.LBB212_11:
	s_andn2_b32 vcc_lo, exec_lo, s2
	s_cbranch_vccnz .LBB212_86
; %bb.12:
	s_clause 0x1
	s_load_dword s18, s[4:5], 0x28
	s_load_dword s15, s[4:5], 0x48
	s_lshl_b32 s2, s6, 10
	s_lshr_b32 s3, s19, 30
	v_lshl_or_b32 v1, v0, 2, s2
	s_ashr_i32 s2, s12, 31
	s_add_i32 s3, s13, s3
	s_lshr_b32 s2, s2, 30
	v_and_b32_e32 v21, 31, v0
	v_ashrrev_i32_e32 v2, 31, v1
	s_add_i32 s2, s12, s2
	v_add_nc_u32_e32 v24, 4, v1
	s_and_b32 s2, s2, -4
	v_mbcnt_lo_u32_b32 v23, -1, 0
	v_lshlrev_b64 v[2:3], 2, v[1:2]
	s_sub_i32 s17, s12, s2
	v_lshrrev_b32_e32 v22, 3, v0
	v_add_nc_u32_e32 v25, s17, v1
	v_cmp_eq_u32_e64 s2, 0, v0
	s_and_b32 s33, s3, -4
	v_add_co_u32 v19, vcc_lo, s0, v2
	s_waitcnt lgkmcnt(0)
	v_mul_lo_u32 v9, s15, v1
	v_add_co_ci_u32_e64 v20, null, s1, v3, vcc_lo
	v_cmp_gt_u32_e64 s0, 32, v0
	v_cmp_gt_u32_e64 s1, 8, v0
	s_cmp_lt_i32 s33, 1
	s_cbranch_scc1 .LBB212_61
; %bb.13:
	v_cmp_gt_u32_e32 vcc_lo, 24, v23
	v_mul_lo_u32 v10, s15, v1
	s_cmp_gt_i32 s17, 0
	s_mov_b32 s21, 0
	v_cmp_ge_i32_e64 s3, s12, v24
	v_cndmask_b32_e64 v2, 0, 8, vcc_lo
	v_cmp_gt_u32_e32 vcc_lo, 28, v23
	v_cmp_ge_i32_e64 s4, s12, v25
	v_lshl_or_b32 v26, v23, 2, 64
	v_add_nc_u32_e32 v1, s15, v10
	v_ashrrev_i32_e32 v11, 31, v10
	v_cndmask_b32_e64 v3, 0, 4, vcc_lo
	v_cmp_gt_u32_e32 vcc_lo, 30, v23
	v_add_lshl_u32 v27, v2, v23, 2
	v_ashrrev_i32_e32 v2, 31, v1
	v_cmp_eq_u32_e64 s5, 0, v21
	v_add_lshl_u32 v28, v3, v23, 2
	v_cndmask_b32_e64 v4, 0, 2, vcc_lo
	v_cmp_ne_u32_e32 vcc_lo, 31, v23
	v_add_nc_u32_e32 v3, s15, v1
	v_lshlrev_b64 v[1:2], 2, v[1:2]
	v_lshlrev_b32_e32 v31, 2, v21
	v_add_lshl_u32 v29, v4, v23, 2
	v_add_co_ci_u32_e64 v5, null, 0, v23, vcc_lo
	v_add_nc_u32_e32 v7, s15, v3
	v_ashrrev_i32_e32 v4, 31, v3
	v_and_b32_e32 v32, 28, v22
	v_lshlrev_b32_e32 v30, 2, v5
	v_lshlrev_b64 v[5:6], 2, v[10:11]
	v_ashrrev_i32_e32 v8, 31, v7
	v_lshlrev_b64 v[3:4], 2, v[3:4]
	s_cselect_b32 s34, -1, 0
	s_mov_b32 s19, s21
	s_lshl_b32 s20, s18, 1
	v_add_co_u32 v11, vcc_lo, s10, v5
	v_add_co_ci_u32_e64 v12, null, s11, v6, vcc_lo
	v_add_co_u32 v13, vcc_lo, s10, v1
	v_mov_b32_e32 v5, 0
	v_add_co_ci_u32_e64 v14, null, s11, v2, vcc_lo
	v_lshlrev_b64 v[1:2], 2, v[7:8]
	v_add_co_u32 v15, vcc_lo, s10, v3
	v_mov_b32_e32 v6, v5
	v_mov_b32_e32 v7, v5
	;; [unrolled: 1-line block ×3, first 2 shown]
	v_add_co_ci_u32_e64 v16, null, s11, v4, vcc_lo
	v_add_co_u32 v17, vcc_lo, s10, v1
	v_add_co_ci_u32_e64 v18, null, s11, v2, vcc_lo
	v_mov_b32_e32 v1, v5
	v_mov_b32_e32 v2, v6
	;; [unrolled: 1-line block ×4, first 2 shown]
	s_lshl_b32 s35, s18, 2
	s_mul_i32 s36, s18, 3
	s_mov_b32 s37, s21
	s_mov_b32 s22, s21
	s_mov_b64 s[24:25], s[20:21]
	s_mov_b64 s[26:27], s[18:19]
	s_mov_b32 s19, 0
	s_branch .LBB212_15
.LBB212_14:                             ;   in Loop: Header=BB212_15 Depth=1
	s_or_b32 exec_lo, exec_lo, s7
	s_add_i32 s19, s19, 4
	s_add_u32 s26, s26, s35
	s_addc_u32 s27, s27, 0
	s_add_u32 s24, s24, s35
	s_addc_u32 s25, s25, 0
	s_add_u32 s36, s36, s35
	s_addc_u32 s37, s37, 0
	s_add_i32 s22, s22, s35
	s_cmp_ge_i32 s19, s33
	s_cbranch_scc1 .LBB212_62
.LBB212_15:                             ; =>This Loop Header: Depth=1
                                        ;     Child Loop BB212_46 Depth 2
                                        ;     Child Loop BB212_49 Depth 2
                                        ; implicit-def: $vgpr8
                                        ; implicit-def: $vgpr33
                                        ; implicit-def: $vgpr34
                                        ; implicit-def: $vgpr35
	s_and_saveexec_b32 s7, s3
	s_xor_b32 s7, exec_lo, s7
	s_cbranch_execnz .LBB212_42
; %bb.16:                               ;   in Loop: Header=BB212_15 Depth=1
	s_andn2_saveexec_b32 s20, s7
	s_cbranch_execnz .LBB212_43
.LBB212_17:                             ;   in Loop: Header=BB212_15 Depth=1
	s_or_b32 exec_lo, exec_lo, s20
	s_and_saveexec_b32 s7, s0
.LBB212_18:                             ;   in Loop: Header=BB212_15 Depth=1
	ds_write_b32 v31, v5
.LBB212_19:                             ;   in Loop: Header=BB212_15 Depth=1
	s_or_b32 exec_lo, exec_lo, s7
	ds_bpermute_b32 v6, v26, v35
	s_waitcnt lgkmcnt(0)
	s_waitcnt_vscnt null, 0x0
	s_barrier
	buffer_gl0_inv
	v_add_f32_e32 v6, v35, v6
	ds_bpermute_b32 v7, v27, v6
	s_waitcnt lgkmcnt(0)
	v_add_f32_e32 v6, v6, v7
	ds_bpermute_b32 v7, v28, v6
	s_waitcnt lgkmcnt(0)
	;; [unrolled: 3-line block ×3, first 2 shown]
	v_add_f32_e32 v6, v6, v7
	ds_bpermute_b32 v7, v30, v6
	s_and_saveexec_b32 s7, s5
	s_cbranch_execz .LBB212_21
; %bb.20:                               ;   in Loop: Header=BB212_15 Depth=1
	s_waitcnt lgkmcnt(0)
	v_add_f32_e32 v6, v6, v7
	ds_write_b32 v32, v6
.LBB212_21:                             ;   in Loop: Header=BB212_15 Depth=1
	s_or_b32 exec_lo, exec_lo, s7
	v_mov_b32_e32 v6, 0
	s_waitcnt lgkmcnt(0)
	s_barrier
	buffer_gl0_inv
	s_and_saveexec_b32 s7, s1
	s_cbranch_execnz .LBB212_50
; %bb.22:                               ;   in Loop: Header=BB212_15 Depth=1
	s_or_b32 exec_lo, exec_lo, s7
	s_and_saveexec_b32 s7, s0
	s_cbranch_execnz .LBB212_51
.LBB212_23:                             ;   in Loop: Header=BB212_15 Depth=1
	s_or_b32 exec_lo, exec_lo, s7
	s_and_saveexec_b32 s7, s0
.LBB212_24:                             ;   in Loop: Header=BB212_15 Depth=1
	ds_write_b32 v31, v5
.LBB212_25:                             ;   in Loop: Header=BB212_15 Depth=1
	s_or_b32 exec_lo, exec_lo, s7
	ds_bpermute_b32 v7, v26, v34
	s_waitcnt lgkmcnt(0)
	s_barrier
	buffer_gl0_inv
	v_add_f32_e32 v7, v34, v7
	ds_bpermute_b32 v34, v27, v7
	s_waitcnt lgkmcnt(0)
	v_add_f32_e32 v7, v7, v34
	ds_bpermute_b32 v34, v28, v7
	s_waitcnt lgkmcnt(0)
	;; [unrolled: 3-line block ×3, first 2 shown]
	v_add_f32_e32 v7, v7, v34
	ds_bpermute_b32 v34, v30, v7
	s_and_saveexec_b32 s7, s5
	s_cbranch_execz .LBB212_27
; %bb.26:                               ;   in Loop: Header=BB212_15 Depth=1
	s_waitcnt lgkmcnt(0)
	v_add_f32_e32 v7, v7, v34
	ds_write_b32 v32, v7
.LBB212_27:                             ;   in Loop: Header=BB212_15 Depth=1
	s_or_b32 exec_lo, exec_lo, s7
	v_mov_b32_e32 v7, 0
	s_waitcnt lgkmcnt(0)
	s_barrier
	buffer_gl0_inv
	s_and_saveexec_b32 s7, s1
	s_cbranch_execnz .LBB212_52
; %bb.28:                               ;   in Loop: Header=BB212_15 Depth=1
	s_or_b32 exec_lo, exec_lo, s7
	s_and_saveexec_b32 s7, s0
	s_cbranch_execnz .LBB212_53
.LBB212_29:                             ;   in Loop: Header=BB212_15 Depth=1
	s_or_b32 exec_lo, exec_lo, s7
	s_and_saveexec_b32 s7, s0
.LBB212_30:                             ;   in Loop: Header=BB212_15 Depth=1
	ds_write_b32 v31, v5
.LBB212_31:                             ;   in Loop: Header=BB212_15 Depth=1
	s_or_b32 exec_lo, exec_lo, s7
	ds_bpermute_b32 v34, v26, v33
	s_waitcnt lgkmcnt(0)
	s_barrier
	buffer_gl0_inv
	v_add_f32_e32 v33, v33, v34
	ds_bpermute_b32 v34, v27, v33
	s_waitcnt lgkmcnt(0)
	v_add_f32_e32 v33, v33, v34
	ds_bpermute_b32 v34, v28, v33
	s_waitcnt lgkmcnt(0)
	;; [unrolled: 3-line block ×3, first 2 shown]
	v_add_f32_e32 v33, v33, v34
	ds_bpermute_b32 v34, v30, v33
	s_and_saveexec_b32 s7, s5
	s_cbranch_execz .LBB212_33
; %bb.32:                               ;   in Loop: Header=BB212_15 Depth=1
	s_waitcnt lgkmcnt(0)
	v_add_f32_e32 v33, v33, v34
	ds_write_b32 v32, v33
.LBB212_33:                             ;   in Loop: Header=BB212_15 Depth=1
	s_or_b32 exec_lo, exec_lo, s7
	v_mov_b32_e32 v33, 0
	s_waitcnt lgkmcnt(0)
	s_barrier
	buffer_gl0_inv
	s_and_saveexec_b32 s7, s1
	s_cbranch_execnz .LBB212_54
; %bb.34:                               ;   in Loop: Header=BB212_15 Depth=1
	s_or_b32 exec_lo, exec_lo, s7
	s_and_saveexec_b32 s7, s0
	s_cbranch_execnz .LBB212_55
.LBB212_35:                             ;   in Loop: Header=BB212_15 Depth=1
	s_or_b32 exec_lo, exec_lo, s7
	s_and_saveexec_b32 s7, s0
.LBB212_36:                             ;   in Loop: Header=BB212_15 Depth=1
	ds_write_b32 v31, v5
.LBB212_37:                             ;   in Loop: Header=BB212_15 Depth=1
	s_or_b32 exec_lo, exec_lo, s7
	ds_bpermute_b32 v34, v26, v8
	s_waitcnt lgkmcnt(0)
	s_barrier
	buffer_gl0_inv
	v_add_f32_e32 v8, v8, v34
	ds_bpermute_b32 v34, v27, v8
	s_waitcnt lgkmcnt(0)
	v_add_f32_e32 v8, v8, v34
	ds_bpermute_b32 v34, v28, v8
	s_waitcnt lgkmcnt(0)
	;; [unrolled: 3-line block ×3, first 2 shown]
	v_add_f32_e32 v8, v8, v34
	ds_bpermute_b32 v34, v30, v8
	s_and_saveexec_b32 s7, s5
	s_cbranch_execz .LBB212_39
; %bb.38:                               ;   in Loop: Header=BB212_15 Depth=1
	s_waitcnt lgkmcnt(0)
	v_add_f32_e32 v8, v8, v34
	ds_write_b32 v32, v8
.LBB212_39:                             ;   in Loop: Header=BB212_15 Depth=1
	s_or_b32 exec_lo, exec_lo, s7
	v_mov_b32_e32 v8, 0
	s_waitcnt lgkmcnt(0)
	s_barrier
	buffer_gl0_inv
	s_and_saveexec_b32 s7, s1
	s_cbranch_execnz .LBB212_56
; %bb.40:                               ;   in Loop: Header=BB212_15 Depth=1
	s_or_b32 exec_lo, exec_lo, s7
	s_and_saveexec_b32 s7, s0
	s_cbranch_execnz .LBB212_57
.LBB212_41:                             ;   in Loop: Header=BB212_15 Depth=1
	s_or_b32 exec_lo, exec_lo, s7
	s_and_saveexec_b32 s7, s2
	s_cbranch_execz .LBB212_14
	s_branch .LBB212_58
.LBB212_42:                             ;   in Loop: Header=BB212_15 Depth=1
	s_mul_i32 s8, s19, s18
	s_ashr_i32 s9, s8, 31
	s_add_i32 s28, s8, s18
	s_lshl_b64 s[8:9], s[8:9], 2
	s_ashr_i32 s29, s28, 31
	v_add_co_u32 v2, vcc_lo, v19, s8
	v_add_co_ci_u32_e64 v3, null, s9, v20, vcc_lo
	s_lshl_b64 s[8:9], s[28:29], 2
	s_add_i32 s28, s28, s18
	v_add_co_u32 v6, vcc_lo, v19, s8
	s_ashr_i32 s29, s28, 31
	s_add_i32 s8, s28, s18
	v_add_co_ci_u32_e64 v7, null, s9, v20, vcc_lo
	s_lshl_b64 s[28:29], s[28:29], 2
	s_ashr_i32 s9, s8, 31
	v_add_co_u32 v33, vcc_lo, v19, s28
	s_lshl_b64 s[8:9], s[8:9], 2
	v_add_co_ci_u32_e64 v34, null, s29, v20, vcc_lo
	v_add_co_u32 v47, vcc_lo, v19, s8
	v_add_co_ci_u32_e64 v48, null, s9, v20, vcc_lo
	flat_load_dword v1, v[11:12]
	s_clause 0x3
	flat_load_dwordx4 v[35:38], v[2:3]
	flat_load_dwordx4 v[39:42], v[6:7]
	;; [unrolled: 1-line block ×4, first 2 shown]
	s_clause 0x2
	flat_load_dword v2, v[13:14]
	flat_load_dword v3, v[15:16]
	;; [unrolled: 1-line block ×3, first 2 shown]
	s_waitcnt vmcnt(6) lgkmcnt(6)
	v_fma_f32 v35, v1, v35, 0
	s_waitcnt vmcnt(5) lgkmcnt(5)
	v_fma_f32 v34, v1, v39, 0
	;; [unrolled: 2-line block ×4, first 2 shown]
	s_waitcnt vmcnt(2) lgkmcnt(2)
	v_fmac_f32_e32 v35, v2, v36
	v_fmac_f32_e32 v34, v2, v40
	v_fmac_f32_e32 v33, v2, v44
	v_fmac_f32_e32 v8, v2, v48
	s_waitcnt vmcnt(1) lgkmcnt(1)
	v_fmac_f32_e32 v35, v3, v37
	v_fmac_f32_e32 v34, v3, v41
	v_fmac_f32_e32 v33, v3, v45
	v_fmac_f32_e32 v8, v3, v49
	;; [unrolled: 5-line block ×3, first 2 shown]
	s_andn2_saveexec_b32 s20, s7
	s_cbranch_execz .LBB212_17
.LBB212_43:                             ;   in Loop: Header=BB212_15 Depth=1
	s_waitcnt lgkmcnt(0)
	v_mov_b32_e32 v8, 0
	v_mov_b32_e32 v33, 0
	;; [unrolled: 1-line block ×4, first 2 shown]
	s_and_saveexec_b32 s38, s4
	s_cbranch_execz .LBB212_60
; %bb.44:                               ;   in Loop: Header=BB212_15 Depth=1
	s_andn2_b32 vcc_lo, exec_lo, s34
	s_cbranch_vccnz .LBB212_47
; %bb.45:                               ;   in Loop: Header=BB212_15 Depth=1
	v_mov_b32_e32 v6, v10
	s_mov_b64 s[28:29], 0
	.p2align	6
.LBB212_46:                             ;   Parent Loop BB212_15 Depth=1
                                        ; =>  This Inner Loop Header: Depth=2
	v_ashrrev_i32_e32 v7, 31, v6
	s_cmp_eq_u32 s28, 3
	v_lshlrev_b64 v[7:8], 2, v[6:7]
	v_add_nc_u32_e32 v6, s15, v6
	v_add_co_u32 v7, vcc_lo, s10, v7
	v_add_co_ci_u32_e64 v8, null, s11, v8, vcc_lo
	s_cselect_b32 vcc_lo, -1, 0
	s_cmp_eq_u32 s28, 2
	s_cselect_b32 s7, -1, 0
	flat_load_dword v7, v[7:8]
	s_cmp_eq_u32 s28, 1
	s_cselect_b32 s8, -1, 0
	s_cmp_eq_u32 s28, 0
	s_cselect_b32 s9, -1, 0
	s_add_u32 s28, s28, 1
	s_addc_u32 s29, s29, 0
	s_cmp_eq_u32 s17, s28
	s_waitcnt vmcnt(0) lgkmcnt(0)
	v_cndmask_b32_e32 v4, v4, v7, vcc_lo
	v_cndmask_b32_e64 v3, v3, v7, s7
	v_cndmask_b32_e64 v2, v2, v7, s8
	;; [unrolled: 1-line block ×3, first 2 shown]
	s_cbranch_scc0 .LBB212_46
.LBB212_47:                             ;   in Loop: Header=BB212_15 Depth=1
	s_andn2_b32 vcc_lo, exec_lo, s34
	s_cbranch_vccnz .LBB212_59
; %bb.48:                               ;   in Loop: Header=BB212_15 Depth=1
	s_ashr_i32 s23, s22, 31
	v_mov_b32_e32 v35, 0
	s_lshl_b64 s[8:9], s[22:23], 2
	v_mov_b32_e32 v34, 0
	v_add_co_u32 v6, vcc_lo, v19, s8
	v_add_co_ci_u32_e64 v7, null, s9, v20, vcc_lo
	v_mov_b32_e32 v33, 0
	v_mov_b32_e32 v8, 0
	s_mov_b64 s[8:9], 0
.LBB212_49:                             ;   Parent Loop BB212_15 Depth=1
                                        ; =>  This Inner Loop Header: Depth=2
	s_cmp_eq_u32 s8, 1
	s_cselect_b32 vcc_lo, -1, 0
	s_cmp_eq_u32 s8, 2
	v_cndmask_b32_e32 v36, v1, v2, vcc_lo
	s_cselect_b32 vcc_lo, -1, 0
	s_cmp_eq_u32 s8, 3
	v_cndmask_b32_e32 v42, v36, v3, vcc_lo
	s_cselect_b32 vcc_lo, -1, 0
	s_add_i32 s28, s26, s8
	s_add_i32 s40, s24, s8
	s_ashr_i32 s29, s28, 31
	s_add_i32 s42, s36, s8
	s_ashr_i32 s41, s40, 31
	s_lshl_b64 s[28:29], s[28:29], 2
	s_ashr_i32 s43, s42, 31
	s_lshl_b64 s[40:41], s[40:41], 2
	v_add_co_u32 v36, s7, v19, s28
	s_lshl_b64 s[42:43], s[42:43], 2
	v_add_co_ci_u32_e64 v37, null, s29, v20, s7
	v_add_co_u32 v38, s7, v19, s40
	v_add_co_ci_u32_e64 v39, null, s41, v20, s7
	v_add_co_u32 v40, s7, v19, s42
	v_add_co_ci_u32_e64 v41, null, s43, v20, s7
	flat_load_dword v43, v[6:7]
	s_clause 0x2
	flat_load_dword v36, v[36:37]
	flat_load_dword v37, v[38:39]
	;; [unrolled: 1-line block ×3, first 2 shown]
	v_cndmask_b32_e32 v39, v42, v4, vcc_lo
	v_add_co_u32 v6, s7, v6, 4
	v_add_co_ci_u32_e64 v7, null, 0, v7, s7
	s_add_u32 s8, s8, 1
	s_addc_u32 s9, s9, 0
	s_cmp_lg_u32 s17, s8
	s_waitcnt vmcnt(3) lgkmcnt(3)
	v_fmac_f32_e32 v35, v39, v43
	s_waitcnt vmcnt(2) lgkmcnt(2)
	v_fmac_f32_e32 v34, v39, v36
	;; [unrolled: 2-line block ×4, first 2 shown]
	s_cbranch_scc1 .LBB212_49
	s_branch .LBB212_60
.LBB212_50:                             ;   in Loop: Header=BB212_15 Depth=1
	ds_read_b32 v6, v31
	s_or_b32 exec_lo, exec_lo, s7
	s_and_saveexec_b32 s7, s0
	s_cbranch_execz .LBB212_23
.LBB212_51:                             ;   in Loop: Header=BB212_15 Depth=1
	s_waitcnt lgkmcnt(0)
	ds_bpermute_b32 v7, v28, v6
	s_waitcnt lgkmcnt(0)
	v_add_f32_e32 v6, v6, v7
	ds_bpermute_b32 v7, v29, v6
	s_waitcnt lgkmcnt(0)
	v_add_f32_e32 v6, v6, v7
	;; [unrolled: 3-line block ×3, first 2 shown]
	s_or_b32 exec_lo, exec_lo, s7
	s_and_saveexec_b32 s7, s0
	s_cbranch_execnz .LBB212_24
	s_branch .LBB212_25
.LBB212_52:                             ;   in Loop: Header=BB212_15 Depth=1
	ds_read_b32 v7, v31
	s_or_b32 exec_lo, exec_lo, s7
	s_and_saveexec_b32 s7, s0
	s_cbranch_execz .LBB212_29
.LBB212_53:                             ;   in Loop: Header=BB212_15 Depth=1
	s_waitcnt lgkmcnt(0)
	ds_bpermute_b32 v34, v28, v7
	s_waitcnt lgkmcnt(0)
	v_add_f32_e32 v7, v7, v34
	ds_bpermute_b32 v34, v29, v7
	s_waitcnt lgkmcnt(0)
	v_add_f32_e32 v7, v7, v34
	;; [unrolled: 3-line block ×3, first 2 shown]
	s_or_b32 exec_lo, exec_lo, s7
	s_and_saveexec_b32 s7, s0
	s_cbranch_execnz .LBB212_30
	s_branch .LBB212_31
.LBB212_54:                             ;   in Loop: Header=BB212_15 Depth=1
	ds_read_b32 v33, v31
	s_or_b32 exec_lo, exec_lo, s7
	s_and_saveexec_b32 s7, s0
	s_cbranch_execz .LBB212_35
.LBB212_55:                             ;   in Loop: Header=BB212_15 Depth=1
	s_waitcnt lgkmcnt(0)
	ds_bpermute_b32 v34, v28, v33
	s_waitcnt lgkmcnt(0)
	v_add_f32_e32 v33, v33, v34
	ds_bpermute_b32 v34, v29, v33
	s_waitcnt lgkmcnt(0)
	v_add_f32_e32 v33, v33, v34
	;; [unrolled: 3-line block ×3, first 2 shown]
	s_or_b32 exec_lo, exec_lo, s7
	s_and_saveexec_b32 s7, s0
	s_cbranch_execnz .LBB212_36
	s_branch .LBB212_37
.LBB212_56:                             ;   in Loop: Header=BB212_15 Depth=1
	ds_read_b32 v8, v31
	s_or_b32 exec_lo, exec_lo, s7
	s_and_saveexec_b32 s7, s0
	s_cbranch_execz .LBB212_41
.LBB212_57:                             ;   in Loop: Header=BB212_15 Depth=1
	s_waitcnt lgkmcnt(0)
	ds_bpermute_b32 v34, v28, v8
	s_waitcnt lgkmcnt(0)
	v_add_f32_e32 v8, v8, v34
	ds_bpermute_b32 v34, v29, v8
	s_waitcnt lgkmcnt(0)
	v_add_f32_e32 v8, v8, v34
	;; [unrolled: 3-line block ×3, first 2 shown]
	s_or_b32 exec_lo, exec_lo, s7
	s_and_saveexec_b32 s7, s2
	s_cbranch_execz .LBB212_14
.LBB212_58:                             ;   in Loop: Header=BB212_15 Depth=1
	s_mul_i32 s8, s19, s16
	v_mul_f32_e32 v6, s14, v6
	s_add_i32 s20, s8, s6
	v_mul_f32_e32 v7, s14, v7
	s_lshl_b64 s[8:9], s[20:21], 2
	v_mul_f32_e32 v33, s14, v33
	s_add_u32 s8, s30, s8
	s_addc_u32 s9, s31, s9
	s_add_i32 s20, s20, s16
	global_store_dword v5, v6, s[8:9]
	s_lshl_b64 s[28:29], s[20:21], 2
	s_waitcnt lgkmcnt(0)
	v_mul_f32_e32 v6, s14, v8
	s_add_u32 s28, s30, s28
	s_addc_u32 s29, s31, s29
	s_add_i32 s20, s20, s16
	global_store_dword v5, v7, s[28:29]
	s_lshl_b64 s[38:39], s[20:21], 2
	s_add_u32 s8, s30, s38
	s_addc_u32 s9, s31, s39
	s_add_i32 s20, s20, s16
	s_lshl_b64 s[38:39], s[20:21], 2
	s_add_u32 s28, s30, s38
	s_addc_u32 s29, s31, s39
	global_store_dword v5, v33, s[8:9]
	global_store_dword v5, v6, s[28:29]
	s_branch .LBB212_14
.LBB212_59:                             ;   in Loop: Header=BB212_15 Depth=1
	v_mov_b32_e32 v8, 0
	v_mov_b32_e32 v33, 0
	;; [unrolled: 1-line block ×4, first 2 shown]
.LBB212_60:                             ;   in Loop: Header=BB212_15 Depth=1
	s_or_b32 exec_lo, exec_lo, s38
	s_or_b32 exec_lo, exec_lo, s20
	s_and_saveexec_b32 s7, s0
	s_cbranch_execnz .LBB212_18
	s_branch .LBB212_19
.LBB212_61:
	v_mov_b32_e32 v1, 0
	s_mov_b32 s19, 0
	v_mov_b32_e32 v2, v1
	v_mov_b32_e32 v3, v1
	;; [unrolled: 1-line block ×3, first 2 shown]
.LBB212_62:
	s_cmp_ge_i32 s19, s13
	s_cbranch_scc1 .LBB212_86
; %bb.63:
	v_cmp_gt_u32_e32 vcc_lo, 24, v23
	v_cmp_ge_i32_e64 s0, s12, v24
	v_lshl_or_b32 v17, v23, 2, 64
	v_ashrrev_i32_e32 v10, 31, v9
	v_cmp_ge_i32_e64 s1, s12, v25
	v_cndmask_b32_e64 v5, 0, 8, vcc_lo
	v_cmp_gt_u32_e32 vcc_lo, 28, v23
	s_cmp_gt_i32 s17, 0
	v_lshlrev_b64 v[10:11], 2, v[9:10]
	s_mov_b32 s7, 0
	v_add_lshl_u32 v18, v5, v23, 2
	v_cndmask_b32_e64 v6, 0, 4, vcc_lo
	v_cmp_gt_u32_e32 vcc_lo, 30, v23
	v_add_nc_u32_e32 v5, s15, v9
	s_cselect_b32 s12, -1, 0
	v_cmp_gt_u32_e64 s2, 32, v0
	v_add_lshl_u32 v24, v6, v23, 2
	v_cndmask_b32_e64 v7, 0, 2, vcc_lo
	v_cmp_ne_u32_e32 vcc_lo, 31, v23
	v_ashrrev_i32_e32 v6, 31, v5
	v_lshlrev_b32_e32 v16, 2, v21
	v_cmp_eq_u32_e64 s3, 0, v21
	v_and_b32_e32 v21, 28, v22
	s_waitcnt lgkmcnt(0)
	v_add_co_ci_u32_e64 v8, null, 0, v23, vcc_lo
	v_add_lshl_u32 v23, v7, v23, 2
	v_add_nc_u32_e32 v7, s15, v5
	v_lshlrev_b64 v[12:13], 2, v[5:6]
	v_lshlrev_b32_e32 v25, 2, v8
	v_add_co_u32 v5, vcc_lo, s10, v10
	v_add_nc_u32_e32 v14, s15, v7
	v_ashrrev_i32_e32 v8, 31, v7
	v_add_co_ci_u32_e64 v6, null, s11, v11, vcc_lo
	v_cmp_gt_u32_e64 s4, 8, v0
	v_ashrrev_i32_e32 v15, 31, v14
	v_lshlrev_b64 v[10:11], 2, v[7:8]
	v_add_co_u32 v7, vcc_lo, s10, v12
	v_add_co_ci_u32_e64 v8, null, s11, v13, vcc_lo
	v_lshlrev_b64 v[12:13], 2, v[14:15]
	v_add_co_u32 v10, vcc_lo, s10, v10
	v_add_co_ci_u32_e64 v11, null, s11, v11, vcc_lo
	v_cmp_eq_u32_e64 s5, 0, v0
	v_add_co_u32 v12, vcc_lo, s10, v12
	s_lshl_b64 s[8:9], s[6:7], 2
	v_add_co_ci_u32_e64 v13, null, s11, v13, vcc_lo
	v_mov_b32_e32 v0, 0
	s_add_u32 s24, s30, s8
	s_addc_u32 s25, s31, s9
	s_mul_i32 s20, s19, s18
	s_branch .LBB212_65
.LBB212_64:                             ;   in Loop: Header=BB212_65 Depth=1
	s_or_b32 exec_lo, exec_lo, s6
	s_add_i32 s19, s19, 1
	s_add_i32 s20, s20, s18
	s_cmp_ge_i32 s19, s13
	s_cbranch_scc1 .LBB212_86
.LBB212_65:                             ; =>This Loop Header: Depth=1
                                        ;     Child Loop BB212_78 Depth 2
                                        ;     Child Loop BB212_81 Depth 2
	v_mov_b32_e32 v22, s7
	s_and_saveexec_b32 s6, s0
	s_xor_b32 s6, exec_lo, s6
	s_cbranch_execnz .LBB212_74
; %bb.66:                               ;   in Loop: Header=BB212_65 Depth=1
	s_andn2_saveexec_b32 s26, s6
	s_cbranch_execnz .LBB212_75
.LBB212_67:                             ;   in Loop: Header=BB212_65 Depth=1
	s_or_b32 exec_lo, exec_lo, s26
	s_and_saveexec_b32 s6, s2
.LBB212_68:                             ;   in Loop: Header=BB212_65 Depth=1
	ds_write_b32 v16, v0
.LBB212_69:                             ;   in Loop: Header=BB212_65 Depth=1
	s_or_b32 exec_lo, exec_lo, s6
	s_waitcnt lgkmcnt(0)
	ds_bpermute_b32 v14, v17, v22
	s_waitcnt lgkmcnt(0)
	s_waitcnt_vscnt null, 0x0
	s_barrier
	buffer_gl0_inv
	v_add_f32_e32 v14, v22, v14
	ds_bpermute_b32 v15, v18, v14
	s_waitcnt lgkmcnt(0)
	v_add_f32_e32 v14, v14, v15
	ds_bpermute_b32 v15, v24, v14
	s_waitcnt lgkmcnt(0)
	;; [unrolled: 3-line block ×3, first 2 shown]
	v_add_f32_e32 v14, v14, v15
	ds_bpermute_b32 v15, v25, v14
	s_and_saveexec_b32 s6, s3
	s_cbranch_execz .LBB212_71
; %bb.70:                               ;   in Loop: Header=BB212_65 Depth=1
	s_waitcnt lgkmcnt(0)
	v_add_f32_e32 v14, v14, v15
	ds_write_b32 v21, v14
.LBB212_71:                             ;   in Loop: Header=BB212_65 Depth=1
	s_or_b32 exec_lo, exec_lo, s6
	v_mov_b32_e32 v14, 0
	s_waitcnt lgkmcnt(0)
	s_barrier
	buffer_gl0_inv
	s_and_saveexec_b32 s6, s4
	s_cbranch_execnz .LBB212_83
; %bb.72:                               ;   in Loop: Header=BB212_65 Depth=1
	s_or_b32 exec_lo, exec_lo, s6
	s_and_saveexec_b32 s6, s2
	s_cbranch_execnz .LBB212_84
.LBB212_73:                             ;   in Loop: Header=BB212_65 Depth=1
	s_or_b32 exec_lo, exec_lo, s6
	s_and_saveexec_b32 s6, s5
	s_cbranch_execz .LBB212_64
	s_branch .LBB212_85
.LBB212_74:                             ;   in Loop: Header=BB212_65 Depth=1
	s_mul_i32 s8, s19, s18
	s_ashr_i32 s9, s8, 31
	s_lshl_b64 s[8:9], s[8:9], 2
	v_add_co_u32 v1, vcc_lo, v19, s8
	v_add_co_ci_u32_e64 v2, null, s9, v20, vcc_lo
	flat_load_dwordx4 v[26:29], v[1:2]
	s_clause 0x3
	flat_load_dword v1, v[5:6]
	flat_load_dword v2, v[7:8]
	;; [unrolled: 1-line block ×4, first 2 shown]
	s_waitcnt vmcnt(3) lgkmcnt(3)
	v_fma_f32 v22, v1, v26, 0
	s_waitcnt vmcnt(2) lgkmcnt(2)
	v_fmac_f32_e32 v22, v2, v27
	s_waitcnt vmcnt(1) lgkmcnt(1)
	v_fmac_f32_e32 v22, v3, v28
	;; [unrolled: 2-line block ×3, first 2 shown]
	s_andn2_saveexec_b32 s26, s6
	s_cbranch_execz .LBB212_67
.LBB212_75:                             ;   in Loop: Header=BB212_65 Depth=1
	s_and_saveexec_b32 s27, s1
	s_cbranch_execz .LBB212_82
; %bb.76:                               ;   in Loop: Header=BB212_65 Depth=1
	s_andn2_b32 vcc_lo, exec_lo, s12
	s_cbranch_vccnz .LBB212_79
; %bb.77:                               ;   in Loop: Header=BB212_65 Depth=1
	s_waitcnt lgkmcnt(0)
	v_mov_b32_e32 v14, v9
	s_mov_b64 s[22:23], 0
	.p2align	6
.LBB212_78:                             ;   Parent Loop BB212_65 Depth=1
                                        ; =>  This Inner Loop Header: Depth=2
	v_ashrrev_i32_e32 v15, 31, v14
	s_cmp_eq_u32 s22, 3
	v_lshlrev_b64 v[26:27], 2, v[14:15]
	v_add_nc_u32_e32 v14, s15, v14
	v_add_co_u32 v26, vcc_lo, s10, v26
	v_add_co_ci_u32_e64 v27, null, s11, v27, vcc_lo
	s_cselect_b32 vcc_lo, -1, 0
	s_cmp_eq_u32 s22, 2
	s_cselect_b32 s6, -1, 0
	flat_load_dword v15, v[26:27]
	s_cmp_eq_u32 s22, 1
	s_cselect_b32 s8, -1, 0
	s_cmp_eq_u32 s22, 0
	s_cselect_b32 s9, -1, 0
	s_add_u32 s22, s22, 1
	s_addc_u32 s23, s23, 0
	s_cmp_eq_u32 s17, s22
	s_waitcnt vmcnt(0) lgkmcnt(0)
	v_cndmask_b32_e32 v4, v4, v15, vcc_lo
	v_cndmask_b32_e64 v3, v3, v15, s6
	v_cndmask_b32_e64 v2, v2, v15, s8
	;; [unrolled: 1-line block ×3, first 2 shown]
	s_cbranch_scc0 .LBB212_78
.LBB212_79:                             ;   in Loop: Header=BB212_65 Depth=1
	s_andn2_b32 vcc_lo, exec_lo, s12
	s_cbranch_vccnz .LBB212_82
; %bb.80:                               ;   in Loop: Header=BB212_65 Depth=1
	s_ashr_i32 s21, s20, 31
	s_lshl_b64 s[8:9], s[20:21], 2
	s_waitcnt lgkmcnt(0)
	v_add_co_u32 v14, vcc_lo, v19, s8
	v_add_co_ci_u32_e64 v15, null, s9, v20, vcc_lo
	s_mov_b64 s[8:9], 0
	.p2align	6
.LBB212_81:                             ;   Parent Loop BB212_65 Depth=1
                                        ; =>  This Inner Loop Header: Depth=2
	flat_load_dword v26, v[14:15]
	s_cmp_eq_u32 s8, 1
	s_cselect_b32 vcc_lo, -1, 0
	s_cmp_eq_u32 s8, 2
	v_cndmask_b32_e32 v27, v1, v2, vcc_lo
	s_cselect_b32 vcc_lo, -1, 0
	s_cmp_eq_u32 s8, 3
	v_cndmask_b32_e32 v27, v27, v3, vcc_lo
	s_cselect_b32 vcc_lo, -1, 0
	s_add_u32 s8, s8, 1
	s_addc_u32 s9, s9, 0
	s_cmp_lg_u32 s17, s8
	v_cndmask_b32_e32 v27, v27, v4, vcc_lo
	v_add_co_u32 v14, vcc_lo, v14, 4
	v_add_co_ci_u32_e64 v15, null, 0, v15, vcc_lo
	s_waitcnt vmcnt(0) lgkmcnt(0)
	v_fmac_f32_e32 v22, v27, v26
	s_cbranch_scc1 .LBB212_81
.LBB212_82:                             ;   in Loop: Header=BB212_65 Depth=1
	s_or_b32 exec_lo, exec_lo, s27
	s_or_b32 exec_lo, exec_lo, s26
	s_and_saveexec_b32 s6, s2
	s_cbranch_execnz .LBB212_68
	s_branch .LBB212_69
.LBB212_83:                             ;   in Loop: Header=BB212_65 Depth=1
	ds_read_b32 v14, v16
	s_or_b32 exec_lo, exec_lo, s6
	s_and_saveexec_b32 s6, s2
	s_cbranch_execz .LBB212_73
.LBB212_84:                             ;   in Loop: Header=BB212_65 Depth=1
	s_waitcnt lgkmcnt(0)
	ds_bpermute_b32 v15, v24, v14
	s_waitcnt lgkmcnt(0)
	v_add_f32_e32 v14, v14, v15
	ds_bpermute_b32 v15, v23, v14
	s_waitcnt lgkmcnt(0)
	v_add_f32_e32 v14, v14, v15
	;; [unrolled: 3-line block ×3, first 2 shown]
	s_or_b32 exec_lo, exec_lo, s6
	s_and_saveexec_b32 s6, s5
	s_cbranch_execz .LBB212_64
.LBB212_85:                             ;   in Loop: Header=BB212_65 Depth=1
	s_mul_hi_u32 s9, s19, s16
	s_mul_i32 s8, s19, s16
	s_waitcnt lgkmcnt(0)
	v_mul_f32_e32 v14, s14, v14
	s_lshl_b64 s[8:9], s[8:9], 2
	s_add_u32 s8, s24, s8
	s_addc_u32 s9, s25, s9
	global_store_dword v0, v14, s[8:9]
	s_branch .LBB212_64
.LBB212_86:
	s_endpgm
	.section	.rodata,"a",@progbits
	.p2align	6, 0x0
	.amdhsa_kernel _ZL23rocblas_gemvt_sn_kernelILb0ELi256ELi4EiPKfffEviiT4_lPKT3_lilS5_lilPT5_i
		.amdhsa_group_segment_fixed_size 128
		.amdhsa_private_segment_fixed_size 0
		.amdhsa_kernarg_size 360
		.amdhsa_user_sgpr_count 6
		.amdhsa_user_sgpr_private_segment_buffer 1
		.amdhsa_user_sgpr_dispatch_ptr 0
		.amdhsa_user_sgpr_queue_ptr 0
		.amdhsa_user_sgpr_kernarg_segment_ptr 1
		.amdhsa_user_sgpr_dispatch_id 0
		.amdhsa_user_sgpr_flat_scratch_init 0
		.amdhsa_user_sgpr_private_segment_size 0
		.amdhsa_wavefront_size32 1
		.amdhsa_uses_dynamic_stack 0
		.amdhsa_system_sgpr_private_segment_wavefront_offset 0
		.amdhsa_system_sgpr_workgroup_id_x 1
		.amdhsa_system_sgpr_workgroup_id_y 0
		.amdhsa_system_sgpr_workgroup_id_z 1
		.amdhsa_system_sgpr_workgroup_info 0
		.amdhsa_system_vgpr_workitem_id 0
		.amdhsa_next_free_vgpr 51
		.amdhsa_next_free_sgpr 44
		.amdhsa_reserve_vcc 1
		.amdhsa_reserve_flat_scratch 1
		.amdhsa_float_round_mode_32 0
		.amdhsa_float_round_mode_16_64 0
		.amdhsa_float_denorm_mode_32 3
		.amdhsa_float_denorm_mode_16_64 3
		.amdhsa_dx10_clamp 1
		.amdhsa_ieee_mode 1
		.amdhsa_fp16_overflow 0
		.amdhsa_workgroup_processor_mode 1
		.amdhsa_memory_ordered 1
		.amdhsa_forward_progress 1
		.amdhsa_shared_vgpr_count 0
		.amdhsa_exception_fp_ieee_invalid_op 0
		.amdhsa_exception_fp_denorm_src 0
		.amdhsa_exception_fp_ieee_div_zero 0
		.amdhsa_exception_fp_ieee_overflow 0
		.amdhsa_exception_fp_ieee_underflow 0
		.amdhsa_exception_fp_ieee_inexact 0
		.amdhsa_exception_int_div_zero 0
	.end_amdhsa_kernel
	.section	.text._ZL23rocblas_gemvt_sn_kernelILb0ELi256ELi4EiPKfffEviiT4_lPKT3_lilS5_lilPT5_i,"axG",@progbits,_ZL23rocblas_gemvt_sn_kernelILb0ELi256ELi4EiPKfffEviiT4_lPKT3_lilS5_lilPT5_i,comdat
.Lfunc_end212:
	.size	_ZL23rocblas_gemvt_sn_kernelILb0ELi256ELi4EiPKfffEviiT4_lPKT3_lilS5_lilPT5_i, .Lfunc_end212-_ZL23rocblas_gemvt_sn_kernelILb0ELi256ELi4EiPKfffEviiT4_lPKT3_lilS5_lilPT5_i
                                        ; -- End function
	.set _ZL23rocblas_gemvt_sn_kernelILb0ELi256ELi4EiPKfffEviiT4_lPKT3_lilS5_lilPT5_i.num_vgpr, 51
	.set _ZL23rocblas_gemvt_sn_kernelILb0ELi256ELi4EiPKfffEviiT4_lPKT3_lilS5_lilPT5_i.num_agpr, 0
	.set _ZL23rocblas_gemvt_sn_kernelILb0ELi256ELi4EiPKfffEviiT4_lPKT3_lilS5_lilPT5_i.numbered_sgpr, 44
	.set _ZL23rocblas_gemvt_sn_kernelILb0ELi256ELi4EiPKfffEviiT4_lPKT3_lilS5_lilPT5_i.num_named_barrier, 0
	.set _ZL23rocblas_gemvt_sn_kernelILb0ELi256ELi4EiPKfffEviiT4_lPKT3_lilS5_lilPT5_i.private_seg_size, 0
	.set _ZL23rocblas_gemvt_sn_kernelILb0ELi256ELi4EiPKfffEviiT4_lPKT3_lilS5_lilPT5_i.uses_vcc, 1
	.set _ZL23rocblas_gemvt_sn_kernelILb0ELi256ELi4EiPKfffEviiT4_lPKT3_lilS5_lilPT5_i.uses_flat_scratch, 1
	.set _ZL23rocblas_gemvt_sn_kernelILb0ELi256ELi4EiPKfffEviiT4_lPKT3_lilS5_lilPT5_i.has_dyn_sized_stack, 0
	.set _ZL23rocblas_gemvt_sn_kernelILb0ELi256ELi4EiPKfffEviiT4_lPKT3_lilS5_lilPT5_i.has_recursion, 0
	.set _ZL23rocblas_gemvt_sn_kernelILb0ELi256ELi4EiPKfffEviiT4_lPKT3_lilS5_lilPT5_i.has_indirect_call, 0
	.section	.AMDGPU.csdata,"",@progbits
; Kernel info:
; codeLenInByte = 4072
; TotalNumSgprs: 46
; NumVgprs: 51
; ScratchSize: 0
; MemoryBound: 0
; FloatMode: 240
; IeeeMode: 1
; LDSByteSize: 128 bytes/workgroup (compile time only)
; SGPRBlocks: 0
; VGPRBlocks: 6
; NumSGPRsForWavesPerEU: 46
; NumVGPRsForWavesPerEU: 51
; Occupancy: 16
; WaveLimiterHint : 0
; COMPUTE_PGM_RSRC2:SCRATCH_EN: 0
; COMPUTE_PGM_RSRC2:USER_SGPR: 6
; COMPUTE_PGM_RSRC2:TRAP_HANDLER: 0
; COMPUTE_PGM_RSRC2:TGID_X_EN: 1
; COMPUTE_PGM_RSRC2:TGID_Y_EN: 0
; COMPUTE_PGM_RSRC2:TGID_Z_EN: 1
; COMPUTE_PGM_RSRC2:TIDIG_COMP_CNT: 0
	.section	.text._ZL23rocblas_gemvt_sn_kernelILb0ELi256ELi4ElPKfffEviiT4_lPKT3_lilS5_lilPT5_i,"axG",@progbits,_ZL23rocblas_gemvt_sn_kernelILb0ELi256ELi4ElPKfffEviiT4_lPKT3_lilS5_lilPT5_i,comdat
	.globl	_ZL23rocblas_gemvt_sn_kernelILb0ELi256ELi4ElPKfffEviiT4_lPKT3_lilS5_lilPT5_i ; -- Begin function _ZL23rocblas_gemvt_sn_kernelILb0ELi256ELi4ElPKfffEviiT4_lPKT3_lilS5_lilPT5_i
	.p2align	8
	.type	_ZL23rocblas_gemvt_sn_kernelILb0ELi256ELi4ElPKfffEviiT4_lPKT3_lilS5_lilPT5_i,@function
_ZL23rocblas_gemvt_sn_kernelILb0ELi256ELi4ElPKfffEviiT4_lPKT3_lilS5_lilPT5_i: ; @_ZL23rocblas_gemvt_sn_kernelILb0ELi256ELi4ElPKfffEviiT4_lPKT3_lilS5_lilPT5_i
; %bb.0:
	s_load_dwordx4 s[12:15], s[4:5], 0x0
	s_mov_b32 s0, s7
	s_mov_b32 s1, 0
	s_waitcnt lgkmcnt(0)
	v_cmp_neq_f32_e64 s3, s14, 0
	v_cmp_eq_f32_e64 s2, s14, 0
	s_and_b32 vcc_lo, exec_lo, s3
	s_cbranch_vccnz .LBB213_2
; %bb.1:
	s_mov_b32 s7, s1
	s_mov_b64 s[22:23], 0
	s_andn2_b32 vcc_lo, exec_lo, s7
	s_mov_b64 s[20:21], 0
	s_cbranch_vccz .LBB213_3
	s_branch .LBB213_4
.LBB213_2:
	s_mov_b64 s[22:23], 0
	s_mov_b64 s[20:21], 0
.LBB213_3:
	s_load_dwordx4 s[8:11], s[4:5], 0x18
	s_lshl_b64 s[16:17], s[0:1], 3
	s_waitcnt lgkmcnt(0)
	s_add_u32 s8, s8, s16
	s_addc_u32 s9, s9, s17
	s_lshl_b64 s[10:11], s[10:11], 2
	s_load_dwordx2 s[8:9], s[8:9], 0x0
	s_waitcnt lgkmcnt(0)
	s_add_u32 s20, s8, s10
	s_addc_u32 s21, s9, s11
.LBB213_4:
	s_andn2_b32 vcc_lo, exec_lo, s3
	s_cbranch_vccnz .LBB213_6
; %bb.5:
	s_load_dwordx4 s[8:11], s[4:5], 0x38
	s_lshl_b64 s[16:17], s[0:1], 3
	s_waitcnt lgkmcnt(0)
	s_add_u32 s8, s8, s16
	s_addc_u32 s9, s9, s17
	s_lshl_b64 s[10:11], s[10:11], 2
	s_load_dwordx2 s[8:9], s[8:9], 0x0
	s_waitcnt lgkmcnt(0)
	s_add_u32 s22, s8, s10
	s_addc_u32 s23, s9, s11
.LBB213_6:
	s_clause 0x1
	s_load_dword s16, s[4:5], 0x68
	s_load_dwordx2 s[10:11], s[4:5], 0x58
	s_ashr_i32 s8, s13, 31
	s_mul_hi_u32 s1, s0, s13
	s_mul_i32 s3, s0, s8
	s_mul_i32 s0, s0, s13
	s_add_i32 s1, s1, s3
	s_mov_b32 s17, 0
	s_waitcnt lgkmcnt(0)
	s_mul_i32 s1, s1, s16
	s_mul_hi_u32 s3, s0, s16
	s_mul_i32 s0, s0, s16
	s_add_i32 s1, s3, s1
	s_lshl_b64 s[0:1], s[0:1], 2
	s_add_u32 s33, s10, s0
	s_addc_u32 s38, s11, s1
	s_andn2_b32 vcc_lo, exec_lo, s2
	s_mov_b32 s0, -1
	s_cbranch_vccnz .LBB213_11
; %bb.7:
	v_cmp_eq_u32_e32 vcc_lo, 0, v0
	s_cmp_gt_i32 s13, 0
	s_cselect_b32 s0, -1, 0
	s_and_b32 s0, vcc_lo, s0
	s_and_saveexec_b32 s9, s0
	s_cbranch_execz .LBB213_10
; %bb.8:
	s_mov_b32 s7, 0
	v_mov_b32_e32 v1, 0
	s_lshl_b64 s[0:1], s[6:7], 2
	s_mov_b32 s7, s13
	s_add_u32 s0, s33, s0
	s_addc_u32 s1, s38, s1
	s_lshl_b64 s[2:3], s[16:17], 2
.LBB213_9:                              ; =>This Inner Loop Header: Depth=1
	s_add_i32 s7, s7, -1
	global_store_dword v1, v1, s[0:1]
	s_add_u32 s0, s0, s2
	s_addc_u32 s1, s1, s3
	s_cmp_eq_u32 s7, 0
	s_cbranch_scc0 .LBB213_9
.LBB213_10:
	s_or_b32 exec_lo, exec_lo, s9
	s_mov_b32 s0, 0
.LBB213_11:
	s_andn2_b32 vcc_lo, exec_lo, s0
	s_cbranch_vccnz .LBB213_86
; %bb.12:
	s_lshl_b32 s0, s6, 10
	s_clause 0x1
	s_load_dword s18, s[4:5], 0x28
	s_load_dword s24, s[4:5], 0x48
	v_lshl_or_b32 v13, v0, 2, s0
	s_ashr_i32 s0, s12, 31
	s_lshr_b32 s1, s8, 30
	s_lshr_b32 s0, s0, 30
	s_add_i32 s1, s13, s1
	v_ashrrev_i32_e32 v14, 31, v13
	s_add_i32 s0, s12, s0
	s_and_b32 s17, s1, -4
	s_and_b32 s0, s0, -4
	v_add_nc_u32_e32 v30, 4, v13
	v_lshlrev_b64 v[11:12], 2, v[13:14]
	s_sub_i32 s15, s12, s0
	v_and_b32_e32 v27, 31, v0
	v_add_nc_u32_e32 v31, s15, v13
	v_cmp_gt_u32_e64 s0, 32, v0
	v_mbcnt_lo_u32_b32 v29, -1, 0
	v_add_co_u32 v9, vcc_lo, s20, v11
	v_add_co_ci_u32_e64 v10, null, s21, v12, vcc_lo
	v_cmp_gt_u32_e64 s1, 8, v0
	v_lshrrev_b32_e32 v28, 3, v0
	v_cmp_eq_u32_e64 s2, 0, v0
	v_or_b32_e32 v26, 1, v13
	v_or_b32_e32 v25, 2, v13
	;; [unrolled: 1-line block ×3, first 2 shown]
	s_waitcnt lgkmcnt(0)
	s_ashr_i32 s19, s18, 31
	s_ashr_i32 s25, s24, 31
	s_cmp_lt_i32 s17, 1
	s_cbranch_scc1 .LBB213_61
; %bb.13:
	v_cmp_gt_u32_e32 vcc_lo, 24, v29
	v_mad_i64_i32 v[5:6], null, s24, v25, 0
	v_mad_i64_i32 v[7:8], null, s24, v24, 0
	v_cndmask_b32_e64 v1, 0, 8, vcc_lo
	v_cmp_gt_u32_e32 vcc_lo, 28, v29
	s_cmp_gt_i32 s15, 0
	s_mov_b32 s7, 0
	v_mov_b32_e32 v23, v10
	v_add_lshl_u32 v33, v1, v29, 2
	v_cndmask_b32_e64 v2, 0, 4, vcc_lo
	v_cmp_gt_u32_e32 vcc_lo, 30, v29
	v_cmp_ge_i32_e64 s3, s12, v30
	v_cmp_ge_i32_e64 s4, s12, v31
	s_cselect_b32 s39, -1, 0
	v_add_lshl_u32 v34, v2, v29, 2
	v_cndmask_b32_e64 v3, 0, 2, vcc_lo
	v_cmp_ne_u32_e32 vcc_lo, 31, v29
	v_mad_i64_i32 v[1:2], null, s24, v13, 0
	v_lshl_or_b32 v32, v29, 2, 64
	v_add_lshl_u32 v35, v3, v29, 2
	v_add_co_ci_u32_e64 v4, null, 0, v29, vcc_lo
	v_cmp_eq_u32_e64 s5, 0, v27
	v_lshlrev_b32_e32 v37, 2, v27
	v_lshlrev_b64 v[1:2], 2, v[1:2]
	v_lshlrev_b32_e32 v36, 2, v4
	v_mad_i64_i32 v[3:4], null, s24, v26, 0
	s_lshl_b64 s[8:9], s[6:7], 2
	v_and_b32_e32 v38, 28, v28
	v_add_co_u32 v14, vcc_lo, s22, v1
	v_add_co_ci_u32_e64 v15, null, s23, v2, vcc_lo
	v_lshlrev_b64 v[3:4], 2, v[3:4]
	v_lshlrev_b64 v[1:2], 2, v[5:6]
	v_mov_b32_e32 v5, 0
	v_mov_b32_e32 v22, v9
	s_add_u32 s40, s33, s8
	s_addc_u32 s41, s38, s9
	v_add_co_u32 v16, vcc_lo, s22, v3
	v_add_co_ci_u32_e64 v17, null, s23, v4, vcc_lo
	v_lshlrev_b64 v[3:4], 2, v[7:8]
	v_add_co_u32 v18, vcc_lo, s22, v1
	v_mov_b32_e32 v6, v5
	v_mov_b32_e32 v7, v5
	;; [unrolled: 1-line block ×3, first 2 shown]
	v_add_co_ci_u32_e64 v19, null, s23, v2, vcc_lo
	v_add_co_u32 v20, vcc_lo, s22, v3
	v_add_co_ci_u32_e64 v21, null, s23, v4, vcc_lo
	v_mov_b32_e32 v1, v5
	v_mov_b32_e32 v2, v6
	;; [unrolled: 1-line block ×4, first 2 shown]
	s_lshl_b64 s[26:27], s[24:25], 2
	s_mul_hi_i32 s42, s18, 12
	s_mul_i32 s43, s18, 12
	s_lshl_b64 s[28:29], s[18:19], 4
	s_lshl_b64 s[30:31], s[18:19], 3
	;; [unrolled: 1-line block ×3, first 2 shown]
	s_branch .LBB213_15
.LBB213_14:                             ;   in Loop: Header=BB213_15 Depth=1
	s_or_b32 exec_lo, exec_lo, s8
	v_add_co_u32 v22, vcc_lo, v22, s28
	v_add_co_ci_u32_e64 v23, null, s29, v23, vcc_lo
	s_add_i32 s7, s7, 4
	s_cmp_ge_i32 s7, s17
	s_cbranch_scc1 .LBB213_62
.LBB213_15:                             ; =>This Loop Header: Depth=1
                                        ;     Child Loop BB213_46 Depth 2
                                        ;     Child Loop BB213_49 Depth 2
                                        ; implicit-def: $vgpr8
                                        ; implicit-def: $vgpr39
                                        ; implicit-def: $vgpr40
                                        ; implicit-def: $vgpr41
	s_and_saveexec_b32 s8, s3
	s_xor_b32 s8, exec_lo, s8
	s_cbranch_execnz .LBB213_42
; %bb.16:                               ;   in Loop: Header=BB213_15 Depth=1
	s_andn2_saveexec_b32 s44, s8
	s_cbranch_execnz .LBB213_43
.LBB213_17:                             ;   in Loop: Header=BB213_15 Depth=1
	s_or_b32 exec_lo, exec_lo, s44
	s_and_saveexec_b32 s8, s0
.LBB213_18:                             ;   in Loop: Header=BB213_15 Depth=1
	ds_write_b32 v37, v5
.LBB213_19:                             ;   in Loop: Header=BB213_15 Depth=1
	s_or_b32 exec_lo, exec_lo, s8
	ds_bpermute_b32 v6, v32, v41
	s_waitcnt lgkmcnt(0)
	s_waitcnt_vscnt null, 0x0
	s_barrier
	buffer_gl0_inv
	v_add_f32_e32 v6, v41, v6
	ds_bpermute_b32 v7, v33, v6
	s_waitcnt lgkmcnt(0)
	v_add_f32_e32 v6, v6, v7
	ds_bpermute_b32 v7, v34, v6
	s_waitcnt lgkmcnt(0)
	;; [unrolled: 3-line block ×3, first 2 shown]
	v_add_f32_e32 v6, v6, v7
	ds_bpermute_b32 v7, v36, v6
	s_and_saveexec_b32 s8, s5
	s_cbranch_execz .LBB213_21
; %bb.20:                               ;   in Loop: Header=BB213_15 Depth=1
	s_waitcnt lgkmcnt(0)
	v_add_f32_e32 v6, v6, v7
	ds_write_b32 v38, v6
.LBB213_21:                             ;   in Loop: Header=BB213_15 Depth=1
	s_or_b32 exec_lo, exec_lo, s8
	v_mov_b32_e32 v6, 0
	s_waitcnt lgkmcnt(0)
	s_barrier
	buffer_gl0_inv
	s_and_saveexec_b32 s8, s1
	s_cbranch_execnz .LBB213_50
; %bb.22:                               ;   in Loop: Header=BB213_15 Depth=1
	s_or_b32 exec_lo, exec_lo, s8
	s_and_saveexec_b32 s8, s0
	s_cbranch_execnz .LBB213_51
.LBB213_23:                             ;   in Loop: Header=BB213_15 Depth=1
	s_or_b32 exec_lo, exec_lo, s8
	s_and_saveexec_b32 s8, s0
.LBB213_24:                             ;   in Loop: Header=BB213_15 Depth=1
	ds_write_b32 v37, v5
.LBB213_25:                             ;   in Loop: Header=BB213_15 Depth=1
	s_or_b32 exec_lo, exec_lo, s8
	ds_bpermute_b32 v7, v32, v40
	s_waitcnt lgkmcnt(0)
	s_barrier
	buffer_gl0_inv
	v_add_f32_e32 v7, v40, v7
	ds_bpermute_b32 v40, v33, v7
	s_waitcnt lgkmcnt(0)
	v_add_f32_e32 v7, v7, v40
	ds_bpermute_b32 v40, v34, v7
	s_waitcnt lgkmcnt(0)
	;; [unrolled: 3-line block ×3, first 2 shown]
	v_add_f32_e32 v7, v7, v40
	ds_bpermute_b32 v40, v36, v7
	s_and_saveexec_b32 s8, s5
	s_cbranch_execz .LBB213_27
; %bb.26:                               ;   in Loop: Header=BB213_15 Depth=1
	s_waitcnt lgkmcnt(0)
	v_add_f32_e32 v7, v7, v40
	ds_write_b32 v38, v7
.LBB213_27:                             ;   in Loop: Header=BB213_15 Depth=1
	s_or_b32 exec_lo, exec_lo, s8
	v_mov_b32_e32 v7, 0
	s_waitcnt lgkmcnt(0)
	s_barrier
	buffer_gl0_inv
	s_and_saveexec_b32 s8, s1
	s_cbranch_execnz .LBB213_52
; %bb.28:                               ;   in Loop: Header=BB213_15 Depth=1
	s_or_b32 exec_lo, exec_lo, s8
	s_and_saveexec_b32 s8, s0
	s_cbranch_execnz .LBB213_53
.LBB213_29:                             ;   in Loop: Header=BB213_15 Depth=1
	s_or_b32 exec_lo, exec_lo, s8
	s_and_saveexec_b32 s8, s0
.LBB213_30:                             ;   in Loop: Header=BB213_15 Depth=1
	ds_write_b32 v37, v5
.LBB213_31:                             ;   in Loop: Header=BB213_15 Depth=1
	s_or_b32 exec_lo, exec_lo, s8
	ds_bpermute_b32 v40, v32, v39
	s_waitcnt lgkmcnt(0)
	s_barrier
	buffer_gl0_inv
	v_add_f32_e32 v39, v39, v40
	ds_bpermute_b32 v40, v33, v39
	s_waitcnt lgkmcnt(0)
	v_add_f32_e32 v39, v39, v40
	ds_bpermute_b32 v40, v34, v39
	s_waitcnt lgkmcnt(0)
	v_add_f32_e32 v39, v39, v40
	ds_bpermute_b32 v40, v35, v39
	s_waitcnt lgkmcnt(0)
	v_add_f32_e32 v39, v39, v40
	ds_bpermute_b32 v40, v36, v39
	s_and_saveexec_b32 s8, s5
	s_cbranch_execz .LBB213_33
; %bb.32:                               ;   in Loop: Header=BB213_15 Depth=1
	s_waitcnt lgkmcnt(0)
	v_add_f32_e32 v39, v39, v40
	ds_write_b32 v38, v39
.LBB213_33:                             ;   in Loop: Header=BB213_15 Depth=1
	s_or_b32 exec_lo, exec_lo, s8
	v_mov_b32_e32 v39, 0
	s_waitcnt lgkmcnt(0)
	s_barrier
	buffer_gl0_inv
	s_and_saveexec_b32 s8, s1
	s_cbranch_execnz .LBB213_54
; %bb.34:                               ;   in Loop: Header=BB213_15 Depth=1
	s_or_b32 exec_lo, exec_lo, s8
	s_and_saveexec_b32 s8, s0
	s_cbranch_execnz .LBB213_55
.LBB213_35:                             ;   in Loop: Header=BB213_15 Depth=1
	s_or_b32 exec_lo, exec_lo, s8
	s_and_saveexec_b32 s8, s0
.LBB213_36:                             ;   in Loop: Header=BB213_15 Depth=1
	ds_write_b32 v37, v5
.LBB213_37:                             ;   in Loop: Header=BB213_15 Depth=1
	s_or_b32 exec_lo, exec_lo, s8
	ds_bpermute_b32 v40, v32, v8
	s_waitcnt lgkmcnt(0)
	s_barrier
	buffer_gl0_inv
	v_add_f32_e32 v8, v8, v40
	ds_bpermute_b32 v40, v33, v8
	s_waitcnt lgkmcnt(0)
	v_add_f32_e32 v8, v8, v40
	ds_bpermute_b32 v40, v34, v8
	s_waitcnt lgkmcnt(0)
	;; [unrolled: 3-line block ×3, first 2 shown]
	v_add_f32_e32 v8, v8, v40
	ds_bpermute_b32 v40, v36, v8
	s_and_saveexec_b32 s8, s5
	s_cbranch_execz .LBB213_39
; %bb.38:                               ;   in Loop: Header=BB213_15 Depth=1
	s_waitcnt lgkmcnt(0)
	v_add_f32_e32 v8, v8, v40
	ds_write_b32 v38, v8
.LBB213_39:                             ;   in Loop: Header=BB213_15 Depth=1
	s_or_b32 exec_lo, exec_lo, s8
	v_mov_b32_e32 v8, 0
	s_waitcnt lgkmcnt(0)
	s_barrier
	buffer_gl0_inv
	s_and_saveexec_b32 s8, s1
	s_cbranch_execnz .LBB213_56
; %bb.40:                               ;   in Loop: Header=BB213_15 Depth=1
	s_or_b32 exec_lo, exec_lo, s8
	s_and_saveexec_b32 s8, s0
	s_cbranch_execnz .LBB213_57
.LBB213_41:                             ;   in Loop: Header=BB213_15 Depth=1
	s_or_b32 exec_lo, exec_lo, s8
	s_and_saveexec_b32 s8, s2
	s_cbranch_execz .LBB213_14
	s_branch .LBB213_58
.LBB213_42:                             ;   in Loop: Header=BB213_15 Depth=1
	s_mul_i32 s9, s7, s19
	s_mul_hi_u32 s10, s7, s18
	s_add_i32 s11, s10, s9
	s_mul_i32 s10, s7, s18
	s_or_b32 s9, s7, 1
	s_lshl_b64 s[10:11], s[10:11], 2
	s_mul_i32 s36, s9, s19
	s_mul_hi_u32 s37, s9, s18
	v_add_co_u32 v2, vcc_lo, v9, s10
	v_add_co_ci_u32_e64 v3, null, s11, v10, vcc_lo
	s_add_i32 s11, s37, s36
	s_mul_i32 s10, s9, s18
	s_or_b32 s9, s7, 2
	s_lshl_b64 s[10:11], s[10:11], 2
	s_mul_i32 s36, s9, s19
	s_mul_hi_u32 s37, s9, s18
	v_add_co_u32 v6, vcc_lo, v9, s10
	v_add_co_ci_u32_e64 v7, null, s11, v10, vcc_lo
	s_add_i32 s11, s37, s36
	s_or_b32 s36, s7, 3
	s_mul_i32 s10, s9, s18
	s_mul_i32 s9, s36, s19
	s_mul_hi_u32 s37, s36, s18
	s_lshl_b64 s[10:11], s[10:11], 2
	s_add_i32 s37, s37, s9
	s_mul_i32 s36, s36, s18
	v_add_co_u32 v39, vcc_lo, v9, s10
	v_add_co_ci_u32_e64 v40, null, s11, v10, vcc_lo
	s_lshl_b64 s[10:11], s[36:37], 2
	v_add_co_u32 v53, vcc_lo, v9, s10
	v_add_co_ci_u32_e64 v54, null, s11, v10, vcc_lo
	flat_load_dword v1, v[14:15]
	s_clause 0x3
	flat_load_dwordx4 v[41:44], v[2:3]
	flat_load_dwordx4 v[45:48], v[6:7]
	;; [unrolled: 1-line block ×4, first 2 shown]
	s_clause 0x2
	flat_load_dword v2, v[16:17]
	flat_load_dword v3, v[18:19]
	;; [unrolled: 1-line block ×3, first 2 shown]
	s_waitcnt vmcnt(6) lgkmcnt(6)
	v_fma_f32 v41, v1, v41, 0
	s_waitcnt vmcnt(5) lgkmcnt(5)
	v_fma_f32 v40, v1, v45, 0
	;; [unrolled: 2-line block ×4, first 2 shown]
	s_waitcnt vmcnt(2) lgkmcnt(2)
	v_fmac_f32_e32 v41, v2, v42
	v_fmac_f32_e32 v40, v2, v46
	v_fmac_f32_e32 v39, v2, v50
	v_fmac_f32_e32 v8, v2, v54
	s_waitcnt vmcnt(1) lgkmcnt(1)
	v_fmac_f32_e32 v41, v3, v43
	v_fmac_f32_e32 v40, v3, v47
	v_fmac_f32_e32 v39, v3, v51
	v_fmac_f32_e32 v8, v3, v55
	s_waitcnt vmcnt(0) lgkmcnt(0)
	v_fmac_f32_e32 v41, v4, v44
	v_fmac_f32_e32 v40, v4, v48
	v_fmac_f32_e32 v39, v4, v52
	v_fmac_f32_e32 v8, v4, v56
	s_andn2_saveexec_b32 s44, s8
	s_cbranch_execz .LBB213_17
.LBB213_43:                             ;   in Loop: Header=BB213_15 Depth=1
	s_waitcnt lgkmcnt(0)
	v_mov_b32_e32 v8, 0
	v_mov_b32_e32 v39, 0
	;; [unrolled: 1-line block ×4, first 2 shown]
	s_and_saveexec_b32 s45, s4
	s_cbranch_execz .LBB213_60
; %bb.44:                               ;   in Loop: Header=BB213_15 Depth=1
	s_andn2_b32 vcc_lo, exec_lo, s39
	s_cbranch_vccnz .LBB213_47
; %bb.45:                               ;   in Loop: Header=BB213_15 Depth=1
	v_mov_b32_e32 v6, v14
	v_mov_b32_e32 v7, v15
	s_mov_b64 s[36:37], 0
	.p2align	6
.LBB213_46:                             ;   Parent Loop BB213_15 Depth=1
                                        ; =>  This Inner Loop Header: Depth=2
	flat_load_dword v8, v[6:7]
	s_cmp_eq_u32 s36, 3
	v_add_co_u32 v6, vcc_lo, v6, s26
	v_add_co_ci_u32_e64 v7, null, s27, v7, vcc_lo
	s_cselect_b32 vcc_lo, -1, 0
	s_cmp_eq_u32 s36, 2
	s_cselect_b32 s8, -1, 0
	s_cmp_eq_u32 s36, 1
	s_cselect_b32 s9, -1, 0
	;; [unrolled: 2-line block ×3, first 2 shown]
	s_add_u32 s36, s36, 1
	s_addc_u32 s37, s37, 0
	s_cmp_eq_u32 s15, s36
	s_waitcnt vmcnt(0) lgkmcnt(0)
	v_cndmask_b32_e32 v4, v4, v8, vcc_lo
	v_cndmask_b32_e64 v3, v3, v8, s8
	v_cndmask_b32_e64 v2, v2, v8, s9
	;; [unrolled: 1-line block ×3, first 2 shown]
	s_cbranch_scc0 .LBB213_46
.LBB213_47:                             ;   in Loop: Header=BB213_15 Depth=1
	s_andn2_b32 vcc_lo, exec_lo, s39
	s_cbranch_vccnz .LBB213_59
; %bb.48:                               ;   in Loop: Header=BB213_15 Depth=1
	v_mov_b32_e32 v6, v22
	v_mov_b32_e32 v41, 0
	;; [unrolled: 1-line block ×6, first 2 shown]
	s_mov_b64 s[10:11], 0
	s_inst_prefetch 0x1
	.p2align	6
.LBB213_49:                             ;   Parent Loop BB213_15 Depth=1
                                        ; =>  This Inner Loop Header: Depth=2
	v_add_co_u32 v42, vcc_lo, v6, s34
	v_add_co_ci_u32_e64 v43, null, s35, v7, vcc_lo
	v_add_co_u32 v44, vcc_lo, v6, s30
	v_add_co_ci_u32_e64 v45, null, s31, v7, vcc_lo
	;; [unrolled: 2-line block ×3, first 2 shown]
	s_clause 0x3
	flat_load_dword v48, v[6:7]
	flat_load_dword v42, v[42:43]
	;; [unrolled: 1-line block ×4, first 2 shown]
	s_cmp_eq_u32 s10, 1
	v_add_co_u32 v6, s8, v6, 4
	s_cselect_b32 vcc_lo, -1, 0
	s_cmp_eq_u32 s10, 2
	v_cndmask_b32_e32 v45, v1, v2, vcc_lo
	s_cselect_b32 vcc_lo, -1, 0
	s_cmp_eq_u32 s10, 3
	v_add_co_ci_u32_e64 v7, null, 0, v7, s8
	v_cndmask_b32_e32 v45, v45, v3, vcc_lo
	s_cselect_b32 vcc_lo, -1, 0
	s_add_u32 s10, s10, 1
	s_addc_u32 s11, s11, 0
	s_cmp_lg_u32 s15, s10
	v_cndmask_b32_e32 v45, v45, v4, vcc_lo
	s_waitcnt vmcnt(3) lgkmcnt(3)
	v_fmac_f32_e32 v41, v45, v48
	s_waitcnt vmcnt(2) lgkmcnt(2)
	v_fmac_f32_e32 v40, v45, v42
	;; [unrolled: 2-line block ×4, first 2 shown]
	s_cbranch_scc1 .LBB213_49
	s_branch .LBB213_60
.LBB213_50:                             ;   in Loop: Header=BB213_15 Depth=1
	ds_read_b32 v6, v37
	s_or_b32 exec_lo, exec_lo, s8
	s_and_saveexec_b32 s8, s0
	s_cbranch_execz .LBB213_23
.LBB213_51:                             ;   in Loop: Header=BB213_15 Depth=1
	s_waitcnt lgkmcnt(0)
	ds_bpermute_b32 v7, v34, v6
	s_waitcnt lgkmcnt(0)
	v_add_f32_e32 v6, v6, v7
	ds_bpermute_b32 v7, v35, v6
	s_waitcnt lgkmcnt(0)
	v_add_f32_e32 v6, v6, v7
	;; [unrolled: 3-line block ×3, first 2 shown]
	s_or_b32 exec_lo, exec_lo, s8
	s_and_saveexec_b32 s8, s0
	s_cbranch_execnz .LBB213_24
	s_branch .LBB213_25
.LBB213_52:                             ;   in Loop: Header=BB213_15 Depth=1
	ds_read_b32 v7, v37
	s_or_b32 exec_lo, exec_lo, s8
	s_and_saveexec_b32 s8, s0
	s_cbranch_execz .LBB213_29
.LBB213_53:                             ;   in Loop: Header=BB213_15 Depth=1
	s_waitcnt lgkmcnt(0)
	ds_bpermute_b32 v40, v34, v7
	s_waitcnt lgkmcnt(0)
	v_add_f32_e32 v7, v7, v40
	ds_bpermute_b32 v40, v35, v7
	s_waitcnt lgkmcnt(0)
	v_add_f32_e32 v7, v7, v40
	;; [unrolled: 3-line block ×3, first 2 shown]
	s_or_b32 exec_lo, exec_lo, s8
	s_and_saveexec_b32 s8, s0
	s_cbranch_execnz .LBB213_30
	s_branch .LBB213_31
.LBB213_54:                             ;   in Loop: Header=BB213_15 Depth=1
	ds_read_b32 v39, v37
	s_or_b32 exec_lo, exec_lo, s8
	s_and_saveexec_b32 s8, s0
	s_cbranch_execz .LBB213_35
.LBB213_55:                             ;   in Loop: Header=BB213_15 Depth=1
	s_waitcnt lgkmcnt(0)
	ds_bpermute_b32 v40, v34, v39
	s_waitcnt lgkmcnt(0)
	v_add_f32_e32 v39, v39, v40
	ds_bpermute_b32 v40, v35, v39
	s_waitcnt lgkmcnt(0)
	v_add_f32_e32 v39, v39, v40
	;; [unrolled: 3-line block ×3, first 2 shown]
	s_or_b32 exec_lo, exec_lo, s8
	s_and_saveexec_b32 s8, s0
	s_cbranch_execnz .LBB213_36
	s_branch .LBB213_37
.LBB213_56:                             ;   in Loop: Header=BB213_15 Depth=1
	ds_read_b32 v8, v37
	s_or_b32 exec_lo, exec_lo, s8
	s_and_saveexec_b32 s8, s0
	s_cbranch_execz .LBB213_41
.LBB213_57:                             ;   in Loop: Header=BB213_15 Depth=1
	s_waitcnt lgkmcnt(0)
	ds_bpermute_b32 v40, v34, v8
	s_waitcnt lgkmcnt(0)
	v_add_f32_e32 v8, v8, v40
	ds_bpermute_b32 v40, v35, v8
	s_waitcnt lgkmcnt(0)
	v_add_f32_e32 v8, v8, v40
	;; [unrolled: 3-line block ×3, first 2 shown]
	s_or_b32 exec_lo, exec_lo, s8
	s_and_saveexec_b32 s8, s2
	s_cbranch_execz .LBB213_14
.LBB213_58:                             ;   in Loop: Header=BB213_15 Depth=1
	s_mul_hi_u32 s11, s7, s16
	s_mul_i32 s10, s7, s16
	v_mul_f32_e32 v6, s14, v6
	s_lshl_b64 s[10:11], s[10:11], 2
	v_mul_f32_e32 v7, s14, v7
	s_add_u32 s10, s40, s10
	s_addc_u32 s11, s41, s11
	s_or_b32 s9, s7, 1
	global_store_dword v5, v6, s[10:11]
	s_mul_hi_u32 s37, s9, s16
	s_mul_i32 s36, s9, s16
	v_mul_f32_e32 v6, s14, v39
	s_lshl_b64 s[36:37], s[36:37], 2
	s_waitcnt lgkmcnt(0)
	v_mul_f32_e32 v8, s14, v8
	s_add_u32 s36, s40, s36
	s_addc_u32 s37, s41, s37
	s_or_b32 s9, s7, 2
	global_store_dword v5, v7, s[36:37]
	s_mul_hi_u32 s45, s9, s16
	s_mul_i32 s44, s9, s16
	s_lshl_b64 s[44:45], s[44:45], 2
	s_add_u32 s10, s40, s44
	s_addc_u32 s11, s41, s45
	s_or_b32 s9, s7, 3
	s_mul_hi_u32 s45, s9, s16
	s_mul_i32 s44, s9, s16
	s_lshl_b64 s[44:45], s[44:45], 2
	s_add_u32 s36, s40, s44
	s_addc_u32 s37, s41, s45
	global_store_dword v5, v6, s[10:11]
	global_store_dword v5, v8, s[36:37]
	s_branch .LBB213_14
.LBB213_59:                             ;   in Loop: Header=BB213_15 Depth=1
	v_mov_b32_e32 v8, 0
	v_mov_b32_e32 v39, 0
	;; [unrolled: 1-line block ×4, first 2 shown]
.LBB213_60:                             ;   in Loop: Header=BB213_15 Depth=1
	s_inst_prefetch 0x2
	s_or_b32 exec_lo, exec_lo, s45
	s_or_b32 exec_lo, exec_lo, s44
	s_and_saveexec_b32 s8, s0
	s_cbranch_execnz .LBB213_18
	s_branch .LBB213_19
.LBB213_61:
	v_mov_b32_e32 v1, 0
	s_mov_b32 s7, 0
	v_mov_b32_e32 v2, v1
	v_mov_b32_e32 v3, v1
	;; [unrolled: 1-line block ×3, first 2 shown]
.LBB213_62:
	s_cmp_ge_i32 s7, s13
	s_cbranch_scc1 .LBB213_86
; %bb.63:
	v_cmp_gt_u32_e32 vcc_lo, 24, v29
	v_lshl_or_b32 v20, v29, 2, 64
	v_mad_i64_i32 v[15:16], null, s24, v24, 0
	s_cmp_gt_i32 s15, 0
	v_cndmask_b32_e64 v5, 0, 8, vcc_lo
	v_cmp_gt_u32_e32 vcc_lo, 28, v29
	s_mov_b32 s11, 0
	s_mov_b32 s10, s6
	v_cmp_ge_i32_e64 s0, s12, v30
	v_add_lshl_u32 v21, v5, v29, 2
	v_cndmask_b32_e64 v6, 0, 4, vcc_lo
	v_cmp_gt_u32_e32 vcc_lo, 30, v29
	v_lshlrev_b64 v[15:16], 2, v[15:16]
	v_cmp_ge_i32_e64 s1, s12, v31
	s_cselect_b32 s12, -1, 0
	v_add_lshl_u32 v22, v6, v29, 2
	v_cndmask_b32_e64 v7, 0, 2, vcc_lo
	v_cmp_ne_u32_e32 vcc_lo, 31, v29
	v_mad_i64_i32 v[5:6], null, s24, v13, 0
	v_mad_i64_i32 v[13:14], null, s24, v25, 0
	s_waitcnt lgkmcnt(0)
	v_add_co_ci_u32_e64 v8, null, 0, v29, vcc_lo
	v_add_lshl_u32 v23, v7, v29, 2
	s_lshl_b64 s[8:9], s[10:11], 2
	v_lshlrev_b64 v[5:6], 2, v[5:6]
	v_lshlrev_b32_e32 v29, 2, v8
	v_mad_i64_i32 v[7:8], null, s24, v26, 0
	v_lshlrev_b64 v[13:14], 2, v[13:14]
	s_add_u32 s10, s33, s8
	v_add_co_u32 v5, vcc_lo, s22, v5
	v_add_co_ci_u32_e64 v6, null, s23, v6, vcc_lo
	v_lshlrev_b64 v[7:8], 2, v[7:8]
	s_mul_i32 s6, s19, s7
	s_mul_hi_u32 s8, s18, s7
	s_addc_u32 s17, s38, s9
	s_add_i32 s9, s8, s6
	s_mul_i32 s8, s18, s7
	v_add_co_u32 v7, vcc_lo, s22, v7
	v_add_co_ci_u32_e64 v8, null, s23, v8, vcc_lo
	v_add_co_u32 v13, vcc_lo, s22, v13
	v_add_co_ci_u32_e64 v14, null, s23, v14, vcc_lo
	v_add_co_u32 v15, vcc_lo, s22, v15
	s_lshl_b64 s[8:9], s[8:9], 2
	v_add_co_ci_u32_e64 v16, null, s23, v16, vcc_lo
	s_lshl_b64 s[22:23], s[24:25], 2
	s_add_u32 s6, s20, s8
	s_addc_u32 s8, s21, s9
	v_add_co_u32 v11, vcc_lo, s6, v11
	v_cmp_gt_u32_e64 s2, 32, v0
	v_lshlrev_b32_e32 v19, 2, v27
	v_cmp_eq_u32_e64 s3, 0, v27
	v_and_b32_e32 v27, 28, v28
	v_cmp_gt_u32_e64 s4, 8, v0
	v_cmp_eq_u32_e64 s5, 0, v0
	v_add_co_ci_u32_e64 v12, null, s8, v12, vcc_lo
	v_mov_b32_e32 v0, 0
	s_lshl_b64 s[20:21], s[18:19], 2
	s_branch .LBB213_65
.LBB213_64:                             ;   in Loop: Header=BB213_65 Depth=1
	s_or_b32 exec_lo, exec_lo, s6
	v_add_co_u32 v11, vcc_lo, v11, s20
	v_add_co_ci_u32_e64 v12, null, s21, v12, vcc_lo
	s_add_i32 s7, s7, 1
	s_cmp_ge_i32 s7, s13
	s_cbranch_scc1 .LBB213_86
.LBB213_65:                             ; =>This Loop Header: Depth=1
                                        ;     Child Loop BB213_78 Depth 2
                                        ;     Child Loop BB213_81 Depth 2
	v_mov_b32_e32 v24, s11
	s_and_saveexec_b32 s6, s0
	s_xor_b32 s6, exec_lo, s6
	s_cbranch_execnz .LBB213_74
; %bb.66:                               ;   in Loop: Header=BB213_65 Depth=1
	s_andn2_saveexec_b32 s26, s6
	s_cbranch_execnz .LBB213_75
.LBB213_67:                             ;   in Loop: Header=BB213_65 Depth=1
	s_or_b32 exec_lo, exec_lo, s26
	s_and_saveexec_b32 s6, s2
.LBB213_68:                             ;   in Loop: Header=BB213_65 Depth=1
	ds_write_b32 v19, v0
.LBB213_69:                             ;   in Loop: Header=BB213_65 Depth=1
	s_or_b32 exec_lo, exec_lo, s6
	s_waitcnt lgkmcnt(0)
	ds_bpermute_b32 v17, v20, v24
	s_waitcnt lgkmcnt(0)
	s_waitcnt_vscnt null, 0x0
	s_barrier
	buffer_gl0_inv
	v_add_f32_e32 v17, v24, v17
	ds_bpermute_b32 v18, v21, v17
	s_waitcnt lgkmcnt(0)
	v_add_f32_e32 v17, v17, v18
	ds_bpermute_b32 v18, v22, v17
	s_waitcnt lgkmcnt(0)
	;; [unrolled: 3-line block ×3, first 2 shown]
	v_add_f32_e32 v17, v17, v18
	ds_bpermute_b32 v18, v29, v17
	s_and_saveexec_b32 s6, s3
	s_cbranch_execz .LBB213_71
; %bb.70:                               ;   in Loop: Header=BB213_65 Depth=1
	s_waitcnt lgkmcnt(0)
	v_add_f32_e32 v17, v17, v18
	ds_write_b32 v27, v17
.LBB213_71:                             ;   in Loop: Header=BB213_65 Depth=1
	s_or_b32 exec_lo, exec_lo, s6
	v_mov_b32_e32 v17, 0
	s_waitcnt lgkmcnt(0)
	s_barrier
	buffer_gl0_inv
	s_and_saveexec_b32 s6, s4
	s_cbranch_execnz .LBB213_83
; %bb.72:                               ;   in Loop: Header=BB213_65 Depth=1
	s_or_b32 exec_lo, exec_lo, s6
	s_and_saveexec_b32 s6, s2
	s_cbranch_execnz .LBB213_84
.LBB213_73:                             ;   in Loop: Header=BB213_65 Depth=1
	s_or_b32 exec_lo, exec_lo, s6
	s_and_saveexec_b32 s6, s5
	s_cbranch_execz .LBB213_64
	s_branch .LBB213_85
.LBB213_74:                             ;   in Loop: Header=BB213_65 Depth=1
	s_mul_i32 s9, s7, s19
	s_mul_hi_u32 s24, s7, s18
	s_mul_i32 s8, s7, s18
	s_add_i32 s9, s24, s9
	s_lshl_b64 s[8:9], s[8:9], 2
	v_add_co_u32 v1, vcc_lo, v9, s8
	v_add_co_ci_u32_e64 v2, null, s9, v10, vcc_lo
	flat_load_dwordx4 v[30:33], v[1:2]
	s_clause 0x3
	flat_load_dword v1, v[5:6]
	flat_load_dword v2, v[7:8]
	;; [unrolled: 1-line block ×4, first 2 shown]
	s_waitcnt vmcnt(3) lgkmcnt(3)
	v_fma_f32 v24, v1, v30, 0
	s_waitcnt vmcnt(2) lgkmcnt(2)
	v_fmac_f32_e32 v24, v2, v31
	s_waitcnt vmcnt(1) lgkmcnt(1)
	v_fmac_f32_e32 v24, v3, v32
	;; [unrolled: 2-line block ×3, first 2 shown]
	s_andn2_saveexec_b32 s26, s6
	s_cbranch_execz .LBB213_67
.LBB213_75:                             ;   in Loop: Header=BB213_65 Depth=1
	s_and_saveexec_b32 s27, s1
	s_cbranch_execz .LBB213_82
; %bb.76:                               ;   in Loop: Header=BB213_65 Depth=1
	s_andn2_b32 vcc_lo, exec_lo, s12
	s_cbranch_vccnz .LBB213_79
; %bb.77:                               ;   in Loop: Header=BB213_65 Depth=1
	s_waitcnt lgkmcnt(0)
	v_mov_b32_e32 v18, v6
	v_mov_b32_e32 v17, v5
	s_mov_b64 s[24:25], 0
	.p2align	6
.LBB213_78:                             ;   Parent Loop BB213_65 Depth=1
                                        ; =>  This Inner Loop Header: Depth=2
	flat_load_dword v25, v[17:18]
	s_cmp_eq_u32 s24, 3
	v_add_co_u32 v17, vcc_lo, v17, s22
	v_add_co_ci_u32_e64 v18, null, s23, v18, vcc_lo
	s_cselect_b32 vcc_lo, -1, 0
	s_cmp_eq_u32 s24, 2
	s_cselect_b32 s6, -1, 0
	s_cmp_eq_u32 s24, 1
	s_cselect_b32 s8, -1, 0
	;; [unrolled: 2-line block ×3, first 2 shown]
	s_add_u32 s24, s24, 1
	s_addc_u32 s25, s25, 0
	s_cmp_eq_u32 s15, s24
	s_waitcnt vmcnt(0) lgkmcnt(0)
	v_cndmask_b32_e32 v4, v4, v25, vcc_lo
	v_cndmask_b32_e64 v3, v3, v25, s6
	v_cndmask_b32_e64 v2, v2, v25, s8
	;; [unrolled: 1-line block ×3, first 2 shown]
	s_cbranch_scc0 .LBB213_78
.LBB213_79:                             ;   in Loop: Header=BB213_65 Depth=1
	s_andn2_b32 vcc_lo, exec_lo, s12
	s_cbranch_vccnz .LBB213_82
; %bb.80:                               ;   in Loop: Header=BB213_65 Depth=1
	s_waitcnt lgkmcnt(0)
	v_mov_b32_e32 v18, v12
	v_mov_b32_e32 v17, v11
	s_mov_b64 s[8:9], 0
	.p2align	6
.LBB213_81:                             ;   Parent Loop BB213_65 Depth=1
                                        ; =>  This Inner Loop Header: Depth=2
	flat_load_dword v25, v[17:18]
	s_cmp_eq_u32 s8, 1
	s_cselect_b32 vcc_lo, -1, 0
	s_cmp_eq_u32 s8, 2
	v_cndmask_b32_e32 v26, v1, v2, vcc_lo
	s_cselect_b32 vcc_lo, -1, 0
	s_cmp_eq_u32 s8, 3
	v_cndmask_b32_e32 v26, v26, v3, vcc_lo
	s_cselect_b32 vcc_lo, -1, 0
	s_add_u32 s8, s8, 1
	s_addc_u32 s9, s9, 0
	s_cmp_lg_u32 s15, s8
	v_cndmask_b32_e32 v26, v26, v4, vcc_lo
	v_add_co_u32 v17, vcc_lo, v17, 4
	v_add_co_ci_u32_e64 v18, null, 0, v18, vcc_lo
	s_waitcnt vmcnt(0) lgkmcnt(0)
	v_fmac_f32_e32 v24, v26, v25
	s_cbranch_scc1 .LBB213_81
.LBB213_82:                             ;   in Loop: Header=BB213_65 Depth=1
	s_or_b32 exec_lo, exec_lo, s27
	s_or_b32 exec_lo, exec_lo, s26
	s_and_saveexec_b32 s6, s2
	s_cbranch_execnz .LBB213_68
	s_branch .LBB213_69
.LBB213_83:                             ;   in Loop: Header=BB213_65 Depth=1
	ds_read_b32 v17, v19
	s_or_b32 exec_lo, exec_lo, s6
	s_and_saveexec_b32 s6, s2
	s_cbranch_execz .LBB213_73
.LBB213_84:                             ;   in Loop: Header=BB213_65 Depth=1
	s_waitcnt lgkmcnt(0)
	ds_bpermute_b32 v18, v22, v17
	s_waitcnt lgkmcnt(0)
	v_add_f32_e32 v17, v17, v18
	ds_bpermute_b32 v18, v23, v17
	s_waitcnt lgkmcnt(0)
	v_add_f32_e32 v17, v17, v18
	;; [unrolled: 3-line block ×3, first 2 shown]
	s_or_b32 exec_lo, exec_lo, s6
	s_and_saveexec_b32 s6, s5
	s_cbranch_execz .LBB213_64
.LBB213_85:                             ;   in Loop: Header=BB213_65 Depth=1
	s_mul_hi_u32 s9, s7, s16
	s_mul_i32 s8, s7, s16
	s_waitcnt lgkmcnt(0)
	v_mul_f32_e32 v17, s14, v17
	s_lshl_b64 s[8:9], s[8:9], 2
	s_add_u32 s8, s10, s8
	s_addc_u32 s9, s17, s9
	global_store_dword v0, v17, s[8:9]
	s_branch .LBB213_64
.LBB213_86:
	s_endpgm
	.section	.rodata,"a",@progbits
	.p2align	6, 0x0
	.amdhsa_kernel _ZL23rocblas_gemvt_sn_kernelILb0ELi256ELi4ElPKfffEviiT4_lPKT3_lilS5_lilPT5_i
		.amdhsa_group_segment_fixed_size 128
		.amdhsa_private_segment_fixed_size 0
		.amdhsa_kernarg_size 360
		.amdhsa_user_sgpr_count 6
		.amdhsa_user_sgpr_private_segment_buffer 1
		.amdhsa_user_sgpr_dispatch_ptr 0
		.amdhsa_user_sgpr_queue_ptr 0
		.amdhsa_user_sgpr_kernarg_segment_ptr 1
		.amdhsa_user_sgpr_dispatch_id 0
		.amdhsa_user_sgpr_flat_scratch_init 0
		.amdhsa_user_sgpr_private_segment_size 0
		.amdhsa_wavefront_size32 1
		.amdhsa_uses_dynamic_stack 0
		.amdhsa_system_sgpr_private_segment_wavefront_offset 0
		.amdhsa_system_sgpr_workgroup_id_x 1
		.amdhsa_system_sgpr_workgroup_id_y 0
		.amdhsa_system_sgpr_workgroup_id_z 1
		.amdhsa_system_sgpr_workgroup_info 0
		.amdhsa_system_vgpr_workitem_id 0
		.amdhsa_next_free_vgpr 57
		.amdhsa_next_free_sgpr 46
		.amdhsa_reserve_vcc 1
		.amdhsa_reserve_flat_scratch 1
		.amdhsa_float_round_mode_32 0
		.amdhsa_float_round_mode_16_64 0
		.amdhsa_float_denorm_mode_32 3
		.amdhsa_float_denorm_mode_16_64 3
		.amdhsa_dx10_clamp 1
		.amdhsa_ieee_mode 1
		.amdhsa_fp16_overflow 0
		.amdhsa_workgroup_processor_mode 1
		.amdhsa_memory_ordered 1
		.amdhsa_forward_progress 1
		.amdhsa_shared_vgpr_count 0
		.amdhsa_exception_fp_ieee_invalid_op 0
		.amdhsa_exception_fp_denorm_src 0
		.amdhsa_exception_fp_ieee_div_zero 0
		.amdhsa_exception_fp_ieee_overflow 0
		.amdhsa_exception_fp_ieee_underflow 0
		.amdhsa_exception_fp_ieee_inexact 0
		.amdhsa_exception_int_div_zero 0
	.end_amdhsa_kernel
	.section	.text._ZL23rocblas_gemvt_sn_kernelILb0ELi256ELi4ElPKfffEviiT4_lPKT3_lilS5_lilPT5_i,"axG",@progbits,_ZL23rocblas_gemvt_sn_kernelILb0ELi256ELi4ElPKfffEviiT4_lPKT3_lilS5_lilPT5_i,comdat
.Lfunc_end213:
	.size	_ZL23rocblas_gemvt_sn_kernelILb0ELi256ELi4ElPKfffEviiT4_lPKT3_lilS5_lilPT5_i, .Lfunc_end213-_ZL23rocblas_gemvt_sn_kernelILb0ELi256ELi4ElPKfffEviiT4_lPKT3_lilS5_lilPT5_i
                                        ; -- End function
	.set _ZL23rocblas_gemvt_sn_kernelILb0ELi256ELi4ElPKfffEviiT4_lPKT3_lilS5_lilPT5_i.num_vgpr, 57
	.set _ZL23rocblas_gemvt_sn_kernelILb0ELi256ELi4ElPKfffEviiT4_lPKT3_lilS5_lilPT5_i.num_agpr, 0
	.set _ZL23rocblas_gemvt_sn_kernelILb0ELi256ELi4ElPKfffEviiT4_lPKT3_lilS5_lilPT5_i.numbered_sgpr, 46
	.set _ZL23rocblas_gemvt_sn_kernelILb0ELi256ELi4ElPKfffEviiT4_lPKT3_lilS5_lilPT5_i.num_named_barrier, 0
	.set _ZL23rocblas_gemvt_sn_kernelILb0ELi256ELi4ElPKfffEviiT4_lPKT3_lilS5_lilPT5_i.private_seg_size, 0
	.set _ZL23rocblas_gemvt_sn_kernelILb0ELi256ELi4ElPKfffEviiT4_lPKT3_lilS5_lilPT5_i.uses_vcc, 1
	.set _ZL23rocblas_gemvt_sn_kernelILb0ELi256ELi4ElPKfffEviiT4_lPKT3_lilS5_lilPT5_i.uses_flat_scratch, 1
	.set _ZL23rocblas_gemvt_sn_kernelILb0ELi256ELi4ElPKfffEviiT4_lPKT3_lilS5_lilPT5_i.has_dyn_sized_stack, 0
	.set _ZL23rocblas_gemvt_sn_kernelILb0ELi256ELi4ElPKfffEviiT4_lPKT3_lilS5_lilPT5_i.has_recursion, 0
	.set _ZL23rocblas_gemvt_sn_kernelILb0ELi256ELi4ElPKfffEviiT4_lPKT3_lilS5_lilPT5_i.has_indirect_call, 0
	.section	.AMDGPU.csdata,"",@progbits
; Kernel info:
; codeLenInByte = 4136
; TotalNumSgprs: 48
; NumVgprs: 57
; ScratchSize: 0
; MemoryBound: 0
; FloatMode: 240
; IeeeMode: 1
; LDSByteSize: 128 bytes/workgroup (compile time only)
; SGPRBlocks: 0
; VGPRBlocks: 7
; NumSGPRsForWavesPerEU: 48
; NumVGPRsForWavesPerEU: 57
; Occupancy: 16
; WaveLimiterHint : 0
; COMPUTE_PGM_RSRC2:SCRATCH_EN: 0
; COMPUTE_PGM_RSRC2:USER_SGPR: 6
; COMPUTE_PGM_RSRC2:TRAP_HANDLER: 0
; COMPUTE_PGM_RSRC2:TGID_X_EN: 1
; COMPUTE_PGM_RSRC2:TGID_Y_EN: 0
; COMPUTE_PGM_RSRC2:TGID_Z_EN: 1
; COMPUTE_PGM_RSRC2:TIDIG_COMP_CNT: 0
	.section	.text._ZL36rocblas_gemvt_double_buffered_kernelILb0ELi128ELi8ELi8EPKfS1_KPfEviiT4_lPKT3_lilS7_lilPT5_lili,"axG",@progbits,_ZL36rocblas_gemvt_double_buffered_kernelILb0ELi128ELi8ELi8EPKfS1_KPfEviiT4_lPKT3_lilS7_lilPT5_lili,comdat
	.globl	_ZL36rocblas_gemvt_double_buffered_kernelILb0ELi128ELi8ELi8EPKfS1_KPfEviiT4_lPKT3_lilS7_lilPT5_lili ; -- Begin function _ZL36rocblas_gemvt_double_buffered_kernelILb0ELi128ELi8ELi8EPKfS1_KPfEviiT4_lPKT3_lilS7_lilPT5_lili
	.p2align	8
	.type	_ZL36rocblas_gemvt_double_buffered_kernelILb0ELi128ELi8ELi8EPKfS1_KPfEviiT4_lPKT3_lilS7_lilPT5_lili,@function
_ZL36rocblas_gemvt_double_buffered_kernelILb0ELi128ELi8ELi8EPKfS1_KPfEviiT4_lPKT3_lilS7_lilPT5_lili: ; @_ZL36rocblas_gemvt_double_buffered_kernelILb0ELi128ELi8ELi8EPKfS1_KPfEviiT4_lPKT3_lilS7_lilPT5_lili
; %bb.0:
	s_load_dwordx8 s[12:19], s[4:5], 0x8
	s_mov_b32 s9, 0
	s_waitcnt lgkmcnt(0)
	s_mul_i32 s0, s15, s8
	s_mul_hi_u32 s1, s14, s8
	s_add_i32 s1, s1, s0
	s_mul_i32 s0, s14, s8
	s_lshl_b64 s[0:1], s[0:1], 2
	s_add_u32 s0, s12, s0
	s_addc_u32 s1, s13, s1
	s_load_dword s20, s[0:1], 0x0
	s_waitcnt lgkmcnt(0)
	v_cmp_eq_f32_e64 s0, s20, 0
	s_and_b32 vcc_lo, exec_lo, s0
	s_cbranch_vccnz .LBB214_12
; %bb.1:
	s_clause 0x1
	s_load_dword s0, s[4:5], 0x84
	s_load_dword s1, s[4:5], 0x0
	s_waitcnt lgkmcnt(0)
	v_cvt_f32_u32_e32 v2, s0
	s_ashr_i32 s3, s1, 31
	s_sub_i32 s10, 0, s0
	s_lshr_b32 s3, s3, 25
	s_add_i32 s1, s1, s3
	v_rcp_iflag_f32_e32 v2, v2
	s_ashr_i32 s1, s1, 7
	v_mul_f32_e32 v2, 0x4f7ffffe, v2
	v_cvt_u32_f32_e32 v2, v2
	v_readfirstlane_b32 s2, v2
	s_mul_i32 s10, s10, s2
	s_mul_hi_u32 s3, s2, s10
	s_add_i32 s2, s2, s3
	s_mul_hi_u32 s2, s1, s2
	s_mul_i32 s3, s2, s0
	s_add_i32 s10, s2, 1
	s_sub_i32 s3, s1, s3
	s_sub_i32 s11, s3, s0
	s_cmp_ge_u32 s3, s0
	s_cselect_b32 s2, s10, s2
	s_cselect_b32 s3, s11, s3
	s_add_i32 s10, s2, 1
	s_cmp_ge_u32 s3, s0
	s_cselect_b32 s12, s10, s2
	s_mul_i32 s0, s12, s0
	s_sub_i32 s13, s1, s0
	s_cmp_lt_u32 s7, s13
	s_cselect_b32 s0, -1, 0
	s_cmp_lg_u32 s0, 0
	s_addc_u32 s21, s12, 0
	s_cmp_eq_u32 s21, 0
	s_cbranch_scc1 .LBB214_12
; %bb.2:
	s_load_dwordx4 s[0:3], s[4:5], 0x58
	s_lshl_b64 s[10:11], s[8:9], 3
	v_lshl_add_u32 v4, v1, 7, v0
	v_and_b32_e32 v2, 63, v0
	v_lshrrev_b32_e32 v13, 3, v4
	v_lshlrev_b32_e32 v12, 2, v2
	v_and_b32_e32 v14, 0x7ff8, v13
	s_waitcnt lgkmcnt(0)
	s_add_u32 s0, s0, s10
	s_addc_u32 s1, s1, s11
	s_lshl_b32 s8, s6, 7
	s_load_dwordx2 s[0:1], s[0:1], 0x0
	s_ashr_i32 s9, s8, 31
	s_cmp_lt_i32 s21, 1
	s_cbranch_scc1 .LBB214_8
; %bb.3:
	v_cvt_f64_i32_e32 v[5:6], s7
	v_cvt_f64_u32_e32 v[7:8], s13
	s_mul_i32 s12, s12, s7
	s_load_dword s14, s[4:5], 0x28
	v_cvt_f64_u32_e32 v[9:10], s12
	s_clause 0x1
	s_load_dwordx4 s[24:27], s[4:5], 0x38
	s_load_dword s12, s[4:5], 0x48
	v_mov_b32_e32 v3, 0
	v_lshrrev_b32_e32 v4, 1, v4
	v_mov_b32_e32 v39, v3
	v_and_b32_e32 v4, 0x1ffe0, v4
	v_mov_b32_e32 v38, v3
	s_waitcnt lgkmcnt(0)
	s_ashr_i32 s15, s14, 31
	v_min_f64 v[5:6], v[5:6], v[7:8]
	s_add_u32 s6, s16, s10
	s_addc_u32 s7, s17, s11
	s_load_dwordx2 s[28:29], s[6:7], 0x0
	s_add_u32 s6, s24, s10
	s_addc_u32 s7, s25, s11
	s_lshl_b64 s[24:25], s[18:19], 2
	s_load_dwordx2 s[6:7], s[6:7], 0x0
	s_ashr_i32 s13, s12, 31
	s_mul_hi_i32 s11, s14, s8
	s_mul_i32 s10, s14, s8
	v_add_f64 v[5:6], v[5:6], v[9:10]
	s_waitcnt lgkmcnt(0)
	s_add_u32 s22, s28, s24
	s_addc_u32 s23, s29, s25
	s_lshl_b64 s[16:17], s[26:27], 2
	s_add_u32 s18, s6, s16
	s_addc_u32 s19, s7, s17
	s_lshl_b64 s[6:7], s[10:11], 2
	s_add_u32 s10, s22, s6
	s_addc_u32 s11, s23, s7
	v_cvt_i32_f64_e32 v7, v[5:6]
	v_mad_i64_i32 v[5:6], null, s14, v14, v[2:3]
	v_lshlrev_b64 v[5:6], 2, v[5:6]
	v_readfirstlane_b32 s16, v7
	s_lshl_b32 s6, s16, 7
	s_ashr_i32 s7, s6, 31
	s_lshl_b64 s[16:17], s[6:7], 2
	s_add_u32 s6, s10, s16
	s_addc_u32 s7, s11, s17
	v_add_co_u32 v5, vcc_lo, s6, v5
	v_add_co_ci_u32_e64 v6, null, s7, v6, vcc_lo
	s_lshl_b64 s[6:7], s[14:15], 2
	s_lshl_b64 s[26:27], s[8:9], 2
	v_add_co_u32 v7, vcc_lo, v5, s6
	v_add_co_ci_u32_e64 v8, null, s7, v6, vcc_lo
	v_add_co_u32 v33, s9, v4, s26
	v_add_co_u32 v9, vcc_lo, v7, s6
	v_add_co_ci_u32_e64 v10, null, s7, v8, vcc_lo
	v_add_co_ci_u32_e64 v34, null, 0, s27, s9
	v_add_co_u32 v15, vcc_lo, v9, s6
	v_add_co_ci_u32_e64 v16, null, s7, v10, vcc_lo
	s_add_i32 s22, s21, -1
	v_add_co_u32 v17, vcc_lo, v15, s6
	v_add_co_ci_u32_e64 v18, null, s7, v16, vcc_lo
	s_lshl_b64 s[10:11], s[12:13], 9
	v_add_co_u32 v19, vcc_lo, v17, s6
	v_add_co_ci_u32_e64 v20, null, s7, v18, vcc_lo
	s_add_u32 s9, s28, s16
	v_add_co_u32 v27, vcc_lo, v19, s6
	v_add_co_ci_u32_e64 v28, null, s7, v20, vcc_lo
	s_addc_u32 s23, s29, s17
	v_add_co_u32 v29, vcc_lo, v27, s6
	v_add_co_ci_u32_e64 v30, null, s7, v28, vcc_lo
	s_clause 0x6
	flat_load_dword v21, v[5:6]
	flat_load_dword v22, v[7:8]
	;; [unrolled: 1-line block ×8, first 2 shown]
	v_add_co_u32 v8, vcc_lo, v33, 4
	s_add_u32 s24, s9, s24
	v_add_co_ci_u32_e64 v9, null, 0, v34, vcc_lo
	s_addc_u32 s25, s23, s25
	v_mul_lo_u32 v10, v33, s15
	v_mad_u64_u32 v[4:5], null, v33, s14, s[24:25]
	v_mul_lo_u32 v11, v34, s14
	v_add_co_u32 v17, vcc_lo, v33, 8
	v_mad_u64_u32 v[6:7], null, v8, s14, s[24:25]
	v_mul_lo_u32 v15, v8, s15
	v_mul_lo_u32 v16, v9, s14
	v_add_co_ci_u32_e64 v18, null, 0, v34, vcc_lo
	v_mad_u64_u32 v[8:9], null, v17, s14, s[24:25]
	v_mul_lo_u32 v17, v17, s15
	v_mul_lo_u32 v18, v18, s14
	v_add3_u32 v5, v11, v5, v10
	v_add_co_u32 v11, vcc_lo, v33, 12
	v_add3_u32 v7, v16, v7, v15
	v_add_co_ci_u32_e64 v15, null, 0, v34, vcc_lo
	s_mul_i32 s9, s17, s12
	v_add3_u32 v18, v18, v9, v17
	v_mad_u64_u32 v[9:10], null, v11, s14, s[24:25]
	v_mul_lo_u32 v11, v11, s15
	v_mul_lo_u32 v19, v15, s14
	v_add_co_u32 v15, vcc_lo, 0x200, v6
	v_add_co_ci_u32_e64 v16, null, 0, v7, vcc_lo
	v_add_co_u32 v17, vcc_lo, 0x200, v8
	v_add_co_ci_u32_e64 v18, null, 0, v18, vcc_lo
	v_add_co_u32 v8, vcc_lo, v33, 16
	v_add3_u32 v20, v19, v10, v11
	v_add_co_ci_u32_e64 v10, null, 0, v34, vcc_lo
	v_mad_u64_u32 v[6:7], null, v8, s14, s[24:25]
	v_mul_lo_u32 v8, v8, s15
	v_mul_lo_u32 v30, v10, s14
	v_add_co_u32 v19, vcc_lo, v33, 20
	v_add_co_ci_u32_e64 v29, null, 0, v34, vcc_lo
	v_mad_u64_u32 v[10:11], null, v19, s14, s[24:25]
	v_mul_lo_u32 v31, v19, s15
	v_add_co_u32 v19, vcc_lo, 0x200, v9
	v_add_co_ci_u32_e64 v20, null, 0, v20, vcc_lo
	v_add3_u32 v9, v30, v7, v8
	v_add_co_u32 v30, vcc_lo, v33, 24
	v_mul_lo_u32 v29, v29, s14
	v_add_co_ci_u32_e64 v32, null, 0, v34, vcc_lo
	v_mad_u64_u32 v[7:8], null, v30, s14, s[24:25]
	v_mul_lo_u32 v35, v30, s15
	v_mul_lo_u32 v36, v32, s14
	v_add3_u32 v11, v29, v11, v31
	v_add_co_u32 v29, vcc_lo, 0x200, v6
	v_add_co_ci_u32_e64 v30, null, 0, v9, vcc_lo
	v_add_co_u32 v31, vcc_lo, 0x200, v10
	v_add_co_ci_u32_e64 v32, null, 0, v11, vcc_lo
	v_add3_u32 v6, v36, v8, v35
	v_add_co_u32 v8, vcc_lo, v33, 28
	v_add_co_ci_u32_e64 v9, null, 0, v34, vcc_lo
	v_or_b32_e32 v33, s16, v12
	v_mad_u64_u32 v[10:11], null, v8, s14, s[24:25]
	v_mul_lo_u32 v34, v8, s15
	v_mul_lo_u32 v35, v9, s14
	v_or_b32_e32 v8, 0x100, v33
	v_add_co_u32 v40, vcc_lo, 0x200, v7
	v_add_co_ci_u32_e64 v41, null, 0, v6, vcc_lo
	v_mul_lo_u32 v36, v8, s13
	v_mad_u64_u32 v[6:7], null, v8, s12, 0
	v_mul_lo_u32 v37, v33, s13
	v_mad_u64_u32 v[8:9], null, v33, s12, 0
	v_add3_u32 v11, v35, v11, v34
	v_add_co_u32 v42, vcc_lo, 0x200, v10
	v_add3_u32 v7, v7, v36, s9
	v_mov_b32_e32 v35, v3
	v_add_co_ci_u32_e64 v43, null, 0, v11, vcc_lo
	v_add3_u32 v9, v9, v37, s9
	v_mov_b32_e32 v37, v3
	v_mov_b32_e32 v36, v3
	;; [unrolled: 1-line block ×4, first 2 shown]
	s_mov_b32 s9, 0
	s_waitcnt vmcnt(7) lgkmcnt(7)
	v_mov_b32_e32 v44, v21
	s_waitcnt vmcnt(6) lgkmcnt(6)
	v_mov_b32_e32 v45, v22
	;; [unrolled: 2-line block ×8, first 2 shown]
.LBB214_4:                              ; =>This Inner Loop Header: Depth=1
	v_add_co_u32 v10, vcc_lo, v4, v12
	v_add_co_ci_u32_e64 v11, null, 0, v5, vcc_lo
	s_cmp_lg_u32 s22, s9
	v_add_co_u32 v52, vcc_lo, 0x100, v10
	v_add_co_ci_u32_e64 v54, null, 0, v11, vcc_lo
	v_add_co_u32 v53, vcc_lo, v52, s6
	v_add_co_ci_u32_e64 v54, null, s7, v54, vcc_lo
	;; [unrolled: 2-line block ×9, first 2 shown]
	s_clause 0x7
	flat_load_dword v52, v[10:11] offset:256
	flat_load_dword v53, v[53:54]
	flat_load_dword v54, v[55:56]
	;; [unrolled: 1-line block ×8, first 2 shown]
	s_cbranch_scc0 .LBB214_6
; %bb.5:                                ;   in Loop: Header=BB214_4 Depth=1
	v_add_co_u32 v45, vcc_lo, v15, v12
	v_add_co_ci_u32_e64 v46, null, 0, v16, vcc_lo
	v_add_co_u32 v47, vcc_lo, v17, v12
	v_add_co_ci_u32_e64 v48, null, 0, v18, vcc_lo
	flat_load_dword v44, v[10:11] offset:512
	flat_load_dword v45, v[45:46]
	flat_load_dword v46, v[47:48]
	v_add_co_u32 v10, vcc_lo, v19, v12
	v_add_co_ci_u32_e64 v11, null, 0, v20, vcc_lo
	v_add_co_u32 v48, vcc_lo, v29, v12
	v_add_co_ci_u32_e64 v49, null, 0, v30, vcc_lo
	v_add_co_u32 v50, vcc_lo, v31, v12
	v_add_co_ci_u32_e64 v51, null, 0, v32, vcc_lo
	v_add_co_u32 v61, vcc_lo, v40, v12
	v_add_co_ci_u32_e64 v62, null, 0, v41, vcc_lo
	v_add_co_u32 v63, vcc_lo, v42, v12
	v_add_co_ci_u32_e64 v64, null, 0, v43, vcc_lo
	flat_load_dword v47, v[10:11]
	flat_load_dword v48, v[48:49]
	;; [unrolled: 1-line block ×5, first 2 shown]
.LBB214_6:                              ;   in Loop: Header=BB214_4 Depth=1
	v_add_co_u32 v10, vcc_lo, s18, v6
	v_add_co_ci_u32_e64 v11, null, s19, v7, vcc_lo
	v_add_co_u32 v4, vcc_lo, 0x200, v4
	v_add_co_ci_u32_e64 v5, null, 0, v5, vcc_lo
	flat_load_dword v10, v[10:11]
	v_add_co_u32 v15, vcc_lo, 0x200, v15
	v_add_co_ci_u32_e64 v16, null, 0, v16, vcc_lo
	v_add_co_u32 v17, vcc_lo, 0x200, v17
	v_add_co_ci_u32_e64 v18, null, 0, v18, vcc_lo
	;; [unrolled: 2-line block ×4, first 2 shown]
	v_add_co_u32 v31, vcc_lo, 0x200, v31
	s_waitcnt vmcnt(1) lgkmcnt(1)
	v_fmac_f32_e32 v3, v21, v60
	v_fmac_f32_e32 v39, v22, v60
	;; [unrolled: 1-line block ×8, first 2 shown]
	v_add_co_ci_u32_e64 v32, null, 0, v32, vcc_lo
	v_add_co_u32 v40, vcc_lo, 0x200, v40
	v_add_co_ci_u32_e64 v41, null, 0, v41, vcc_lo
	v_add_co_u32 v42, vcc_lo, 0x200, v42
	s_add_i32 s9, s9, 1
	v_add_co_ci_u32_e64 v43, null, 0, v43, vcc_lo
	s_add_u32 s18, s18, s10
	s_addc_u32 s19, s19, s11
	s_cmp_ge_i32 s9, s21
	s_waitcnt vmcnt(0) lgkmcnt(0)
	v_fmac_f32_e32 v3, v52, v10
	v_fmac_f32_e32 v39, v53, v10
	;; [unrolled: 1-line block ×8, first 2 shown]
	s_cbranch_scc1 .LBB214_9
; %bb.7:                                ;   in Loop: Header=BB214_4 Depth=1
	v_mov_b32_e32 v21, v44
	v_mov_b32_e32 v22, v45
	;; [unrolled: 1-line block ×8, first 2 shown]
	s_branch .LBB214_4
.LBB214_8:
	v_mov_b32_e32 v33, 0
	v_mov_b32_e32 v34, 0
	;; [unrolled: 1-line block ×8, first 2 shown]
.LBB214_9:
	v_lshlrev_b32_e32 v4, 8, v13
	v_lshl_or_b32 v5, v14, 8, v12
	v_cmp_eq_u32_e32 vcc_lo, 0, v1
	s_mov_b32 s6, 0
	v_or3_b32 v1, v4, v12, 0x700
	ds_write2st64_b32 v5, v3, v39 offset1:1
	ds_write2st64_b32 v5, v37, v38 offset0:2 offset1:3
	ds_write2st64_b32 v5, v35, v36 offset0:4 offset1:5
	ds_write_b32 v5, v34 offset:1536
	ds_write_b32 v1, v33
	s_waitcnt lgkmcnt(0)
	s_barrier
	buffer_gl0_inv
	s_and_saveexec_b32 s7, vcc_lo
	s_cbranch_execz .LBB214_12
; %bb.10:
	v_lshlrev_b32_e32 v5, 8, v0
	v_add_nc_u32_e32 v1, 1, v0
	v_add_nc_u32_e32 v3, 2, v0
	;; [unrolled: 1-line block ×4, first 2 shown]
	v_lshl_or_b32 v6, v2, 2, v5
	v_and_b32_e32 v1, 63, v1
	v_and_b32_e32 v3, 63, v3
	v_add_nc_u32_e32 v8, 5, v0
	v_add_nc_u32_e32 v9, 6, v0
	ds_read_b32 v6, v6
	v_lshl_or_b32 v1, v1, 2, v5
	v_lshl_or_b32 v3, v3, 2, v5
	v_add_nc_u32_e32 v10, 7, v0
	v_and_b32_e32 v4, 63, v4
	ds_read_b32 v1, v1
	ds_read_b32 v3, v3
	v_and_b32_e32 v7, 63, v7
	v_and_b32_e32 v8, 63, v8
	;; [unrolled: 1-line block ×4, first 2 shown]
	v_lshl_or_b32 v4, v4, 2, v5
	v_lshl_or_b32 v7, v7, 2, v5
	;; [unrolled: 1-line block ×5, first 2 shown]
	ds_read_b32 v4, v4
	ds_read_b32 v7, v7
	;; [unrolled: 1-line block ×5, first 2 shown]
	v_add_nc_u32_e32 v11, 8, v0
	v_add_nc_u32_e32 v12, 9, v0
	;; [unrolled: 1-line block ×3, first 2 shown]
	s_waitcnt lgkmcnt(7)
	v_add_f32_e32 v6, 0, v6
	v_add_nc_u32_e32 v14, 12, v0
	v_add_nc_u32_e32 v15, 13, v0
	v_and_b32_e32 v12, 63, v12
	v_and_b32_e32 v13, 63, v13
	s_waitcnt lgkmcnt(6)
	v_add_f32_e32 v1, v6, v1
	v_add_nc_u32_e32 v6, 11, v0
	v_add_nc_u32_e32 v16, 14, v0
	v_lshl_or_b32 v12, v12, 2, v5
	v_lshl_or_b32 v13, v13, 2, v5
	s_waitcnt lgkmcnt(5)
	v_add_f32_e32 v1, v1, v3
	v_and_b32_e32 v3, 63, v11
	v_add_nc_u32_e32 v11, 15, v0
	s_load_dword s4, s[4:5], 0x68
	s_lshl_b64 s[2:3], s[2:3], 2
	s_waitcnt lgkmcnt(0)
	v_add_f32_e32 v1, v1, v4
	v_lshl_or_b32 v3, v3, 2, v5
	v_and_b32_e32 v4, 63, v6
	v_and_b32_e32 v6, 63, v14
	;; [unrolled: 1-line block ×3, first 2 shown]
	v_add_f32_e32 v1, v1, v7
	ds_read_b32 v3, v3
	v_and_b32_e32 v7, 63, v15
	v_and_b32_e32 v11, 63, v11
	v_lshl_or_b32 v4, v4, 2, v5
	v_add_f32_e32 v1, v1, v8
	ds_read_b32 v8, v12
	v_lshl_or_b32 v6, v6, 2, v5
	v_lshl_or_b32 v7, v7, 2, v5
	;; [unrolled: 1-line block ×3, first 2 shown]
	v_add_f32_e32 v1, v1, v9
	ds_read_b32 v9, v13
	v_lshl_or_b32 v12, v14, 2, v5
	v_add_nc_u32_e32 v13, 19, v0
	v_add_nc_u32_e32 v14, 20, v0
	v_add_f32_e32 v1, v1, v10
	ds_read_b32 v4, v4
	ds_read_b32 v6, v6
	ds_read_b32 v7, v7
	ds_read_b32 v10, v12
	ds_read_b32 v11, v11
	v_add_nc_u32_e32 v12, 17, v0
	v_add_nc_u32_e32 v15, 21, v0
	;; [unrolled: 1-line block ×3, first 2 shown]
	s_mul_hi_i32 s5, s4, s8
	s_waitcnt lgkmcnt(7)
	v_add_f32_e32 v1, v1, v3
	v_add_nc_u32_e32 v3, 16, v0
	v_and_b32_e32 v12, 63, v12
	s_add_u32 s2, s0, s2
	s_addc_u32 s3, s1, s3
	s_waitcnt lgkmcnt(6)
	v_add_f32_e32 v1, v1, v8
	v_and_b32_e32 v3, 63, v3
	v_add_nc_u32_e32 v8, 18, v0
	v_xor_b32_e32 v2, 32, v2
	s_waitcnt lgkmcnt(5)
	v_add_f32_e32 v1, v1, v9
	v_lshl_or_b32 v3, v3, 2, v5
	v_add_nc_u32_e32 v9, 22, v0
	v_lshl_or_b32 v2, v2, 2, v5
	s_waitcnt lgkmcnt(4)
	v_add_f32_e32 v1, v1, v4
	ds_read_b32 v3, v3
	v_and_b32_e32 v4, 63, v8
	v_and_b32_e32 v8, 63, v13
	;; [unrolled: 1-line block ×3, first 2 shown]
	s_waitcnt lgkmcnt(4)
	v_add_f32_e32 v1, v1, v6
	v_lshl_or_b32 v6, v12, 2, v5
	v_lshl_or_b32 v4, v4, 2, v5
	v_and_b32_e32 v12, 63, v15
	v_and_b32_e32 v9, 63, v9
	s_waitcnt lgkmcnt(3)
	v_add_f32_e32 v1, v1, v7
	ds_read_b32 v6, v6
	v_and_b32_e32 v7, 63, v16
	v_lshl_or_b32 v8, v8, 2, v5
	v_lshl_or_b32 v9, v9, 2, v5
	s_waitcnt lgkmcnt(3)
	v_add_f32_e32 v1, v1, v10
	v_lshl_or_b32 v10, v13, 2, v5
	ds_read_b32 v13, v4
	v_lshl_or_b32 v4, v12, 2, v5
	v_lshl_or_b32 v7, v7, 2, v5
	s_waitcnt lgkmcnt(3)
	v_add_f32_e32 v1, v1, v11
	ds_read_b32 v8, v8
	ds_read_b32 v10, v10
	;; [unrolled: 1-line block ×5, first 2 shown]
	v_add_nc_u32_e32 v12, 26, v0
	v_add_nc_u32_e32 v14, 31, v0
	s_waitcnt lgkmcnt(7)
	v_add_f32_e32 v1, v1, v3
	v_mad_i64_i32 v[3:4], null, s4, v0, 0
	s_mul_i32 s4, s4, s8
	v_and_b32_e32 v14, 63, v14
	s_lshl_b64 s[0:1], s[4:5], 2
	s_waitcnt lgkmcnt(6)
	v_add_f32_e32 v1, v1, v6
	s_add_u32 s0, s2, s0
	s_addc_u32 s1, s3, s1
	v_lshlrev_b64 v[3:4], 2, v[3:4]
	v_lshl_or_b32 v14, v14, 2, v5
	s_waitcnt lgkmcnt(5)
	v_add_f32_e32 v1, v1, v13
	v_add_nc_u32_e32 v13, 30, v0
	v_add_co_u32 v3, vcc_lo, s0, v3
	s_waitcnt lgkmcnt(4)
	v_add_f32_e32 v1, v1, v8
	v_add_co_ci_u32_e64 v4, null, s1, v4, vcc_lo
	v_add_nc_u32_e32 v8, 24, v0
	v_and_b32_e32 v13, 63, v13
	s_waitcnt lgkmcnt(3)
	v_add_f32_e32 v6, v1, v10
	flat_load_dword v1, v[3:4]
	v_add_nc_u32_e32 v10, 25, v0
	v_and_b32_e32 v8, 63, v8
	v_lshl_or_b32 v13, v13, 2, v5
	s_waitcnt lgkmcnt(3)
	v_add_f32_e32 v6, v6, v11
	v_and_b32_e32 v11, 63, v12
	v_and_b32_e32 v10, 63, v10
	v_lshl_or_b32 v8, v8, 2, v5
	v_add_nc_u32_e32 v12, 29, v0
	s_waitcnt lgkmcnt(2)
	v_add_f32_e32 v6, v6, v9
	v_lshl_or_b32 v9, v10, 2, v5
	v_lshl_or_b32 v10, v11, 2, v5
	v_add_nc_u32_e32 v11, 28, v0
	s_waitcnt lgkmcnt(1)
	v_add_f32_e32 v6, v6, v7
	ds_read_b32 v7, v8
	ds_read_b32 v8, v9
	;; [unrolled: 1-line block ×3, first 2 shown]
	v_add_nc_u32_e32 v10, 27, v0
	v_and_b32_e32 v12, 63, v12
	v_and_b32_e32 v11, 63, v11
	;; [unrolled: 1-line block ×3, first 2 shown]
	v_lshl_or_b32 v12, v12, 2, v5
	v_lshl_or_b32 v11, v11, 2, v5
	;; [unrolled: 1-line block ×3, first 2 shown]
	ds_read_b32 v10, v10
	ds_read_b32 v11, v11
	;; [unrolled: 1-line block ×5, first 2 shown]
	s_waitcnt lgkmcnt(7)
	v_add_f32_e32 v6, v6, v7
	v_add_nc_u32_e32 v7, 33, v0
	s_waitcnt lgkmcnt(6)
	v_add_f32_e32 v6, v6, v8
	v_add_nc_u32_e32 v8, 34, v0
	v_and_b32_e32 v7, 63, v7
	s_waitcnt lgkmcnt(5)
	v_add_f32_e32 v6, v6, v9
	v_and_b32_e32 v8, 63, v8
	v_lshl_or_b32 v7, v7, 2, v5
	v_add_nc_u32_e32 v9, 35, v0
	s_waitcnt lgkmcnt(4)
	v_add_f32_e32 v6, v6, v10
	v_lshl_or_b32 v8, v8, 2, v5
	ds_read_b32 v2, v2
	ds_read_b32 v7, v7
	;; [unrolled: 1-line block ×3, first 2 shown]
	s_waitcnt lgkmcnt(6)
	v_add_f32_e32 v6, v6, v11
	v_add_nc_u32_e32 v10, 36, v0
	v_add_nc_u32_e32 v11, 37, v0
	v_and_b32_e32 v9, 63, v9
	s_waitcnt lgkmcnt(5)
	v_add_f32_e32 v6, v6, v12
	v_add_nc_u32_e32 v12, 38, v0
	v_and_b32_e32 v10, 63, v10
	v_and_b32_e32 v11, 63, v11
	v_lshl_or_b32 v9, v9, 2, v5
	s_waitcnt lgkmcnt(4)
	v_add_f32_e32 v6, v6, v13
	v_add_nc_u32_e32 v13, 39, v0
	v_and_b32_e32 v12, 63, v12
	v_lshl_or_b32 v10, v10, 2, v5
	v_lshl_or_b32 v11, v11, 2, v5
	s_waitcnt lgkmcnt(3)
	v_add_f32_e32 v6, v6, v14
	v_and_b32_e32 v13, 63, v13
	v_lshl_or_b32 v12, v12, 2, v5
	s_waitcnt lgkmcnt(2)
	v_add_f32_e32 v2, v6, v2
	v_lshl_or_b32 v13, v13, 2, v5
	ds_read_b32 v9, v9
	ds_read_b32 v10, v10
	;; [unrolled: 1-line block ×5, first 2 shown]
	v_add_nc_u32_e32 v6, 40, v0
	s_waitcnt lgkmcnt(6)
	v_add_f32_e32 v2, v2, v7
	v_add_nc_u32_e32 v7, 41, v0
	v_and_b32_e32 v6, 63, v6
	s_waitcnt lgkmcnt(5)
	v_add_f32_e32 v2, v2, v8
	v_add_nc_u32_e32 v8, 42, v0
	v_and_b32_e32 v7, 63, v7
	v_lshl_or_b32 v6, v6, 2, v5
	v_and_b32_e32 v8, 63, v8
	v_lshl_or_b32 v7, v7, 2, v5
	s_waitcnt lgkmcnt(4)
	v_add_f32_e32 v2, v2, v9
	v_add_nc_u32_e32 v9, 43, v0
	v_lshl_or_b32 v8, v8, 2, v5
	ds_read_b32 v6, v6
	ds_read_b32 v7, v7
	ds_read_b32 v8, v8
	s_waitcnt lgkmcnt(6)
	v_add_f32_e32 v2, v2, v10
	v_add_nc_u32_e32 v10, 44, v0
	v_and_b32_e32 v9, 63, v9
	s_waitcnt lgkmcnt(5)
	v_add_f32_e32 v2, v2, v11
	v_add_nc_u32_e32 v11, 45, v0
	v_and_b32_e32 v10, 63, v10
	v_lshl_or_b32 v9, v9, 2, v5
	s_waitcnt lgkmcnt(4)
	v_add_f32_e32 v2, v2, v12
	v_add_nc_u32_e32 v12, 46, v0
	v_and_b32_e32 v11, 63, v11
	v_lshl_or_b32 v10, v10, 2, v5
	;; [unrolled: 5-line block ×3, first 2 shown]
	s_waitcnt lgkmcnt(2)
	v_add_f32_e32 v2, v2, v6
	v_and_b32_e32 v13, 63, v13
	v_lshl_or_b32 v12, v12, 2, v5
	v_add_nc_u32_e32 v6, 48, v0
	s_waitcnt lgkmcnt(1)
	v_add_f32_e32 v2, v2, v7
	v_lshl_or_b32 v13, v13, 2, v5
	ds_read_b32 v9, v9
	ds_read_b32 v10, v10
	;; [unrolled: 1-line block ×5, first 2 shown]
	v_add_nc_u32_e32 v7, 49, v0
	v_and_b32_e32 v6, 63, v6
	s_waitcnt lgkmcnt(5)
	v_add_f32_e32 v2, v2, v8
	v_add_nc_u32_e32 v8, 50, v0
	v_and_b32_e32 v7, 63, v7
	v_lshl_or_b32 v6, v6, 2, v5
	v_and_b32_e32 v8, 63, v8
	v_lshl_or_b32 v7, v7, 2, v5
	v_lshl_or_b32 v8, v8, 2, v5
	ds_read_b32 v6, v6
	ds_read_b32 v7, v7
	;; [unrolled: 1-line block ×3, first 2 shown]
	s_waitcnt lgkmcnt(7)
	v_add_f32_e32 v2, v2, v9
	v_add_nc_u32_e32 v9, 51, v0
	s_waitcnt lgkmcnt(6)
	v_add_f32_e32 v2, v2, v10
	v_add_nc_u32_e32 v10, 52, v0
	v_and_b32_e32 v9, 63, v9
	s_waitcnt lgkmcnt(5)
	v_add_f32_e32 v2, v2, v11
	v_add_nc_u32_e32 v11, 53, v0
	v_and_b32_e32 v10, 63, v10
	v_lshl_or_b32 v9, v9, 2, v5
	s_waitcnt lgkmcnt(4)
	v_add_f32_e32 v2, v2, v12
	v_add_nc_u32_e32 v12, 54, v0
	v_and_b32_e32 v11, 63, v11
	v_lshl_or_b32 v10, v10, 2, v5
	;; [unrolled: 5-line block ×3, first 2 shown]
	s_waitcnt lgkmcnt(2)
	v_add_f32_e32 v2, v2, v6
	v_and_b32_e32 v13, 63, v13
	v_lshl_or_b32 v12, v12, 2, v5
	v_add_nc_u32_e32 v6, 56, v0
	s_waitcnt lgkmcnt(1)
	v_add_f32_e32 v2, v2, v7
	v_lshl_or_b32 v13, v13, 2, v5
	ds_read_b32 v9, v9
	ds_read_b32 v10, v10
	;; [unrolled: 1-line block ×5, first 2 shown]
	v_add_nc_u32_e32 v7, 57, v0
	v_and_b32_e32 v6, 63, v6
	s_waitcnt lgkmcnt(5)
	v_add_f32_e32 v2, v2, v8
	v_add_nc_u32_e32 v8, 58, v0
	v_and_b32_e32 v7, 63, v7
	v_lshl_or_b32 v6, v6, 2, v5
	v_and_b32_e32 v8, 63, v8
	v_lshl_or_b32 v7, v7, 2, v5
	v_lshl_or_b32 v8, v8, 2, v5
	ds_read_b32 v6, v6
	ds_read_b32 v7, v7
	;; [unrolled: 1-line block ×3, first 2 shown]
	s_waitcnt lgkmcnt(7)
	v_add_f32_e32 v2, v2, v9
	v_add_nc_u32_e32 v9, 59, v0
	s_waitcnt lgkmcnt(6)
	v_add_f32_e32 v2, v2, v10
	v_add_nc_u32_e32 v10, 60, v0
	v_and_b32_e32 v9, 63, v9
	s_waitcnt lgkmcnt(5)
	v_add_f32_e32 v2, v2, v11
	v_add_nc_u32_e32 v11, 61, v0
	v_and_b32_e32 v10, 63, v10
	v_lshl_or_b32 v9, v9, 2, v5
	s_waitcnt lgkmcnt(4)
	v_add_f32_e32 v2, v2, v12
	v_add_nc_u32_e32 v12, 62, v0
	v_add_nc_u32_e32 v0, -1, v0
	v_and_b32_e32 v11, 63, v11
	v_lshl_or_b32 v10, v10, 2, v5
	s_waitcnt lgkmcnt(3)
	v_add_f32_e32 v2, v2, v13
	v_and_b32_e32 v12, 63, v12
	v_and_b32_e32 v0, 63, v0
	v_lshl_or_b32 v11, v11, 2, v5
	s_waitcnt lgkmcnt(2)
	v_add_f32_e32 v2, v2, v6
	v_lshl_or_b32 v12, v12, 2, v5
	v_lshl_or_b32 v0, v0, 2, v5
	ds_read_b32 v5, v9
	ds_read_b32 v9, v10
	;; [unrolled: 1-line block ×5, first 2 shown]
	s_waitcnt lgkmcnt(6)
	v_add_f32_e32 v2, v2, v7
	s_waitcnt lgkmcnt(5)
	v_add_f32_e32 v2, v2, v8
	;; [unrolled: 2-line block ×7, first 2 shown]
	v_mul_f32_e32 v2, s20, v0
.LBB214_11:                             ; =>This Inner Loop Header: Depth=1
	s_waitcnt vmcnt(0)
	v_add_f32_e32 v0, v1, v2
	flat_atomic_cmpswap v0, v[3:4], v[0:1] glc
	s_waitcnt vmcnt(0) lgkmcnt(0)
	v_cmp_eq_u32_e32 vcc_lo, v0, v1
	v_mov_b32_e32 v1, v0
	s_or_b32 s6, vcc_lo, s6
	s_andn2_b32 exec_lo, exec_lo, s6
	s_cbranch_execnz .LBB214_11
.LBB214_12:
	s_endpgm
	.section	.rodata,"a",@progbits
	.p2align	6, 0x0
	.amdhsa_kernel _ZL36rocblas_gemvt_double_buffered_kernelILb0ELi128ELi8ELi8EPKfS1_KPfEviiT4_lPKT3_lilS7_lilPT5_lili
		.amdhsa_group_segment_fixed_size 32768
		.amdhsa_private_segment_fixed_size 0
		.amdhsa_kernarg_size 384
		.amdhsa_user_sgpr_count 6
		.amdhsa_user_sgpr_private_segment_buffer 1
		.amdhsa_user_sgpr_dispatch_ptr 0
		.amdhsa_user_sgpr_queue_ptr 0
		.amdhsa_user_sgpr_kernarg_segment_ptr 1
		.amdhsa_user_sgpr_dispatch_id 0
		.amdhsa_user_sgpr_flat_scratch_init 0
		.amdhsa_user_sgpr_private_segment_size 0
		.amdhsa_wavefront_size32 1
		.amdhsa_uses_dynamic_stack 0
		.amdhsa_system_sgpr_private_segment_wavefront_offset 0
		.amdhsa_system_sgpr_workgroup_id_x 1
		.amdhsa_system_sgpr_workgroup_id_y 1
		.amdhsa_system_sgpr_workgroup_id_z 1
		.amdhsa_system_sgpr_workgroup_info 0
		.amdhsa_system_vgpr_workitem_id 1
		.amdhsa_next_free_vgpr 69
		.amdhsa_next_free_sgpr 30
		.amdhsa_reserve_vcc 1
		.amdhsa_reserve_flat_scratch 1
		.amdhsa_float_round_mode_32 0
		.amdhsa_float_round_mode_16_64 0
		.amdhsa_float_denorm_mode_32 3
		.amdhsa_float_denorm_mode_16_64 3
		.amdhsa_dx10_clamp 1
		.amdhsa_ieee_mode 1
		.amdhsa_fp16_overflow 0
		.amdhsa_workgroup_processor_mode 1
		.amdhsa_memory_ordered 1
		.amdhsa_forward_progress 1
		.amdhsa_shared_vgpr_count 0
		.amdhsa_exception_fp_ieee_invalid_op 0
		.amdhsa_exception_fp_denorm_src 0
		.amdhsa_exception_fp_ieee_div_zero 0
		.amdhsa_exception_fp_ieee_overflow 0
		.amdhsa_exception_fp_ieee_underflow 0
		.amdhsa_exception_fp_ieee_inexact 0
		.amdhsa_exception_int_div_zero 0
	.end_amdhsa_kernel
	.section	.text._ZL36rocblas_gemvt_double_buffered_kernelILb0ELi128ELi8ELi8EPKfS1_KPfEviiT4_lPKT3_lilS7_lilPT5_lili,"axG",@progbits,_ZL36rocblas_gemvt_double_buffered_kernelILb0ELi128ELi8ELi8EPKfS1_KPfEviiT4_lPKT3_lilS7_lilPT5_lili,comdat
.Lfunc_end214:
	.size	_ZL36rocblas_gemvt_double_buffered_kernelILb0ELi128ELi8ELi8EPKfS1_KPfEviiT4_lPKT3_lilS7_lilPT5_lili, .Lfunc_end214-_ZL36rocblas_gemvt_double_buffered_kernelILb0ELi128ELi8ELi8EPKfS1_KPfEviiT4_lPKT3_lilS7_lilPT5_lili
                                        ; -- End function
	.set _ZL36rocblas_gemvt_double_buffered_kernelILb0ELi128ELi8ELi8EPKfS1_KPfEviiT4_lPKT3_lilS7_lilPT5_lili.num_vgpr, 69
	.set _ZL36rocblas_gemvt_double_buffered_kernelILb0ELi128ELi8ELi8EPKfS1_KPfEviiT4_lPKT3_lilS7_lilPT5_lili.num_agpr, 0
	.set _ZL36rocblas_gemvt_double_buffered_kernelILb0ELi128ELi8ELi8EPKfS1_KPfEviiT4_lPKT3_lilS7_lilPT5_lili.numbered_sgpr, 30
	.set _ZL36rocblas_gemvt_double_buffered_kernelILb0ELi128ELi8ELi8EPKfS1_KPfEviiT4_lPKT3_lilS7_lilPT5_lili.num_named_barrier, 0
	.set _ZL36rocblas_gemvt_double_buffered_kernelILb0ELi128ELi8ELi8EPKfS1_KPfEviiT4_lPKT3_lilS7_lilPT5_lili.private_seg_size, 0
	.set _ZL36rocblas_gemvt_double_buffered_kernelILb0ELi128ELi8ELi8EPKfS1_KPfEviiT4_lPKT3_lilS7_lilPT5_lili.uses_vcc, 1
	.set _ZL36rocblas_gemvt_double_buffered_kernelILb0ELi128ELi8ELi8EPKfS1_KPfEviiT4_lPKT3_lilS7_lilPT5_lili.uses_flat_scratch, 1
	.set _ZL36rocblas_gemvt_double_buffered_kernelILb0ELi128ELi8ELi8EPKfS1_KPfEviiT4_lPKT3_lilS7_lilPT5_lili.has_dyn_sized_stack, 0
	.set _ZL36rocblas_gemvt_double_buffered_kernelILb0ELi128ELi8ELi8EPKfS1_KPfEviiT4_lPKT3_lilS7_lilPT5_lili.has_recursion, 0
	.set _ZL36rocblas_gemvt_double_buffered_kernelILb0ELi128ELi8ELi8EPKfS1_KPfEviiT4_lPKT3_lilS7_lilPT5_lili.has_indirect_call, 0
	.section	.AMDGPU.csdata,"",@progbits
; Kernel info:
; codeLenInByte = 4444
; TotalNumSgprs: 32
; NumVgprs: 69
; ScratchSize: 0
; MemoryBound: 0
; FloatMode: 240
; IeeeMode: 1
; LDSByteSize: 32768 bytes/workgroup (compile time only)
; SGPRBlocks: 0
; VGPRBlocks: 8
; NumSGPRsForWavesPerEU: 32
; NumVGPRsForWavesPerEU: 69
; Occupancy: 12
; WaveLimiterHint : 1
; COMPUTE_PGM_RSRC2:SCRATCH_EN: 0
; COMPUTE_PGM_RSRC2:USER_SGPR: 6
; COMPUTE_PGM_RSRC2:TRAP_HANDLER: 0
; COMPUTE_PGM_RSRC2:TGID_X_EN: 1
; COMPUTE_PGM_RSRC2:TGID_Y_EN: 1
; COMPUTE_PGM_RSRC2:TGID_Z_EN: 1
; COMPUTE_PGM_RSRC2:TIDIG_COMP_CNT: 1
	.section	.text._ZL36rocblas_gemvt_double_buffered_kernelILb0ELi128ELi8ELi8EPKffKPfEviiT4_lPKT3_lilS7_lilPT5_lili,"axG",@progbits,_ZL36rocblas_gemvt_double_buffered_kernelILb0ELi128ELi8ELi8EPKffKPfEviiT4_lPKT3_lilS7_lilPT5_lili,comdat
	.globl	_ZL36rocblas_gemvt_double_buffered_kernelILb0ELi128ELi8ELi8EPKffKPfEviiT4_lPKT3_lilS7_lilPT5_lili ; -- Begin function _ZL36rocblas_gemvt_double_buffered_kernelILb0ELi128ELi8ELi8EPKffKPfEviiT4_lPKT3_lilS7_lilPT5_lili
	.p2align	8
	.type	_ZL36rocblas_gemvt_double_buffered_kernelILb0ELi128ELi8ELi8EPKffKPfEviiT4_lPKT3_lilS7_lilPT5_lili,@function
_ZL36rocblas_gemvt_double_buffered_kernelILb0ELi128ELi8ELi8EPKffKPfEviiT4_lPKT3_lilS7_lilPT5_lili: ; @_ZL36rocblas_gemvt_double_buffered_kernelILb0ELi128ELi8ELi8EPKffKPfEviiT4_lPKT3_lilS7_lilPT5_lili
; %bb.0:
	s_load_dword s20, s[4:5], 0x8
	s_waitcnt lgkmcnt(0)
	v_cmp_eq_f32_e64 s0, s20, 0
	s_and_b32 vcc_lo, exec_lo, s0
	s_cbranch_vccnz .LBB215_12
; %bb.1:
	s_clause 0x1
	s_load_dword s0, s[4:5], 0x84
	s_load_dword s1, s[4:5], 0x0
	s_waitcnt lgkmcnt(0)
	v_cvt_f32_u32_e32 v2, s0
	s_ashr_i32 s3, s1, 31
	s_sub_i32 s9, 0, s0
	s_lshr_b32 s3, s3, 25
	s_add_i32 s1, s1, s3
	v_rcp_iflag_f32_e32 v2, v2
	s_ashr_i32 s1, s1, 7
	v_mul_f32_e32 v2, 0x4f7ffffe, v2
	v_cvt_u32_f32_e32 v2, v2
	v_readfirstlane_b32 s2, v2
	s_mul_i32 s9, s9, s2
	s_mul_hi_u32 s3, s2, s9
	s_add_i32 s2, s2, s3
	s_mul_hi_u32 s2, s1, s2
	s_mul_i32 s3, s2, s0
	s_add_i32 s9, s2, 1
	s_sub_i32 s3, s1, s3
	s_sub_i32 s10, s3, s0
	s_cmp_ge_u32 s3, s0
	s_cselect_b32 s2, s9, s2
	s_cselect_b32 s3, s10, s3
	s_add_i32 s9, s2, 1
	s_cmp_ge_u32 s3, s0
	s_cselect_b32 s14, s9, s2
	s_mul_i32 s0, s14, s0
	s_sub_i32 s15, s1, s0
	s_cmp_lt_u32 s7, s15
	s_cselect_b32 s0, -1, 0
	s_cmp_lg_u32 s0, 0
	s_addc_u32 s21, s14, 0
	s_cmp_eq_u32 s21, 0
	s_cbranch_scc1 .LBB215_12
; %bb.2:
	s_load_dwordx4 s[0:3], s[4:5], 0x58
	s_mov_b32 s9, 0
	v_lshl_add_u32 v4, v1, 7, v0
	s_lshl_b64 s[12:13], s[8:9], 3
	v_and_b32_e32 v2, 63, v0
	v_lshrrev_b32_e32 v13, 3, v4
	v_lshlrev_b32_e32 v12, 2, v2
	v_and_b32_e32 v14, 0x7ff8, v13
	s_waitcnt lgkmcnt(0)
	s_add_u32 s0, s0, s12
	s_addc_u32 s1, s1, s13
	s_lshl_b32 s10, s6, 7
	s_load_dwordx2 s[0:1], s[0:1], 0x0
	s_ashr_i32 s11, s10, 31
	s_cmp_lt_i32 s21, 1
	s_cbranch_scc1 .LBB215_8
; %bb.3:
	v_cvt_f64_i32_e32 v[5:6], s7
	v_cvt_f64_u32_e32 v[7:8], s15
	s_mul_i32 s14, s14, s7
	s_clause 0x1
	s_load_dword s16, s[4:5], 0x28
	s_load_dwordx4 s[24:27], s[4:5], 0x18
	v_cvt_f64_u32_e32 v[9:10], s14
	s_load_dwordx4 s[28:31], s[4:5], 0x38
	v_mov_b32_e32 v3, 0
	v_lshrrev_b32_e32 v4, 1, v4
	v_mov_b32_e32 v39, v3
	v_and_b32_e32 v4, 0x1ffe0, v4
	v_mov_b32_e32 v38, v3
	s_waitcnt lgkmcnt(0)
	s_ashr_i32 s17, s16, 31
	v_min_f64 v[5:6], v[5:6], v[7:8]
	s_add_u32 s6, s24, s12
	s_addc_u32 s7, s25, s13
	s_load_dword s14, s[4:5], 0x48
	s_load_dwordx2 s[24:25], s[6:7], 0x0
	s_add_u32 s6, s28, s12
	s_addc_u32 s7, s29, s13
	s_lshl_b64 s[26:27], s[26:27], 2
	s_load_dwordx2 s[6:7], s[6:7], 0x0
	s_mul_hi_i32 s13, s16, s10
	s_mul_i32 s12, s16, s10
	s_waitcnt lgkmcnt(0)
	s_ashr_i32 s15, s14, 31
	v_add_f64 v[5:6], v[5:6], v[9:10]
	s_add_u32 s23, s24, s26
	s_addc_u32 s28, s25, s27
	s_lshl_b64 s[18:19], s[30:31], 2
	s_add_u32 s8, s6, s18
	s_addc_u32 s22, s7, s19
	s_lshl_b64 s[6:7], s[12:13], 2
	s_add_u32 s12, s23, s6
	s_addc_u32 s13, s28, s7
	v_cvt_i32_f64_e32 v7, v[5:6]
	v_mad_i64_i32 v[5:6], null, s16, v14, v[2:3]
	v_lshlrev_b64 v[5:6], 2, v[5:6]
	v_readfirstlane_b32 s18, v7
	s_lshl_b32 s6, s18, 7
	s_ashr_i32 s7, s6, 31
	s_lshl_b64 s[18:19], s[6:7], 2
	s_add_u32 s6, s12, s18
	s_addc_u32 s7, s13, s19
	v_add_co_u32 v5, vcc_lo, s6, v5
	v_add_co_ci_u32_e64 v6, null, s7, v6, vcc_lo
	s_lshl_b64 s[6:7], s[16:17], 2
	s_lshl_b64 s[28:29], s[10:11], 2
	v_add_co_u32 v7, vcc_lo, v5, s6
	v_add_co_ci_u32_e64 v8, null, s7, v6, vcc_lo
	v_add_co_u32 v33, s11, v4, s28
	v_add_co_u32 v9, vcc_lo, v7, s6
	v_add_co_ci_u32_e64 v10, null, s7, v8, vcc_lo
	v_add_co_ci_u32_e64 v34, null, 0, s29, s11
	v_add_co_u32 v15, vcc_lo, v9, s6
	v_add_co_ci_u32_e64 v16, null, s7, v10, vcc_lo
	s_add_i32 s23, s21, -1
	v_add_co_u32 v17, vcc_lo, v15, s6
	v_add_co_ci_u32_e64 v18, null, s7, v16, vcc_lo
	s_lshl_b64 s[12:13], s[14:15], 9
	v_add_co_u32 v19, vcc_lo, v17, s6
	v_add_co_ci_u32_e64 v20, null, s7, v18, vcc_lo
	s_add_u32 s11, s24, s18
	v_add_co_u32 v27, vcc_lo, v19, s6
	v_add_co_ci_u32_e64 v28, null, s7, v20, vcc_lo
	s_addc_u32 s25, s25, s19
	v_add_co_u32 v29, vcc_lo, v27, s6
	v_add_co_ci_u32_e64 v30, null, s7, v28, vcc_lo
	s_clause 0x6
	flat_load_dword v21, v[5:6]
	flat_load_dword v22, v[7:8]
	;; [unrolled: 1-line block ×8, first 2 shown]
	v_add_co_u32 v8, vcc_lo, v33, 4
	s_add_u32 s24, s11, s26
	v_add_co_ci_u32_e64 v9, null, 0, v34, vcc_lo
	s_addc_u32 s25, s25, s27
	v_mul_lo_u32 v10, v33, s17
	v_mad_u64_u32 v[4:5], null, v33, s16, s[24:25]
	v_mul_lo_u32 v11, v34, s16
	v_add_co_u32 v17, vcc_lo, v33, 8
	v_mad_u64_u32 v[6:7], null, v8, s16, s[24:25]
	v_mul_lo_u32 v15, v8, s17
	v_mul_lo_u32 v16, v9, s16
	v_add_co_ci_u32_e64 v18, null, 0, v34, vcc_lo
	v_mad_u64_u32 v[8:9], null, v17, s16, s[24:25]
	v_mul_lo_u32 v17, v17, s17
	v_mul_lo_u32 v18, v18, s16
	v_add3_u32 v5, v11, v5, v10
	v_add_co_u32 v11, vcc_lo, v33, 12
	v_add3_u32 v7, v16, v7, v15
	v_add_co_ci_u32_e64 v15, null, 0, v34, vcc_lo
	s_mul_i32 s11, s19, s14
	v_add3_u32 v18, v18, v9, v17
	v_mad_u64_u32 v[9:10], null, v11, s16, s[24:25]
	v_mul_lo_u32 v11, v11, s17
	v_mul_lo_u32 v19, v15, s16
	v_add_co_u32 v15, vcc_lo, 0x200, v6
	v_add_co_ci_u32_e64 v16, null, 0, v7, vcc_lo
	v_add_co_u32 v17, vcc_lo, 0x200, v8
	v_add_co_ci_u32_e64 v18, null, 0, v18, vcc_lo
	v_add_co_u32 v8, vcc_lo, v33, 16
	v_add3_u32 v20, v19, v10, v11
	v_add_co_ci_u32_e64 v10, null, 0, v34, vcc_lo
	v_mad_u64_u32 v[6:7], null, v8, s16, s[24:25]
	v_mul_lo_u32 v8, v8, s17
	v_mul_lo_u32 v30, v10, s16
	v_add_co_u32 v19, vcc_lo, v33, 20
	v_add_co_ci_u32_e64 v29, null, 0, v34, vcc_lo
	v_mad_u64_u32 v[10:11], null, v19, s16, s[24:25]
	v_mul_lo_u32 v31, v19, s17
	v_add_co_u32 v19, vcc_lo, 0x200, v9
	v_add_co_ci_u32_e64 v20, null, 0, v20, vcc_lo
	v_add3_u32 v9, v30, v7, v8
	v_add_co_u32 v30, vcc_lo, v33, 24
	v_mul_lo_u32 v29, v29, s16
	v_add_co_ci_u32_e64 v32, null, 0, v34, vcc_lo
	v_mad_u64_u32 v[7:8], null, v30, s16, s[24:25]
	v_mul_lo_u32 v35, v30, s17
	v_mul_lo_u32 v36, v32, s16
	v_add3_u32 v11, v29, v11, v31
	v_add_co_u32 v29, vcc_lo, 0x200, v6
	v_add_co_ci_u32_e64 v30, null, 0, v9, vcc_lo
	v_add_co_u32 v31, vcc_lo, 0x200, v10
	v_add_co_ci_u32_e64 v32, null, 0, v11, vcc_lo
	v_add3_u32 v6, v36, v8, v35
	v_add_co_u32 v8, vcc_lo, v33, 28
	v_add_co_ci_u32_e64 v9, null, 0, v34, vcc_lo
	v_or_b32_e32 v33, s18, v12
	v_mad_u64_u32 v[10:11], null, v8, s16, s[24:25]
	v_mul_lo_u32 v34, v8, s17
	v_mul_lo_u32 v35, v9, s16
	v_or_b32_e32 v8, 0x100, v33
	v_add_co_u32 v40, vcc_lo, 0x200, v7
	v_add_co_ci_u32_e64 v41, null, 0, v6, vcc_lo
	v_mul_lo_u32 v36, v8, s15
	v_mad_u64_u32 v[6:7], null, v8, s14, 0
	v_mul_lo_u32 v37, v33, s15
	v_mad_u64_u32 v[8:9], null, v33, s14, 0
	v_add3_u32 v11, v35, v11, v34
	v_add_co_u32 v42, vcc_lo, 0x200, v10
	v_add3_u32 v7, v7, v36, s11
	v_mov_b32_e32 v35, v3
	v_add_co_ci_u32_e64 v43, null, 0, v11, vcc_lo
	v_add3_u32 v9, v9, v37, s11
	v_mov_b32_e32 v37, v3
	v_mov_b32_e32 v36, v3
	;; [unrolled: 1-line block ×4, first 2 shown]
	s_waitcnt vmcnt(7) lgkmcnt(7)
	v_mov_b32_e32 v44, v21
	s_waitcnt vmcnt(6) lgkmcnt(6)
	v_mov_b32_e32 v45, v22
	;; [unrolled: 2-line block ×8, first 2 shown]
.LBB215_4:                              ; =>This Inner Loop Header: Depth=1
	v_add_co_u32 v10, vcc_lo, v4, v12
	v_add_co_ci_u32_e64 v11, null, 0, v5, vcc_lo
	s_cmp_lg_u32 s23, s9
	v_add_co_u32 v52, vcc_lo, 0x100, v10
	v_add_co_ci_u32_e64 v54, null, 0, v11, vcc_lo
	v_add_co_u32 v53, vcc_lo, v52, s6
	v_add_co_ci_u32_e64 v54, null, s7, v54, vcc_lo
	;; [unrolled: 2-line block ×9, first 2 shown]
	s_clause 0x7
	flat_load_dword v52, v[10:11] offset:256
	flat_load_dword v53, v[53:54]
	flat_load_dword v54, v[55:56]
	;; [unrolled: 1-line block ×8, first 2 shown]
	s_cbranch_scc0 .LBB215_6
; %bb.5:                                ;   in Loop: Header=BB215_4 Depth=1
	v_add_co_u32 v45, vcc_lo, v15, v12
	v_add_co_ci_u32_e64 v46, null, 0, v16, vcc_lo
	v_add_co_u32 v47, vcc_lo, v17, v12
	v_add_co_ci_u32_e64 v48, null, 0, v18, vcc_lo
	flat_load_dword v44, v[10:11] offset:512
	flat_load_dword v45, v[45:46]
	flat_load_dword v46, v[47:48]
	v_add_co_u32 v10, vcc_lo, v19, v12
	v_add_co_ci_u32_e64 v11, null, 0, v20, vcc_lo
	v_add_co_u32 v48, vcc_lo, v29, v12
	v_add_co_ci_u32_e64 v49, null, 0, v30, vcc_lo
	;; [unrolled: 2-line block ×5, first 2 shown]
	flat_load_dword v47, v[10:11]
	flat_load_dword v48, v[48:49]
	;; [unrolled: 1-line block ×5, first 2 shown]
.LBB215_6:                              ;   in Loop: Header=BB215_4 Depth=1
	v_add_co_u32 v10, vcc_lo, s8, v6
	v_add_co_ci_u32_e64 v11, null, s22, v7, vcc_lo
	v_add_co_u32 v4, vcc_lo, 0x200, v4
	v_add_co_ci_u32_e64 v5, null, 0, v5, vcc_lo
	flat_load_dword v10, v[10:11]
	v_add_co_u32 v15, vcc_lo, 0x200, v15
	v_add_co_ci_u32_e64 v16, null, 0, v16, vcc_lo
	v_add_co_u32 v17, vcc_lo, 0x200, v17
	v_add_co_ci_u32_e64 v18, null, 0, v18, vcc_lo
	;; [unrolled: 2-line block ×4, first 2 shown]
	v_add_co_u32 v31, vcc_lo, 0x200, v31
	s_waitcnt vmcnt(1) lgkmcnt(1)
	v_fmac_f32_e32 v3, v21, v60
	v_fmac_f32_e32 v39, v22, v60
	;; [unrolled: 1-line block ×8, first 2 shown]
	v_add_co_ci_u32_e64 v32, null, 0, v32, vcc_lo
	v_add_co_u32 v40, vcc_lo, 0x200, v40
	v_add_co_ci_u32_e64 v41, null, 0, v41, vcc_lo
	v_add_co_u32 v42, vcc_lo, 0x200, v42
	s_add_i32 s9, s9, 1
	v_add_co_ci_u32_e64 v43, null, 0, v43, vcc_lo
	s_add_u32 s8, s8, s12
	s_addc_u32 s22, s22, s13
	s_cmp_ge_i32 s9, s21
	s_waitcnt vmcnt(0) lgkmcnt(0)
	v_fmac_f32_e32 v3, v52, v10
	v_fmac_f32_e32 v39, v53, v10
	;; [unrolled: 1-line block ×8, first 2 shown]
	s_cbranch_scc1 .LBB215_9
; %bb.7:                                ;   in Loop: Header=BB215_4 Depth=1
	v_mov_b32_e32 v21, v44
	v_mov_b32_e32 v22, v45
	;; [unrolled: 1-line block ×8, first 2 shown]
	s_branch .LBB215_4
.LBB215_8:
	v_mov_b32_e32 v33, 0
	v_mov_b32_e32 v34, 0
	;; [unrolled: 1-line block ×8, first 2 shown]
.LBB215_9:
	v_lshlrev_b32_e32 v4, 8, v13
	v_lshl_or_b32 v5, v14, 8, v12
	v_cmp_eq_u32_e32 vcc_lo, 0, v1
	s_mov_b32 s6, 0
	v_or3_b32 v1, v4, v12, 0x700
	ds_write2st64_b32 v5, v3, v39 offset1:1
	ds_write2st64_b32 v5, v37, v38 offset0:2 offset1:3
	ds_write2st64_b32 v5, v35, v36 offset0:4 offset1:5
	ds_write_b32 v5, v34 offset:1536
	ds_write_b32 v1, v33
	s_waitcnt lgkmcnt(0)
	s_barrier
	buffer_gl0_inv
	s_and_saveexec_b32 s7, vcc_lo
	s_cbranch_execz .LBB215_12
; %bb.10:
	v_lshlrev_b32_e32 v5, 8, v0
	v_add_nc_u32_e32 v1, 1, v0
	v_add_nc_u32_e32 v3, 2, v0
	;; [unrolled: 1-line block ×4, first 2 shown]
	v_lshl_or_b32 v6, v2, 2, v5
	v_and_b32_e32 v1, 63, v1
	v_and_b32_e32 v3, 63, v3
	v_add_nc_u32_e32 v8, 5, v0
	v_add_nc_u32_e32 v9, 6, v0
	ds_read_b32 v6, v6
	v_lshl_or_b32 v1, v1, 2, v5
	v_lshl_or_b32 v3, v3, 2, v5
	v_add_nc_u32_e32 v10, 7, v0
	v_and_b32_e32 v4, 63, v4
	ds_read_b32 v1, v1
	ds_read_b32 v3, v3
	v_and_b32_e32 v7, 63, v7
	v_and_b32_e32 v8, 63, v8
	;; [unrolled: 1-line block ×4, first 2 shown]
	v_lshl_or_b32 v4, v4, 2, v5
	v_lshl_or_b32 v7, v7, 2, v5
	;; [unrolled: 1-line block ×5, first 2 shown]
	ds_read_b32 v4, v4
	ds_read_b32 v7, v7
	;; [unrolled: 1-line block ×5, first 2 shown]
	v_add_nc_u32_e32 v11, 8, v0
	v_add_nc_u32_e32 v12, 9, v0
	;; [unrolled: 1-line block ×3, first 2 shown]
	s_waitcnt lgkmcnt(7)
	v_add_f32_e32 v6, 0, v6
	v_add_nc_u32_e32 v14, 12, v0
	v_add_nc_u32_e32 v15, 13, v0
	v_and_b32_e32 v12, 63, v12
	v_and_b32_e32 v13, 63, v13
	s_waitcnt lgkmcnt(6)
	v_add_f32_e32 v1, v6, v1
	v_add_nc_u32_e32 v6, 11, v0
	v_add_nc_u32_e32 v16, 14, v0
	v_lshl_or_b32 v12, v12, 2, v5
	v_lshl_or_b32 v13, v13, 2, v5
	s_waitcnt lgkmcnt(5)
	v_add_f32_e32 v1, v1, v3
	v_and_b32_e32 v3, 63, v11
	v_add_nc_u32_e32 v11, 15, v0
	s_load_dword s4, s[4:5], 0x68
	s_lshl_b64 s[2:3], s[2:3], 2
	s_waitcnt lgkmcnt(0)
	v_add_f32_e32 v1, v1, v4
	v_lshl_or_b32 v3, v3, 2, v5
	v_and_b32_e32 v4, 63, v6
	v_and_b32_e32 v6, 63, v14
	;; [unrolled: 1-line block ×3, first 2 shown]
	v_add_f32_e32 v1, v1, v7
	ds_read_b32 v3, v3
	v_and_b32_e32 v7, 63, v15
	v_and_b32_e32 v11, 63, v11
	v_lshl_or_b32 v4, v4, 2, v5
	v_add_f32_e32 v1, v1, v8
	ds_read_b32 v8, v12
	v_lshl_or_b32 v6, v6, 2, v5
	v_lshl_or_b32 v7, v7, 2, v5
	;; [unrolled: 1-line block ×3, first 2 shown]
	v_add_f32_e32 v1, v1, v9
	ds_read_b32 v9, v13
	v_lshl_or_b32 v12, v14, 2, v5
	v_add_nc_u32_e32 v13, 19, v0
	v_add_nc_u32_e32 v14, 20, v0
	v_add_f32_e32 v1, v1, v10
	ds_read_b32 v4, v4
	ds_read_b32 v6, v6
	;; [unrolled: 1-line block ×5, first 2 shown]
	v_add_nc_u32_e32 v12, 17, v0
	v_add_nc_u32_e32 v15, 21, v0
	;; [unrolled: 1-line block ×3, first 2 shown]
	s_mul_hi_i32 s5, s4, s10
	s_waitcnt lgkmcnt(7)
	v_add_f32_e32 v1, v1, v3
	v_add_nc_u32_e32 v3, 16, v0
	v_and_b32_e32 v12, 63, v12
	s_add_u32 s2, s0, s2
	s_addc_u32 s3, s1, s3
	s_waitcnt lgkmcnt(6)
	v_add_f32_e32 v1, v1, v8
	v_and_b32_e32 v3, 63, v3
	v_add_nc_u32_e32 v8, 18, v0
	v_xor_b32_e32 v2, 32, v2
	s_waitcnt lgkmcnt(5)
	v_add_f32_e32 v1, v1, v9
	v_lshl_or_b32 v3, v3, 2, v5
	v_add_nc_u32_e32 v9, 22, v0
	v_lshl_or_b32 v2, v2, 2, v5
	s_waitcnt lgkmcnt(4)
	v_add_f32_e32 v1, v1, v4
	ds_read_b32 v3, v3
	v_and_b32_e32 v4, 63, v8
	v_and_b32_e32 v8, 63, v13
	;; [unrolled: 1-line block ×3, first 2 shown]
	s_waitcnt lgkmcnt(4)
	v_add_f32_e32 v1, v1, v6
	v_lshl_or_b32 v6, v12, 2, v5
	v_lshl_or_b32 v4, v4, 2, v5
	v_and_b32_e32 v12, 63, v15
	v_and_b32_e32 v9, 63, v9
	s_waitcnt lgkmcnt(3)
	v_add_f32_e32 v1, v1, v7
	ds_read_b32 v6, v6
	v_and_b32_e32 v7, 63, v16
	v_lshl_or_b32 v8, v8, 2, v5
	v_lshl_or_b32 v9, v9, 2, v5
	s_waitcnt lgkmcnt(3)
	v_add_f32_e32 v1, v1, v10
	v_lshl_or_b32 v10, v13, 2, v5
	ds_read_b32 v13, v4
	v_lshl_or_b32 v4, v12, 2, v5
	v_lshl_or_b32 v7, v7, 2, v5
	s_waitcnt lgkmcnt(3)
	v_add_f32_e32 v1, v1, v11
	ds_read_b32 v8, v8
	ds_read_b32 v10, v10
	;; [unrolled: 1-line block ×5, first 2 shown]
	v_add_nc_u32_e32 v12, 26, v0
	v_add_nc_u32_e32 v14, 31, v0
	s_waitcnt lgkmcnt(7)
	v_add_f32_e32 v1, v1, v3
	v_mad_i64_i32 v[3:4], null, s4, v0, 0
	s_mul_i32 s4, s4, s10
	v_and_b32_e32 v14, 63, v14
	s_lshl_b64 s[0:1], s[4:5], 2
	s_waitcnt lgkmcnt(6)
	v_add_f32_e32 v1, v1, v6
	s_add_u32 s0, s2, s0
	s_addc_u32 s1, s3, s1
	v_lshlrev_b64 v[3:4], 2, v[3:4]
	v_lshl_or_b32 v14, v14, 2, v5
	s_waitcnt lgkmcnt(5)
	v_add_f32_e32 v1, v1, v13
	v_add_nc_u32_e32 v13, 30, v0
	v_add_co_u32 v3, vcc_lo, s0, v3
	s_waitcnt lgkmcnt(4)
	v_add_f32_e32 v1, v1, v8
	v_add_co_ci_u32_e64 v4, null, s1, v4, vcc_lo
	v_add_nc_u32_e32 v8, 24, v0
	v_and_b32_e32 v13, 63, v13
	s_waitcnt lgkmcnt(3)
	v_add_f32_e32 v6, v1, v10
	flat_load_dword v1, v[3:4]
	v_add_nc_u32_e32 v10, 25, v0
	v_and_b32_e32 v8, 63, v8
	v_lshl_or_b32 v13, v13, 2, v5
	s_waitcnt lgkmcnt(3)
	v_add_f32_e32 v6, v6, v11
	v_and_b32_e32 v11, 63, v12
	v_and_b32_e32 v10, 63, v10
	v_lshl_or_b32 v8, v8, 2, v5
	v_add_nc_u32_e32 v12, 29, v0
	s_waitcnt lgkmcnt(2)
	v_add_f32_e32 v6, v6, v9
	v_lshl_or_b32 v9, v10, 2, v5
	v_lshl_or_b32 v10, v11, 2, v5
	v_add_nc_u32_e32 v11, 28, v0
	s_waitcnt lgkmcnt(1)
	v_add_f32_e32 v6, v6, v7
	ds_read_b32 v7, v8
	ds_read_b32 v8, v9
	;; [unrolled: 1-line block ×3, first 2 shown]
	v_add_nc_u32_e32 v10, 27, v0
	v_and_b32_e32 v12, 63, v12
	v_and_b32_e32 v11, 63, v11
	;; [unrolled: 1-line block ×3, first 2 shown]
	v_lshl_or_b32 v12, v12, 2, v5
	v_lshl_or_b32 v11, v11, 2, v5
	;; [unrolled: 1-line block ×3, first 2 shown]
	ds_read_b32 v10, v10
	ds_read_b32 v11, v11
	;; [unrolled: 1-line block ×5, first 2 shown]
	s_waitcnt lgkmcnt(7)
	v_add_f32_e32 v6, v6, v7
	v_add_nc_u32_e32 v7, 33, v0
	s_waitcnt lgkmcnt(6)
	v_add_f32_e32 v6, v6, v8
	v_add_nc_u32_e32 v8, 34, v0
	v_and_b32_e32 v7, 63, v7
	s_waitcnt lgkmcnt(5)
	v_add_f32_e32 v6, v6, v9
	v_and_b32_e32 v8, 63, v8
	v_lshl_or_b32 v7, v7, 2, v5
	v_add_nc_u32_e32 v9, 35, v0
	s_waitcnt lgkmcnt(4)
	v_add_f32_e32 v6, v6, v10
	v_lshl_or_b32 v8, v8, 2, v5
	ds_read_b32 v2, v2
	ds_read_b32 v7, v7
	;; [unrolled: 1-line block ×3, first 2 shown]
	s_waitcnt lgkmcnt(6)
	v_add_f32_e32 v6, v6, v11
	v_add_nc_u32_e32 v10, 36, v0
	v_add_nc_u32_e32 v11, 37, v0
	v_and_b32_e32 v9, 63, v9
	s_waitcnt lgkmcnt(5)
	v_add_f32_e32 v6, v6, v12
	v_add_nc_u32_e32 v12, 38, v0
	v_and_b32_e32 v10, 63, v10
	v_and_b32_e32 v11, 63, v11
	v_lshl_or_b32 v9, v9, 2, v5
	s_waitcnt lgkmcnt(4)
	v_add_f32_e32 v6, v6, v13
	v_add_nc_u32_e32 v13, 39, v0
	v_and_b32_e32 v12, 63, v12
	v_lshl_or_b32 v10, v10, 2, v5
	v_lshl_or_b32 v11, v11, 2, v5
	s_waitcnt lgkmcnt(3)
	v_add_f32_e32 v6, v6, v14
	v_and_b32_e32 v13, 63, v13
	v_lshl_or_b32 v12, v12, 2, v5
	s_waitcnt lgkmcnt(2)
	v_add_f32_e32 v2, v6, v2
	v_lshl_or_b32 v13, v13, 2, v5
	ds_read_b32 v9, v9
	ds_read_b32 v10, v10
	;; [unrolled: 1-line block ×5, first 2 shown]
	v_add_nc_u32_e32 v6, 40, v0
	s_waitcnt lgkmcnt(6)
	v_add_f32_e32 v2, v2, v7
	v_add_nc_u32_e32 v7, 41, v0
	v_and_b32_e32 v6, 63, v6
	s_waitcnt lgkmcnt(5)
	v_add_f32_e32 v2, v2, v8
	v_add_nc_u32_e32 v8, 42, v0
	v_and_b32_e32 v7, 63, v7
	v_lshl_or_b32 v6, v6, 2, v5
	v_and_b32_e32 v8, 63, v8
	v_lshl_or_b32 v7, v7, 2, v5
	s_waitcnt lgkmcnt(4)
	v_add_f32_e32 v2, v2, v9
	v_add_nc_u32_e32 v9, 43, v0
	v_lshl_or_b32 v8, v8, 2, v5
	ds_read_b32 v6, v6
	ds_read_b32 v7, v7
	;; [unrolled: 1-line block ×3, first 2 shown]
	s_waitcnt lgkmcnt(6)
	v_add_f32_e32 v2, v2, v10
	v_add_nc_u32_e32 v10, 44, v0
	v_and_b32_e32 v9, 63, v9
	s_waitcnt lgkmcnt(5)
	v_add_f32_e32 v2, v2, v11
	v_add_nc_u32_e32 v11, 45, v0
	v_and_b32_e32 v10, 63, v10
	v_lshl_or_b32 v9, v9, 2, v5
	s_waitcnt lgkmcnt(4)
	v_add_f32_e32 v2, v2, v12
	v_add_nc_u32_e32 v12, 46, v0
	v_and_b32_e32 v11, 63, v11
	v_lshl_or_b32 v10, v10, 2, v5
	;; [unrolled: 5-line block ×3, first 2 shown]
	s_waitcnt lgkmcnt(2)
	v_add_f32_e32 v2, v2, v6
	v_and_b32_e32 v13, 63, v13
	v_lshl_or_b32 v12, v12, 2, v5
	v_add_nc_u32_e32 v6, 48, v0
	s_waitcnt lgkmcnt(1)
	v_add_f32_e32 v2, v2, v7
	v_lshl_or_b32 v13, v13, 2, v5
	ds_read_b32 v9, v9
	ds_read_b32 v10, v10
	;; [unrolled: 1-line block ×5, first 2 shown]
	v_add_nc_u32_e32 v7, 49, v0
	v_and_b32_e32 v6, 63, v6
	s_waitcnt lgkmcnt(5)
	v_add_f32_e32 v2, v2, v8
	v_add_nc_u32_e32 v8, 50, v0
	v_and_b32_e32 v7, 63, v7
	v_lshl_or_b32 v6, v6, 2, v5
	v_and_b32_e32 v8, 63, v8
	v_lshl_or_b32 v7, v7, 2, v5
	v_lshl_or_b32 v8, v8, 2, v5
	ds_read_b32 v6, v6
	ds_read_b32 v7, v7
	;; [unrolled: 1-line block ×3, first 2 shown]
	s_waitcnt lgkmcnt(7)
	v_add_f32_e32 v2, v2, v9
	v_add_nc_u32_e32 v9, 51, v0
	s_waitcnt lgkmcnt(6)
	v_add_f32_e32 v2, v2, v10
	v_add_nc_u32_e32 v10, 52, v0
	v_and_b32_e32 v9, 63, v9
	s_waitcnt lgkmcnt(5)
	v_add_f32_e32 v2, v2, v11
	v_add_nc_u32_e32 v11, 53, v0
	v_and_b32_e32 v10, 63, v10
	v_lshl_or_b32 v9, v9, 2, v5
	s_waitcnt lgkmcnt(4)
	v_add_f32_e32 v2, v2, v12
	v_add_nc_u32_e32 v12, 54, v0
	v_and_b32_e32 v11, 63, v11
	v_lshl_or_b32 v10, v10, 2, v5
	;; [unrolled: 5-line block ×3, first 2 shown]
	s_waitcnt lgkmcnt(2)
	v_add_f32_e32 v2, v2, v6
	v_and_b32_e32 v13, 63, v13
	v_lshl_or_b32 v12, v12, 2, v5
	v_add_nc_u32_e32 v6, 56, v0
	s_waitcnt lgkmcnt(1)
	v_add_f32_e32 v2, v2, v7
	v_lshl_or_b32 v13, v13, 2, v5
	ds_read_b32 v9, v9
	ds_read_b32 v10, v10
	;; [unrolled: 1-line block ×5, first 2 shown]
	v_add_nc_u32_e32 v7, 57, v0
	v_and_b32_e32 v6, 63, v6
	s_waitcnt lgkmcnt(5)
	v_add_f32_e32 v2, v2, v8
	v_add_nc_u32_e32 v8, 58, v0
	v_and_b32_e32 v7, 63, v7
	v_lshl_or_b32 v6, v6, 2, v5
	v_and_b32_e32 v8, 63, v8
	v_lshl_or_b32 v7, v7, 2, v5
	v_lshl_or_b32 v8, v8, 2, v5
	ds_read_b32 v6, v6
	ds_read_b32 v7, v7
	;; [unrolled: 1-line block ×3, first 2 shown]
	s_waitcnt lgkmcnt(7)
	v_add_f32_e32 v2, v2, v9
	v_add_nc_u32_e32 v9, 59, v0
	s_waitcnt lgkmcnt(6)
	v_add_f32_e32 v2, v2, v10
	v_add_nc_u32_e32 v10, 60, v0
	v_and_b32_e32 v9, 63, v9
	s_waitcnt lgkmcnt(5)
	v_add_f32_e32 v2, v2, v11
	v_add_nc_u32_e32 v11, 61, v0
	v_and_b32_e32 v10, 63, v10
	v_lshl_or_b32 v9, v9, 2, v5
	s_waitcnt lgkmcnt(4)
	v_add_f32_e32 v2, v2, v12
	v_add_nc_u32_e32 v12, 62, v0
	v_add_nc_u32_e32 v0, -1, v0
	v_and_b32_e32 v11, 63, v11
	v_lshl_or_b32 v10, v10, 2, v5
	s_waitcnt lgkmcnt(3)
	v_add_f32_e32 v2, v2, v13
	v_and_b32_e32 v12, 63, v12
	v_and_b32_e32 v0, 63, v0
	v_lshl_or_b32 v11, v11, 2, v5
	s_waitcnt lgkmcnt(2)
	v_add_f32_e32 v2, v2, v6
	v_lshl_or_b32 v12, v12, 2, v5
	v_lshl_or_b32 v0, v0, 2, v5
	ds_read_b32 v5, v9
	ds_read_b32 v9, v10
	;; [unrolled: 1-line block ×5, first 2 shown]
	s_waitcnt lgkmcnt(6)
	v_add_f32_e32 v2, v2, v7
	s_waitcnt lgkmcnt(5)
	v_add_f32_e32 v2, v2, v8
	;; [unrolled: 2-line block ×7, first 2 shown]
	v_mul_f32_e32 v2, s20, v0
.LBB215_11:                             ; =>This Inner Loop Header: Depth=1
	s_waitcnt vmcnt(0)
	v_add_f32_e32 v0, v1, v2
	flat_atomic_cmpswap v0, v[3:4], v[0:1] glc
	s_waitcnt vmcnt(0) lgkmcnt(0)
	v_cmp_eq_u32_e32 vcc_lo, v0, v1
	v_mov_b32_e32 v1, v0
	s_or_b32 s6, vcc_lo, s6
	s_andn2_b32 exec_lo, exec_lo, s6
	s_cbranch_execnz .LBB215_11
.LBB215_12:
	s_endpgm
	.section	.rodata,"a",@progbits
	.p2align	6, 0x0
	.amdhsa_kernel _ZL36rocblas_gemvt_double_buffered_kernelILb0ELi128ELi8ELi8EPKffKPfEviiT4_lPKT3_lilS7_lilPT5_lili
		.amdhsa_group_segment_fixed_size 32768
		.amdhsa_private_segment_fixed_size 0
		.amdhsa_kernarg_size 384
		.amdhsa_user_sgpr_count 6
		.amdhsa_user_sgpr_private_segment_buffer 1
		.amdhsa_user_sgpr_dispatch_ptr 0
		.amdhsa_user_sgpr_queue_ptr 0
		.amdhsa_user_sgpr_kernarg_segment_ptr 1
		.amdhsa_user_sgpr_dispatch_id 0
		.amdhsa_user_sgpr_flat_scratch_init 0
		.amdhsa_user_sgpr_private_segment_size 0
		.amdhsa_wavefront_size32 1
		.amdhsa_uses_dynamic_stack 0
		.amdhsa_system_sgpr_private_segment_wavefront_offset 0
		.amdhsa_system_sgpr_workgroup_id_x 1
		.amdhsa_system_sgpr_workgroup_id_y 1
		.amdhsa_system_sgpr_workgroup_id_z 1
		.amdhsa_system_sgpr_workgroup_info 0
		.amdhsa_system_vgpr_workitem_id 1
		.amdhsa_next_free_vgpr 69
		.amdhsa_next_free_sgpr 32
		.amdhsa_reserve_vcc 1
		.amdhsa_reserve_flat_scratch 1
		.amdhsa_float_round_mode_32 0
		.amdhsa_float_round_mode_16_64 0
		.amdhsa_float_denorm_mode_32 3
		.amdhsa_float_denorm_mode_16_64 3
		.amdhsa_dx10_clamp 1
		.amdhsa_ieee_mode 1
		.amdhsa_fp16_overflow 0
		.amdhsa_workgroup_processor_mode 1
		.amdhsa_memory_ordered 1
		.amdhsa_forward_progress 1
		.amdhsa_shared_vgpr_count 0
		.amdhsa_exception_fp_ieee_invalid_op 0
		.amdhsa_exception_fp_denorm_src 0
		.amdhsa_exception_fp_ieee_div_zero 0
		.amdhsa_exception_fp_ieee_overflow 0
		.amdhsa_exception_fp_ieee_underflow 0
		.amdhsa_exception_fp_ieee_inexact 0
		.amdhsa_exception_int_div_zero 0
	.end_amdhsa_kernel
	.section	.text._ZL36rocblas_gemvt_double_buffered_kernelILb0ELi128ELi8ELi8EPKffKPfEviiT4_lPKT3_lilS7_lilPT5_lili,"axG",@progbits,_ZL36rocblas_gemvt_double_buffered_kernelILb0ELi128ELi8ELi8EPKffKPfEviiT4_lPKT3_lilS7_lilPT5_lili,comdat
.Lfunc_end215:
	.size	_ZL36rocblas_gemvt_double_buffered_kernelILb0ELi128ELi8ELi8EPKffKPfEviiT4_lPKT3_lilS7_lilPT5_lili, .Lfunc_end215-_ZL36rocblas_gemvt_double_buffered_kernelILb0ELi128ELi8ELi8EPKffKPfEviiT4_lPKT3_lilS7_lilPT5_lili
                                        ; -- End function
	.set _ZL36rocblas_gemvt_double_buffered_kernelILb0ELi128ELi8ELi8EPKffKPfEviiT4_lPKT3_lilS7_lilPT5_lili.num_vgpr, 69
	.set _ZL36rocblas_gemvt_double_buffered_kernelILb0ELi128ELi8ELi8EPKffKPfEviiT4_lPKT3_lilS7_lilPT5_lili.num_agpr, 0
	.set _ZL36rocblas_gemvt_double_buffered_kernelILb0ELi128ELi8ELi8EPKffKPfEviiT4_lPKT3_lilS7_lilPT5_lili.numbered_sgpr, 32
	.set _ZL36rocblas_gemvt_double_buffered_kernelILb0ELi128ELi8ELi8EPKffKPfEviiT4_lPKT3_lilS7_lilPT5_lili.num_named_barrier, 0
	.set _ZL36rocblas_gemvt_double_buffered_kernelILb0ELi128ELi8ELi8EPKffKPfEviiT4_lPKT3_lilS7_lilPT5_lili.private_seg_size, 0
	.set _ZL36rocblas_gemvt_double_buffered_kernelILb0ELi128ELi8ELi8EPKffKPfEviiT4_lPKT3_lilS7_lilPT5_lili.uses_vcc, 1
	.set _ZL36rocblas_gemvt_double_buffered_kernelILb0ELi128ELi8ELi8EPKffKPfEviiT4_lPKT3_lilS7_lilPT5_lili.uses_flat_scratch, 1
	.set _ZL36rocblas_gemvt_double_buffered_kernelILb0ELi128ELi8ELi8EPKffKPfEviiT4_lPKT3_lilS7_lilPT5_lili.has_dyn_sized_stack, 0
	.set _ZL36rocblas_gemvt_double_buffered_kernelILb0ELi128ELi8ELi8EPKffKPfEviiT4_lPKT3_lilS7_lilPT5_lili.has_recursion, 0
	.set _ZL36rocblas_gemvt_double_buffered_kernelILb0ELi128ELi8ELi8EPKffKPfEviiT4_lPKT3_lilS7_lilPT5_lili.has_indirect_call, 0
	.section	.AMDGPU.csdata,"",@progbits
; Kernel info:
; codeLenInByte = 4408
; TotalNumSgprs: 34
; NumVgprs: 69
; ScratchSize: 0
; MemoryBound: 0
; FloatMode: 240
; IeeeMode: 1
; LDSByteSize: 32768 bytes/workgroup (compile time only)
; SGPRBlocks: 0
; VGPRBlocks: 8
; NumSGPRsForWavesPerEU: 34
; NumVGPRsForWavesPerEU: 69
; Occupancy: 12
; WaveLimiterHint : 1
; COMPUTE_PGM_RSRC2:SCRATCH_EN: 0
; COMPUTE_PGM_RSRC2:USER_SGPR: 6
; COMPUTE_PGM_RSRC2:TRAP_HANDLER: 0
; COMPUTE_PGM_RSRC2:TGID_X_EN: 1
; COMPUTE_PGM_RSRC2:TGID_Y_EN: 1
; COMPUTE_PGM_RSRC2:TGID_Z_EN: 1
; COMPUTE_PGM_RSRC2:TIDIG_COMP_CNT: 1
	.section	.text._ZL32rocblas_gemvt_warp_reduce_kernelILb0ELi256EiPKfS1_KPfEviiT3_lPKT2_lT1_lS7_lS8_lS4_lPT4_lS8_li,"axG",@progbits,_ZL32rocblas_gemvt_warp_reduce_kernelILb0ELi256EiPKfS1_KPfEviiT3_lPKT2_lT1_lS7_lS8_lS4_lPT4_lS8_li,comdat
	.globl	_ZL32rocblas_gemvt_warp_reduce_kernelILb0ELi256EiPKfS1_KPfEviiT3_lPKT2_lT1_lS7_lS8_lS4_lPT4_lS8_li ; -- Begin function _ZL32rocblas_gemvt_warp_reduce_kernelILb0ELi256EiPKfS1_KPfEviiT3_lPKT2_lT1_lS7_lS8_lS4_lPT4_lS8_li
	.p2align	8
	.type	_ZL32rocblas_gemvt_warp_reduce_kernelILb0ELi256EiPKfS1_KPfEviiT3_lPKT2_lT1_lS7_lS8_lS4_lPT4_lS8_li,@function
_ZL32rocblas_gemvt_warp_reduce_kernelILb0ELi256EiPKfS1_KPfEviiT3_lPKT2_lT1_lS7_lS8_lS4_lPT4_lS8_li: ; @_ZL32rocblas_gemvt_warp_reduce_kernelILb0ELi256EiPKfS1_KPfEviiT3_lPKT2_lT1_lS7_lS8_lS4_lPT4_lS8_li
; %bb.0:
	s_clause 0x1
	s_load_dwordx8 s[16:23], s[4:5], 0x8
	s_load_dwordx8 s[8:15], s[4:5], 0x58
	s_mov_b32 s0, s7
	s_waitcnt lgkmcnt(0)
	s_mul_i32 s1, s19, s7
	s_mul_hi_u32 s3, s18, s7
	s_mul_i32 s2, s18, s7
	s_add_i32 s3, s3, s1
	s_mul_i32 s1, s11, s7
	s_lshl_b64 s[2:3], s[2:3], 2
	s_mul_hi_u32 s7, s10, s7
	s_add_u32 s2, s16, s2
	s_addc_u32 s3, s17, s3
	s_add_i32 s11, s7, s1
	s_mul_i32 s10, s10, s0
	s_lshl_b64 s[10:11], s[10:11], 2
	s_add_u32 s8, s8, s10
	s_addc_u32 s9, s9, s11
	s_load_dword s16, s[2:3], 0x0
	s_load_dword s7, s[8:9], 0x0
	s_waitcnt lgkmcnt(0)
	v_cmp_eq_f32_e64 s10, s16, 0
	v_cmp_eq_f32_e64 s1, s7, 1.0
	s_and_b32 s1, s10, s1
	s_and_b32 vcc_lo, exec_lo, s1
	s_mov_b32 s1, 0
	s_cbranch_vccnz .LBB216_33
; %bb.1:
	v_cmp_neq_f32_e64 s11, s16, 0
	s_mov_b64 s[2:3], 0
	s_and_b32 vcc_lo, exec_lo, s10
	s_mov_b64 s[8:9], 0
	s_cbranch_vccnz .LBB216_3
; %bb.2:
	s_lshl_b64 s[8:9], s[0:1], 3
	s_add_u32 s8, s20, s8
	s_addc_u32 s9, s21, s9
	s_lshl_b64 s[18:19], s[22:23], 2
	s_load_dwordx2 s[8:9], s[8:9], 0x0
	s_waitcnt lgkmcnt(0)
	s_add_u32 s8, s8, s18
	s_addc_u32 s9, s9, s19
.LBB216_3:
	s_andn2_b32 vcc_lo, exec_lo, s11
	s_cbranch_vccnz .LBB216_5
; %bb.4:
	s_load_dwordx4 s[20:23], s[4:5], 0x38
	s_lshl_b64 s[2:3], s[0:1], 3
	s_waitcnt lgkmcnt(0)
	s_add_u32 s2, s20, s2
	s_addc_u32 s3, s21, s3
	s_lshl_b64 s[18:19], s[22:23], 2
	s_load_dwordx2 s[2:3], s[2:3], 0x0
	s_waitcnt lgkmcnt(0)
	s_add_u32 s2, s2, s18
	s_addc_u32 s3, s3, s19
.LBB216_5:
	s_lshl_b64 s[0:1], s[0:1], 3
	s_add_u32 s0, s12, s0
	s_addc_u32 s1, s13, s1
	s_lshl_b64 s[14:15], s[14:15], 2
	s_load_dwordx2 s[12:13], s[0:1], 0x0
	s_load_dword s17, s[4:5], 0x78
	v_cmp_eq_u32_e64 s0, 0, v0
	s_waitcnt lgkmcnt(0)
	s_add_u32 s1, s12, s14
	s_addc_u32 s12, s13, s15
	s_andn2_b32 vcc_lo, exec_lo, s10
	s_cbranch_vccnz .LBB216_10
; %bb.6:
	s_mov_b32 s14, 0
	s_mov_b32 s13, 0
                                        ; implicit-def: $vgpr1
                                        ; implicit-def: $sgpr10_sgpr11
	s_and_saveexec_b32 s15, s0
	s_cbranch_execz .LBB216_11
; %bb.7:
	v_cmp_eq_f32_e64 s0, s7, 0
	v_mov_b32_e32 v1, 0
	s_mul_i32 s10, s17, s6
	s_ashr_i32 s11, s10, 31
	s_and_b32 vcc_lo, exec_lo, s0
	s_cbranch_vccnz .LBB216_9
; %bb.8:
	s_lshl_b64 s[18:19], s[10:11], 2
	s_add_u32 s18, s1, s18
	s_addc_u32 s19, s12, s19
	v_mov_b32_e32 v1, s18
	v_mov_b32_e32 v2, s19
	flat_load_dword v1, v[1:2]
	s_waitcnt vmcnt(0) lgkmcnt(0)
	v_mul_f32_e32 v1, s7, v1
.LBB216_9:
	s_mov_b32 s13, exec_lo
	s_or_b32 exec_lo, exec_lo, s15
	s_and_b32 vcc_lo, exec_lo, s14
	s_cbranch_vccnz .LBB216_12
	s_branch .LBB216_31
.LBB216_10:
	s_mov_b32 s13, 0
                                        ; implicit-def: $vgpr1
                                        ; implicit-def: $sgpr10_sgpr11
	s_cbranch_execnz .LBB216_12
	s_branch .LBB216_31
.LBB216_11:
	s_or_b32 exec_lo, exec_lo, s15
	s_and_b32 vcc_lo, exec_lo, s14
	s_cbranch_vccz .LBB216_31
.LBB216_12:
	s_clause 0x2
	s_load_dword s10, s[4:5], 0x0
	s_load_dword s0, s[4:5], 0x28
	;; [unrolled: 1-line block ×3, first 2 shown]
	v_mov_b32_e32 v7, 0
	s_waitcnt lgkmcnt(0)
	v_cmp_gt_i32_e32 vcc_lo, s10, v0
	s_mul_i32 s14, s0, s6
	s_ashr_i32 s0, s10, 31
	s_ashr_i32 s15, s14, 31
	s_lshr_b32 s0, s0, 24
	v_cndmask_b32_e32 v1, 0, v0, vcc_lo
	s_lshl_b64 s[14:15], s[14:15], 2
	s_add_i32 s0, s10, s0
	v_lshlrev_b32_e32 v1, 2, v1
	v_add_co_u32 v1, s4, s8, v1
	v_add_co_ci_u32_e64 v2, null, s9, 0, s4
	s_and_b32 s4, s0, 0xffffff00
	v_add_co_u32 v1, vcc_lo, v1, s14
	v_add_co_ci_u32_e64 v2, null, s15, v2, vcc_lo
	s_mov_b32 s9, 0
	s_mov_b32 s8, exec_lo
	v_cmpx_gt_i32_e64 s4, v0
	s_cbranch_execz .LBB216_16
; %bb.13:
	v_mul_lo_u32 v3, v0, s5
	v_mov_b32_e32 v6, v2
	v_mov_b32_e32 v7, 0
	;; [unrolled: 1-line block ×4, first 2 shown]
	s_lshl_b32 s11, s5, 8
	.p2align	6
.LBB216_14:                             ; =>This Inner Loop Header: Depth=1
	v_ashrrev_i32_e32 v4, 31, v3
	v_add_nc_u32_e32 v8, 0x100, v8
	v_lshlrev_b64 v[9:10], 2, v[3:4]
	v_cmp_le_i32_e64 s0, s4, v8
	v_add_nc_u32_e32 v3, s11, v3
	s_or_b32 s9, s0, s9
	v_add_co_u32 v9, vcc_lo, s2, v9
	v_add_co_ci_u32_e64 v10, null, s3, v10, vcc_lo
	flat_load_dword v4, v[5:6]
	flat_load_dword v9, v[9:10]
	v_add_co_u32 v5, vcc_lo, 0x400, v5
	v_add_co_ci_u32_e64 v6, null, 0, v6, vcc_lo
	s_waitcnt vmcnt(0) lgkmcnt(0)
	v_fmac_f32_e32 v7, v4, v9
	s_andn2_b32 exec_lo, exec_lo, s9
	s_cbranch_execnz .LBB216_14
; %bb.15:
	s_or_b32 exec_lo, exec_lo, s9
.LBB216_16:
	s_or_b32 exec_lo, exec_lo, s8
	v_add_nc_u32_e32 v3, s4, v0
	s_mov_b32 s0, exec_lo
	v_cmpx_gt_i32_e64 s10, v3
	s_cbranch_execz .LBB216_18
; %bb.17:
	v_mul_lo_u32 v3, s5, v3
	s_ashr_i32 s5, s4, 31
	s_lshl_b64 s[4:5], s[4:5], 2
	v_add_co_u32 v1, vcc_lo, v1, s4
	v_add_co_ci_u32_e64 v2, null, s5, v2, vcc_lo
	v_ashrrev_i32_e32 v4, 31, v3
	v_lshlrev_b64 v[3:4], 2, v[3:4]
	v_add_co_u32 v3, vcc_lo, s2, v3
	v_add_co_ci_u32_e64 v4, null, s3, v4, vcc_lo
	flat_load_dword v1, v[1:2]
	flat_load_dword v2, v[3:4]
	s_waitcnt vmcnt(0) lgkmcnt(0)
	v_fmac_f32_e32 v7, v1, v2
.LBB216_18:
	s_or_b32 exec_lo, exec_lo, s0
	v_and_b32_e32 v5, 31, v0
	v_cmp_gt_u32_e32 vcc_lo, 32, v0
	v_lshlrev_b32_e32 v1, 2, v5
	s_and_saveexec_b32 s0, vcc_lo
; %bb.19:
	v_mov_b32_e32 v2, 0
	ds_write_b32 v1, v2
; %bb.20:
	s_or_b32 exec_lo, exec_lo, s0
	v_mbcnt_lo_u32_b32 v4, -1, 0
	s_mov_b32 s2, exec_lo
	s_waitcnt lgkmcnt(0)
	s_barrier
	buffer_gl0_inv
	v_lshl_or_b32 v2, v4, 2, 64
	v_cmp_gt_u32_e64 s0, 24, v4
	ds_bpermute_b32 v2, v2, v7
	v_cndmask_b32_e64 v3, 0, 8, s0
	v_cmp_gt_u32_e64 s0, 28, v4
	v_add_lshl_u32 v3, v3, v4, 2
	s_waitcnt lgkmcnt(0)
	v_add_f32_e32 v6, v7, v2
	v_cndmask_b32_e64 v2, 0, 4, s0
	v_cmp_gt_u32_e64 s0, 30, v4
	ds_bpermute_b32 v3, v3, v6
	v_add_lshl_u32 v2, v2, v4, 2
	s_waitcnt lgkmcnt(0)
	v_add_f32_e32 v6, v6, v3
	v_cndmask_b32_e64 v3, 0, 2, s0
	v_cmp_ne_u32_e64 s0, 31, v4
	ds_bpermute_b32 v7, v2, v6
	v_add_lshl_u32 v3, v3, v4, 2
	v_add_co_ci_u32_e64 v4, null, 0, v4, s0
	v_lshlrev_b32_e32 v4, 2, v4
	s_waitcnt lgkmcnt(0)
	v_add_f32_e32 v6, v6, v7
	ds_bpermute_b32 v7, v3, v6
	s_waitcnt lgkmcnt(0)
	v_add_f32_e32 v6, v6, v7
	ds_bpermute_b32 v7, v4, v6
	v_cmpx_eq_u32_e32 0, v5
	s_cbranch_execz .LBB216_22
; %bb.21:
	v_lshrrev_b32_e32 v5, 3, v0
	s_waitcnt lgkmcnt(0)
	v_add_f32_e32 v6, v6, v7
	v_and_b32_e32 v5, 28, v5
	ds_write_b32 v5, v6
.LBB216_22:
	s_or_b32 exec_lo, exec_lo, s2
	v_mov_b32_e32 v5, 0
	s_mov_b32 s2, exec_lo
	s_waitcnt lgkmcnt(0)
	s_barrier
	buffer_gl0_inv
	v_cmpx_gt_u32_e32 8, v0
; %bb.23:
	ds_read_b32 v5, v1
; %bb.24:
	s_or_b32 exec_lo, exec_lo, s2
	s_and_saveexec_b32 s0, vcc_lo
	s_cbranch_execz .LBB216_26
; %bb.25:
	s_waitcnt lgkmcnt(0)
	ds_bpermute_b32 v1, v2, v5
	s_waitcnt lgkmcnt(0)
	v_add_f32_e32 v1, v5, v1
	ds_bpermute_b32 v2, v3, v1
	s_waitcnt lgkmcnt(0)
	v_add_f32_e32 v1, v1, v2
	;; [unrolled: 3-line block ×3, first 2 shown]
.LBB216_26:
	s_or_b32 exec_lo, exec_lo, s0
	s_mov_b32 s0, exec_lo
                                        ; implicit-def: $vgpr1
                                        ; implicit-def: $sgpr10_sgpr11
	v_cmpx_eq_u32_e32 0, v0
	s_cbranch_execz .LBB216_30
; %bb.27:
	v_cmp_eq_f32_e64 s2, s7, 0
	s_waitcnt lgkmcnt(0)
	v_mul_f32_e32 v1, s16, v5
	s_mul_i32 s10, s17, s6
	s_ashr_i32 s11, s10, 31
	s_and_b32 vcc_lo, exec_lo, s2
	s_cbranch_vccnz .LBB216_29
; %bb.28:
	s_lshl_b64 s[2:3], s[10:11], 2
	s_add_u32 s2, s1, s2
	s_addc_u32 s3, s12, s3
	v_mov_b32_e32 v2, s2
	v_mov_b32_e32 v3, s3
	flat_load_dword v0, v[2:3]
	s_waitcnt vmcnt(0) lgkmcnt(0)
	v_fmac_f32_e32 v1, s7, v0
.LBB216_29:
	s_or_b32 s13, s13, exec_lo
.LBB216_30:
	s_or_b32 exec_lo, exec_lo, s0
.LBB216_31:
	s_and_saveexec_b32 s0, s13
	s_cbranch_execz .LBB216_33
; %bb.32:
	s_lshl_b64 s[2:3], s[10:11], 2
	s_add_u32 s0, s1, s2
	s_addc_u32 s1, s12, s3
	v_mov_b32_e32 v3, s1
	v_mov_b32_e32 v2, s0
	flat_store_dword v[2:3], v1
.LBB216_33:
	s_endpgm
	.section	.rodata,"a",@progbits
	.p2align	6, 0x0
	.amdhsa_kernel _ZL32rocblas_gemvt_warp_reduce_kernelILb0ELi256EiPKfS1_KPfEviiT3_lPKT2_lT1_lS7_lS8_lS4_lPT4_lS8_li
		.amdhsa_group_segment_fixed_size 128
		.amdhsa_private_segment_fixed_size 0
		.amdhsa_kernarg_size 140
		.amdhsa_user_sgpr_count 6
		.amdhsa_user_sgpr_private_segment_buffer 1
		.amdhsa_user_sgpr_dispatch_ptr 0
		.amdhsa_user_sgpr_queue_ptr 0
		.amdhsa_user_sgpr_kernarg_segment_ptr 1
		.amdhsa_user_sgpr_dispatch_id 0
		.amdhsa_user_sgpr_flat_scratch_init 0
		.amdhsa_user_sgpr_private_segment_size 0
		.amdhsa_wavefront_size32 1
		.amdhsa_uses_dynamic_stack 0
		.amdhsa_system_sgpr_private_segment_wavefront_offset 0
		.amdhsa_system_sgpr_workgroup_id_x 1
		.amdhsa_system_sgpr_workgroup_id_y 0
		.amdhsa_system_sgpr_workgroup_id_z 1
		.amdhsa_system_sgpr_workgroup_info 0
		.amdhsa_system_vgpr_workitem_id 0
		.amdhsa_next_free_vgpr 11
		.amdhsa_next_free_sgpr 24
		.amdhsa_reserve_vcc 1
		.amdhsa_reserve_flat_scratch 0
		.amdhsa_float_round_mode_32 0
		.amdhsa_float_round_mode_16_64 0
		.amdhsa_float_denorm_mode_32 3
		.amdhsa_float_denorm_mode_16_64 3
		.amdhsa_dx10_clamp 1
		.amdhsa_ieee_mode 1
		.amdhsa_fp16_overflow 0
		.amdhsa_workgroup_processor_mode 1
		.amdhsa_memory_ordered 1
		.amdhsa_forward_progress 1
		.amdhsa_shared_vgpr_count 0
		.amdhsa_exception_fp_ieee_invalid_op 0
		.amdhsa_exception_fp_denorm_src 0
		.amdhsa_exception_fp_ieee_div_zero 0
		.amdhsa_exception_fp_ieee_overflow 0
		.amdhsa_exception_fp_ieee_underflow 0
		.amdhsa_exception_fp_ieee_inexact 0
		.amdhsa_exception_int_div_zero 0
	.end_amdhsa_kernel
	.section	.text._ZL32rocblas_gemvt_warp_reduce_kernelILb0ELi256EiPKfS1_KPfEviiT3_lPKT2_lT1_lS7_lS8_lS4_lPT4_lS8_li,"axG",@progbits,_ZL32rocblas_gemvt_warp_reduce_kernelILb0ELi256EiPKfS1_KPfEviiT3_lPKT2_lT1_lS7_lS8_lS4_lPT4_lS8_li,comdat
.Lfunc_end216:
	.size	_ZL32rocblas_gemvt_warp_reduce_kernelILb0ELi256EiPKfS1_KPfEviiT3_lPKT2_lT1_lS7_lS8_lS4_lPT4_lS8_li, .Lfunc_end216-_ZL32rocblas_gemvt_warp_reduce_kernelILb0ELi256EiPKfS1_KPfEviiT3_lPKT2_lT1_lS7_lS8_lS4_lPT4_lS8_li
                                        ; -- End function
	.set _ZL32rocblas_gemvt_warp_reduce_kernelILb0ELi256EiPKfS1_KPfEviiT3_lPKT2_lT1_lS7_lS8_lS4_lPT4_lS8_li.num_vgpr, 11
	.set _ZL32rocblas_gemvt_warp_reduce_kernelILb0ELi256EiPKfS1_KPfEviiT3_lPKT2_lT1_lS7_lS8_lS4_lPT4_lS8_li.num_agpr, 0
	.set _ZL32rocblas_gemvt_warp_reduce_kernelILb0ELi256EiPKfS1_KPfEviiT3_lPKT2_lT1_lS7_lS8_lS4_lPT4_lS8_li.numbered_sgpr, 24
	.set _ZL32rocblas_gemvt_warp_reduce_kernelILb0ELi256EiPKfS1_KPfEviiT3_lPKT2_lT1_lS7_lS8_lS4_lPT4_lS8_li.num_named_barrier, 0
	.set _ZL32rocblas_gemvt_warp_reduce_kernelILb0ELi256EiPKfS1_KPfEviiT3_lPKT2_lT1_lS7_lS8_lS4_lPT4_lS8_li.private_seg_size, 0
	.set _ZL32rocblas_gemvt_warp_reduce_kernelILb0ELi256EiPKfS1_KPfEviiT3_lPKT2_lT1_lS7_lS8_lS4_lPT4_lS8_li.uses_vcc, 1
	.set _ZL32rocblas_gemvt_warp_reduce_kernelILb0ELi256EiPKfS1_KPfEviiT3_lPKT2_lT1_lS7_lS8_lS4_lPT4_lS8_li.uses_flat_scratch, 0
	.set _ZL32rocblas_gemvt_warp_reduce_kernelILb0ELi256EiPKfS1_KPfEviiT3_lPKT2_lT1_lS7_lS8_lS4_lPT4_lS8_li.has_dyn_sized_stack, 0
	.set _ZL32rocblas_gemvt_warp_reduce_kernelILb0ELi256EiPKfS1_KPfEviiT3_lPKT2_lT1_lS7_lS8_lS4_lPT4_lS8_li.has_recursion, 0
	.set _ZL32rocblas_gemvt_warp_reduce_kernelILb0ELi256EiPKfS1_KPfEviiT3_lPKT2_lT1_lS7_lS8_lS4_lPT4_lS8_li.has_indirect_call, 0
	.section	.AMDGPU.csdata,"",@progbits
; Kernel info:
; codeLenInByte = 1360
; TotalNumSgprs: 26
; NumVgprs: 11
; ScratchSize: 0
; MemoryBound: 0
; FloatMode: 240
; IeeeMode: 1
; LDSByteSize: 128 bytes/workgroup (compile time only)
; SGPRBlocks: 0
; VGPRBlocks: 1
; NumSGPRsForWavesPerEU: 26
; NumVGPRsForWavesPerEU: 11
; Occupancy: 16
; WaveLimiterHint : 1
; COMPUTE_PGM_RSRC2:SCRATCH_EN: 0
; COMPUTE_PGM_RSRC2:USER_SGPR: 6
; COMPUTE_PGM_RSRC2:TRAP_HANDLER: 0
; COMPUTE_PGM_RSRC2:TGID_X_EN: 1
; COMPUTE_PGM_RSRC2:TGID_Y_EN: 0
; COMPUTE_PGM_RSRC2:TGID_Z_EN: 1
; COMPUTE_PGM_RSRC2:TIDIG_COMP_CNT: 0
	.section	.text._ZL32rocblas_gemvt_warp_reduce_kernelILb0ELi256ElPKfS1_KPfEviiT3_lPKT2_lT1_lS7_lS8_lS4_lPT4_lS8_li,"axG",@progbits,_ZL32rocblas_gemvt_warp_reduce_kernelILb0ELi256ElPKfS1_KPfEviiT3_lPKT2_lT1_lS7_lS8_lS4_lPT4_lS8_li,comdat
	.globl	_ZL32rocblas_gemvt_warp_reduce_kernelILb0ELi256ElPKfS1_KPfEviiT3_lPKT2_lT1_lS7_lS8_lS4_lPT4_lS8_li ; -- Begin function _ZL32rocblas_gemvt_warp_reduce_kernelILb0ELi256ElPKfS1_KPfEviiT3_lPKT2_lT1_lS7_lS8_lS4_lPT4_lS8_li
	.p2align	8
	.type	_ZL32rocblas_gemvt_warp_reduce_kernelILb0ELi256ElPKfS1_KPfEviiT3_lPKT2_lT1_lS7_lS8_lS4_lPT4_lS8_li,@function
_ZL32rocblas_gemvt_warp_reduce_kernelILb0ELi256ElPKfS1_KPfEviiT3_lPKT2_lT1_lS7_lS8_lS4_lPT4_lS8_li: ; @_ZL32rocblas_gemvt_warp_reduce_kernelILb0ELi256ElPKfS1_KPfEviiT3_lPKT2_lT1_lS7_lS8_lS4_lPT4_lS8_li
; %bb.0:
	s_clause 0x1
	s_load_dwordx8 s[16:23], s[4:5], 0x8
	s_load_dwordx8 s[8:15], s[4:5], 0x58
	s_mov_b32 s26, s7
	s_mov_b32 s27, 0
	s_waitcnt lgkmcnt(0)
	s_mul_i32 s1, s19, s7
	s_mul_hi_u32 s2, s18, s7
	s_mul_i32 s0, s18, s7
	s_add_i32 s1, s2, s1
	s_mul_i32 s2, s11, s7
	s_lshl_b64 s[0:1], s[0:1], 2
	s_mul_hi_u32 s3, s10, s7
	s_add_u32 s0, s16, s0
	s_addc_u32 s1, s17, s1
	s_add_i32 s3, s3, s2
	s_mul_i32 s2, s10, s7
	s_lshl_b64 s[2:3], s[2:3], 2
	s_add_u32 s2, s8, s2
	s_addc_u32 s3, s9, s3
	s_load_dword s28, s[0:1], 0x0
	s_load_dword s7, s[2:3], 0x0
	s_waitcnt lgkmcnt(0)
	v_cmp_eq_f32_e64 s29, s28, 0
	v_cmp_eq_f32_e64 s0, s7, 1.0
	s_and_b32 s0, s29, s0
	s_and_b32 vcc_lo, exec_lo, s0
	s_cbranch_vccnz .LBB217_33
; %bb.1:
	s_clause 0x1
	s_load_dwordx2 s[18:19], s[4:5], 0x28
	s_load_dwordx2 s[8:9], s[4:5], 0x78
	v_cmp_neq_f32_e64 s30, s28, 0
	s_mov_b64 s[10:11], 0
	s_and_b32 vcc_lo, exec_lo, s29
	s_mov_b64 s[24:25], 0
	s_cbranch_vccnz .LBB217_3
; %bb.2:
	s_lshl_b64 s[0:1], s[26:27], 3
	s_add_u32 s0, s20, s0
	s_addc_u32 s1, s21, s1
	s_lshl_b64 s[2:3], s[22:23], 2
	s_load_dwordx2 s[0:1], s[0:1], 0x0
	s_waitcnt lgkmcnt(0)
	s_add_u32 s24, s0, s2
	s_addc_u32 s25, s1, s3
.LBB217_3:
	s_clause 0x1
	s_load_dwordx4 s[0:3], s[4:5], 0x38
	s_load_dwordx2 s[16:17], s[4:5], 0x48
	s_andn2_b32 vcc_lo, exec_lo, s30
	s_cbranch_vccnz .LBB217_5
; %bb.4:
	s_lshl_b64 s[10:11], s[26:27], 3
	s_waitcnt lgkmcnt(0)
	s_add_u32 s0, s0, s10
	s_addc_u32 s1, s1, s11
	s_lshl_b64 s[2:3], s[2:3], 2
	s_load_dwordx2 s[0:1], s[0:1], 0x0
	s_waitcnt lgkmcnt(0)
	s_add_u32 s10, s0, s2
	s_addc_u32 s11, s1, s3
.LBB217_5:
	s_waitcnt lgkmcnt(0)
	s_lshl_b64 s[0:1], s[26:27], 3
	s_add_u32 s0, s12, s0
	s_addc_u32 s1, s13, s1
	s_lshl_b64 s[12:13], s[14:15], 2
	s_load_dwordx2 s[2:3], s[0:1], 0x0
	v_cmp_eq_u32_e64 s0, 0, v0
	s_waitcnt lgkmcnt(0)
	s_add_u32 s1, s2, s12
	s_addc_u32 s12, s3, s13
	s_andn2_b32 vcc_lo, exec_lo, s29
	s_cbranch_vccnz .LBB217_10
; %bb.6:
	s_mov_b32 s14, 0
	s_mov_b32 s13, 0
                                        ; implicit-def: $vgpr1
                                        ; implicit-def: $sgpr2_sgpr3
	s_and_saveexec_b32 s15, s0
	s_cbranch_execz .LBB217_11
; %bb.7:
	s_ashr_i32 s0, s6, 31
	v_cmp_eq_f32_e64 s13, s7, 0
	s_mul_hi_u32 s2, s8, s6
	s_mul_i32 s0, s8, s0
	v_mov_b32_e32 v1, 0
	s_add_i32 s0, s2, s0
	s_mul_i32 s2, s9, s6
	s_and_b32 vcc_lo, exec_lo, s13
	s_add_i32 s3, s0, s2
	s_mul_i32 s2, s8, s6
	s_cbranch_vccnz .LBB217_9
; %bb.8:
	s_lshl_b64 s[20:21], s[2:3], 2
	s_add_u32 s20, s1, s20
	s_addc_u32 s21, s12, s21
	v_mov_b32_e32 v1, s20
	v_mov_b32_e32 v2, s21
	flat_load_dword v1, v[1:2]
	s_waitcnt vmcnt(0) lgkmcnt(0)
	v_mul_f32_e32 v1, s7, v1
.LBB217_9:
	s_mov_b32 s13, exec_lo
	s_or_b32 exec_lo, exec_lo, s15
	s_and_b32 vcc_lo, exec_lo, s14
	s_cbranch_vccnz .LBB217_12
	s_branch .LBB217_31
.LBB217_10:
	s_mov_b32 s13, 0
                                        ; implicit-def: $vgpr1
                                        ; implicit-def: $sgpr2_sgpr3
	s_cbranch_execnz .LBB217_12
	s_branch .LBB217_31
.LBB217_11:
	s_or_b32 exec_lo, exec_lo, s15
	s_and_b32 vcc_lo, exec_lo, s14
	s_cbranch_vccz .LBB217_31
.LBB217_12:
	s_load_dword s3, s[4:5], 0x0
	s_ashr_i32 s14, s6, 31
	s_mul_hi_u32 s0, s18, s6
	s_mul_i32 s4, s18, s14
	s_mul_i32 s2, s19, s6
	s_add_i32 s0, s0, s4
	s_mul_i32 s4, s18, s6
	s_add_i32 s5, s0, s2
	v_mov_b32_e32 v7, 0
	s_lshl_b64 s[4:5], s[4:5], 2
	s_mov_b32 s18, 0
	s_mov_b32 s15, exec_lo
	s_waitcnt lgkmcnt(0)
	v_cmp_gt_i32_e32 vcc_lo, s3, v0
	s_ashr_i32 s0, s3, 31
	s_lshr_b32 s0, s0, 24
	s_add_i32 s0, s3, s0
	v_cndmask_b32_e32 v1, 0, v0, vcc_lo
	v_lshlrev_b32_e32 v1, 2, v1
	v_add_co_u32 v1, s2, s24, v1
	v_add_co_ci_u32_e64 v2, null, s25, 0, s2
	s_and_b32 s2, s0, 0xffffff00
	v_add_co_u32 v1, vcc_lo, v1, s4
	v_add_co_ci_u32_e64 v2, null, s5, v2, vcc_lo
	v_cmpx_gt_i32_e64 s2, v0
	s_cbranch_execz .LBB217_16
; %bb.13:
	v_mad_u64_u32 v[3:4], null, s16, v0, 0
	v_mov_b32_e32 v7, 0
	v_mov_b32_e32 v8, v0
	s_lshl_b64 s[4:5], s[16:17], 10
	v_mad_u64_u32 v[4:5], null, s17, v0, v[4:5]
	v_lshlrev_b64 v[5:6], 2, v[3:4]
	v_mov_b32_e32 v4, v2
	v_mov_b32_e32 v3, v1
	v_add_co_u32 v5, vcc_lo, s10, v5
	v_add_co_ci_u32_e64 v6, null, s11, v6, vcc_lo
	.p2align	6
.LBB217_14:                             ; =>This Inner Loop Header: Depth=1
	flat_load_dword v9, v[3:4]
	flat_load_dword v10, v[5:6]
	v_add_nc_u32_e32 v8, 0x100, v8
	v_add_co_u32 v3, vcc_lo, 0x400, v3
	v_add_co_ci_u32_e64 v4, null, 0, v4, vcc_lo
	v_add_co_u32 v5, vcc_lo, v5, s4
	v_cmp_le_i32_e64 s0, s2, v8
	v_add_co_ci_u32_e64 v6, null, s5, v6, vcc_lo
	s_or_b32 s18, s0, s18
	s_waitcnt vmcnt(0) lgkmcnt(0)
	v_fmac_f32_e32 v7, v9, v10
	s_andn2_b32 exec_lo, exec_lo, s18
	s_cbranch_execnz .LBB217_14
; %bb.15:
	s_or_b32 exec_lo, exec_lo, s18
.LBB217_16:
	s_or_b32 exec_lo, exec_lo, s15
	v_add_nc_u32_e32 v3, s2, v0
	s_mov_b32 s0, exec_lo
	v_cmpx_gt_i32_e64 s3, v3
	s_cbranch_execz .LBB217_18
; %bb.17:
	v_ashrrev_i32_e32 v5, 31, v3
	v_mul_lo_u32 v6, s17, v3
	v_mad_u64_u32 v[3:4], null, s16, v3, 0
	s_ashr_i32 s3, s2, 31
	v_mul_lo_u32 v5, s16, v5
	s_lshl_b64 s[2:3], s[2:3], 2
	v_add_co_u32 v1, vcc_lo, v1, s2
	v_add_co_ci_u32_e64 v2, null, s3, v2, vcc_lo
	v_add3_u32 v4, v4, v5, v6
	v_lshlrev_b64 v[3:4], 2, v[3:4]
	v_add_co_u32 v3, vcc_lo, s10, v3
	v_add_co_ci_u32_e64 v4, null, s11, v4, vcc_lo
	flat_load_dword v1, v[1:2]
	flat_load_dword v2, v[3:4]
	s_waitcnt vmcnt(0) lgkmcnt(0)
	v_fmac_f32_e32 v7, v1, v2
.LBB217_18:
	s_or_b32 exec_lo, exec_lo, s0
	v_and_b32_e32 v5, 31, v0
	v_cmp_gt_u32_e32 vcc_lo, 32, v0
	v_lshlrev_b32_e32 v1, 2, v5
	s_and_saveexec_b32 s0, vcc_lo
; %bb.19:
	v_mov_b32_e32 v2, 0
	ds_write_b32 v1, v2
; %bb.20:
	s_or_b32 exec_lo, exec_lo, s0
	v_mbcnt_lo_u32_b32 v4, -1, 0
	s_mov_b32 s2, exec_lo
	s_waitcnt lgkmcnt(0)
	s_barrier
	buffer_gl0_inv
	v_lshl_or_b32 v2, v4, 2, 64
	v_cmp_gt_u32_e64 s0, 24, v4
	ds_bpermute_b32 v2, v2, v7
	v_cndmask_b32_e64 v3, 0, 8, s0
	v_cmp_gt_u32_e64 s0, 28, v4
	v_add_lshl_u32 v3, v3, v4, 2
	s_waitcnt lgkmcnt(0)
	v_add_f32_e32 v6, v7, v2
	v_cndmask_b32_e64 v2, 0, 4, s0
	v_cmp_gt_u32_e64 s0, 30, v4
	ds_bpermute_b32 v3, v3, v6
	v_add_lshl_u32 v2, v2, v4, 2
	s_waitcnt lgkmcnt(0)
	v_add_f32_e32 v6, v6, v3
	v_cndmask_b32_e64 v3, 0, 2, s0
	v_cmp_ne_u32_e64 s0, 31, v4
	ds_bpermute_b32 v7, v2, v6
	v_add_lshl_u32 v3, v3, v4, 2
	v_add_co_ci_u32_e64 v4, null, 0, v4, s0
	v_lshlrev_b32_e32 v4, 2, v4
	s_waitcnt lgkmcnt(0)
	v_add_f32_e32 v6, v6, v7
	ds_bpermute_b32 v7, v3, v6
	s_waitcnt lgkmcnt(0)
	v_add_f32_e32 v6, v6, v7
	ds_bpermute_b32 v7, v4, v6
	v_cmpx_eq_u32_e32 0, v5
	s_cbranch_execz .LBB217_22
; %bb.21:
	v_lshrrev_b32_e32 v5, 3, v0
	s_waitcnt lgkmcnt(0)
	v_add_f32_e32 v6, v6, v7
	v_and_b32_e32 v5, 28, v5
	ds_write_b32 v5, v6
.LBB217_22:
	s_or_b32 exec_lo, exec_lo, s2
	v_mov_b32_e32 v5, 0
	s_mov_b32 s2, exec_lo
	s_waitcnt lgkmcnt(0)
	s_barrier
	buffer_gl0_inv
	v_cmpx_gt_u32_e32 8, v0
; %bb.23:
	ds_read_b32 v5, v1
; %bb.24:
	s_or_b32 exec_lo, exec_lo, s2
	s_and_saveexec_b32 s0, vcc_lo
	s_cbranch_execz .LBB217_26
; %bb.25:
	s_waitcnt lgkmcnt(0)
	ds_bpermute_b32 v1, v2, v5
	s_waitcnt lgkmcnt(0)
	v_add_f32_e32 v1, v5, v1
	ds_bpermute_b32 v2, v3, v1
	s_waitcnt lgkmcnt(0)
	v_add_f32_e32 v1, v1, v2
	;; [unrolled: 3-line block ×3, first 2 shown]
.LBB217_26:
	s_or_b32 exec_lo, exec_lo, s0
	s_mov_b32 s0, exec_lo
                                        ; implicit-def: $vgpr1
                                        ; implicit-def: $sgpr2_sgpr3
	v_cmpx_eq_u32_e32 0, v0
	s_cbranch_execz .LBB217_30
; %bb.27:
	v_cmp_eq_f32_e64 s4, s7, 0
	s_mul_i32 s2, s8, s14
	s_mul_hi_u32 s3, s8, s6
	s_waitcnt lgkmcnt(0)
	v_mul_f32_e32 v1, s28, v5
	s_add_i32 s2, s3, s2
	s_mul_i32 s3, s9, s6
	s_and_b32 vcc_lo, exec_lo, s4
	s_add_i32 s3, s2, s3
	s_mul_i32 s2, s8, s6
	s_cbranch_vccnz .LBB217_29
; %bb.28:
	s_lshl_b64 s[4:5], s[2:3], 2
	s_add_u32 s4, s1, s4
	s_addc_u32 s5, s12, s5
	v_mov_b32_e32 v2, s4
	v_mov_b32_e32 v3, s5
	flat_load_dword v0, v[2:3]
	s_waitcnt vmcnt(0) lgkmcnt(0)
	v_fmac_f32_e32 v1, s7, v0
.LBB217_29:
	s_or_b32 s13, s13, exec_lo
.LBB217_30:
	s_or_b32 exec_lo, exec_lo, s0
.LBB217_31:
	s_and_saveexec_b32 s0, s13
	s_cbranch_execz .LBB217_33
; %bb.32:
	s_lshl_b64 s[2:3], s[2:3], 2
	s_add_u32 s0, s1, s2
	s_addc_u32 s1, s12, s3
	v_mov_b32_e32 v3, s1
	v_mov_b32_e32 v2, s0
	flat_store_dword v[2:3], v1
.LBB217_33:
	s_endpgm
	.section	.rodata,"a",@progbits
	.p2align	6, 0x0
	.amdhsa_kernel _ZL32rocblas_gemvt_warp_reduce_kernelILb0ELi256ElPKfS1_KPfEviiT3_lPKT2_lT1_lS7_lS8_lS4_lPT4_lS8_li
		.amdhsa_group_segment_fixed_size 128
		.amdhsa_private_segment_fixed_size 0
		.amdhsa_kernarg_size 140
		.amdhsa_user_sgpr_count 6
		.amdhsa_user_sgpr_private_segment_buffer 1
		.amdhsa_user_sgpr_dispatch_ptr 0
		.amdhsa_user_sgpr_queue_ptr 0
		.amdhsa_user_sgpr_kernarg_segment_ptr 1
		.amdhsa_user_sgpr_dispatch_id 0
		.amdhsa_user_sgpr_flat_scratch_init 0
		.amdhsa_user_sgpr_private_segment_size 0
		.amdhsa_wavefront_size32 1
		.amdhsa_uses_dynamic_stack 0
		.amdhsa_system_sgpr_private_segment_wavefront_offset 0
		.amdhsa_system_sgpr_workgroup_id_x 1
		.amdhsa_system_sgpr_workgroup_id_y 0
		.amdhsa_system_sgpr_workgroup_id_z 1
		.amdhsa_system_sgpr_workgroup_info 0
		.amdhsa_system_vgpr_workitem_id 0
		.amdhsa_next_free_vgpr 11
		.amdhsa_next_free_sgpr 31
		.amdhsa_reserve_vcc 1
		.amdhsa_reserve_flat_scratch 0
		.amdhsa_float_round_mode_32 0
		.amdhsa_float_round_mode_16_64 0
		.amdhsa_float_denorm_mode_32 3
		.amdhsa_float_denorm_mode_16_64 3
		.amdhsa_dx10_clamp 1
		.amdhsa_ieee_mode 1
		.amdhsa_fp16_overflow 0
		.amdhsa_workgroup_processor_mode 1
		.amdhsa_memory_ordered 1
		.amdhsa_forward_progress 1
		.amdhsa_shared_vgpr_count 0
		.amdhsa_exception_fp_ieee_invalid_op 0
		.amdhsa_exception_fp_denorm_src 0
		.amdhsa_exception_fp_ieee_div_zero 0
		.amdhsa_exception_fp_ieee_overflow 0
		.amdhsa_exception_fp_ieee_underflow 0
		.amdhsa_exception_fp_ieee_inexact 0
		.amdhsa_exception_int_div_zero 0
	.end_amdhsa_kernel
	.section	.text._ZL32rocblas_gemvt_warp_reduce_kernelILb0ELi256ElPKfS1_KPfEviiT3_lPKT2_lT1_lS7_lS8_lS4_lPT4_lS8_li,"axG",@progbits,_ZL32rocblas_gemvt_warp_reduce_kernelILb0ELi256ElPKfS1_KPfEviiT3_lPKT2_lT1_lS7_lS8_lS4_lPT4_lS8_li,comdat
.Lfunc_end217:
	.size	_ZL32rocblas_gemvt_warp_reduce_kernelILb0ELi256ElPKfS1_KPfEviiT3_lPKT2_lT1_lS7_lS8_lS4_lPT4_lS8_li, .Lfunc_end217-_ZL32rocblas_gemvt_warp_reduce_kernelILb0ELi256ElPKfS1_KPfEviiT3_lPKT2_lT1_lS7_lS8_lS4_lPT4_lS8_li
                                        ; -- End function
	.set _ZL32rocblas_gemvt_warp_reduce_kernelILb0ELi256ElPKfS1_KPfEviiT3_lPKT2_lT1_lS7_lS8_lS4_lPT4_lS8_li.num_vgpr, 11
	.set _ZL32rocblas_gemvt_warp_reduce_kernelILb0ELi256ElPKfS1_KPfEviiT3_lPKT2_lT1_lS7_lS8_lS4_lPT4_lS8_li.num_agpr, 0
	.set _ZL32rocblas_gemvt_warp_reduce_kernelILb0ELi256ElPKfS1_KPfEviiT3_lPKT2_lT1_lS7_lS8_lS4_lPT4_lS8_li.numbered_sgpr, 31
	.set _ZL32rocblas_gemvt_warp_reduce_kernelILb0ELi256ElPKfS1_KPfEviiT3_lPKT2_lT1_lS7_lS8_lS4_lPT4_lS8_li.num_named_barrier, 0
	.set _ZL32rocblas_gemvt_warp_reduce_kernelILb0ELi256ElPKfS1_KPfEviiT3_lPKT2_lT1_lS7_lS8_lS4_lPT4_lS8_li.private_seg_size, 0
	.set _ZL32rocblas_gemvt_warp_reduce_kernelILb0ELi256ElPKfS1_KPfEviiT3_lPKT2_lT1_lS7_lS8_lS4_lPT4_lS8_li.uses_vcc, 1
	.set _ZL32rocblas_gemvt_warp_reduce_kernelILb0ELi256ElPKfS1_KPfEviiT3_lPKT2_lT1_lS7_lS8_lS4_lPT4_lS8_li.uses_flat_scratch, 0
	.set _ZL32rocblas_gemvt_warp_reduce_kernelILb0ELi256ElPKfS1_KPfEviiT3_lPKT2_lT1_lS7_lS8_lS4_lPT4_lS8_li.has_dyn_sized_stack, 0
	.set _ZL32rocblas_gemvt_warp_reduce_kernelILb0ELi256ElPKfS1_KPfEviiT3_lPKT2_lT1_lS7_lS8_lS4_lPT4_lS8_li.has_recursion, 0
	.set _ZL32rocblas_gemvt_warp_reduce_kernelILb0ELi256ElPKfS1_KPfEviiT3_lPKT2_lT1_lS7_lS8_lS4_lPT4_lS8_li.has_indirect_call, 0
	.section	.AMDGPU.csdata,"",@progbits
; Kernel info:
; codeLenInByte = 1448
; TotalNumSgprs: 33
; NumVgprs: 11
; ScratchSize: 0
; MemoryBound: 0
; FloatMode: 240
; IeeeMode: 1
; LDSByteSize: 128 bytes/workgroup (compile time only)
; SGPRBlocks: 0
; VGPRBlocks: 1
; NumSGPRsForWavesPerEU: 33
; NumVGPRsForWavesPerEU: 11
; Occupancy: 16
; WaveLimiterHint : 1
; COMPUTE_PGM_RSRC2:SCRATCH_EN: 0
; COMPUTE_PGM_RSRC2:USER_SGPR: 6
; COMPUTE_PGM_RSRC2:TRAP_HANDLER: 0
; COMPUTE_PGM_RSRC2:TGID_X_EN: 1
; COMPUTE_PGM_RSRC2:TGID_Y_EN: 0
; COMPUTE_PGM_RSRC2:TGID_Z_EN: 1
; COMPUTE_PGM_RSRC2:TIDIG_COMP_CNT: 0
	.section	.text._ZL32rocblas_gemvt_warp_reduce_kernelILb0ELi256EiPKffKPfEviiT3_lPKT2_lT1_lS7_lS8_lS4_lPT4_lS8_li,"axG",@progbits,_ZL32rocblas_gemvt_warp_reduce_kernelILb0ELi256EiPKffKPfEviiT3_lPKT2_lT1_lS7_lS8_lS4_lPT4_lS8_li,comdat
	.globl	_ZL32rocblas_gemvt_warp_reduce_kernelILb0ELi256EiPKffKPfEviiT3_lPKT2_lT1_lS7_lS8_lS4_lPT4_lS8_li ; -- Begin function _ZL32rocblas_gemvt_warp_reduce_kernelILb0ELi256EiPKffKPfEviiT3_lPKT2_lT1_lS7_lS8_lS4_lPT4_lS8_li
	.p2align	8
	.type	_ZL32rocblas_gemvt_warp_reduce_kernelILb0ELi256EiPKffKPfEviiT3_lPKT2_lT1_lS7_lS8_lS4_lPT4_lS8_li,@function
_ZL32rocblas_gemvt_warp_reduce_kernelILb0ELi256EiPKffKPfEviiT3_lPKT2_lT1_lS7_lS8_lS4_lPT4_lS8_li: ; @_ZL32rocblas_gemvt_warp_reduce_kernelILb0ELi256EiPKffKPfEviiT3_lPKT2_lT1_lS7_lS8_lS4_lPT4_lS8_li
; %bb.0:
	s_mov_b32 s10, s7
	s_clause 0x1
	s_load_dword s12, s[4:5], 0x8
	s_load_dword s7, s[4:5], 0x58
	s_mov_b32 s11, 0
	s_waitcnt lgkmcnt(0)
	v_cmp_eq_f32_e64 s15, s12, 0
	v_cmp_eq_f32_e64 s0, s7, 1.0
	s_and_b32 s0, s15, s0
	s_and_b32 vcc_lo, exec_lo, s0
	s_cbranch_vccnz .LBB218_35
; %bb.1:
	v_cmp_neq_f32_e64 s13, s12, 0
	s_and_b32 vcc_lo, exec_lo, s13
	s_cbranch_vccnz .LBB218_3
; %bb.2:
	s_mov_b32 s1, 0
	s_mov_b32 s0, s10
	;; [unrolled: 1-line block ×3, first 2 shown]
	s_mov_b64 s[2:3], 0
	s_andn2_b32 vcc_lo, exec_lo, s8
	s_mov_b64 s[8:9], 0
	s_cbranch_vccz .LBB218_4
	s_branch .LBB218_5
.LBB218_3:
	s_mov_b64 s[0:1], s[10:11]
	s_mov_b64 s[2:3], 0
	;; [unrolled: 1-line block ×3, first 2 shown]
.LBB218_4:
	s_load_dwordx4 s[16:19], s[4:5], 0x18
	s_lshl_b64 s[8:9], s[10:11], 3
	s_waitcnt lgkmcnt(0)
	s_add_u32 s8, s16, s8
	s_addc_u32 s9, s17, s9
	s_lshl_b64 s[10:11], s[18:19], 2
	s_load_dwordx2 s[8:9], s[8:9], 0x0
	s_waitcnt lgkmcnt(0)
	s_add_u32 s8, s8, s10
	s_addc_u32 s9, s9, s11
.LBB218_5:
	s_andn2_b32 vcc_lo, exec_lo, s13
	s_cbranch_vccnz .LBB218_7
; %bb.6:
	s_load_dwordx4 s[16:19], s[4:5], 0x38
	s_lshl_b64 s[2:3], s[0:1], 3
	s_waitcnt lgkmcnt(0)
	s_add_u32 s2, s16, s2
	s_addc_u32 s3, s17, s3
	s_lshl_b64 s[10:11], s[18:19], 2
	s_load_dwordx2 s[2:3], s[2:3], 0x0
	s_waitcnt lgkmcnt(0)
	s_add_u32 s2, s2, s10
	s_addc_u32 s3, s3, s11
.LBB218_7:
	s_clause 0x1
	s_load_dwordx4 s[16:19], s[4:5], 0x68
	s_load_dword s14, s[4:5], 0x78
	s_lshl_b64 s[0:1], s[0:1], 3
	s_waitcnt lgkmcnt(0)
	s_add_u32 s0, s16, s0
	s_addc_u32 s1, s17, s1
	s_lshl_b64 s[16:17], s[18:19], 2
	s_load_dwordx2 s[10:11], s[0:1], 0x0
	v_cmp_eq_u32_e64 s0, 0, v0
	s_waitcnt lgkmcnt(0)
	s_add_u32 s1, s10, s16
	s_addc_u32 s13, s11, s17
	s_andn2_b32 vcc_lo, exec_lo, s15
	s_cbranch_vccnz .LBB218_12
; %bb.8:
	s_mov_b32 s16, 0
	s_mov_b32 s15, 0
                                        ; implicit-def: $vgpr1
                                        ; implicit-def: $sgpr10_sgpr11
	s_and_saveexec_b32 s17, s0
	s_cbranch_execz .LBB218_13
; %bb.9:
	v_cmp_eq_f32_e64 s0, s7, 0
	v_mov_b32_e32 v1, 0
	s_mul_i32 s10, s14, s6
	s_ashr_i32 s11, s10, 31
	s_and_b32 vcc_lo, exec_lo, s0
	s_cbranch_vccnz .LBB218_11
; %bb.10:
	s_lshl_b64 s[18:19], s[10:11], 2
	s_add_u32 s18, s1, s18
	s_addc_u32 s19, s13, s19
	v_mov_b32_e32 v1, s18
	v_mov_b32_e32 v2, s19
	flat_load_dword v1, v[1:2]
	s_waitcnt vmcnt(0) lgkmcnt(0)
	v_mul_f32_e32 v1, s7, v1
.LBB218_11:
	s_mov_b32 s15, exec_lo
	s_or_b32 exec_lo, exec_lo, s17
	s_and_b32 vcc_lo, exec_lo, s16
	s_cbranch_vccnz .LBB218_14
	s_branch .LBB218_33
.LBB218_12:
	s_mov_b32 s15, 0
                                        ; implicit-def: $vgpr1
                                        ; implicit-def: $sgpr10_sgpr11
	s_cbranch_execnz .LBB218_14
	s_branch .LBB218_33
.LBB218_13:
	s_or_b32 exec_lo, exec_lo, s17
	s_and_b32 vcc_lo, exec_lo, s16
	s_cbranch_vccz .LBB218_33
.LBB218_14:
	s_clause 0x2
	s_load_dword s10, s[4:5], 0x0
	s_load_dword s0, s[4:5], 0x28
	;; [unrolled: 1-line block ×3, first 2 shown]
	v_mov_b32_e32 v7, 0
	s_waitcnt lgkmcnt(0)
	v_cmp_gt_i32_e32 vcc_lo, s10, v0
	s_mul_i32 s16, s0, s6
	s_ashr_i32 s0, s10, 31
	s_ashr_i32 s17, s16, 31
	s_lshr_b32 s0, s0, 24
	v_cndmask_b32_e32 v1, 0, v0, vcc_lo
	s_lshl_b64 s[16:17], s[16:17], 2
	s_add_i32 s0, s10, s0
	v_lshlrev_b32_e32 v1, 2, v1
	v_add_co_u32 v1, s4, s8, v1
	v_add_co_ci_u32_e64 v2, null, s9, 0, s4
	s_and_b32 s4, s0, 0xffffff00
	v_add_co_u32 v1, vcc_lo, v1, s16
	v_add_co_ci_u32_e64 v2, null, s17, v2, vcc_lo
	s_mov_b32 s9, 0
	s_mov_b32 s8, exec_lo
	v_cmpx_gt_i32_e64 s4, v0
	s_cbranch_execz .LBB218_18
; %bb.15:
	v_mul_lo_u32 v3, v0, s5
	v_mov_b32_e32 v6, v2
	v_mov_b32_e32 v7, 0
	;; [unrolled: 1-line block ×4, first 2 shown]
	s_lshl_b32 s11, s5, 8
	.p2align	6
.LBB218_16:                             ; =>This Inner Loop Header: Depth=1
	v_ashrrev_i32_e32 v4, 31, v3
	v_add_nc_u32_e32 v8, 0x100, v8
	v_lshlrev_b64 v[9:10], 2, v[3:4]
	v_cmp_le_i32_e64 s0, s4, v8
	v_add_nc_u32_e32 v3, s11, v3
	s_or_b32 s9, s0, s9
	v_add_co_u32 v9, vcc_lo, s2, v9
	v_add_co_ci_u32_e64 v10, null, s3, v10, vcc_lo
	flat_load_dword v4, v[5:6]
	flat_load_dword v9, v[9:10]
	v_add_co_u32 v5, vcc_lo, 0x400, v5
	v_add_co_ci_u32_e64 v6, null, 0, v6, vcc_lo
	s_waitcnt vmcnt(0) lgkmcnt(0)
	v_fmac_f32_e32 v7, v4, v9
	s_andn2_b32 exec_lo, exec_lo, s9
	s_cbranch_execnz .LBB218_16
; %bb.17:
	s_or_b32 exec_lo, exec_lo, s9
.LBB218_18:
	s_or_b32 exec_lo, exec_lo, s8
	v_add_nc_u32_e32 v3, s4, v0
	s_mov_b32 s0, exec_lo
	v_cmpx_gt_i32_e64 s10, v3
	s_cbranch_execz .LBB218_20
; %bb.19:
	v_mul_lo_u32 v3, s5, v3
	s_ashr_i32 s5, s4, 31
	s_lshl_b64 s[4:5], s[4:5], 2
	v_add_co_u32 v1, vcc_lo, v1, s4
	v_add_co_ci_u32_e64 v2, null, s5, v2, vcc_lo
	v_ashrrev_i32_e32 v4, 31, v3
	v_lshlrev_b64 v[3:4], 2, v[3:4]
	v_add_co_u32 v3, vcc_lo, s2, v3
	v_add_co_ci_u32_e64 v4, null, s3, v4, vcc_lo
	flat_load_dword v1, v[1:2]
	flat_load_dword v2, v[3:4]
	s_waitcnt vmcnt(0) lgkmcnt(0)
	v_fmac_f32_e32 v7, v1, v2
.LBB218_20:
	s_or_b32 exec_lo, exec_lo, s0
	v_and_b32_e32 v5, 31, v0
	v_cmp_gt_u32_e32 vcc_lo, 32, v0
	v_lshlrev_b32_e32 v1, 2, v5
	s_and_saveexec_b32 s0, vcc_lo
; %bb.21:
	v_mov_b32_e32 v2, 0
	ds_write_b32 v1, v2
; %bb.22:
	s_or_b32 exec_lo, exec_lo, s0
	v_mbcnt_lo_u32_b32 v4, -1, 0
	s_mov_b32 s2, exec_lo
	s_waitcnt lgkmcnt(0)
	s_barrier
	buffer_gl0_inv
	v_lshl_or_b32 v2, v4, 2, 64
	v_cmp_gt_u32_e64 s0, 24, v4
	ds_bpermute_b32 v2, v2, v7
	v_cndmask_b32_e64 v3, 0, 8, s0
	v_cmp_gt_u32_e64 s0, 28, v4
	v_add_lshl_u32 v3, v3, v4, 2
	s_waitcnt lgkmcnt(0)
	v_add_f32_e32 v6, v7, v2
	v_cndmask_b32_e64 v2, 0, 4, s0
	v_cmp_gt_u32_e64 s0, 30, v4
	ds_bpermute_b32 v3, v3, v6
	v_add_lshl_u32 v2, v2, v4, 2
	s_waitcnt lgkmcnt(0)
	v_add_f32_e32 v6, v6, v3
	v_cndmask_b32_e64 v3, 0, 2, s0
	v_cmp_ne_u32_e64 s0, 31, v4
	ds_bpermute_b32 v7, v2, v6
	v_add_lshl_u32 v3, v3, v4, 2
	v_add_co_ci_u32_e64 v4, null, 0, v4, s0
	v_lshlrev_b32_e32 v4, 2, v4
	s_waitcnt lgkmcnt(0)
	v_add_f32_e32 v6, v6, v7
	ds_bpermute_b32 v7, v3, v6
	s_waitcnt lgkmcnt(0)
	v_add_f32_e32 v6, v6, v7
	ds_bpermute_b32 v7, v4, v6
	v_cmpx_eq_u32_e32 0, v5
	s_cbranch_execz .LBB218_24
; %bb.23:
	v_lshrrev_b32_e32 v5, 3, v0
	s_waitcnt lgkmcnt(0)
	v_add_f32_e32 v6, v6, v7
	v_and_b32_e32 v5, 28, v5
	ds_write_b32 v5, v6
.LBB218_24:
	s_or_b32 exec_lo, exec_lo, s2
	v_mov_b32_e32 v5, 0
	s_mov_b32 s2, exec_lo
	s_waitcnt lgkmcnt(0)
	s_barrier
	buffer_gl0_inv
	v_cmpx_gt_u32_e32 8, v0
; %bb.25:
	ds_read_b32 v5, v1
; %bb.26:
	s_or_b32 exec_lo, exec_lo, s2
	s_and_saveexec_b32 s0, vcc_lo
	s_cbranch_execz .LBB218_28
; %bb.27:
	s_waitcnt lgkmcnt(0)
	ds_bpermute_b32 v1, v2, v5
	s_waitcnt lgkmcnt(0)
	v_add_f32_e32 v1, v5, v1
	ds_bpermute_b32 v2, v3, v1
	s_waitcnt lgkmcnt(0)
	v_add_f32_e32 v1, v1, v2
	;; [unrolled: 3-line block ×3, first 2 shown]
.LBB218_28:
	s_or_b32 exec_lo, exec_lo, s0
	s_mov_b32 s0, exec_lo
                                        ; implicit-def: $vgpr1
                                        ; implicit-def: $sgpr10_sgpr11
	v_cmpx_eq_u32_e32 0, v0
	s_cbranch_execz .LBB218_32
; %bb.29:
	v_cmp_eq_f32_e64 s2, s7, 0
	s_waitcnt lgkmcnt(0)
	v_mul_f32_e32 v1, s12, v5
	s_mul_i32 s10, s14, s6
	s_ashr_i32 s11, s10, 31
	s_and_b32 vcc_lo, exec_lo, s2
	s_cbranch_vccnz .LBB218_31
; %bb.30:
	s_lshl_b64 s[2:3], s[10:11], 2
	s_add_u32 s2, s1, s2
	s_addc_u32 s3, s13, s3
	v_mov_b32_e32 v2, s2
	v_mov_b32_e32 v3, s3
	flat_load_dword v0, v[2:3]
	s_waitcnt vmcnt(0) lgkmcnt(0)
	v_fmac_f32_e32 v1, s7, v0
.LBB218_31:
	s_or_b32 s15, s15, exec_lo
.LBB218_32:
	s_or_b32 exec_lo, exec_lo, s0
.LBB218_33:
	s_and_saveexec_b32 s0, s15
	s_cbranch_execz .LBB218_35
; %bb.34:
	s_lshl_b64 s[2:3], s[10:11], 2
	s_add_u32 s0, s1, s2
	s_addc_u32 s1, s13, s3
	v_mov_b32_e32 v3, s1
	v_mov_b32_e32 v2, s0
	flat_store_dword v[2:3], v1
.LBB218_35:
	s_endpgm
	.section	.rodata,"a",@progbits
	.p2align	6, 0x0
	.amdhsa_kernel _ZL32rocblas_gemvt_warp_reduce_kernelILb0ELi256EiPKffKPfEviiT3_lPKT2_lT1_lS7_lS8_lS4_lPT4_lS8_li
		.amdhsa_group_segment_fixed_size 128
		.amdhsa_private_segment_fixed_size 0
		.amdhsa_kernarg_size 140
		.amdhsa_user_sgpr_count 6
		.amdhsa_user_sgpr_private_segment_buffer 1
		.amdhsa_user_sgpr_dispatch_ptr 0
		.amdhsa_user_sgpr_queue_ptr 0
		.amdhsa_user_sgpr_kernarg_segment_ptr 1
		.amdhsa_user_sgpr_dispatch_id 0
		.amdhsa_user_sgpr_flat_scratch_init 0
		.amdhsa_user_sgpr_private_segment_size 0
		.amdhsa_wavefront_size32 1
		.amdhsa_uses_dynamic_stack 0
		.amdhsa_system_sgpr_private_segment_wavefront_offset 0
		.amdhsa_system_sgpr_workgroup_id_x 1
		.amdhsa_system_sgpr_workgroup_id_y 0
		.amdhsa_system_sgpr_workgroup_id_z 1
		.amdhsa_system_sgpr_workgroup_info 0
		.amdhsa_system_vgpr_workitem_id 0
		.amdhsa_next_free_vgpr 11
		.amdhsa_next_free_sgpr 20
		.amdhsa_reserve_vcc 1
		.amdhsa_reserve_flat_scratch 0
		.amdhsa_float_round_mode_32 0
		.amdhsa_float_round_mode_16_64 0
		.amdhsa_float_denorm_mode_32 3
		.amdhsa_float_denorm_mode_16_64 3
		.amdhsa_dx10_clamp 1
		.amdhsa_ieee_mode 1
		.amdhsa_fp16_overflow 0
		.amdhsa_workgroup_processor_mode 1
		.amdhsa_memory_ordered 1
		.amdhsa_forward_progress 1
		.amdhsa_shared_vgpr_count 0
		.amdhsa_exception_fp_ieee_invalid_op 0
		.amdhsa_exception_fp_denorm_src 0
		.amdhsa_exception_fp_ieee_div_zero 0
		.amdhsa_exception_fp_ieee_overflow 0
		.amdhsa_exception_fp_ieee_underflow 0
		.amdhsa_exception_fp_ieee_inexact 0
		.amdhsa_exception_int_div_zero 0
	.end_amdhsa_kernel
	.section	.text._ZL32rocblas_gemvt_warp_reduce_kernelILb0ELi256EiPKffKPfEviiT3_lPKT2_lT1_lS7_lS8_lS4_lPT4_lS8_li,"axG",@progbits,_ZL32rocblas_gemvt_warp_reduce_kernelILb0ELi256EiPKffKPfEviiT3_lPKT2_lT1_lS7_lS8_lS4_lPT4_lS8_li,comdat
.Lfunc_end218:
	.size	_ZL32rocblas_gemvt_warp_reduce_kernelILb0ELi256EiPKffKPfEviiT3_lPKT2_lT1_lS7_lS8_lS4_lPT4_lS8_li, .Lfunc_end218-_ZL32rocblas_gemvt_warp_reduce_kernelILb0ELi256EiPKffKPfEviiT3_lPKT2_lT1_lS7_lS8_lS4_lPT4_lS8_li
                                        ; -- End function
	.set _ZL32rocblas_gemvt_warp_reduce_kernelILb0ELi256EiPKffKPfEviiT3_lPKT2_lT1_lS7_lS8_lS4_lPT4_lS8_li.num_vgpr, 11
	.set _ZL32rocblas_gemvt_warp_reduce_kernelILb0ELi256EiPKffKPfEviiT3_lPKT2_lT1_lS7_lS8_lS4_lPT4_lS8_li.num_agpr, 0
	.set _ZL32rocblas_gemvt_warp_reduce_kernelILb0ELi256EiPKffKPfEviiT3_lPKT2_lT1_lS7_lS8_lS4_lPT4_lS8_li.numbered_sgpr, 20
	.set _ZL32rocblas_gemvt_warp_reduce_kernelILb0ELi256EiPKffKPfEviiT3_lPKT2_lT1_lS7_lS8_lS4_lPT4_lS8_li.num_named_barrier, 0
	.set _ZL32rocblas_gemvt_warp_reduce_kernelILb0ELi256EiPKffKPfEviiT3_lPKT2_lT1_lS7_lS8_lS4_lPT4_lS8_li.private_seg_size, 0
	.set _ZL32rocblas_gemvt_warp_reduce_kernelILb0ELi256EiPKffKPfEviiT3_lPKT2_lT1_lS7_lS8_lS4_lPT4_lS8_li.uses_vcc, 1
	.set _ZL32rocblas_gemvt_warp_reduce_kernelILb0ELi256EiPKffKPfEviiT3_lPKT2_lT1_lS7_lS8_lS4_lPT4_lS8_li.uses_flat_scratch, 0
	.set _ZL32rocblas_gemvt_warp_reduce_kernelILb0ELi256EiPKffKPfEviiT3_lPKT2_lT1_lS7_lS8_lS4_lPT4_lS8_li.has_dyn_sized_stack, 0
	.set _ZL32rocblas_gemvt_warp_reduce_kernelILb0ELi256EiPKffKPfEviiT3_lPKT2_lT1_lS7_lS8_lS4_lPT4_lS8_li.has_recursion, 0
	.set _ZL32rocblas_gemvt_warp_reduce_kernelILb0ELi256EiPKffKPfEviiT3_lPKT2_lT1_lS7_lS8_lS4_lPT4_lS8_li.has_indirect_call, 0
	.section	.AMDGPU.csdata,"",@progbits
; Kernel info:
; codeLenInByte = 1360
; TotalNumSgprs: 22
; NumVgprs: 11
; ScratchSize: 0
; MemoryBound: 0
; FloatMode: 240
; IeeeMode: 1
; LDSByteSize: 128 bytes/workgroup (compile time only)
; SGPRBlocks: 0
; VGPRBlocks: 1
; NumSGPRsForWavesPerEU: 22
; NumVGPRsForWavesPerEU: 11
; Occupancy: 16
; WaveLimiterHint : 1
; COMPUTE_PGM_RSRC2:SCRATCH_EN: 0
; COMPUTE_PGM_RSRC2:USER_SGPR: 6
; COMPUTE_PGM_RSRC2:TRAP_HANDLER: 0
; COMPUTE_PGM_RSRC2:TGID_X_EN: 1
; COMPUTE_PGM_RSRC2:TGID_Y_EN: 0
; COMPUTE_PGM_RSRC2:TGID_Z_EN: 1
; COMPUTE_PGM_RSRC2:TIDIG_COMP_CNT: 0
	.section	.text._ZL32rocblas_gemvt_warp_reduce_kernelILb0ELi256ElPKffKPfEviiT3_lPKT2_lT1_lS7_lS8_lS4_lPT4_lS8_li,"axG",@progbits,_ZL32rocblas_gemvt_warp_reduce_kernelILb0ELi256ElPKffKPfEviiT3_lPKT2_lT1_lS7_lS8_lS4_lPT4_lS8_li,comdat
	.globl	_ZL32rocblas_gemvt_warp_reduce_kernelILb0ELi256ElPKffKPfEviiT3_lPKT2_lT1_lS7_lS8_lS4_lPT4_lS8_li ; -- Begin function _ZL32rocblas_gemvt_warp_reduce_kernelILb0ELi256ElPKffKPfEviiT3_lPKT2_lT1_lS7_lS8_lS4_lPT4_lS8_li
	.p2align	8
	.type	_ZL32rocblas_gemvt_warp_reduce_kernelILb0ELi256ElPKffKPfEviiT3_lPKT2_lT1_lS7_lS8_lS4_lPT4_lS8_li,@function
_ZL32rocblas_gemvt_warp_reduce_kernelILb0ELi256ElPKffKPfEviiT3_lPKT2_lT1_lS7_lS8_lS4_lPT4_lS8_li: ; @_ZL32rocblas_gemvt_warp_reduce_kernelILb0ELi256ElPKffKPfEviiT3_lPKT2_lT1_lS7_lS8_lS4_lPT4_lS8_li
; %bb.0:
	s_mov_b32 s10, s7
	s_clause 0x1
	s_load_dword s18, s[4:5], 0x8
	s_load_dword s7, s[4:5], 0x58
	s_mov_b32 s11, 0
	s_waitcnt lgkmcnt(0)
	v_cmp_eq_f32_e64 s20, s18, 0
	v_cmp_eq_f32_e64 s0, s7, 1.0
	s_and_b32 s0, s20, s0
	s_and_b32 vcc_lo, exec_lo, s0
	s_cbranch_vccnz .LBB219_35
; %bb.1:
	s_clause 0x1
	s_load_dwordx4 s[0:3], s[4:5], 0x18
	s_load_dwordx2 s[12:13], s[4:5], 0x28
	v_cmp_neq_f32_e64 s19, s18, 0
	s_and_b32 vcc_lo, exec_lo, s19
	s_cbranch_vccnz .LBB219_3
; %bb.2:
	s_mov_b32 s17, 0
	s_mov_b32 s16, s10
	s_mov_b32 s14, s17
	s_mov_b64 s[8:9], 0
	s_andn2_b32 vcc_lo, exec_lo, s14
	s_mov_b64 s[14:15], 0
	s_cbranch_vccz .LBB219_4
	s_branch .LBB219_5
.LBB219_3:
	s_mov_b64 s[16:17], s[10:11]
	s_mov_b64 s[8:9], 0
	;; [unrolled: 1-line block ×3, first 2 shown]
.LBB219_4:
	s_lshl_b64 s[10:11], s[10:11], 3
	s_waitcnt lgkmcnt(0)
	s_add_u32 s0, s0, s10
	s_addc_u32 s1, s1, s11
	s_lshl_b64 s[2:3], s[2:3], 2
	s_load_dwordx2 s[0:1], s[0:1], 0x0
	s_waitcnt lgkmcnt(0)
	s_add_u32 s14, s0, s2
	s_addc_u32 s15, s1, s3
.LBB219_5:
	s_waitcnt lgkmcnt(0)
	s_clause 0x1
	s_load_dwordx4 s[0:3], s[4:5], 0x38
	s_load_dwordx2 s[10:11], s[4:5], 0x48
	s_andn2_b32 vcc_lo, exec_lo, s19
	s_cbranch_vccnz .LBB219_7
; %bb.6:
	s_lshl_b64 s[8:9], s[16:17], 3
	s_waitcnt lgkmcnt(0)
	s_add_u32 s0, s0, s8
	s_addc_u32 s1, s1, s9
	s_lshl_b64 s[2:3], s[2:3], 2
	s_load_dwordx2 s[0:1], s[0:1], 0x0
	s_waitcnt lgkmcnt(0)
	s_add_u32 s8, s0, s2
	s_addc_u32 s9, s1, s3
.LBB219_7:
	s_load_dwordx4 s[24:27], s[4:5], 0x68
	s_waitcnt lgkmcnt(0)
	s_load_dwordx2 s[2:3], s[4:5], 0x78
	s_lshl_b64 s[0:1], s[16:17], 3
	s_add_u32 s0, s24, s0
	s_addc_u32 s1, s25, s1
	s_lshl_b64 s[22:23], s[26:27], 2
	s_load_dwordx2 s[16:17], s[0:1], 0x0
	v_cmp_eq_u32_e64 s0, 0, v0
	s_waitcnt lgkmcnt(0)
	s_add_u32 s1, s16, s22
	s_addc_u32 s19, s17, s23
	s_andn2_b32 vcc_lo, exec_lo, s20
	s_cbranch_vccnz .LBB219_12
; %bb.8:
	s_mov_b32 s21, 0
	s_mov_b32 s20, 0
                                        ; implicit-def: $vgpr1
                                        ; implicit-def: $sgpr16_sgpr17
	s_and_saveexec_b32 s22, s0
	s_cbranch_execz .LBB219_13
; %bb.9:
	s_ashr_i32 s0, s6, 31
	v_cmp_eq_f32_e64 s20, s7, 0
	s_mul_hi_u32 s16, s2, s6
	s_mul_i32 s0, s2, s0
	v_mov_b32_e32 v1, 0
	s_add_i32 s0, s16, s0
	s_mul_i32 s16, s3, s6
	s_and_b32 vcc_lo, exec_lo, s20
	s_add_i32 s17, s0, s16
	s_mul_i32 s16, s2, s6
	s_cbranch_vccnz .LBB219_11
; %bb.10:
	s_lshl_b64 s[24:25], s[16:17], 2
	s_add_u32 s24, s1, s24
	s_addc_u32 s25, s19, s25
	v_mov_b32_e32 v1, s24
	v_mov_b32_e32 v2, s25
	flat_load_dword v1, v[1:2]
	s_waitcnt vmcnt(0) lgkmcnt(0)
	v_mul_f32_e32 v1, s7, v1
.LBB219_11:
	s_mov_b32 s20, exec_lo
	s_or_b32 exec_lo, exec_lo, s22
	s_and_b32 vcc_lo, exec_lo, s21
	s_cbranch_vccnz .LBB219_14
	s_branch .LBB219_33
.LBB219_12:
	s_mov_b32 s20, 0
                                        ; implicit-def: $vgpr1
                                        ; implicit-def: $sgpr16_sgpr17
	s_cbranch_execnz .LBB219_14
	s_branch .LBB219_33
.LBB219_13:
	s_or_b32 exec_lo, exec_lo, s22
	s_and_b32 vcc_lo, exec_lo, s21
	s_cbranch_vccz .LBB219_33
.LBB219_14:
	s_load_dword s5, s[4:5], 0x0
	s_ashr_i32 s21, s6, 31
	s_mul_hi_u32 s0, s12, s6
	s_mul_i32 s4, s13, s6
	s_mul_i32 s13, s12, s21
	;; [unrolled: 1-line block ×3, first 2 shown]
	s_add_i32 s0, s0, s13
	v_mov_b32_e32 v7, 0
	s_add_i32 s13, s0, s4
	s_lshl_b64 s[12:13], s[12:13], 2
	s_waitcnt lgkmcnt(0)
	v_cmp_gt_i32_e32 vcc_lo, s5, v0
	s_ashr_i32 s0, s5, 31
	s_lshr_b32 s0, s0, 24
	s_add_i32 s0, s5, s0
	v_cndmask_b32_e32 v1, 0, v0, vcc_lo
	v_lshlrev_b32_e32 v1, 2, v1
	v_add_co_u32 v1, s4, s14, v1
	v_add_co_ci_u32_e64 v2, null, s15, 0, s4
	s_and_b32 s4, s0, 0xffffff00
	v_add_co_u32 v1, vcc_lo, v1, s12
	v_add_co_ci_u32_e64 v2, null, s13, v2, vcc_lo
	s_mov_b32 s15, 0
	s_mov_b32 s14, exec_lo
	v_cmpx_gt_i32_e64 s4, v0
	s_cbranch_execz .LBB219_18
; %bb.15:
	v_mad_u64_u32 v[3:4], null, s10, v0, 0
	v_mov_b32_e32 v7, 0
	v_mov_b32_e32 v8, v0
	s_lshl_b64 s[12:13], s[10:11], 10
	v_mad_u64_u32 v[4:5], null, s11, v0, v[4:5]
	v_lshlrev_b64 v[5:6], 2, v[3:4]
	v_mov_b32_e32 v4, v2
	v_mov_b32_e32 v3, v1
	v_add_co_u32 v5, vcc_lo, s8, v5
	v_add_co_ci_u32_e64 v6, null, s9, v6, vcc_lo
	.p2align	6
.LBB219_16:                             ; =>This Inner Loop Header: Depth=1
	flat_load_dword v9, v[3:4]
	flat_load_dword v10, v[5:6]
	v_add_nc_u32_e32 v8, 0x100, v8
	v_add_co_u32 v3, vcc_lo, 0x400, v3
	v_add_co_ci_u32_e64 v4, null, 0, v4, vcc_lo
	v_add_co_u32 v5, vcc_lo, v5, s12
	v_cmp_le_i32_e64 s0, s4, v8
	v_add_co_ci_u32_e64 v6, null, s13, v6, vcc_lo
	s_or_b32 s15, s0, s15
	s_waitcnt vmcnt(0) lgkmcnt(0)
	v_fmac_f32_e32 v7, v9, v10
	s_andn2_b32 exec_lo, exec_lo, s15
	s_cbranch_execnz .LBB219_16
; %bb.17:
	s_or_b32 exec_lo, exec_lo, s15
.LBB219_18:
	s_or_b32 exec_lo, exec_lo, s14
	v_add_nc_u32_e32 v3, s4, v0
	s_mov_b32 s0, exec_lo
	v_cmpx_gt_i32_e64 s5, v3
	s_cbranch_execz .LBB219_20
; %bb.19:
	v_ashrrev_i32_e32 v5, 31, v3
	v_mul_lo_u32 v6, s11, v3
	v_mad_u64_u32 v[3:4], null, s10, v3, 0
	s_ashr_i32 s5, s4, 31
	v_mul_lo_u32 v5, s10, v5
	s_lshl_b64 s[4:5], s[4:5], 2
	v_add_co_u32 v1, vcc_lo, v1, s4
	v_add_co_ci_u32_e64 v2, null, s5, v2, vcc_lo
	v_add3_u32 v4, v4, v5, v6
	v_lshlrev_b64 v[3:4], 2, v[3:4]
	v_add_co_u32 v3, vcc_lo, s8, v3
	v_add_co_ci_u32_e64 v4, null, s9, v4, vcc_lo
	flat_load_dword v1, v[1:2]
	flat_load_dword v2, v[3:4]
	s_waitcnt vmcnt(0) lgkmcnt(0)
	v_fmac_f32_e32 v7, v1, v2
.LBB219_20:
	s_or_b32 exec_lo, exec_lo, s0
	v_and_b32_e32 v5, 31, v0
	v_cmp_gt_u32_e32 vcc_lo, 32, v0
	v_lshlrev_b32_e32 v1, 2, v5
	s_and_saveexec_b32 s0, vcc_lo
; %bb.21:
	v_mov_b32_e32 v2, 0
	ds_write_b32 v1, v2
; %bb.22:
	s_or_b32 exec_lo, exec_lo, s0
	v_mbcnt_lo_u32_b32 v4, -1, 0
	s_mov_b32 s4, exec_lo
	s_waitcnt lgkmcnt(0)
	s_barrier
	buffer_gl0_inv
	v_lshl_or_b32 v2, v4, 2, 64
	v_cmp_gt_u32_e64 s0, 24, v4
	ds_bpermute_b32 v2, v2, v7
	v_cndmask_b32_e64 v3, 0, 8, s0
	v_cmp_gt_u32_e64 s0, 28, v4
	v_add_lshl_u32 v3, v3, v4, 2
	s_waitcnt lgkmcnt(0)
	v_add_f32_e32 v6, v7, v2
	v_cndmask_b32_e64 v2, 0, 4, s0
	v_cmp_gt_u32_e64 s0, 30, v4
	ds_bpermute_b32 v3, v3, v6
	v_add_lshl_u32 v2, v2, v4, 2
	s_waitcnt lgkmcnt(0)
	v_add_f32_e32 v6, v6, v3
	v_cndmask_b32_e64 v3, 0, 2, s0
	v_cmp_ne_u32_e64 s0, 31, v4
	ds_bpermute_b32 v7, v2, v6
	v_add_lshl_u32 v3, v3, v4, 2
	v_add_co_ci_u32_e64 v4, null, 0, v4, s0
	v_lshlrev_b32_e32 v4, 2, v4
	s_waitcnt lgkmcnt(0)
	v_add_f32_e32 v6, v6, v7
	ds_bpermute_b32 v7, v3, v6
	s_waitcnt lgkmcnt(0)
	v_add_f32_e32 v6, v6, v7
	ds_bpermute_b32 v7, v4, v6
	v_cmpx_eq_u32_e32 0, v5
	s_cbranch_execz .LBB219_24
; %bb.23:
	v_lshrrev_b32_e32 v5, 3, v0
	s_waitcnt lgkmcnt(0)
	v_add_f32_e32 v6, v6, v7
	v_and_b32_e32 v5, 28, v5
	ds_write_b32 v5, v6
.LBB219_24:
	s_or_b32 exec_lo, exec_lo, s4
	v_mov_b32_e32 v5, 0
	s_mov_b32 s4, exec_lo
	s_waitcnt lgkmcnt(0)
	s_barrier
	buffer_gl0_inv
	v_cmpx_gt_u32_e32 8, v0
; %bb.25:
	ds_read_b32 v5, v1
; %bb.26:
	s_or_b32 exec_lo, exec_lo, s4
	s_and_saveexec_b32 s0, vcc_lo
	s_cbranch_execz .LBB219_28
; %bb.27:
	s_waitcnt lgkmcnt(0)
	ds_bpermute_b32 v1, v2, v5
	s_waitcnt lgkmcnt(0)
	v_add_f32_e32 v1, v5, v1
	ds_bpermute_b32 v2, v3, v1
	s_waitcnt lgkmcnt(0)
	v_add_f32_e32 v1, v1, v2
	;; [unrolled: 3-line block ×3, first 2 shown]
.LBB219_28:
	s_or_b32 exec_lo, exec_lo, s0
	s_mov_b32 s0, exec_lo
                                        ; implicit-def: $vgpr1
                                        ; implicit-def: $sgpr16_sgpr17
	v_cmpx_eq_u32_e32 0, v0
	s_cbranch_execz .LBB219_32
; %bb.29:
	v_cmp_eq_f32_e64 s8, s7, 0
	s_mul_i32 s4, s2, s21
	s_mul_hi_u32 s5, s2, s6
	s_waitcnt lgkmcnt(0)
	v_mul_f32_e32 v1, s18, v5
	s_add_i32 s4, s5, s4
	s_mul_i32 s3, s3, s6
	s_and_b32 vcc_lo, exec_lo, s8
	s_add_i32 s17, s4, s3
	s_mul_i32 s16, s2, s6
	s_cbranch_vccnz .LBB219_31
; %bb.30:
	s_lshl_b64 s[2:3], s[16:17], 2
	s_add_u32 s2, s1, s2
	s_addc_u32 s3, s19, s3
	v_mov_b32_e32 v2, s2
	v_mov_b32_e32 v3, s3
	flat_load_dword v0, v[2:3]
	s_waitcnt vmcnt(0) lgkmcnt(0)
	v_fmac_f32_e32 v1, s7, v0
.LBB219_31:
	s_or_b32 s20, s20, exec_lo
.LBB219_32:
	s_or_b32 exec_lo, exec_lo, s0
.LBB219_33:
	s_and_saveexec_b32 s0, s20
	s_cbranch_execz .LBB219_35
; %bb.34:
	s_lshl_b64 s[2:3], s[16:17], 2
	s_add_u32 s0, s1, s2
	s_addc_u32 s1, s19, s3
	v_mov_b32_e32 v3, s1
	v_mov_b32_e32 v2, s0
	flat_store_dword v[2:3], v1
.LBB219_35:
	s_endpgm
	.section	.rodata,"a",@progbits
	.p2align	6, 0x0
	.amdhsa_kernel _ZL32rocblas_gemvt_warp_reduce_kernelILb0ELi256ElPKffKPfEviiT3_lPKT2_lT1_lS7_lS8_lS4_lPT4_lS8_li
		.amdhsa_group_segment_fixed_size 128
		.amdhsa_private_segment_fixed_size 0
		.amdhsa_kernarg_size 140
		.amdhsa_user_sgpr_count 6
		.amdhsa_user_sgpr_private_segment_buffer 1
		.amdhsa_user_sgpr_dispatch_ptr 0
		.amdhsa_user_sgpr_queue_ptr 0
		.amdhsa_user_sgpr_kernarg_segment_ptr 1
		.amdhsa_user_sgpr_dispatch_id 0
		.amdhsa_user_sgpr_flat_scratch_init 0
		.amdhsa_user_sgpr_private_segment_size 0
		.amdhsa_wavefront_size32 1
		.amdhsa_uses_dynamic_stack 0
		.amdhsa_system_sgpr_private_segment_wavefront_offset 0
		.amdhsa_system_sgpr_workgroup_id_x 1
		.amdhsa_system_sgpr_workgroup_id_y 0
		.amdhsa_system_sgpr_workgroup_id_z 1
		.amdhsa_system_sgpr_workgroup_info 0
		.amdhsa_system_vgpr_workitem_id 0
		.amdhsa_next_free_vgpr 11
		.amdhsa_next_free_sgpr 28
		.amdhsa_reserve_vcc 1
		.amdhsa_reserve_flat_scratch 0
		.amdhsa_float_round_mode_32 0
		.amdhsa_float_round_mode_16_64 0
		.amdhsa_float_denorm_mode_32 3
		.amdhsa_float_denorm_mode_16_64 3
		.amdhsa_dx10_clamp 1
		.amdhsa_ieee_mode 1
		.amdhsa_fp16_overflow 0
		.amdhsa_workgroup_processor_mode 1
		.amdhsa_memory_ordered 1
		.amdhsa_forward_progress 1
		.amdhsa_shared_vgpr_count 0
		.amdhsa_exception_fp_ieee_invalid_op 0
		.amdhsa_exception_fp_denorm_src 0
		.amdhsa_exception_fp_ieee_div_zero 0
		.amdhsa_exception_fp_ieee_overflow 0
		.amdhsa_exception_fp_ieee_underflow 0
		.amdhsa_exception_fp_ieee_inexact 0
		.amdhsa_exception_int_div_zero 0
	.end_amdhsa_kernel
	.section	.text._ZL32rocblas_gemvt_warp_reduce_kernelILb0ELi256ElPKffKPfEviiT3_lPKT2_lT1_lS7_lS8_lS4_lPT4_lS8_li,"axG",@progbits,_ZL32rocblas_gemvt_warp_reduce_kernelILb0ELi256ElPKffKPfEviiT3_lPKT2_lT1_lS7_lS8_lS4_lPT4_lS8_li,comdat
.Lfunc_end219:
	.size	_ZL32rocblas_gemvt_warp_reduce_kernelILb0ELi256ElPKffKPfEviiT3_lPKT2_lT1_lS7_lS8_lS4_lPT4_lS8_li, .Lfunc_end219-_ZL32rocblas_gemvt_warp_reduce_kernelILb0ELi256ElPKffKPfEviiT3_lPKT2_lT1_lS7_lS8_lS4_lPT4_lS8_li
                                        ; -- End function
	.set _ZL32rocblas_gemvt_warp_reduce_kernelILb0ELi256ElPKffKPfEviiT3_lPKT2_lT1_lS7_lS8_lS4_lPT4_lS8_li.num_vgpr, 11
	.set _ZL32rocblas_gemvt_warp_reduce_kernelILb0ELi256ElPKffKPfEviiT3_lPKT2_lT1_lS7_lS8_lS4_lPT4_lS8_li.num_agpr, 0
	.set _ZL32rocblas_gemvt_warp_reduce_kernelILb0ELi256ElPKffKPfEviiT3_lPKT2_lT1_lS7_lS8_lS4_lPT4_lS8_li.numbered_sgpr, 28
	.set _ZL32rocblas_gemvt_warp_reduce_kernelILb0ELi256ElPKffKPfEviiT3_lPKT2_lT1_lS7_lS8_lS4_lPT4_lS8_li.num_named_barrier, 0
	.set _ZL32rocblas_gemvt_warp_reduce_kernelILb0ELi256ElPKffKPfEviiT3_lPKT2_lT1_lS7_lS8_lS4_lPT4_lS8_li.private_seg_size, 0
	.set _ZL32rocblas_gemvt_warp_reduce_kernelILb0ELi256ElPKffKPfEviiT3_lPKT2_lT1_lS7_lS8_lS4_lPT4_lS8_li.uses_vcc, 1
	.set _ZL32rocblas_gemvt_warp_reduce_kernelILb0ELi256ElPKffKPfEviiT3_lPKT2_lT1_lS7_lS8_lS4_lPT4_lS8_li.uses_flat_scratch, 0
	.set _ZL32rocblas_gemvt_warp_reduce_kernelILb0ELi256ElPKffKPfEviiT3_lPKT2_lT1_lS7_lS8_lS4_lPT4_lS8_li.has_dyn_sized_stack, 0
	.set _ZL32rocblas_gemvt_warp_reduce_kernelILb0ELi256ElPKffKPfEviiT3_lPKT2_lT1_lS7_lS8_lS4_lPT4_lS8_li.has_recursion, 0
	.set _ZL32rocblas_gemvt_warp_reduce_kernelILb0ELi256ElPKffKPfEviiT3_lPKT2_lT1_lS7_lS8_lS4_lPT4_lS8_li.has_indirect_call, 0
	.section	.AMDGPU.csdata,"",@progbits
; Kernel info:
; codeLenInByte = 1448
; TotalNumSgprs: 30
; NumVgprs: 11
; ScratchSize: 0
; MemoryBound: 0
; FloatMode: 240
; IeeeMode: 1
; LDSByteSize: 128 bytes/workgroup (compile time only)
; SGPRBlocks: 0
; VGPRBlocks: 1
; NumSGPRsForWavesPerEU: 30
; NumVGPRsForWavesPerEU: 11
; Occupancy: 16
; WaveLimiterHint : 1
; COMPUTE_PGM_RSRC2:SCRATCH_EN: 0
; COMPUTE_PGM_RSRC2:USER_SGPR: 6
; COMPUTE_PGM_RSRC2:TRAP_HANDLER: 0
; COMPUTE_PGM_RSRC2:TGID_X_EN: 1
; COMPUTE_PGM_RSRC2:TGID_Y_EN: 0
; COMPUTE_PGM_RSRC2:TGID_Z_EN: 1
; COMPUTE_PGM_RSRC2:TIDIG_COMP_CNT: 0
	.section	.text._ZL20rocblas_gemvt_kernelILb0ELi256EPKfS1_KPfEviiT2_lPKT1_lilS7_lilS4_lPT3_lili,"axG",@progbits,_ZL20rocblas_gemvt_kernelILb0ELi256EPKfS1_KPfEviiT2_lPKT1_lilS7_lilS4_lPT3_lili,comdat
	.globl	_ZL20rocblas_gemvt_kernelILb0ELi256EPKfS1_KPfEviiT2_lPKT1_lilS7_lilS4_lPT3_lili ; -- Begin function _ZL20rocblas_gemvt_kernelILb0ELi256EPKfS1_KPfEviiT2_lPKT1_lilS7_lilS4_lPT3_lili
	.p2align	8
	.type	_ZL20rocblas_gemvt_kernelILb0ELi256EPKfS1_KPfEviiT2_lPKT1_lilS7_lilS4_lPT3_lili,@function
_ZL20rocblas_gemvt_kernelILb0ELi256EPKfS1_KPfEviiT2_lPKT1_lilS7_lilS4_lPT3_lili: ; @_ZL20rocblas_gemvt_kernelILb0ELi256EPKfS1_KPfEviiT2_lPKT1_lilS7_lilS4_lPT3_lili
; %bb.0:
	s_clause 0x1
	s_load_dwordx8 s[16:23], s[4:5], 0x8
	s_load_dwordx8 s[8:15], s[4:5], 0x58
	s_mov_b32 s0, s7
	s_waitcnt lgkmcnt(0)
	s_mul_i32 s1, s19, s7
	s_mul_hi_u32 s3, s18, s7
	s_mul_i32 s2, s18, s7
	s_add_i32 s3, s3, s1
	s_mul_i32 s1, s11, s7
	s_lshl_b64 s[2:3], s[2:3], 2
	s_mul_hi_u32 s7, s10, s7
	s_add_u32 s2, s16, s2
	s_addc_u32 s3, s17, s3
	s_add_i32 s11, s7, s1
	s_mul_i32 s10, s10, s0
	s_lshl_b64 s[10:11], s[10:11], 2
	s_add_u32 s8, s8, s10
	s_addc_u32 s9, s9, s11
	s_load_dword s16, s[2:3], 0x0
	s_load_dword s7, s[8:9], 0x0
	s_waitcnt lgkmcnt(0)
	v_cmp_eq_f32_e64 s10, s16, 0
	v_cmp_eq_f32_e64 s1, s7, 1.0
	s_and_b32 s1, s10, s1
	s_and_b32 vcc_lo, exec_lo, s1
	s_mov_b32 s1, 0
	s_cbranch_vccnz .LBB220_40
; %bb.1:
	v_cmp_neq_f32_e64 s11, s16, 0
	s_mov_b64 s[2:3], 0
	s_and_b32 vcc_lo, exec_lo, s10
	s_mov_b64 s[8:9], 0
	s_cbranch_vccnz .LBB220_3
; %bb.2:
	s_lshl_b64 s[8:9], s[0:1], 3
	s_add_u32 s8, s20, s8
	s_addc_u32 s9, s21, s9
	s_lshl_b64 s[18:19], s[22:23], 2
	s_load_dwordx2 s[8:9], s[8:9], 0x0
	s_waitcnt lgkmcnt(0)
	s_add_u32 s8, s8, s18
	s_addc_u32 s9, s9, s19
.LBB220_3:
	s_andn2_b32 vcc_lo, exec_lo, s11
	s_cbranch_vccnz .LBB220_5
; %bb.4:
	s_load_dwordx4 s[20:23], s[4:5], 0x38
	s_lshl_b64 s[2:3], s[0:1], 3
	s_waitcnt lgkmcnt(0)
	s_add_u32 s2, s20, s2
	s_addc_u32 s3, s21, s3
	s_lshl_b64 s[18:19], s[22:23], 2
	s_load_dwordx2 s[2:3], s[2:3], 0x0
	s_waitcnt lgkmcnt(0)
	s_add_u32 s2, s2, s18
	s_addc_u32 s3, s3, s19
.LBB220_5:
	s_lshl_b64 s[0:1], s[0:1], 3
	s_add_u32 s0, s12, s0
	s_addc_u32 s1, s13, s1
	s_lshl_b64 s[14:15], s[14:15], 2
	s_load_dwordx2 s[12:13], s[0:1], 0x0
	s_load_dword s17, s[4:5], 0x78
	v_cmp_eq_u32_e64 s0, 0, v0
	s_waitcnt lgkmcnt(0)
	s_add_u32 s12, s12, s14
	s_addc_u32 s13, s13, s15
	s_andn2_b32 vcc_lo, exec_lo, s10
	s_cbranch_vccnz .LBB220_10
; %bb.6:
	s_mov_b32 s1, 0
	s_mov_b32 s14, 0
                                        ; implicit-def: $vgpr1
                                        ; implicit-def: $sgpr10_sgpr11
	s_and_saveexec_b32 s15, s0
	s_cbranch_execz .LBB220_11
; %bb.7:
	v_cmp_eq_f32_e64 s0, s7, 0
	v_mov_b32_e32 v1, 0
	s_mul_hi_i32 s11, s17, s6
	s_mul_i32 s10, s17, s6
	s_and_b32 vcc_lo, exec_lo, s0
	s_cbranch_vccnz .LBB220_9
; %bb.8:
	s_lshl_b64 s[18:19], s[10:11], 2
	s_add_u32 s18, s12, s18
	s_addc_u32 s19, s13, s19
	v_mov_b32_e32 v1, s18
	v_mov_b32_e32 v2, s19
	flat_load_dword v1, v[1:2]
	s_waitcnt vmcnt(0) lgkmcnt(0)
	v_mul_f32_e32 v1, s7, v1
.LBB220_9:
	s_mov_b32 s14, exec_lo
	s_or_b32 exec_lo, exec_lo, s15
	s_and_b32 vcc_lo, exec_lo, s1
	s_cbranch_vccnz .LBB220_12
	s_branch .LBB220_38
.LBB220_10:
	s_mov_b32 s14, 0
                                        ; implicit-def: $vgpr1
                                        ; implicit-def: $sgpr10_sgpr11
	s_cbranch_execnz .LBB220_12
	s_branch .LBB220_38
.LBB220_11:
	s_or_b32 exec_lo, exec_lo, s15
	s_and_b32 vcc_lo, exec_lo, s1
	s_cbranch_vccz .LBB220_38
.LBB220_12:
	s_clause 0x2
	s_load_dword s10, s[4:5], 0x0
	s_load_dword s1, s[4:5], 0x28
	;; [unrolled: 1-line block ×3, first 2 shown]
	v_mov_b32_e32 v7, 0
	s_waitcnt lgkmcnt(0)
	v_cmp_gt_i32_e32 vcc_lo, s10, v0
	s_mul_hi_i32 s5, s1, s6
	s_mul_i32 s4, s1, s6
	s_ashr_i32 s1, s10, 31
	s_lshl_b64 s[4:5], s[4:5], 2
	v_cndmask_b32_e32 v1, 0, v0, vcc_lo
	s_lshr_b32 s1, s1, 24
	s_add_i32 s1, s10, s1
	v_lshlrev_b32_e32 v1, 2, v1
	v_add_co_u32 v1, s8, s8, v1
	v_add_co_ci_u32_e64 v2, null, s9, 0, s8
	v_add_co_u32 v1, vcc_lo, v1, s4
	v_add_co_ci_u32_e64 v2, null, s5, v2, vcc_lo
	s_and_b32 s4, s1, 0xffffff00
	s_cmpk_lt_i32 s10, 0x100
	s_mov_b32 s5, 0
	s_cbranch_scc1 .LBB220_15
; %bb.13:
	v_mad_i64_i32 v[3:4], null, s0, v0, 0
	v_mov_b32_e32 v6, v2
	v_mov_b32_e32 v7, 0
	;; [unrolled: 1-line block ×3, first 2 shown]
	s_ashr_i32 s1, s0, 31
	s_lshl_b64 s[8:9], s[0:1], 10
	v_lshlrev_b64 v[3:4], 2, v[3:4]
	v_add_co_u32 v3, vcc_lo, s2, v3
	v_add_co_ci_u32_e64 v4, null, s3, v4, vcc_lo
	.p2align	6
.LBB220_14:                             ; =>This Inner Loop Header: Depth=1
	flat_load_dword v8, v[5:6]
	flat_load_dword v9, v[3:4]
	v_add_co_u32 v3, vcc_lo, v3, s8
	v_add_co_ci_u32_e64 v4, null, s9, v4, vcc_lo
	v_add_co_u32 v5, vcc_lo, 0x400, v5
	v_add_co_ci_u32_e64 v6, null, 0, v6, vcc_lo
	s_addk_i32 s5, 0x100
	s_cmp_ge_i32 s5, s4
	s_waitcnt vmcnt(0) lgkmcnt(0)
	v_fmac_f32_e32 v7, v8, v9
	s_cbranch_scc0 .LBB220_14
.LBB220_15:
	v_add_nc_u32_e32 v3, s4, v0
	s_mov_b32 s1, exec_lo
	v_cmpx_gt_i32_e64 s10, v3
	s_cbranch_execz .LBB220_17
; %bb.16:
	v_mad_i64_i32 v[3:4], null, s0, v3, 0
	s_ashr_i32 s5, s4, 31
	s_lshl_b64 s[4:5], s[4:5], 2
	v_add_co_u32 v1, vcc_lo, v1, s4
	v_lshlrev_b64 v[3:4], 2, v[3:4]
	v_add_co_ci_u32_e64 v2, null, s5, v2, vcc_lo
	v_add_co_u32 v3, vcc_lo, s2, v3
	v_add_co_ci_u32_e64 v4, null, s3, v4, vcc_lo
	flat_load_dword v1, v[1:2]
	flat_load_dword v2, v[3:4]
	s_waitcnt vmcnt(0) lgkmcnt(0)
	v_fmac_f32_e32 v7, v1, v2
.LBB220_17:
	s_or_b32 exec_lo, exec_lo, s1
	v_lshlrev_b32_e32 v1, 2, v0
	s_mov_b32 s0, exec_lo
	ds_write_b32 v1, v7
	s_waitcnt lgkmcnt(0)
	s_barrier
	buffer_gl0_inv
	v_cmpx_gt_u32_e32 0x80, v0
	s_cbranch_execz .LBB220_19
; %bb.18:
	ds_read2st64_b32 v[2:3], v1 offset1:2
	s_waitcnt lgkmcnt(0)
	v_add_f32_e32 v2, v3, v2
	ds_write_b32 v1, v2
.LBB220_19:
	s_or_b32 exec_lo, exec_lo, s0
	s_mov_b32 s0, exec_lo
	s_waitcnt lgkmcnt(0)
	s_barrier
	buffer_gl0_inv
	v_cmpx_gt_u32_e32 64, v0
	s_cbranch_execz .LBB220_21
; %bb.20:
	ds_read2st64_b32 v[2:3], v1 offset1:1
	s_waitcnt lgkmcnt(0)
	v_add_f32_e32 v2, v3, v2
	ds_write_b32 v1, v2
.LBB220_21:
	s_or_b32 exec_lo, exec_lo, s0
	s_mov_b32 s0, exec_lo
	s_waitcnt lgkmcnt(0)
	s_barrier
	buffer_gl0_inv
	v_cmpx_gt_u32_e32 32, v0
	s_cbranch_execz .LBB220_23
; %bb.22:
	ds_read2_b32 v[2:3], v1 offset1:32
	s_waitcnt lgkmcnt(0)
	v_add_f32_e32 v2, v3, v2
	ds_write_b32 v1, v2
.LBB220_23:
	s_or_b32 exec_lo, exec_lo, s0
	s_mov_b32 s0, exec_lo
	s_waitcnt lgkmcnt(0)
	s_barrier
	buffer_gl0_inv
	v_cmpx_gt_u32_e32 16, v0
	s_cbranch_execz .LBB220_25
; %bb.24:
	ds_read2_b32 v[2:3], v1 offset1:16
	s_waitcnt lgkmcnt(0)
	v_add_f32_e32 v2, v3, v2
	ds_write_b32 v1, v2
.LBB220_25:
	;; [unrolled: 13-line block ×5, first 2 shown]
	s_or_b32 exec_lo, exec_lo, s0
	v_cmp_eq_u32_e32 vcc_lo, 0, v0
	s_waitcnt lgkmcnt(0)
	s_barrier
	buffer_gl0_inv
	s_and_saveexec_b32 s0, vcc_lo
	s_cbranch_execz .LBB220_33
; %bb.32:
	v_mov_b32_e32 v2, 0
	ds_read_b64 v[0:1], v2
	s_waitcnt lgkmcnt(0)
	v_add_f32_e32 v0, v1, v0
	ds_write_b32 v2, v0
.LBB220_33:
	s_or_b32 exec_lo, exec_lo, s0
	s_waitcnt lgkmcnt(0)
	s_barrier
	buffer_gl0_inv
                                        ; implicit-def: $vgpr1
                                        ; implicit-def: $sgpr10_sgpr11
	s_and_saveexec_b32 s0, vcc_lo
	s_cbranch_execz .LBB220_37
; %bb.34:
	v_mov_b32_e32 v0, 0
	v_cmp_eq_f32_e64 s1, s7, 0
	s_mul_hi_i32 s11, s17, s6
	s_mul_i32 s10, s17, s6
	ds_read_b32 v0, v0
	s_and_b32 vcc_lo, exec_lo, s1
	s_waitcnt lgkmcnt(0)
	v_mul_f32_e32 v1, s16, v0
	s_cbranch_vccnz .LBB220_36
; %bb.35:
	s_lshl_b64 s[2:3], s[10:11], 2
	s_add_u32 s2, s12, s2
	s_addc_u32 s3, s13, s3
	v_mov_b32_e32 v2, s2
	v_mov_b32_e32 v3, s3
	flat_load_dword v0, v[2:3]
	s_waitcnt vmcnt(0) lgkmcnt(0)
	v_fmac_f32_e32 v1, s7, v0
.LBB220_36:
	s_or_b32 s14, s14, exec_lo
.LBB220_37:
	s_or_b32 exec_lo, exec_lo, s0
.LBB220_38:
	s_and_saveexec_b32 s0, s14
	s_cbranch_execz .LBB220_40
; %bb.39:
	s_lshl_b64 s[0:1], s[10:11], 2
	s_add_u32 s0, s12, s0
	s_addc_u32 s1, s13, s1
	v_mov_b32_e32 v3, s1
	v_mov_b32_e32 v2, s0
	flat_store_dword v[2:3], v1
.LBB220_40:
	s_endpgm
	.section	.rodata,"a",@progbits
	.p2align	6, 0x0
	.amdhsa_kernel _ZL20rocblas_gemvt_kernelILb0ELi256EPKfS1_KPfEviiT2_lPKT1_lilS7_lilS4_lPT3_lili
		.amdhsa_group_segment_fixed_size 1024
		.amdhsa_private_segment_fixed_size 0
		.amdhsa_kernarg_size 140
		.amdhsa_user_sgpr_count 6
		.amdhsa_user_sgpr_private_segment_buffer 1
		.amdhsa_user_sgpr_dispatch_ptr 0
		.amdhsa_user_sgpr_queue_ptr 0
		.amdhsa_user_sgpr_kernarg_segment_ptr 1
		.amdhsa_user_sgpr_dispatch_id 0
		.amdhsa_user_sgpr_flat_scratch_init 0
		.amdhsa_user_sgpr_private_segment_size 0
		.amdhsa_wavefront_size32 1
		.amdhsa_uses_dynamic_stack 0
		.amdhsa_system_sgpr_private_segment_wavefront_offset 0
		.amdhsa_system_sgpr_workgroup_id_x 1
		.amdhsa_system_sgpr_workgroup_id_y 0
		.amdhsa_system_sgpr_workgroup_id_z 1
		.amdhsa_system_sgpr_workgroup_info 0
		.amdhsa_system_vgpr_workitem_id 0
		.amdhsa_next_free_vgpr 10
		.amdhsa_next_free_sgpr 24
		.amdhsa_reserve_vcc 1
		.amdhsa_reserve_flat_scratch 0
		.amdhsa_float_round_mode_32 0
		.amdhsa_float_round_mode_16_64 0
		.amdhsa_float_denorm_mode_32 3
		.amdhsa_float_denorm_mode_16_64 3
		.amdhsa_dx10_clamp 1
		.amdhsa_ieee_mode 1
		.amdhsa_fp16_overflow 0
		.amdhsa_workgroup_processor_mode 1
		.amdhsa_memory_ordered 1
		.amdhsa_forward_progress 1
		.amdhsa_shared_vgpr_count 0
		.amdhsa_exception_fp_ieee_invalid_op 0
		.amdhsa_exception_fp_denorm_src 0
		.amdhsa_exception_fp_ieee_div_zero 0
		.amdhsa_exception_fp_ieee_overflow 0
		.amdhsa_exception_fp_ieee_underflow 0
		.amdhsa_exception_fp_ieee_inexact 0
		.amdhsa_exception_int_div_zero 0
	.end_amdhsa_kernel
	.section	.text._ZL20rocblas_gemvt_kernelILb0ELi256EPKfS1_KPfEviiT2_lPKT1_lilS7_lilS4_lPT3_lili,"axG",@progbits,_ZL20rocblas_gemvt_kernelILb0ELi256EPKfS1_KPfEviiT2_lPKT1_lilS7_lilS4_lPT3_lili,comdat
.Lfunc_end220:
	.size	_ZL20rocblas_gemvt_kernelILb0ELi256EPKfS1_KPfEviiT2_lPKT1_lilS7_lilS4_lPT3_lili, .Lfunc_end220-_ZL20rocblas_gemvt_kernelILb0ELi256EPKfS1_KPfEviiT2_lPKT1_lilS7_lilS4_lPT3_lili
                                        ; -- End function
	.set _ZL20rocblas_gemvt_kernelILb0ELi256EPKfS1_KPfEviiT2_lPKT1_lilS7_lilS4_lPT3_lili.num_vgpr, 10
	.set _ZL20rocblas_gemvt_kernelILb0ELi256EPKfS1_KPfEviiT2_lPKT1_lilS7_lilS4_lPT3_lili.num_agpr, 0
	.set _ZL20rocblas_gemvt_kernelILb0ELi256EPKfS1_KPfEviiT2_lPKT1_lilS7_lilS4_lPT3_lili.numbered_sgpr, 24
	.set _ZL20rocblas_gemvt_kernelILb0ELi256EPKfS1_KPfEviiT2_lPKT1_lilS7_lilS4_lPT3_lili.num_named_barrier, 0
	.set _ZL20rocblas_gemvt_kernelILb0ELi256EPKfS1_KPfEviiT2_lPKT1_lilS7_lilS4_lPT3_lili.private_seg_size, 0
	.set _ZL20rocblas_gemvt_kernelILb0ELi256EPKfS1_KPfEviiT2_lPKT1_lilS7_lilS4_lPT3_lili.uses_vcc, 1
	.set _ZL20rocblas_gemvt_kernelILb0ELi256EPKfS1_KPfEviiT2_lPKT1_lilS7_lilS4_lPT3_lili.uses_flat_scratch, 0
	.set _ZL20rocblas_gemvt_kernelILb0ELi256EPKfS1_KPfEviiT2_lPKT1_lilS7_lilS4_lPT3_lili.has_dyn_sized_stack, 0
	.set _ZL20rocblas_gemvt_kernelILb0ELi256EPKfS1_KPfEviiT2_lPKT1_lilS7_lilS4_lPT3_lili.has_recursion, 0
	.set _ZL20rocblas_gemvt_kernelILb0ELi256EPKfS1_KPfEviiT2_lPKT1_lilS7_lilS4_lPT3_lili.has_indirect_call, 0
	.section	.AMDGPU.csdata,"",@progbits
; Kernel info:
; codeLenInByte = 1436
; TotalNumSgprs: 26
; NumVgprs: 10
; ScratchSize: 0
; MemoryBound: 0
; FloatMode: 240
; IeeeMode: 1
; LDSByteSize: 1024 bytes/workgroup (compile time only)
; SGPRBlocks: 0
; VGPRBlocks: 1
; NumSGPRsForWavesPerEU: 26
; NumVGPRsForWavesPerEU: 10
; Occupancy: 16
; WaveLimiterHint : 1
; COMPUTE_PGM_RSRC2:SCRATCH_EN: 0
; COMPUTE_PGM_RSRC2:USER_SGPR: 6
; COMPUTE_PGM_RSRC2:TRAP_HANDLER: 0
; COMPUTE_PGM_RSRC2:TGID_X_EN: 1
; COMPUTE_PGM_RSRC2:TGID_Y_EN: 0
; COMPUTE_PGM_RSRC2:TGID_Z_EN: 1
; COMPUTE_PGM_RSRC2:TIDIG_COMP_CNT: 0
	.section	.text._ZL20rocblas_gemvt_kernelILb0ELi256EPKffKPfEviiT2_lPKT1_lilS7_lilS4_lPT3_lili,"axG",@progbits,_ZL20rocblas_gemvt_kernelILb0ELi256EPKffKPfEviiT2_lPKT1_lilS7_lilS4_lPT3_lili,comdat
	.globl	_ZL20rocblas_gemvt_kernelILb0ELi256EPKffKPfEviiT2_lPKT1_lilS7_lilS4_lPT3_lili ; -- Begin function _ZL20rocblas_gemvt_kernelILb0ELi256EPKffKPfEviiT2_lPKT1_lilS7_lilS4_lPT3_lili
	.p2align	8
	.type	_ZL20rocblas_gemvt_kernelILb0ELi256EPKffKPfEviiT2_lPKT1_lilS7_lilS4_lPT3_lili,@function
_ZL20rocblas_gemvt_kernelILb0ELi256EPKffKPfEviiT2_lPKT1_lilS7_lilS4_lPT3_lili: ; @_ZL20rocblas_gemvt_kernelILb0ELi256EPKffKPfEviiT2_lPKT1_lilS7_lilS4_lPT3_lili
; %bb.0:
	s_mov_b32 s10, s7
	s_clause 0x1
	s_load_dword s12, s[4:5], 0x8
	s_load_dword s7, s[4:5], 0x58
	s_mov_b32 s11, 0
	s_waitcnt lgkmcnt(0)
	v_cmp_eq_f32_e64 s16, s12, 0
	v_cmp_eq_f32_e64 s0, s7, 1.0
	s_and_b32 s0, s16, s0
	s_and_b32 vcc_lo, exec_lo, s0
	s_cbranch_vccnz .LBB221_42
; %bb.1:
	v_cmp_neq_f32_e64 s13, s12, 0
	s_and_b32 vcc_lo, exec_lo, s13
	s_cbranch_vccnz .LBB221_3
; %bb.2:
	s_mov_b32 s1, 0
	s_mov_b32 s0, s10
	;; [unrolled: 1-line block ×3, first 2 shown]
	s_mov_b64 s[2:3], 0
	s_andn2_b32 vcc_lo, exec_lo, s8
	s_mov_b64 s[8:9], 0
	s_cbranch_vccz .LBB221_4
	s_branch .LBB221_5
.LBB221_3:
	s_mov_b64 s[0:1], s[10:11]
	s_mov_b64 s[2:3], 0
	;; [unrolled: 1-line block ×3, first 2 shown]
.LBB221_4:
	s_load_dwordx4 s[20:23], s[4:5], 0x18
	s_lshl_b64 s[8:9], s[10:11], 3
	s_waitcnt lgkmcnt(0)
	s_add_u32 s8, s20, s8
	s_addc_u32 s9, s21, s9
	s_lshl_b64 s[10:11], s[22:23], 2
	s_load_dwordx2 s[8:9], s[8:9], 0x0
	s_waitcnt lgkmcnt(0)
	s_add_u32 s8, s8, s10
	s_addc_u32 s9, s9, s11
.LBB221_5:
	s_andn2_b32 vcc_lo, exec_lo, s13
	s_cbranch_vccnz .LBB221_7
; %bb.6:
	s_load_dwordx4 s[20:23], s[4:5], 0x38
	s_lshl_b64 s[2:3], s[0:1], 3
	s_waitcnt lgkmcnt(0)
	s_add_u32 s2, s20, s2
	s_addc_u32 s3, s21, s3
	s_lshl_b64 s[10:11], s[22:23], 2
	s_load_dwordx2 s[2:3], s[2:3], 0x0
	s_waitcnt lgkmcnt(0)
	s_add_u32 s2, s2, s10
	s_addc_u32 s3, s3, s11
.LBB221_7:
	s_clause 0x1
	s_load_dwordx4 s[20:23], s[4:5], 0x68
	s_load_dword s15, s[4:5], 0x78
	s_lshl_b64 s[0:1], s[0:1], 3
	s_waitcnt lgkmcnt(0)
	s_add_u32 s0, s20, s0
	s_addc_u32 s1, s21, s1
	s_lshl_b64 s[18:19], s[22:23], 2
	s_load_dwordx2 s[10:11], s[0:1], 0x0
	v_cmp_eq_u32_e64 s0, 0, v0
	s_waitcnt lgkmcnt(0)
	s_add_u32 s13, s10, s18
	s_addc_u32 s14, s11, s19
	s_andn2_b32 vcc_lo, exec_lo, s16
	s_cbranch_vccnz .LBB221_12
; %bb.8:
	s_mov_b32 s1, 0
	s_mov_b32 s16, 0
                                        ; implicit-def: $vgpr1
                                        ; implicit-def: $sgpr10_sgpr11
	s_and_saveexec_b32 s17, s0
	s_cbranch_execz .LBB221_13
; %bb.9:
	v_cmp_eq_f32_e64 s0, s7, 0
	v_mov_b32_e32 v1, 0
	s_mul_hi_i32 s11, s15, s6
	s_mul_i32 s10, s15, s6
	s_and_b32 vcc_lo, exec_lo, s0
	s_cbranch_vccnz .LBB221_11
; %bb.10:
	s_lshl_b64 s[18:19], s[10:11], 2
	s_add_u32 s18, s13, s18
	s_addc_u32 s19, s14, s19
	v_mov_b32_e32 v1, s18
	v_mov_b32_e32 v2, s19
	flat_load_dword v1, v[1:2]
	s_waitcnt vmcnt(0) lgkmcnt(0)
	v_mul_f32_e32 v1, s7, v1
.LBB221_11:
	s_mov_b32 s16, exec_lo
	s_or_b32 exec_lo, exec_lo, s17
	s_and_b32 vcc_lo, exec_lo, s1
	s_cbranch_vccnz .LBB221_14
	s_branch .LBB221_40
.LBB221_12:
	s_mov_b32 s16, 0
                                        ; implicit-def: $vgpr1
                                        ; implicit-def: $sgpr10_sgpr11
	s_cbranch_execnz .LBB221_14
	s_branch .LBB221_40
.LBB221_13:
	s_or_b32 exec_lo, exec_lo, s17
	s_and_b32 vcc_lo, exec_lo, s1
	s_cbranch_vccz .LBB221_40
.LBB221_14:
	s_clause 0x2
	s_load_dword s10, s[4:5], 0x0
	s_load_dword s1, s[4:5], 0x28
	;; [unrolled: 1-line block ×3, first 2 shown]
	v_mov_b32_e32 v7, 0
	s_waitcnt lgkmcnt(0)
	v_cmp_gt_i32_e32 vcc_lo, s10, v0
	s_mul_hi_i32 s5, s1, s6
	s_mul_i32 s4, s1, s6
	s_ashr_i32 s1, s10, 31
	s_lshl_b64 s[4:5], s[4:5], 2
	v_cndmask_b32_e32 v1, 0, v0, vcc_lo
	s_lshr_b32 s1, s1, 24
	s_add_i32 s1, s10, s1
	v_lshlrev_b32_e32 v1, 2, v1
	v_add_co_u32 v1, s8, s8, v1
	v_add_co_ci_u32_e64 v2, null, s9, 0, s8
	v_add_co_u32 v1, vcc_lo, v1, s4
	v_add_co_ci_u32_e64 v2, null, s5, v2, vcc_lo
	s_and_b32 s4, s1, 0xffffff00
	s_cmpk_lt_i32 s10, 0x100
	s_mov_b32 s5, 0
	s_cbranch_scc1 .LBB221_17
; %bb.15:
	v_mad_i64_i32 v[3:4], null, s0, v0, 0
	v_mov_b32_e32 v6, v2
	v_mov_b32_e32 v7, 0
	v_mov_b32_e32 v5, v1
	s_ashr_i32 s1, s0, 31
	s_lshl_b64 s[8:9], s[0:1], 10
	v_lshlrev_b64 v[3:4], 2, v[3:4]
	v_add_co_u32 v3, vcc_lo, s2, v3
	v_add_co_ci_u32_e64 v4, null, s3, v4, vcc_lo
	.p2align	6
.LBB221_16:                             ; =>This Inner Loop Header: Depth=1
	flat_load_dword v8, v[5:6]
	flat_load_dword v9, v[3:4]
	v_add_co_u32 v3, vcc_lo, v3, s8
	v_add_co_ci_u32_e64 v4, null, s9, v4, vcc_lo
	v_add_co_u32 v5, vcc_lo, 0x400, v5
	v_add_co_ci_u32_e64 v6, null, 0, v6, vcc_lo
	s_addk_i32 s5, 0x100
	s_cmp_ge_i32 s5, s4
	s_waitcnt vmcnt(0) lgkmcnt(0)
	v_fmac_f32_e32 v7, v8, v9
	s_cbranch_scc0 .LBB221_16
.LBB221_17:
	v_add_nc_u32_e32 v3, s4, v0
	s_mov_b32 s1, exec_lo
	v_cmpx_gt_i32_e64 s10, v3
	s_cbranch_execz .LBB221_19
; %bb.18:
	v_mad_i64_i32 v[3:4], null, s0, v3, 0
	s_ashr_i32 s5, s4, 31
	s_lshl_b64 s[4:5], s[4:5], 2
	v_add_co_u32 v1, vcc_lo, v1, s4
	v_lshlrev_b64 v[3:4], 2, v[3:4]
	v_add_co_ci_u32_e64 v2, null, s5, v2, vcc_lo
	v_add_co_u32 v3, vcc_lo, s2, v3
	v_add_co_ci_u32_e64 v4, null, s3, v4, vcc_lo
	flat_load_dword v1, v[1:2]
	flat_load_dword v2, v[3:4]
	s_waitcnt vmcnt(0) lgkmcnt(0)
	v_fmac_f32_e32 v7, v1, v2
.LBB221_19:
	s_or_b32 exec_lo, exec_lo, s1
	v_lshlrev_b32_e32 v1, 2, v0
	s_mov_b32 s0, exec_lo
	ds_write_b32 v1, v7
	s_waitcnt lgkmcnt(0)
	s_barrier
	buffer_gl0_inv
	v_cmpx_gt_u32_e32 0x80, v0
	s_cbranch_execz .LBB221_21
; %bb.20:
	ds_read2st64_b32 v[2:3], v1 offset1:2
	s_waitcnt lgkmcnt(0)
	v_add_f32_e32 v2, v3, v2
	ds_write_b32 v1, v2
.LBB221_21:
	s_or_b32 exec_lo, exec_lo, s0
	s_mov_b32 s0, exec_lo
	s_waitcnt lgkmcnt(0)
	s_barrier
	buffer_gl0_inv
	v_cmpx_gt_u32_e32 64, v0
	s_cbranch_execz .LBB221_23
; %bb.22:
	ds_read2st64_b32 v[2:3], v1 offset1:1
	s_waitcnt lgkmcnt(0)
	v_add_f32_e32 v2, v3, v2
	ds_write_b32 v1, v2
.LBB221_23:
	s_or_b32 exec_lo, exec_lo, s0
	s_mov_b32 s0, exec_lo
	s_waitcnt lgkmcnt(0)
	s_barrier
	buffer_gl0_inv
	v_cmpx_gt_u32_e32 32, v0
	s_cbranch_execz .LBB221_25
; %bb.24:
	ds_read2_b32 v[2:3], v1 offset1:32
	s_waitcnt lgkmcnt(0)
	v_add_f32_e32 v2, v3, v2
	ds_write_b32 v1, v2
.LBB221_25:
	s_or_b32 exec_lo, exec_lo, s0
	s_mov_b32 s0, exec_lo
	s_waitcnt lgkmcnt(0)
	s_barrier
	buffer_gl0_inv
	v_cmpx_gt_u32_e32 16, v0
	s_cbranch_execz .LBB221_27
; %bb.26:
	ds_read2_b32 v[2:3], v1 offset1:16
	s_waitcnt lgkmcnt(0)
	v_add_f32_e32 v2, v3, v2
	ds_write_b32 v1, v2
.LBB221_27:
	;; [unrolled: 13-line block ×5, first 2 shown]
	s_or_b32 exec_lo, exec_lo, s0
	v_cmp_eq_u32_e32 vcc_lo, 0, v0
	s_waitcnt lgkmcnt(0)
	s_barrier
	buffer_gl0_inv
	s_and_saveexec_b32 s0, vcc_lo
	s_cbranch_execz .LBB221_35
; %bb.34:
	v_mov_b32_e32 v2, 0
	ds_read_b64 v[0:1], v2
	s_waitcnt lgkmcnt(0)
	v_add_f32_e32 v0, v1, v0
	ds_write_b32 v2, v0
.LBB221_35:
	s_or_b32 exec_lo, exec_lo, s0
	s_waitcnt lgkmcnt(0)
	s_barrier
	buffer_gl0_inv
                                        ; implicit-def: $vgpr1
                                        ; implicit-def: $sgpr10_sgpr11
	s_and_saveexec_b32 s0, vcc_lo
	s_cbranch_execz .LBB221_39
; %bb.36:
	v_mov_b32_e32 v0, 0
	v_cmp_eq_f32_e64 s1, s7, 0
	s_mul_hi_i32 s11, s15, s6
	s_mul_i32 s10, s15, s6
	ds_read_b32 v0, v0
	s_and_b32 vcc_lo, exec_lo, s1
	s_waitcnt lgkmcnt(0)
	v_mul_f32_e32 v1, s12, v0
	s_cbranch_vccnz .LBB221_38
; %bb.37:
	s_lshl_b64 s[2:3], s[10:11], 2
	s_add_u32 s2, s13, s2
	s_addc_u32 s3, s14, s3
	v_mov_b32_e32 v2, s2
	v_mov_b32_e32 v3, s3
	flat_load_dword v0, v[2:3]
	s_waitcnt vmcnt(0) lgkmcnt(0)
	v_fmac_f32_e32 v1, s7, v0
.LBB221_38:
	s_or_b32 s16, s16, exec_lo
.LBB221_39:
	s_or_b32 exec_lo, exec_lo, s0
.LBB221_40:
	s_and_saveexec_b32 s0, s16
	s_cbranch_execz .LBB221_42
; %bb.41:
	s_lshl_b64 s[0:1], s[10:11], 2
	s_add_u32 s0, s13, s0
	s_addc_u32 s1, s14, s1
	v_mov_b32_e32 v3, s1
	v_mov_b32_e32 v2, s0
	flat_store_dword v[2:3], v1
.LBB221_42:
	s_endpgm
	.section	.rodata,"a",@progbits
	.p2align	6, 0x0
	.amdhsa_kernel _ZL20rocblas_gemvt_kernelILb0ELi256EPKffKPfEviiT2_lPKT1_lilS7_lilS4_lPT3_lili
		.amdhsa_group_segment_fixed_size 1024
		.amdhsa_private_segment_fixed_size 0
		.amdhsa_kernarg_size 140
		.amdhsa_user_sgpr_count 6
		.amdhsa_user_sgpr_private_segment_buffer 1
		.amdhsa_user_sgpr_dispatch_ptr 0
		.amdhsa_user_sgpr_queue_ptr 0
		.amdhsa_user_sgpr_kernarg_segment_ptr 1
		.amdhsa_user_sgpr_dispatch_id 0
		.amdhsa_user_sgpr_flat_scratch_init 0
		.amdhsa_user_sgpr_private_segment_size 0
		.amdhsa_wavefront_size32 1
		.amdhsa_uses_dynamic_stack 0
		.amdhsa_system_sgpr_private_segment_wavefront_offset 0
		.amdhsa_system_sgpr_workgroup_id_x 1
		.amdhsa_system_sgpr_workgroup_id_y 0
		.amdhsa_system_sgpr_workgroup_id_z 1
		.amdhsa_system_sgpr_workgroup_info 0
		.amdhsa_system_vgpr_workitem_id 0
		.amdhsa_next_free_vgpr 10
		.amdhsa_next_free_sgpr 24
		.amdhsa_reserve_vcc 1
		.amdhsa_reserve_flat_scratch 0
		.amdhsa_float_round_mode_32 0
		.amdhsa_float_round_mode_16_64 0
		.amdhsa_float_denorm_mode_32 3
		.amdhsa_float_denorm_mode_16_64 3
		.amdhsa_dx10_clamp 1
		.amdhsa_ieee_mode 1
		.amdhsa_fp16_overflow 0
		.amdhsa_workgroup_processor_mode 1
		.amdhsa_memory_ordered 1
		.amdhsa_forward_progress 1
		.amdhsa_shared_vgpr_count 0
		.amdhsa_exception_fp_ieee_invalid_op 0
		.amdhsa_exception_fp_denorm_src 0
		.amdhsa_exception_fp_ieee_div_zero 0
		.amdhsa_exception_fp_ieee_overflow 0
		.amdhsa_exception_fp_ieee_underflow 0
		.amdhsa_exception_fp_ieee_inexact 0
		.amdhsa_exception_int_div_zero 0
	.end_amdhsa_kernel
	.section	.text._ZL20rocblas_gemvt_kernelILb0ELi256EPKffKPfEviiT2_lPKT1_lilS7_lilS4_lPT3_lili,"axG",@progbits,_ZL20rocblas_gemvt_kernelILb0ELi256EPKffKPfEviiT2_lPKT1_lilS7_lilS4_lPT3_lili,comdat
.Lfunc_end221:
	.size	_ZL20rocblas_gemvt_kernelILb0ELi256EPKffKPfEviiT2_lPKT1_lilS7_lilS4_lPT3_lili, .Lfunc_end221-_ZL20rocblas_gemvt_kernelILb0ELi256EPKffKPfEviiT2_lPKT1_lilS7_lilS4_lPT3_lili
                                        ; -- End function
	.set _ZL20rocblas_gemvt_kernelILb0ELi256EPKffKPfEviiT2_lPKT1_lilS7_lilS4_lPT3_lili.num_vgpr, 10
	.set _ZL20rocblas_gemvt_kernelILb0ELi256EPKffKPfEviiT2_lPKT1_lilS7_lilS4_lPT3_lili.num_agpr, 0
	.set _ZL20rocblas_gemvt_kernelILb0ELi256EPKffKPfEviiT2_lPKT1_lilS7_lilS4_lPT3_lili.numbered_sgpr, 24
	.set _ZL20rocblas_gemvt_kernelILb0ELi256EPKffKPfEviiT2_lPKT1_lilS7_lilS4_lPT3_lili.num_named_barrier, 0
	.set _ZL20rocblas_gemvt_kernelILb0ELi256EPKffKPfEviiT2_lPKT1_lilS7_lilS4_lPT3_lili.private_seg_size, 0
	.set _ZL20rocblas_gemvt_kernelILb0ELi256EPKffKPfEviiT2_lPKT1_lilS7_lilS4_lPT3_lili.uses_vcc, 1
	.set _ZL20rocblas_gemvt_kernelILb0ELi256EPKffKPfEviiT2_lPKT1_lilS7_lilS4_lPT3_lili.uses_flat_scratch, 0
	.set _ZL20rocblas_gemvt_kernelILb0ELi256EPKffKPfEviiT2_lPKT1_lilS7_lilS4_lPT3_lili.has_dyn_sized_stack, 0
	.set _ZL20rocblas_gemvt_kernelILb0ELi256EPKffKPfEviiT2_lPKT1_lilS7_lilS4_lPT3_lili.has_recursion, 0
	.set _ZL20rocblas_gemvt_kernelILb0ELi256EPKffKPfEviiT2_lPKT1_lilS7_lilS4_lPT3_lili.has_indirect_call, 0
	.section	.AMDGPU.csdata,"",@progbits
; Kernel info:
; codeLenInByte = 1436
; TotalNumSgprs: 26
; NumVgprs: 10
; ScratchSize: 0
; MemoryBound: 0
; FloatMode: 240
; IeeeMode: 1
; LDSByteSize: 1024 bytes/workgroup (compile time only)
; SGPRBlocks: 0
; VGPRBlocks: 1
; NumSGPRsForWavesPerEU: 26
; NumVGPRsForWavesPerEU: 10
; Occupancy: 16
; WaveLimiterHint : 1
; COMPUTE_PGM_RSRC2:SCRATCH_EN: 0
; COMPUTE_PGM_RSRC2:USER_SGPR: 6
; COMPUTE_PGM_RSRC2:TRAP_HANDLER: 0
; COMPUTE_PGM_RSRC2:TGID_X_EN: 1
; COMPUTE_PGM_RSRC2:TGID_Y_EN: 0
; COMPUTE_PGM_RSRC2:TGID_Z_EN: 1
; COMPUTE_PGM_RSRC2:TIDIG_COMP_CNT: 0
	.section	.text._ZL32rocblas_gemvt_warp_reduce_kernelILb0ELi1024EiPKfS1_KPfEviiT3_lPKT2_lT1_lS7_lS8_lS4_lPT4_lS8_li,"axG",@progbits,_ZL32rocblas_gemvt_warp_reduce_kernelILb0ELi1024EiPKfS1_KPfEviiT3_lPKT2_lT1_lS7_lS8_lS4_lPT4_lS8_li,comdat
	.globl	_ZL32rocblas_gemvt_warp_reduce_kernelILb0ELi1024EiPKfS1_KPfEviiT3_lPKT2_lT1_lS7_lS8_lS4_lPT4_lS8_li ; -- Begin function _ZL32rocblas_gemvt_warp_reduce_kernelILb0ELi1024EiPKfS1_KPfEviiT3_lPKT2_lT1_lS7_lS8_lS4_lPT4_lS8_li
	.p2align	8
	.type	_ZL32rocblas_gemvt_warp_reduce_kernelILb0ELi1024EiPKfS1_KPfEviiT3_lPKT2_lT1_lS7_lS8_lS4_lPT4_lS8_li,@function
_ZL32rocblas_gemvt_warp_reduce_kernelILb0ELi1024EiPKfS1_KPfEviiT3_lPKT2_lT1_lS7_lS8_lS4_lPT4_lS8_li: ; @_ZL32rocblas_gemvt_warp_reduce_kernelILb0ELi1024EiPKfS1_KPfEviiT3_lPKT2_lT1_lS7_lS8_lS4_lPT4_lS8_li
; %bb.0:
	s_clause 0x1
	s_load_dwordx8 s[16:23], s[4:5], 0x8
	s_load_dwordx8 s[8:15], s[4:5], 0x58
	s_mov_b32 s0, s7
	s_waitcnt lgkmcnt(0)
	s_mul_i32 s1, s19, s7
	s_mul_hi_u32 s3, s18, s7
	s_mul_i32 s2, s18, s7
	s_add_i32 s3, s3, s1
	s_mul_i32 s1, s11, s7
	s_lshl_b64 s[2:3], s[2:3], 2
	s_mul_hi_u32 s7, s10, s7
	s_add_u32 s2, s16, s2
	s_addc_u32 s3, s17, s3
	s_add_i32 s11, s7, s1
	s_mul_i32 s10, s10, s0
	s_lshl_b64 s[10:11], s[10:11], 2
	s_add_u32 s8, s8, s10
	s_addc_u32 s9, s9, s11
	s_load_dword s16, s[2:3], 0x0
	s_load_dword s7, s[8:9], 0x0
	s_waitcnt lgkmcnt(0)
	v_cmp_eq_f32_e64 s10, s16, 0
	v_cmp_eq_f32_e64 s1, s7, 1.0
	s_and_b32 s1, s10, s1
	s_and_b32 vcc_lo, exec_lo, s1
	s_mov_b32 s1, 0
	s_cbranch_vccnz .LBB222_33
; %bb.1:
	v_cmp_neq_f32_e64 s11, s16, 0
	s_mov_b64 s[2:3], 0
	s_and_b32 vcc_lo, exec_lo, s10
	s_mov_b64 s[8:9], 0
	s_cbranch_vccnz .LBB222_3
; %bb.2:
	s_lshl_b64 s[8:9], s[0:1], 3
	s_add_u32 s8, s20, s8
	s_addc_u32 s9, s21, s9
	s_lshl_b64 s[18:19], s[22:23], 2
	s_load_dwordx2 s[8:9], s[8:9], 0x0
	s_waitcnt lgkmcnt(0)
	s_add_u32 s8, s8, s18
	s_addc_u32 s9, s9, s19
.LBB222_3:
	s_andn2_b32 vcc_lo, exec_lo, s11
	s_cbranch_vccnz .LBB222_5
; %bb.4:
	s_load_dwordx4 s[20:23], s[4:5], 0x38
	s_lshl_b64 s[2:3], s[0:1], 3
	s_waitcnt lgkmcnt(0)
	s_add_u32 s2, s20, s2
	s_addc_u32 s3, s21, s3
	s_lshl_b64 s[18:19], s[22:23], 2
	s_load_dwordx2 s[2:3], s[2:3], 0x0
	s_waitcnt lgkmcnt(0)
	s_add_u32 s2, s2, s18
	s_addc_u32 s3, s3, s19
.LBB222_5:
	s_lshl_b64 s[0:1], s[0:1], 3
	s_add_u32 s0, s12, s0
	s_addc_u32 s1, s13, s1
	s_lshl_b64 s[14:15], s[14:15], 2
	s_load_dwordx2 s[12:13], s[0:1], 0x0
	s_load_dword s17, s[4:5], 0x78
	v_cmp_eq_u32_e64 s0, 0, v0
	s_waitcnt lgkmcnt(0)
	s_add_u32 s1, s12, s14
	s_addc_u32 s12, s13, s15
	s_andn2_b32 vcc_lo, exec_lo, s10
	s_cbranch_vccnz .LBB222_10
; %bb.6:
	s_mov_b32 s14, 0
	s_mov_b32 s13, 0
                                        ; implicit-def: $vgpr1
                                        ; implicit-def: $sgpr10_sgpr11
	s_and_saveexec_b32 s15, s0
	s_cbranch_execz .LBB222_11
; %bb.7:
	v_cmp_eq_f32_e64 s0, s7, 0
	v_mov_b32_e32 v1, 0
	s_mul_i32 s10, s17, s6
	s_ashr_i32 s11, s10, 31
	s_and_b32 vcc_lo, exec_lo, s0
	s_cbranch_vccnz .LBB222_9
; %bb.8:
	s_lshl_b64 s[18:19], s[10:11], 2
	s_add_u32 s18, s1, s18
	s_addc_u32 s19, s12, s19
	v_mov_b32_e32 v1, s18
	v_mov_b32_e32 v2, s19
	flat_load_dword v1, v[1:2]
	s_waitcnt vmcnt(0) lgkmcnt(0)
	v_mul_f32_e32 v1, s7, v1
.LBB222_9:
	s_mov_b32 s13, exec_lo
	s_or_b32 exec_lo, exec_lo, s15
	s_and_b32 vcc_lo, exec_lo, s14
	s_cbranch_vccnz .LBB222_12
	s_branch .LBB222_31
.LBB222_10:
	s_mov_b32 s13, 0
                                        ; implicit-def: $vgpr1
                                        ; implicit-def: $sgpr10_sgpr11
	s_cbranch_execnz .LBB222_12
	s_branch .LBB222_31
.LBB222_11:
	s_or_b32 exec_lo, exec_lo, s15
	s_and_b32 vcc_lo, exec_lo, s14
	s_cbranch_vccz .LBB222_31
.LBB222_12:
	s_clause 0x2
	s_load_dword s10, s[4:5], 0x0
	s_load_dword s0, s[4:5], 0x28
	;; [unrolled: 1-line block ×3, first 2 shown]
	v_mov_b32_e32 v7, 0
	s_waitcnt lgkmcnt(0)
	v_cmp_gt_i32_e32 vcc_lo, s10, v0
	s_mul_i32 s14, s0, s6
	s_ashr_i32 s0, s10, 31
	s_ashr_i32 s15, s14, 31
	s_lshr_b32 s0, s0, 22
	v_cndmask_b32_e32 v1, 0, v0, vcc_lo
	s_lshl_b64 s[14:15], s[14:15], 2
	s_add_i32 s0, s10, s0
	v_lshlrev_b32_e32 v1, 2, v1
	v_add_co_u32 v1, s4, s8, v1
	v_add_co_ci_u32_e64 v2, null, s9, 0, s4
	s_and_b32 s4, s0, 0xfffffc00
	v_add_co_u32 v1, vcc_lo, v1, s14
	v_add_co_ci_u32_e64 v2, null, s15, v2, vcc_lo
	s_mov_b32 s9, 0
	s_mov_b32 s8, exec_lo
	v_cmpx_gt_i32_e64 s4, v0
	s_cbranch_execz .LBB222_16
; %bb.13:
	v_mul_lo_u32 v3, v0, s5
	v_mov_b32_e32 v6, v2
	v_mov_b32_e32 v7, 0
	;; [unrolled: 1-line block ×4, first 2 shown]
	s_lshl_b32 s11, s5, 10
	.p2align	6
.LBB222_14:                             ; =>This Inner Loop Header: Depth=1
	v_ashrrev_i32_e32 v4, 31, v3
	v_add_nc_u32_e32 v8, 0x400, v8
	v_lshlrev_b64 v[9:10], 2, v[3:4]
	v_cmp_le_i32_e64 s0, s4, v8
	v_add_nc_u32_e32 v3, s11, v3
	s_or_b32 s9, s0, s9
	v_add_co_u32 v9, vcc_lo, s2, v9
	v_add_co_ci_u32_e64 v10, null, s3, v10, vcc_lo
	flat_load_dword v4, v[5:6]
	flat_load_dword v9, v[9:10]
	v_add_co_u32 v5, vcc_lo, 0x1000, v5
	v_add_co_ci_u32_e64 v6, null, 0, v6, vcc_lo
	s_waitcnt vmcnt(0) lgkmcnt(0)
	v_fmac_f32_e32 v7, v4, v9
	s_andn2_b32 exec_lo, exec_lo, s9
	s_cbranch_execnz .LBB222_14
; %bb.15:
	s_or_b32 exec_lo, exec_lo, s9
.LBB222_16:
	s_or_b32 exec_lo, exec_lo, s8
	v_or_b32_e32 v3, s4, v0
	s_mov_b32 s0, exec_lo
	v_cmpx_gt_i32_e64 s10, v3
	s_cbranch_execz .LBB222_18
; %bb.17:
	v_mul_lo_u32 v3, s5, v3
	s_ashr_i32 s5, s4, 31
	s_lshl_b64 s[4:5], s[4:5], 2
	v_add_co_u32 v1, vcc_lo, v1, s4
	v_add_co_ci_u32_e64 v2, null, s5, v2, vcc_lo
	v_ashrrev_i32_e32 v4, 31, v3
	v_lshlrev_b64 v[3:4], 2, v[3:4]
	v_add_co_u32 v3, vcc_lo, s2, v3
	v_add_co_ci_u32_e64 v4, null, s3, v4, vcc_lo
	flat_load_dword v1, v[1:2]
	flat_load_dword v2, v[3:4]
	s_waitcnt vmcnt(0) lgkmcnt(0)
	v_fmac_f32_e32 v7, v1, v2
.LBB222_18:
	s_or_b32 exec_lo, exec_lo, s0
	v_and_b32_e32 v8, 31, v0
	v_cmp_gt_u32_e32 vcc_lo, 32, v0
	v_lshlrev_b32_e32 v1, 2, v8
	s_and_saveexec_b32 s0, vcc_lo
; %bb.19:
	v_mov_b32_e32 v2, 0
	ds_write_b32 v1, v2
; %bb.20:
	s_or_b32 exec_lo, exec_lo, s0
	v_mbcnt_lo_u32_b32 v6, -1, 0
	s_mov_b32 s2, exec_lo
	s_waitcnt lgkmcnt(0)
	s_barrier
	buffer_gl0_inv
	v_lshl_or_b32 v2, v6, 2, 64
	v_cmp_gt_u32_e64 s0, 24, v6
	ds_bpermute_b32 v4, v2, v7
	v_cndmask_b32_e64 v3, 0, 8, s0
	v_cmp_gt_u32_e64 s0, 28, v6
	v_add_lshl_u32 v3, v3, v6, 2
	s_waitcnt lgkmcnt(0)
	v_add_f32_e32 v5, v7, v4
	v_cndmask_b32_e64 v4, 0, 4, s0
	v_cmp_gt_u32_e64 s0, 30, v6
	ds_bpermute_b32 v7, v3, v5
	v_add_lshl_u32 v4, v4, v6, 2
	s_waitcnt lgkmcnt(0)
	v_add_f32_e32 v7, v5, v7
	v_cndmask_b32_e64 v5, 0, 2, s0
	v_cmp_ne_u32_e64 s0, 31, v6
	ds_bpermute_b32 v9, v4, v7
	v_add_lshl_u32 v5, v5, v6, 2
	v_add_co_ci_u32_e64 v6, null, 0, v6, s0
	v_lshlrev_b32_e32 v6, 2, v6
	s_waitcnt lgkmcnt(0)
	v_add_f32_e32 v7, v7, v9
	ds_bpermute_b32 v9, v5, v7
	s_waitcnt lgkmcnt(0)
	v_add_f32_e32 v7, v7, v9
	ds_bpermute_b32 v9, v6, v7
	v_cmpx_eq_u32_e32 0, v8
	s_cbranch_execz .LBB222_22
; %bb.21:
	v_lshrrev_b32_e32 v8, 3, v0
	s_waitcnt lgkmcnt(0)
	v_add_f32_e32 v7, v7, v9
	v_and_b32_e32 v8, 0x7c, v8
	ds_write_b32 v8, v7
.LBB222_22:
	s_or_b32 exec_lo, exec_lo, s2
	v_mov_b32_e32 v7, 0
	s_waitcnt lgkmcnt(0)
	s_barrier
	buffer_gl0_inv
	s_and_saveexec_b32 s0, vcc_lo
; %bb.23:
	ds_read_b32 v7, v1
; %bb.24:
	s_or_b32 exec_lo, exec_lo, s0
	s_and_saveexec_b32 s0, vcc_lo
	s_cbranch_execz .LBB222_26
; %bb.25:
	s_waitcnt lgkmcnt(0)
	ds_bpermute_b32 v1, v2, v7
	s_waitcnt lgkmcnt(0)
	v_add_f32_e32 v1, v7, v1
	ds_bpermute_b32 v2, v3, v1
	s_waitcnt lgkmcnt(0)
	v_add_f32_e32 v1, v1, v2
	;; [unrolled: 3-line block ×5, first 2 shown]
.LBB222_26:
	s_or_b32 exec_lo, exec_lo, s0
	s_mov_b32 s0, exec_lo
                                        ; implicit-def: $vgpr1
                                        ; implicit-def: $sgpr10_sgpr11
	v_cmpx_eq_u32_e32 0, v0
	s_cbranch_execz .LBB222_30
; %bb.27:
	v_cmp_eq_f32_e64 s2, s7, 0
	s_waitcnt lgkmcnt(0)
	v_mul_f32_e32 v1, s16, v7
	s_mul_i32 s10, s17, s6
	s_ashr_i32 s11, s10, 31
	s_and_b32 vcc_lo, exec_lo, s2
	s_cbranch_vccnz .LBB222_29
; %bb.28:
	s_lshl_b64 s[2:3], s[10:11], 2
	s_add_u32 s2, s1, s2
	s_addc_u32 s3, s12, s3
	v_mov_b32_e32 v2, s2
	v_mov_b32_e32 v3, s3
	flat_load_dword v0, v[2:3]
	s_waitcnt vmcnt(0) lgkmcnt(0)
	v_fmac_f32_e32 v1, s7, v0
.LBB222_29:
	s_or_b32 s13, s13, exec_lo
.LBB222_30:
	s_or_b32 exec_lo, exec_lo, s0
.LBB222_31:
	s_and_saveexec_b32 s0, s13
	s_cbranch_execz .LBB222_33
; %bb.32:
	s_lshl_b64 s[2:3], s[10:11], 2
	s_add_u32 s0, s1, s2
	s_addc_u32 s1, s12, s3
	v_mov_b32_e32 v3, s1
	v_mov_b32_e32 v2, s0
	flat_store_dword v[2:3], v1
.LBB222_33:
	s_endpgm
	.section	.rodata,"a",@progbits
	.p2align	6, 0x0
	.amdhsa_kernel _ZL32rocblas_gemvt_warp_reduce_kernelILb0ELi1024EiPKfS1_KPfEviiT3_lPKT2_lT1_lS7_lS8_lS4_lPT4_lS8_li
		.amdhsa_group_segment_fixed_size 128
		.amdhsa_private_segment_fixed_size 0
		.amdhsa_kernarg_size 140
		.amdhsa_user_sgpr_count 6
		.amdhsa_user_sgpr_private_segment_buffer 1
		.amdhsa_user_sgpr_dispatch_ptr 0
		.amdhsa_user_sgpr_queue_ptr 0
		.amdhsa_user_sgpr_kernarg_segment_ptr 1
		.amdhsa_user_sgpr_dispatch_id 0
		.amdhsa_user_sgpr_flat_scratch_init 0
		.amdhsa_user_sgpr_private_segment_size 0
		.amdhsa_wavefront_size32 1
		.amdhsa_uses_dynamic_stack 0
		.amdhsa_system_sgpr_private_segment_wavefront_offset 0
		.amdhsa_system_sgpr_workgroup_id_x 1
		.amdhsa_system_sgpr_workgroup_id_y 0
		.amdhsa_system_sgpr_workgroup_id_z 1
		.amdhsa_system_sgpr_workgroup_info 0
		.amdhsa_system_vgpr_workitem_id 0
		.amdhsa_next_free_vgpr 11
		.amdhsa_next_free_sgpr 24
		.amdhsa_reserve_vcc 1
		.amdhsa_reserve_flat_scratch 0
		.amdhsa_float_round_mode_32 0
		.amdhsa_float_round_mode_16_64 0
		.amdhsa_float_denorm_mode_32 3
		.amdhsa_float_denorm_mode_16_64 3
		.amdhsa_dx10_clamp 1
		.amdhsa_ieee_mode 1
		.amdhsa_fp16_overflow 0
		.amdhsa_workgroup_processor_mode 1
		.amdhsa_memory_ordered 1
		.amdhsa_forward_progress 1
		.amdhsa_shared_vgpr_count 0
		.amdhsa_exception_fp_ieee_invalid_op 0
		.amdhsa_exception_fp_denorm_src 0
		.amdhsa_exception_fp_ieee_div_zero 0
		.amdhsa_exception_fp_ieee_overflow 0
		.amdhsa_exception_fp_ieee_underflow 0
		.amdhsa_exception_fp_ieee_inexact 0
		.amdhsa_exception_int_div_zero 0
	.end_amdhsa_kernel
	.section	.text._ZL32rocblas_gemvt_warp_reduce_kernelILb0ELi1024EiPKfS1_KPfEviiT3_lPKT2_lT1_lS7_lS8_lS4_lPT4_lS8_li,"axG",@progbits,_ZL32rocblas_gemvt_warp_reduce_kernelILb0ELi1024EiPKfS1_KPfEviiT3_lPKT2_lT1_lS7_lS8_lS4_lPT4_lS8_li,comdat
.Lfunc_end222:
	.size	_ZL32rocblas_gemvt_warp_reduce_kernelILb0ELi1024EiPKfS1_KPfEviiT3_lPKT2_lT1_lS7_lS8_lS4_lPT4_lS8_li, .Lfunc_end222-_ZL32rocblas_gemvt_warp_reduce_kernelILb0ELi1024EiPKfS1_KPfEviiT3_lPKT2_lT1_lS7_lS8_lS4_lPT4_lS8_li
                                        ; -- End function
	.set _ZL32rocblas_gemvt_warp_reduce_kernelILb0ELi1024EiPKfS1_KPfEviiT3_lPKT2_lT1_lS7_lS8_lS4_lPT4_lS8_li.num_vgpr, 11
	.set _ZL32rocblas_gemvt_warp_reduce_kernelILb0ELi1024EiPKfS1_KPfEviiT3_lPKT2_lT1_lS7_lS8_lS4_lPT4_lS8_li.num_agpr, 0
	.set _ZL32rocblas_gemvt_warp_reduce_kernelILb0ELi1024EiPKfS1_KPfEviiT3_lPKT2_lT1_lS7_lS8_lS4_lPT4_lS8_li.numbered_sgpr, 24
	.set _ZL32rocblas_gemvt_warp_reduce_kernelILb0ELi1024EiPKfS1_KPfEviiT3_lPKT2_lT1_lS7_lS8_lS4_lPT4_lS8_li.num_named_barrier, 0
	.set _ZL32rocblas_gemvt_warp_reduce_kernelILb0ELi1024EiPKfS1_KPfEviiT3_lPKT2_lT1_lS7_lS8_lS4_lPT4_lS8_li.private_seg_size, 0
	.set _ZL32rocblas_gemvt_warp_reduce_kernelILb0ELi1024EiPKfS1_KPfEviiT3_lPKT2_lT1_lS7_lS8_lS4_lPT4_lS8_li.uses_vcc, 1
	.set _ZL32rocblas_gemvt_warp_reduce_kernelILb0ELi1024EiPKfS1_KPfEviiT3_lPKT2_lT1_lS7_lS8_lS4_lPT4_lS8_li.uses_flat_scratch, 0
	.set _ZL32rocblas_gemvt_warp_reduce_kernelILb0ELi1024EiPKfS1_KPfEviiT3_lPKT2_lT1_lS7_lS8_lS4_lPT4_lS8_li.has_dyn_sized_stack, 0
	.set _ZL32rocblas_gemvt_warp_reduce_kernelILb0ELi1024EiPKfS1_KPfEviiT3_lPKT2_lT1_lS7_lS8_lS4_lPT4_lS8_li.has_recursion, 0
	.set _ZL32rocblas_gemvt_warp_reduce_kernelILb0ELi1024EiPKfS1_KPfEviiT3_lPKT2_lT1_lS7_lS8_lS4_lPT4_lS8_li.has_indirect_call, 0
	.section	.AMDGPU.csdata,"",@progbits
; Kernel info:
; codeLenInByte = 1392
; TotalNumSgprs: 26
; NumVgprs: 11
; ScratchSize: 0
; MemoryBound: 0
; FloatMode: 240
; IeeeMode: 1
; LDSByteSize: 128 bytes/workgroup (compile time only)
; SGPRBlocks: 0
; VGPRBlocks: 1
; NumSGPRsForWavesPerEU: 26
; NumVGPRsForWavesPerEU: 11
; Occupancy: 16
; WaveLimiterHint : 1
; COMPUTE_PGM_RSRC2:SCRATCH_EN: 0
; COMPUTE_PGM_RSRC2:USER_SGPR: 6
; COMPUTE_PGM_RSRC2:TRAP_HANDLER: 0
; COMPUTE_PGM_RSRC2:TGID_X_EN: 1
; COMPUTE_PGM_RSRC2:TGID_Y_EN: 0
; COMPUTE_PGM_RSRC2:TGID_Z_EN: 1
; COMPUTE_PGM_RSRC2:TIDIG_COMP_CNT: 0
	.section	.text._ZL32rocblas_gemvt_warp_reduce_kernelILb0ELi1024ElPKfS1_KPfEviiT3_lPKT2_lT1_lS7_lS8_lS4_lPT4_lS8_li,"axG",@progbits,_ZL32rocblas_gemvt_warp_reduce_kernelILb0ELi1024ElPKfS1_KPfEviiT3_lPKT2_lT1_lS7_lS8_lS4_lPT4_lS8_li,comdat
	.globl	_ZL32rocblas_gemvt_warp_reduce_kernelILb0ELi1024ElPKfS1_KPfEviiT3_lPKT2_lT1_lS7_lS8_lS4_lPT4_lS8_li ; -- Begin function _ZL32rocblas_gemvt_warp_reduce_kernelILb0ELi1024ElPKfS1_KPfEviiT3_lPKT2_lT1_lS7_lS8_lS4_lPT4_lS8_li
	.p2align	8
	.type	_ZL32rocblas_gemvt_warp_reduce_kernelILb0ELi1024ElPKfS1_KPfEviiT3_lPKT2_lT1_lS7_lS8_lS4_lPT4_lS8_li,@function
_ZL32rocblas_gemvt_warp_reduce_kernelILb0ELi1024ElPKfS1_KPfEviiT3_lPKT2_lT1_lS7_lS8_lS4_lPT4_lS8_li: ; @_ZL32rocblas_gemvt_warp_reduce_kernelILb0ELi1024ElPKfS1_KPfEviiT3_lPKT2_lT1_lS7_lS8_lS4_lPT4_lS8_li
; %bb.0:
	s_clause 0x1
	s_load_dwordx8 s[16:23], s[4:5], 0x8
	s_load_dwordx8 s[8:15], s[4:5], 0x58
	s_mov_b32 s26, s7
	s_mov_b32 s27, 0
	s_waitcnt lgkmcnt(0)
	s_mul_i32 s1, s19, s7
	s_mul_hi_u32 s2, s18, s7
	s_mul_i32 s0, s18, s7
	s_add_i32 s1, s2, s1
	s_mul_i32 s2, s11, s7
	s_lshl_b64 s[0:1], s[0:1], 2
	s_mul_hi_u32 s3, s10, s7
	s_add_u32 s0, s16, s0
	s_addc_u32 s1, s17, s1
	s_add_i32 s3, s3, s2
	s_mul_i32 s2, s10, s7
	s_lshl_b64 s[2:3], s[2:3], 2
	s_add_u32 s2, s8, s2
	s_addc_u32 s3, s9, s3
	s_load_dword s28, s[0:1], 0x0
	s_load_dword s7, s[2:3], 0x0
	s_waitcnt lgkmcnt(0)
	v_cmp_eq_f32_e64 s29, s28, 0
	v_cmp_eq_f32_e64 s0, s7, 1.0
	s_and_b32 s0, s29, s0
	s_and_b32 vcc_lo, exec_lo, s0
	s_cbranch_vccnz .LBB223_33
; %bb.1:
	s_clause 0x1
	s_load_dwordx2 s[18:19], s[4:5], 0x28
	s_load_dwordx2 s[8:9], s[4:5], 0x78
	v_cmp_neq_f32_e64 s30, s28, 0
	s_mov_b64 s[10:11], 0
	s_and_b32 vcc_lo, exec_lo, s29
	s_mov_b64 s[24:25], 0
	s_cbranch_vccnz .LBB223_3
; %bb.2:
	s_lshl_b64 s[0:1], s[26:27], 3
	s_add_u32 s0, s20, s0
	s_addc_u32 s1, s21, s1
	s_lshl_b64 s[2:3], s[22:23], 2
	s_load_dwordx2 s[0:1], s[0:1], 0x0
	s_waitcnt lgkmcnt(0)
	s_add_u32 s24, s0, s2
	s_addc_u32 s25, s1, s3
.LBB223_3:
	s_clause 0x1
	s_load_dwordx4 s[0:3], s[4:5], 0x38
	s_load_dwordx2 s[16:17], s[4:5], 0x48
	s_andn2_b32 vcc_lo, exec_lo, s30
	s_cbranch_vccnz .LBB223_5
; %bb.4:
	s_lshl_b64 s[10:11], s[26:27], 3
	s_waitcnt lgkmcnt(0)
	s_add_u32 s0, s0, s10
	s_addc_u32 s1, s1, s11
	s_lshl_b64 s[2:3], s[2:3], 2
	s_load_dwordx2 s[0:1], s[0:1], 0x0
	s_waitcnt lgkmcnt(0)
	s_add_u32 s10, s0, s2
	s_addc_u32 s11, s1, s3
.LBB223_5:
	s_waitcnt lgkmcnt(0)
	s_lshl_b64 s[0:1], s[26:27], 3
	s_add_u32 s0, s12, s0
	s_addc_u32 s1, s13, s1
	s_lshl_b64 s[12:13], s[14:15], 2
	s_load_dwordx2 s[2:3], s[0:1], 0x0
	v_cmp_eq_u32_e64 s0, 0, v0
	s_waitcnt lgkmcnt(0)
	s_add_u32 s1, s2, s12
	s_addc_u32 s12, s3, s13
	s_andn2_b32 vcc_lo, exec_lo, s29
	s_cbranch_vccnz .LBB223_10
; %bb.6:
	s_mov_b32 s14, 0
	s_mov_b32 s13, 0
                                        ; implicit-def: $vgpr1
                                        ; implicit-def: $sgpr2_sgpr3
	s_and_saveexec_b32 s15, s0
	s_cbranch_execz .LBB223_11
; %bb.7:
	s_ashr_i32 s0, s6, 31
	v_cmp_eq_f32_e64 s13, s7, 0
	s_mul_hi_u32 s2, s8, s6
	s_mul_i32 s0, s8, s0
	v_mov_b32_e32 v1, 0
	s_add_i32 s0, s2, s0
	s_mul_i32 s2, s9, s6
	s_and_b32 vcc_lo, exec_lo, s13
	s_add_i32 s3, s0, s2
	s_mul_i32 s2, s8, s6
	s_cbranch_vccnz .LBB223_9
; %bb.8:
	s_lshl_b64 s[20:21], s[2:3], 2
	s_add_u32 s20, s1, s20
	s_addc_u32 s21, s12, s21
	v_mov_b32_e32 v1, s20
	v_mov_b32_e32 v2, s21
	flat_load_dword v1, v[1:2]
	s_waitcnt vmcnt(0) lgkmcnt(0)
	v_mul_f32_e32 v1, s7, v1
.LBB223_9:
	s_mov_b32 s13, exec_lo
	s_or_b32 exec_lo, exec_lo, s15
	s_and_b32 vcc_lo, exec_lo, s14
	s_cbranch_vccnz .LBB223_12
	s_branch .LBB223_31
.LBB223_10:
	s_mov_b32 s13, 0
                                        ; implicit-def: $vgpr1
                                        ; implicit-def: $sgpr2_sgpr3
	s_cbranch_execnz .LBB223_12
	s_branch .LBB223_31
.LBB223_11:
	s_or_b32 exec_lo, exec_lo, s15
	s_and_b32 vcc_lo, exec_lo, s14
	s_cbranch_vccz .LBB223_31
.LBB223_12:
	s_load_dword s3, s[4:5], 0x0
	s_ashr_i32 s14, s6, 31
	s_mul_hi_u32 s0, s18, s6
	s_mul_i32 s4, s18, s14
	s_mul_i32 s2, s19, s6
	s_add_i32 s0, s0, s4
	s_mul_i32 s4, s18, s6
	s_add_i32 s5, s0, s2
	v_mov_b32_e32 v7, 0
	s_lshl_b64 s[4:5], s[4:5], 2
	s_mov_b32 s18, 0
	s_mov_b32 s15, exec_lo
	s_waitcnt lgkmcnt(0)
	v_cmp_gt_i32_e32 vcc_lo, s3, v0
	s_ashr_i32 s0, s3, 31
	s_lshr_b32 s0, s0, 22
	s_add_i32 s0, s3, s0
	v_cndmask_b32_e32 v1, 0, v0, vcc_lo
	v_lshlrev_b32_e32 v1, 2, v1
	v_add_co_u32 v1, s2, s24, v1
	v_add_co_ci_u32_e64 v2, null, s25, 0, s2
	s_and_b32 s2, s0, 0xfffffc00
	v_add_co_u32 v1, vcc_lo, v1, s4
	v_add_co_ci_u32_e64 v2, null, s5, v2, vcc_lo
	v_cmpx_gt_i32_e64 s2, v0
	s_cbranch_execz .LBB223_16
; %bb.13:
	v_mad_u64_u32 v[3:4], null, s16, v0, 0
	v_mov_b32_e32 v7, 0
	v_mov_b32_e32 v8, v0
	s_lshl_b64 s[4:5], s[16:17], 12
	v_mad_u64_u32 v[4:5], null, s17, v0, v[4:5]
	v_lshlrev_b64 v[5:6], 2, v[3:4]
	v_mov_b32_e32 v4, v2
	v_mov_b32_e32 v3, v1
	v_add_co_u32 v5, vcc_lo, s10, v5
	v_add_co_ci_u32_e64 v6, null, s11, v6, vcc_lo
	.p2align	6
.LBB223_14:                             ; =>This Inner Loop Header: Depth=1
	flat_load_dword v9, v[3:4]
	flat_load_dword v10, v[5:6]
	v_add_nc_u32_e32 v8, 0x400, v8
	v_add_co_u32 v3, vcc_lo, 0x1000, v3
	v_add_co_ci_u32_e64 v4, null, 0, v4, vcc_lo
	v_add_co_u32 v5, vcc_lo, v5, s4
	v_cmp_le_i32_e64 s0, s2, v8
	v_add_co_ci_u32_e64 v6, null, s5, v6, vcc_lo
	s_or_b32 s18, s0, s18
	s_waitcnt vmcnt(0) lgkmcnt(0)
	v_fmac_f32_e32 v7, v9, v10
	s_andn2_b32 exec_lo, exec_lo, s18
	s_cbranch_execnz .LBB223_14
; %bb.15:
	s_or_b32 exec_lo, exec_lo, s18
.LBB223_16:
	s_or_b32 exec_lo, exec_lo, s15
	v_or_b32_e32 v3, s2, v0
	s_mov_b32 s0, exec_lo
	v_cmpx_gt_i32_e64 s3, v3
	s_cbranch_execz .LBB223_18
; %bb.17:
	v_ashrrev_i32_e32 v5, 31, v3
	v_mul_lo_u32 v6, s17, v3
	v_mad_u64_u32 v[3:4], null, s16, v3, 0
	s_ashr_i32 s3, s2, 31
	v_mul_lo_u32 v5, s16, v5
	s_lshl_b64 s[2:3], s[2:3], 2
	v_add_co_u32 v1, vcc_lo, v1, s2
	v_add_co_ci_u32_e64 v2, null, s3, v2, vcc_lo
	v_add3_u32 v4, v4, v5, v6
	v_lshlrev_b64 v[3:4], 2, v[3:4]
	v_add_co_u32 v3, vcc_lo, s10, v3
	v_add_co_ci_u32_e64 v4, null, s11, v4, vcc_lo
	flat_load_dword v1, v[1:2]
	flat_load_dword v2, v[3:4]
	s_waitcnt vmcnt(0) lgkmcnt(0)
	v_fmac_f32_e32 v7, v1, v2
.LBB223_18:
	s_or_b32 exec_lo, exec_lo, s0
	v_and_b32_e32 v8, 31, v0
	v_cmp_gt_u32_e32 vcc_lo, 32, v0
	v_lshlrev_b32_e32 v1, 2, v8
	s_and_saveexec_b32 s0, vcc_lo
; %bb.19:
	v_mov_b32_e32 v2, 0
	ds_write_b32 v1, v2
; %bb.20:
	s_or_b32 exec_lo, exec_lo, s0
	v_mbcnt_lo_u32_b32 v6, -1, 0
	s_mov_b32 s2, exec_lo
	s_waitcnt lgkmcnt(0)
	s_barrier
	buffer_gl0_inv
	v_lshl_or_b32 v2, v6, 2, 64
	v_cmp_gt_u32_e64 s0, 24, v6
	ds_bpermute_b32 v4, v2, v7
	v_cndmask_b32_e64 v3, 0, 8, s0
	v_cmp_gt_u32_e64 s0, 28, v6
	v_add_lshl_u32 v3, v3, v6, 2
	s_waitcnt lgkmcnt(0)
	v_add_f32_e32 v5, v7, v4
	v_cndmask_b32_e64 v4, 0, 4, s0
	v_cmp_gt_u32_e64 s0, 30, v6
	ds_bpermute_b32 v7, v3, v5
	v_add_lshl_u32 v4, v4, v6, 2
	s_waitcnt lgkmcnt(0)
	v_add_f32_e32 v7, v5, v7
	v_cndmask_b32_e64 v5, 0, 2, s0
	v_cmp_ne_u32_e64 s0, 31, v6
	ds_bpermute_b32 v9, v4, v7
	v_add_lshl_u32 v5, v5, v6, 2
	v_add_co_ci_u32_e64 v6, null, 0, v6, s0
	v_lshlrev_b32_e32 v6, 2, v6
	s_waitcnt lgkmcnt(0)
	v_add_f32_e32 v7, v7, v9
	ds_bpermute_b32 v9, v5, v7
	s_waitcnt lgkmcnt(0)
	v_add_f32_e32 v7, v7, v9
	ds_bpermute_b32 v9, v6, v7
	v_cmpx_eq_u32_e32 0, v8
	s_cbranch_execz .LBB223_22
; %bb.21:
	v_lshrrev_b32_e32 v8, 3, v0
	s_waitcnt lgkmcnt(0)
	v_add_f32_e32 v7, v7, v9
	v_and_b32_e32 v8, 0x7c, v8
	ds_write_b32 v8, v7
.LBB223_22:
	s_or_b32 exec_lo, exec_lo, s2
	v_mov_b32_e32 v7, 0
	s_waitcnt lgkmcnt(0)
	s_barrier
	buffer_gl0_inv
	s_and_saveexec_b32 s0, vcc_lo
; %bb.23:
	ds_read_b32 v7, v1
; %bb.24:
	s_or_b32 exec_lo, exec_lo, s0
	s_and_saveexec_b32 s0, vcc_lo
	s_cbranch_execz .LBB223_26
; %bb.25:
	s_waitcnt lgkmcnt(0)
	ds_bpermute_b32 v1, v2, v7
	s_waitcnt lgkmcnt(0)
	v_add_f32_e32 v1, v7, v1
	ds_bpermute_b32 v2, v3, v1
	s_waitcnt lgkmcnt(0)
	v_add_f32_e32 v1, v1, v2
	;; [unrolled: 3-line block ×5, first 2 shown]
.LBB223_26:
	s_or_b32 exec_lo, exec_lo, s0
	s_mov_b32 s0, exec_lo
                                        ; implicit-def: $vgpr1
                                        ; implicit-def: $sgpr2_sgpr3
	v_cmpx_eq_u32_e32 0, v0
	s_cbranch_execz .LBB223_30
; %bb.27:
	v_cmp_eq_f32_e64 s4, s7, 0
	s_mul_i32 s2, s8, s14
	s_mul_hi_u32 s3, s8, s6
	s_waitcnt lgkmcnt(0)
	v_mul_f32_e32 v1, s28, v7
	s_add_i32 s2, s3, s2
	s_mul_i32 s3, s9, s6
	s_and_b32 vcc_lo, exec_lo, s4
	s_add_i32 s3, s2, s3
	s_mul_i32 s2, s8, s6
	s_cbranch_vccnz .LBB223_29
; %bb.28:
	s_lshl_b64 s[4:5], s[2:3], 2
	s_add_u32 s4, s1, s4
	s_addc_u32 s5, s12, s5
	v_mov_b32_e32 v2, s4
	v_mov_b32_e32 v3, s5
	flat_load_dword v0, v[2:3]
	s_waitcnt vmcnt(0) lgkmcnt(0)
	v_fmac_f32_e32 v1, s7, v0
.LBB223_29:
	s_or_b32 s13, s13, exec_lo
.LBB223_30:
	s_or_b32 exec_lo, exec_lo, s0
.LBB223_31:
	s_and_saveexec_b32 s0, s13
	s_cbranch_execz .LBB223_33
; %bb.32:
	s_lshl_b64 s[2:3], s[2:3], 2
	s_add_u32 s0, s1, s2
	s_addc_u32 s1, s12, s3
	v_mov_b32_e32 v3, s1
	v_mov_b32_e32 v2, s0
	flat_store_dword v[2:3], v1
.LBB223_33:
	s_endpgm
	.section	.rodata,"a",@progbits
	.p2align	6, 0x0
	.amdhsa_kernel _ZL32rocblas_gemvt_warp_reduce_kernelILb0ELi1024ElPKfS1_KPfEviiT3_lPKT2_lT1_lS7_lS8_lS4_lPT4_lS8_li
		.amdhsa_group_segment_fixed_size 128
		.amdhsa_private_segment_fixed_size 0
		.amdhsa_kernarg_size 140
		.amdhsa_user_sgpr_count 6
		.amdhsa_user_sgpr_private_segment_buffer 1
		.amdhsa_user_sgpr_dispatch_ptr 0
		.amdhsa_user_sgpr_queue_ptr 0
		.amdhsa_user_sgpr_kernarg_segment_ptr 1
		.amdhsa_user_sgpr_dispatch_id 0
		.amdhsa_user_sgpr_flat_scratch_init 0
		.amdhsa_user_sgpr_private_segment_size 0
		.amdhsa_wavefront_size32 1
		.amdhsa_uses_dynamic_stack 0
		.amdhsa_system_sgpr_private_segment_wavefront_offset 0
		.amdhsa_system_sgpr_workgroup_id_x 1
		.amdhsa_system_sgpr_workgroup_id_y 0
		.amdhsa_system_sgpr_workgroup_id_z 1
		.amdhsa_system_sgpr_workgroup_info 0
		.amdhsa_system_vgpr_workitem_id 0
		.amdhsa_next_free_vgpr 11
		.amdhsa_next_free_sgpr 31
		.amdhsa_reserve_vcc 1
		.amdhsa_reserve_flat_scratch 0
		.amdhsa_float_round_mode_32 0
		.amdhsa_float_round_mode_16_64 0
		.amdhsa_float_denorm_mode_32 3
		.amdhsa_float_denorm_mode_16_64 3
		.amdhsa_dx10_clamp 1
		.amdhsa_ieee_mode 1
		.amdhsa_fp16_overflow 0
		.amdhsa_workgroup_processor_mode 1
		.amdhsa_memory_ordered 1
		.amdhsa_forward_progress 1
		.amdhsa_shared_vgpr_count 0
		.amdhsa_exception_fp_ieee_invalid_op 0
		.amdhsa_exception_fp_denorm_src 0
		.amdhsa_exception_fp_ieee_div_zero 0
		.amdhsa_exception_fp_ieee_overflow 0
		.amdhsa_exception_fp_ieee_underflow 0
		.amdhsa_exception_fp_ieee_inexact 0
		.amdhsa_exception_int_div_zero 0
	.end_amdhsa_kernel
	.section	.text._ZL32rocblas_gemvt_warp_reduce_kernelILb0ELi1024ElPKfS1_KPfEviiT3_lPKT2_lT1_lS7_lS8_lS4_lPT4_lS8_li,"axG",@progbits,_ZL32rocblas_gemvt_warp_reduce_kernelILb0ELi1024ElPKfS1_KPfEviiT3_lPKT2_lT1_lS7_lS8_lS4_lPT4_lS8_li,comdat
.Lfunc_end223:
	.size	_ZL32rocblas_gemvt_warp_reduce_kernelILb0ELi1024ElPKfS1_KPfEviiT3_lPKT2_lT1_lS7_lS8_lS4_lPT4_lS8_li, .Lfunc_end223-_ZL32rocblas_gemvt_warp_reduce_kernelILb0ELi1024ElPKfS1_KPfEviiT3_lPKT2_lT1_lS7_lS8_lS4_lPT4_lS8_li
                                        ; -- End function
	.set _ZL32rocblas_gemvt_warp_reduce_kernelILb0ELi1024ElPKfS1_KPfEviiT3_lPKT2_lT1_lS7_lS8_lS4_lPT4_lS8_li.num_vgpr, 11
	.set _ZL32rocblas_gemvt_warp_reduce_kernelILb0ELi1024ElPKfS1_KPfEviiT3_lPKT2_lT1_lS7_lS8_lS4_lPT4_lS8_li.num_agpr, 0
	.set _ZL32rocblas_gemvt_warp_reduce_kernelILb0ELi1024ElPKfS1_KPfEviiT3_lPKT2_lT1_lS7_lS8_lS4_lPT4_lS8_li.numbered_sgpr, 31
	.set _ZL32rocblas_gemvt_warp_reduce_kernelILb0ELi1024ElPKfS1_KPfEviiT3_lPKT2_lT1_lS7_lS8_lS4_lPT4_lS8_li.num_named_barrier, 0
	.set _ZL32rocblas_gemvt_warp_reduce_kernelILb0ELi1024ElPKfS1_KPfEviiT3_lPKT2_lT1_lS7_lS8_lS4_lPT4_lS8_li.private_seg_size, 0
	.set _ZL32rocblas_gemvt_warp_reduce_kernelILb0ELi1024ElPKfS1_KPfEviiT3_lPKT2_lT1_lS7_lS8_lS4_lPT4_lS8_li.uses_vcc, 1
	.set _ZL32rocblas_gemvt_warp_reduce_kernelILb0ELi1024ElPKfS1_KPfEviiT3_lPKT2_lT1_lS7_lS8_lS4_lPT4_lS8_li.uses_flat_scratch, 0
	.set _ZL32rocblas_gemvt_warp_reduce_kernelILb0ELi1024ElPKfS1_KPfEviiT3_lPKT2_lT1_lS7_lS8_lS4_lPT4_lS8_li.has_dyn_sized_stack, 0
	.set _ZL32rocblas_gemvt_warp_reduce_kernelILb0ELi1024ElPKfS1_KPfEviiT3_lPKT2_lT1_lS7_lS8_lS4_lPT4_lS8_li.has_recursion, 0
	.set _ZL32rocblas_gemvt_warp_reduce_kernelILb0ELi1024ElPKfS1_KPfEviiT3_lPKT2_lT1_lS7_lS8_lS4_lPT4_lS8_li.has_indirect_call, 0
	.section	.AMDGPU.csdata,"",@progbits
; Kernel info:
; codeLenInByte = 1480
; TotalNumSgprs: 33
; NumVgprs: 11
; ScratchSize: 0
; MemoryBound: 0
; FloatMode: 240
; IeeeMode: 1
; LDSByteSize: 128 bytes/workgroup (compile time only)
; SGPRBlocks: 0
; VGPRBlocks: 1
; NumSGPRsForWavesPerEU: 33
; NumVGPRsForWavesPerEU: 11
; Occupancy: 16
; WaveLimiterHint : 1
; COMPUTE_PGM_RSRC2:SCRATCH_EN: 0
; COMPUTE_PGM_RSRC2:USER_SGPR: 6
; COMPUTE_PGM_RSRC2:TRAP_HANDLER: 0
; COMPUTE_PGM_RSRC2:TGID_X_EN: 1
; COMPUTE_PGM_RSRC2:TGID_Y_EN: 0
; COMPUTE_PGM_RSRC2:TGID_Z_EN: 1
; COMPUTE_PGM_RSRC2:TIDIG_COMP_CNT: 0
	.section	.text._ZL32rocblas_gemvt_warp_reduce_kernelILb0ELi1024EiPKffKPfEviiT3_lPKT2_lT1_lS7_lS8_lS4_lPT4_lS8_li,"axG",@progbits,_ZL32rocblas_gemvt_warp_reduce_kernelILb0ELi1024EiPKffKPfEviiT3_lPKT2_lT1_lS7_lS8_lS4_lPT4_lS8_li,comdat
	.globl	_ZL32rocblas_gemvt_warp_reduce_kernelILb0ELi1024EiPKffKPfEviiT3_lPKT2_lT1_lS7_lS8_lS4_lPT4_lS8_li ; -- Begin function _ZL32rocblas_gemvt_warp_reduce_kernelILb0ELi1024EiPKffKPfEviiT3_lPKT2_lT1_lS7_lS8_lS4_lPT4_lS8_li
	.p2align	8
	.type	_ZL32rocblas_gemvt_warp_reduce_kernelILb0ELi1024EiPKffKPfEviiT3_lPKT2_lT1_lS7_lS8_lS4_lPT4_lS8_li,@function
_ZL32rocblas_gemvt_warp_reduce_kernelILb0ELi1024EiPKffKPfEviiT3_lPKT2_lT1_lS7_lS8_lS4_lPT4_lS8_li: ; @_ZL32rocblas_gemvt_warp_reduce_kernelILb0ELi1024EiPKffKPfEviiT3_lPKT2_lT1_lS7_lS8_lS4_lPT4_lS8_li
; %bb.0:
	s_mov_b32 s10, s7
	s_clause 0x1
	s_load_dword s12, s[4:5], 0x8
	s_load_dword s7, s[4:5], 0x58
	s_mov_b32 s11, 0
	s_waitcnt lgkmcnt(0)
	v_cmp_eq_f32_e64 s15, s12, 0
	v_cmp_eq_f32_e64 s0, s7, 1.0
	s_and_b32 s0, s15, s0
	s_and_b32 vcc_lo, exec_lo, s0
	s_cbranch_vccnz .LBB224_35
; %bb.1:
	v_cmp_neq_f32_e64 s13, s12, 0
	s_and_b32 vcc_lo, exec_lo, s13
	s_cbranch_vccnz .LBB224_3
; %bb.2:
	s_mov_b32 s1, 0
	s_mov_b32 s0, s10
	;; [unrolled: 1-line block ×3, first 2 shown]
	s_mov_b64 s[2:3], 0
	s_andn2_b32 vcc_lo, exec_lo, s8
	s_mov_b64 s[8:9], 0
	s_cbranch_vccz .LBB224_4
	s_branch .LBB224_5
.LBB224_3:
	s_mov_b64 s[0:1], s[10:11]
	s_mov_b64 s[2:3], 0
	;; [unrolled: 1-line block ×3, first 2 shown]
.LBB224_4:
	s_load_dwordx4 s[16:19], s[4:5], 0x18
	s_lshl_b64 s[8:9], s[10:11], 3
	s_waitcnt lgkmcnt(0)
	s_add_u32 s8, s16, s8
	s_addc_u32 s9, s17, s9
	s_lshl_b64 s[10:11], s[18:19], 2
	s_load_dwordx2 s[8:9], s[8:9], 0x0
	s_waitcnt lgkmcnt(0)
	s_add_u32 s8, s8, s10
	s_addc_u32 s9, s9, s11
.LBB224_5:
	s_andn2_b32 vcc_lo, exec_lo, s13
	s_cbranch_vccnz .LBB224_7
; %bb.6:
	s_load_dwordx4 s[16:19], s[4:5], 0x38
	s_lshl_b64 s[2:3], s[0:1], 3
	s_waitcnt lgkmcnt(0)
	s_add_u32 s2, s16, s2
	s_addc_u32 s3, s17, s3
	s_lshl_b64 s[10:11], s[18:19], 2
	s_load_dwordx2 s[2:3], s[2:3], 0x0
	s_waitcnt lgkmcnt(0)
	s_add_u32 s2, s2, s10
	s_addc_u32 s3, s3, s11
.LBB224_7:
	s_clause 0x1
	s_load_dwordx4 s[16:19], s[4:5], 0x68
	s_load_dword s14, s[4:5], 0x78
	s_lshl_b64 s[0:1], s[0:1], 3
	s_waitcnt lgkmcnt(0)
	s_add_u32 s0, s16, s0
	s_addc_u32 s1, s17, s1
	s_lshl_b64 s[16:17], s[18:19], 2
	s_load_dwordx2 s[10:11], s[0:1], 0x0
	v_cmp_eq_u32_e64 s0, 0, v0
	s_waitcnt lgkmcnt(0)
	s_add_u32 s1, s10, s16
	s_addc_u32 s13, s11, s17
	s_andn2_b32 vcc_lo, exec_lo, s15
	s_cbranch_vccnz .LBB224_12
; %bb.8:
	s_mov_b32 s16, 0
	s_mov_b32 s15, 0
                                        ; implicit-def: $vgpr1
                                        ; implicit-def: $sgpr10_sgpr11
	s_and_saveexec_b32 s17, s0
	s_cbranch_execz .LBB224_13
; %bb.9:
	v_cmp_eq_f32_e64 s0, s7, 0
	v_mov_b32_e32 v1, 0
	s_mul_i32 s10, s14, s6
	s_ashr_i32 s11, s10, 31
	s_and_b32 vcc_lo, exec_lo, s0
	s_cbranch_vccnz .LBB224_11
; %bb.10:
	s_lshl_b64 s[18:19], s[10:11], 2
	s_add_u32 s18, s1, s18
	s_addc_u32 s19, s13, s19
	v_mov_b32_e32 v1, s18
	v_mov_b32_e32 v2, s19
	flat_load_dword v1, v[1:2]
	s_waitcnt vmcnt(0) lgkmcnt(0)
	v_mul_f32_e32 v1, s7, v1
.LBB224_11:
	s_mov_b32 s15, exec_lo
	s_or_b32 exec_lo, exec_lo, s17
	s_and_b32 vcc_lo, exec_lo, s16
	s_cbranch_vccnz .LBB224_14
	s_branch .LBB224_33
.LBB224_12:
	s_mov_b32 s15, 0
                                        ; implicit-def: $vgpr1
                                        ; implicit-def: $sgpr10_sgpr11
	s_cbranch_execnz .LBB224_14
	s_branch .LBB224_33
.LBB224_13:
	s_or_b32 exec_lo, exec_lo, s17
	s_and_b32 vcc_lo, exec_lo, s16
	s_cbranch_vccz .LBB224_33
.LBB224_14:
	s_clause 0x2
	s_load_dword s10, s[4:5], 0x0
	s_load_dword s0, s[4:5], 0x28
	;; [unrolled: 1-line block ×3, first 2 shown]
	v_mov_b32_e32 v7, 0
	s_waitcnt lgkmcnt(0)
	v_cmp_gt_i32_e32 vcc_lo, s10, v0
	s_mul_i32 s16, s0, s6
	s_ashr_i32 s0, s10, 31
	s_ashr_i32 s17, s16, 31
	s_lshr_b32 s0, s0, 22
	v_cndmask_b32_e32 v1, 0, v0, vcc_lo
	s_lshl_b64 s[16:17], s[16:17], 2
	s_add_i32 s0, s10, s0
	v_lshlrev_b32_e32 v1, 2, v1
	v_add_co_u32 v1, s4, s8, v1
	v_add_co_ci_u32_e64 v2, null, s9, 0, s4
	s_and_b32 s4, s0, 0xfffffc00
	v_add_co_u32 v1, vcc_lo, v1, s16
	v_add_co_ci_u32_e64 v2, null, s17, v2, vcc_lo
	s_mov_b32 s9, 0
	s_mov_b32 s8, exec_lo
	v_cmpx_gt_i32_e64 s4, v0
	s_cbranch_execz .LBB224_18
; %bb.15:
	v_mul_lo_u32 v3, v0, s5
	v_mov_b32_e32 v6, v2
	v_mov_b32_e32 v7, 0
	;; [unrolled: 1-line block ×4, first 2 shown]
	s_lshl_b32 s11, s5, 10
	.p2align	6
.LBB224_16:                             ; =>This Inner Loop Header: Depth=1
	v_ashrrev_i32_e32 v4, 31, v3
	v_add_nc_u32_e32 v8, 0x400, v8
	v_lshlrev_b64 v[9:10], 2, v[3:4]
	v_cmp_le_i32_e64 s0, s4, v8
	v_add_nc_u32_e32 v3, s11, v3
	s_or_b32 s9, s0, s9
	v_add_co_u32 v9, vcc_lo, s2, v9
	v_add_co_ci_u32_e64 v10, null, s3, v10, vcc_lo
	flat_load_dword v4, v[5:6]
	flat_load_dword v9, v[9:10]
	v_add_co_u32 v5, vcc_lo, 0x1000, v5
	v_add_co_ci_u32_e64 v6, null, 0, v6, vcc_lo
	s_waitcnt vmcnt(0) lgkmcnt(0)
	v_fmac_f32_e32 v7, v4, v9
	s_andn2_b32 exec_lo, exec_lo, s9
	s_cbranch_execnz .LBB224_16
; %bb.17:
	s_or_b32 exec_lo, exec_lo, s9
.LBB224_18:
	s_or_b32 exec_lo, exec_lo, s8
	v_or_b32_e32 v3, s4, v0
	s_mov_b32 s0, exec_lo
	v_cmpx_gt_i32_e64 s10, v3
	s_cbranch_execz .LBB224_20
; %bb.19:
	v_mul_lo_u32 v3, s5, v3
	s_ashr_i32 s5, s4, 31
	s_lshl_b64 s[4:5], s[4:5], 2
	v_add_co_u32 v1, vcc_lo, v1, s4
	v_add_co_ci_u32_e64 v2, null, s5, v2, vcc_lo
	v_ashrrev_i32_e32 v4, 31, v3
	v_lshlrev_b64 v[3:4], 2, v[3:4]
	v_add_co_u32 v3, vcc_lo, s2, v3
	v_add_co_ci_u32_e64 v4, null, s3, v4, vcc_lo
	flat_load_dword v1, v[1:2]
	flat_load_dword v2, v[3:4]
	s_waitcnt vmcnt(0) lgkmcnt(0)
	v_fmac_f32_e32 v7, v1, v2
.LBB224_20:
	s_or_b32 exec_lo, exec_lo, s0
	v_and_b32_e32 v8, 31, v0
	v_cmp_gt_u32_e32 vcc_lo, 32, v0
	v_lshlrev_b32_e32 v1, 2, v8
	s_and_saveexec_b32 s0, vcc_lo
; %bb.21:
	v_mov_b32_e32 v2, 0
	ds_write_b32 v1, v2
; %bb.22:
	s_or_b32 exec_lo, exec_lo, s0
	v_mbcnt_lo_u32_b32 v6, -1, 0
	s_mov_b32 s2, exec_lo
	s_waitcnt lgkmcnt(0)
	s_barrier
	buffer_gl0_inv
	v_lshl_or_b32 v2, v6, 2, 64
	v_cmp_gt_u32_e64 s0, 24, v6
	ds_bpermute_b32 v4, v2, v7
	v_cndmask_b32_e64 v3, 0, 8, s0
	v_cmp_gt_u32_e64 s0, 28, v6
	v_add_lshl_u32 v3, v3, v6, 2
	s_waitcnt lgkmcnt(0)
	v_add_f32_e32 v5, v7, v4
	v_cndmask_b32_e64 v4, 0, 4, s0
	v_cmp_gt_u32_e64 s0, 30, v6
	ds_bpermute_b32 v7, v3, v5
	v_add_lshl_u32 v4, v4, v6, 2
	s_waitcnt lgkmcnt(0)
	v_add_f32_e32 v7, v5, v7
	v_cndmask_b32_e64 v5, 0, 2, s0
	v_cmp_ne_u32_e64 s0, 31, v6
	ds_bpermute_b32 v9, v4, v7
	v_add_lshl_u32 v5, v5, v6, 2
	v_add_co_ci_u32_e64 v6, null, 0, v6, s0
	v_lshlrev_b32_e32 v6, 2, v6
	s_waitcnt lgkmcnt(0)
	v_add_f32_e32 v7, v7, v9
	ds_bpermute_b32 v9, v5, v7
	s_waitcnt lgkmcnt(0)
	v_add_f32_e32 v7, v7, v9
	ds_bpermute_b32 v9, v6, v7
	v_cmpx_eq_u32_e32 0, v8
	s_cbranch_execz .LBB224_24
; %bb.23:
	v_lshrrev_b32_e32 v8, 3, v0
	s_waitcnt lgkmcnt(0)
	v_add_f32_e32 v7, v7, v9
	v_and_b32_e32 v8, 0x7c, v8
	ds_write_b32 v8, v7
.LBB224_24:
	s_or_b32 exec_lo, exec_lo, s2
	v_mov_b32_e32 v7, 0
	s_waitcnt lgkmcnt(0)
	s_barrier
	buffer_gl0_inv
	s_and_saveexec_b32 s0, vcc_lo
; %bb.25:
	ds_read_b32 v7, v1
; %bb.26:
	s_or_b32 exec_lo, exec_lo, s0
	s_and_saveexec_b32 s0, vcc_lo
	s_cbranch_execz .LBB224_28
; %bb.27:
	s_waitcnt lgkmcnt(0)
	ds_bpermute_b32 v1, v2, v7
	s_waitcnt lgkmcnt(0)
	v_add_f32_e32 v1, v7, v1
	ds_bpermute_b32 v2, v3, v1
	s_waitcnt lgkmcnt(0)
	v_add_f32_e32 v1, v1, v2
	;; [unrolled: 3-line block ×5, first 2 shown]
.LBB224_28:
	s_or_b32 exec_lo, exec_lo, s0
	s_mov_b32 s0, exec_lo
                                        ; implicit-def: $vgpr1
                                        ; implicit-def: $sgpr10_sgpr11
	v_cmpx_eq_u32_e32 0, v0
	s_cbranch_execz .LBB224_32
; %bb.29:
	v_cmp_eq_f32_e64 s2, s7, 0
	s_waitcnt lgkmcnt(0)
	v_mul_f32_e32 v1, s12, v7
	s_mul_i32 s10, s14, s6
	s_ashr_i32 s11, s10, 31
	s_and_b32 vcc_lo, exec_lo, s2
	s_cbranch_vccnz .LBB224_31
; %bb.30:
	s_lshl_b64 s[2:3], s[10:11], 2
	s_add_u32 s2, s1, s2
	s_addc_u32 s3, s13, s3
	v_mov_b32_e32 v2, s2
	v_mov_b32_e32 v3, s3
	flat_load_dword v0, v[2:3]
	s_waitcnt vmcnt(0) lgkmcnt(0)
	v_fmac_f32_e32 v1, s7, v0
.LBB224_31:
	s_or_b32 s15, s15, exec_lo
.LBB224_32:
	s_or_b32 exec_lo, exec_lo, s0
.LBB224_33:
	s_and_saveexec_b32 s0, s15
	s_cbranch_execz .LBB224_35
; %bb.34:
	s_lshl_b64 s[2:3], s[10:11], 2
	s_add_u32 s0, s1, s2
	s_addc_u32 s1, s13, s3
	v_mov_b32_e32 v3, s1
	v_mov_b32_e32 v2, s0
	flat_store_dword v[2:3], v1
.LBB224_35:
	s_endpgm
	.section	.rodata,"a",@progbits
	.p2align	6, 0x0
	.amdhsa_kernel _ZL32rocblas_gemvt_warp_reduce_kernelILb0ELi1024EiPKffKPfEviiT3_lPKT2_lT1_lS7_lS8_lS4_lPT4_lS8_li
		.amdhsa_group_segment_fixed_size 128
		.amdhsa_private_segment_fixed_size 0
		.amdhsa_kernarg_size 140
		.amdhsa_user_sgpr_count 6
		.amdhsa_user_sgpr_private_segment_buffer 1
		.amdhsa_user_sgpr_dispatch_ptr 0
		.amdhsa_user_sgpr_queue_ptr 0
		.amdhsa_user_sgpr_kernarg_segment_ptr 1
		.amdhsa_user_sgpr_dispatch_id 0
		.amdhsa_user_sgpr_flat_scratch_init 0
		.amdhsa_user_sgpr_private_segment_size 0
		.amdhsa_wavefront_size32 1
		.amdhsa_uses_dynamic_stack 0
		.amdhsa_system_sgpr_private_segment_wavefront_offset 0
		.amdhsa_system_sgpr_workgroup_id_x 1
		.amdhsa_system_sgpr_workgroup_id_y 0
		.amdhsa_system_sgpr_workgroup_id_z 1
		.amdhsa_system_sgpr_workgroup_info 0
		.amdhsa_system_vgpr_workitem_id 0
		.amdhsa_next_free_vgpr 11
		.amdhsa_next_free_sgpr 20
		.amdhsa_reserve_vcc 1
		.amdhsa_reserve_flat_scratch 0
		.amdhsa_float_round_mode_32 0
		.amdhsa_float_round_mode_16_64 0
		.amdhsa_float_denorm_mode_32 3
		.amdhsa_float_denorm_mode_16_64 3
		.amdhsa_dx10_clamp 1
		.amdhsa_ieee_mode 1
		.amdhsa_fp16_overflow 0
		.amdhsa_workgroup_processor_mode 1
		.amdhsa_memory_ordered 1
		.amdhsa_forward_progress 1
		.amdhsa_shared_vgpr_count 0
		.amdhsa_exception_fp_ieee_invalid_op 0
		.amdhsa_exception_fp_denorm_src 0
		.amdhsa_exception_fp_ieee_div_zero 0
		.amdhsa_exception_fp_ieee_overflow 0
		.amdhsa_exception_fp_ieee_underflow 0
		.amdhsa_exception_fp_ieee_inexact 0
		.amdhsa_exception_int_div_zero 0
	.end_amdhsa_kernel
	.section	.text._ZL32rocblas_gemvt_warp_reduce_kernelILb0ELi1024EiPKffKPfEviiT3_lPKT2_lT1_lS7_lS8_lS4_lPT4_lS8_li,"axG",@progbits,_ZL32rocblas_gemvt_warp_reduce_kernelILb0ELi1024EiPKffKPfEviiT3_lPKT2_lT1_lS7_lS8_lS4_lPT4_lS8_li,comdat
.Lfunc_end224:
	.size	_ZL32rocblas_gemvt_warp_reduce_kernelILb0ELi1024EiPKffKPfEviiT3_lPKT2_lT1_lS7_lS8_lS4_lPT4_lS8_li, .Lfunc_end224-_ZL32rocblas_gemvt_warp_reduce_kernelILb0ELi1024EiPKffKPfEviiT3_lPKT2_lT1_lS7_lS8_lS4_lPT4_lS8_li
                                        ; -- End function
	.set _ZL32rocblas_gemvt_warp_reduce_kernelILb0ELi1024EiPKffKPfEviiT3_lPKT2_lT1_lS7_lS8_lS4_lPT4_lS8_li.num_vgpr, 11
	.set _ZL32rocblas_gemvt_warp_reduce_kernelILb0ELi1024EiPKffKPfEviiT3_lPKT2_lT1_lS7_lS8_lS4_lPT4_lS8_li.num_agpr, 0
	.set _ZL32rocblas_gemvt_warp_reduce_kernelILb0ELi1024EiPKffKPfEviiT3_lPKT2_lT1_lS7_lS8_lS4_lPT4_lS8_li.numbered_sgpr, 20
	.set _ZL32rocblas_gemvt_warp_reduce_kernelILb0ELi1024EiPKffKPfEviiT3_lPKT2_lT1_lS7_lS8_lS4_lPT4_lS8_li.num_named_barrier, 0
	.set _ZL32rocblas_gemvt_warp_reduce_kernelILb0ELi1024EiPKffKPfEviiT3_lPKT2_lT1_lS7_lS8_lS4_lPT4_lS8_li.private_seg_size, 0
	.set _ZL32rocblas_gemvt_warp_reduce_kernelILb0ELi1024EiPKffKPfEviiT3_lPKT2_lT1_lS7_lS8_lS4_lPT4_lS8_li.uses_vcc, 1
	.set _ZL32rocblas_gemvt_warp_reduce_kernelILb0ELi1024EiPKffKPfEviiT3_lPKT2_lT1_lS7_lS8_lS4_lPT4_lS8_li.uses_flat_scratch, 0
	.set _ZL32rocblas_gemvt_warp_reduce_kernelILb0ELi1024EiPKffKPfEviiT3_lPKT2_lT1_lS7_lS8_lS4_lPT4_lS8_li.has_dyn_sized_stack, 0
	.set _ZL32rocblas_gemvt_warp_reduce_kernelILb0ELi1024EiPKffKPfEviiT3_lPKT2_lT1_lS7_lS8_lS4_lPT4_lS8_li.has_recursion, 0
	.set _ZL32rocblas_gemvt_warp_reduce_kernelILb0ELi1024EiPKffKPfEviiT3_lPKT2_lT1_lS7_lS8_lS4_lPT4_lS8_li.has_indirect_call, 0
	.section	.AMDGPU.csdata,"",@progbits
; Kernel info:
; codeLenInByte = 1392
; TotalNumSgprs: 22
; NumVgprs: 11
; ScratchSize: 0
; MemoryBound: 0
; FloatMode: 240
; IeeeMode: 1
; LDSByteSize: 128 bytes/workgroup (compile time only)
; SGPRBlocks: 0
; VGPRBlocks: 1
; NumSGPRsForWavesPerEU: 22
; NumVGPRsForWavesPerEU: 11
; Occupancy: 16
; WaveLimiterHint : 1
; COMPUTE_PGM_RSRC2:SCRATCH_EN: 0
; COMPUTE_PGM_RSRC2:USER_SGPR: 6
; COMPUTE_PGM_RSRC2:TRAP_HANDLER: 0
; COMPUTE_PGM_RSRC2:TGID_X_EN: 1
; COMPUTE_PGM_RSRC2:TGID_Y_EN: 0
; COMPUTE_PGM_RSRC2:TGID_Z_EN: 1
; COMPUTE_PGM_RSRC2:TIDIG_COMP_CNT: 0
	.section	.text._ZL32rocblas_gemvt_warp_reduce_kernelILb0ELi1024ElPKffKPfEviiT3_lPKT2_lT1_lS7_lS8_lS4_lPT4_lS8_li,"axG",@progbits,_ZL32rocblas_gemvt_warp_reduce_kernelILb0ELi1024ElPKffKPfEviiT3_lPKT2_lT1_lS7_lS8_lS4_lPT4_lS8_li,comdat
	.globl	_ZL32rocblas_gemvt_warp_reduce_kernelILb0ELi1024ElPKffKPfEviiT3_lPKT2_lT1_lS7_lS8_lS4_lPT4_lS8_li ; -- Begin function _ZL32rocblas_gemvt_warp_reduce_kernelILb0ELi1024ElPKffKPfEviiT3_lPKT2_lT1_lS7_lS8_lS4_lPT4_lS8_li
	.p2align	8
	.type	_ZL32rocblas_gemvt_warp_reduce_kernelILb0ELi1024ElPKffKPfEviiT3_lPKT2_lT1_lS7_lS8_lS4_lPT4_lS8_li,@function
_ZL32rocblas_gemvt_warp_reduce_kernelILb0ELi1024ElPKffKPfEviiT3_lPKT2_lT1_lS7_lS8_lS4_lPT4_lS8_li: ; @_ZL32rocblas_gemvt_warp_reduce_kernelILb0ELi1024ElPKffKPfEviiT3_lPKT2_lT1_lS7_lS8_lS4_lPT4_lS8_li
; %bb.0:
	s_mov_b32 s10, s7
	s_clause 0x1
	s_load_dword s18, s[4:5], 0x8
	s_load_dword s7, s[4:5], 0x58
	s_mov_b32 s11, 0
	s_waitcnt lgkmcnt(0)
	v_cmp_eq_f32_e64 s20, s18, 0
	v_cmp_eq_f32_e64 s0, s7, 1.0
	s_and_b32 s0, s20, s0
	s_and_b32 vcc_lo, exec_lo, s0
	s_cbranch_vccnz .LBB225_35
; %bb.1:
	s_clause 0x1
	s_load_dwordx4 s[0:3], s[4:5], 0x18
	s_load_dwordx2 s[12:13], s[4:5], 0x28
	v_cmp_neq_f32_e64 s19, s18, 0
	s_and_b32 vcc_lo, exec_lo, s19
	s_cbranch_vccnz .LBB225_3
; %bb.2:
	s_mov_b32 s17, 0
	s_mov_b32 s16, s10
	s_mov_b32 s14, s17
	s_mov_b64 s[8:9], 0
	s_andn2_b32 vcc_lo, exec_lo, s14
	s_mov_b64 s[14:15], 0
	s_cbranch_vccz .LBB225_4
	s_branch .LBB225_5
.LBB225_3:
	s_mov_b64 s[16:17], s[10:11]
	s_mov_b64 s[8:9], 0
	s_mov_b64 s[14:15], 0
.LBB225_4:
	s_lshl_b64 s[10:11], s[10:11], 3
	s_waitcnt lgkmcnt(0)
	s_add_u32 s0, s0, s10
	s_addc_u32 s1, s1, s11
	s_lshl_b64 s[2:3], s[2:3], 2
	s_load_dwordx2 s[0:1], s[0:1], 0x0
	s_waitcnt lgkmcnt(0)
	s_add_u32 s14, s0, s2
	s_addc_u32 s15, s1, s3
.LBB225_5:
	s_waitcnt lgkmcnt(0)
	s_clause 0x1
	s_load_dwordx4 s[0:3], s[4:5], 0x38
	s_load_dwordx2 s[10:11], s[4:5], 0x48
	s_andn2_b32 vcc_lo, exec_lo, s19
	s_cbranch_vccnz .LBB225_7
; %bb.6:
	s_lshl_b64 s[8:9], s[16:17], 3
	s_waitcnt lgkmcnt(0)
	s_add_u32 s0, s0, s8
	s_addc_u32 s1, s1, s9
	s_lshl_b64 s[2:3], s[2:3], 2
	s_load_dwordx2 s[0:1], s[0:1], 0x0
	s_waitcnt lgkmcnt(0)
	s_add_u32 s8, s0, s2
	s_addc_u32 s9, s1, s3
.LBB225_7:
	s_load_dwordx4 s[24:27], s[4:5], 0x68
	s_waitcnt lgkmcnt(0)
	s_load_dwordx2 s[2:3], s[4:5], 0x78
	s_lshl_b64 s[0:1], s[16:17], 3
	s_add_u32 s0, s24, s0
	s_addc_u32 s1, s25, s1
	s_lshl_b64 s[22:23], s[26:27], 2
	s_load_dwordx2 s[16:17], s[0:1], 0x0
	v_cmp_eq_u32_e64 s0, 0, v0
	s_waitcnt lgkmcnt(0)
	s_add_u32 s1, s16, s22
	s_addc_u32 s19, s17, s23
	s_andn2_b32 vcc_lo, exec_lo, s20
	s_cbranch_vccnz .LBB225_12
; %bb.8:
	s_mov_b32 s21, 0
	s_mov_b32 s20, 0
                                        ; implicit-def: $vgpr1
                                        ; implicit-def: $sgpr16_sgpr17
	s_and_saveexec_b32 s22, s0
	s_cbranch_execz .LBB225_13
; %bb.9:
	s_ashr_i32 s0, s6, 31
	v_cmp_eq_f32_e64 s20, s7, 0
	s_mul_hi_u32 s16, s2, s6
	s_mul_i32 s0, s2, s0
	v_mov_b32_e32 v1, 0
	s_add_i32 s0, s16, s0
	s_mul_i32 s16, s3, s6
	s_and_b32 vcc_lo, exec_lo, s20
	s_add_i32 s17, s0, s16
	s_mul_i32 s16, s2, s6
	s_cbranch_vccnz .LBB225_11
; %bb.10:
	s_lshl_b64 s[24:25], s[16:17], 2
	s_add_u32 s24, s1, s24
	s_addc_u32 s25, s19, s25
	v_mov_b32_e32 v1, s24
	v_mov_b32_e32 v2, s25
	flat_load_dword v1, v[1:2]
	s_waitcnt vmcnt(0) lgkmcnt(0)
	v_mul_f32_e32 v1, s7, v1
.LBB225_11:
	s_mov_b32 s20, exec_lo
	s_or_b32 exec_lo, exec_lo, s22
	s_and_b32 vcc_lo, exec_lo, s21
	s_cbranch_vccnz .LBB225_14
	s_branch .LBB225_33
.LBB225_12:
	s_mov_b32 s20, 0
                                        ; implicit-def: $vgpr1
                                        ; implicit-def: $sgpr16_sgpr17
	s_cbranch_execnz .LBB225_14
	s_branch .LBB225_33
.LBB225_13:
	s_or_b32 exec_lo, exec_lo, s22
	s_and_b32 vcc_lo, exec_lo, s21
	s_cbranch_vccz .LBB225_33
.LBB225_14:
	s_load_dword s5, s[4:5], 0x0
	s_ashr_i32 s21, s6, 31
	s_mul_hi_u32 s0, s12, s6
	s_mul_i32 s4, s13, s6
	s_mul_i32 s13, s12, s21
	;; [unrolled: 1-line block ×3, first 2 shown]
	s_add_i32 s0, s0, s13
	v_mov_b32_e32 v7, 0
	s_add_i32 s13, s0, s4
	s_lshl_b64 s[12:13], s[12:13], 2
	s_waitcnt lgkmcnt(0)
	v_cmp_gt_i32_e32 vcc_lo, s5, v0
	s_ashr_i32 s0, s5, 31
	s_lshr_b32 s0, s0, 22
	s_add_i32 s0, s5, s0
	v_cndmask_b32_e32 v1, 0, v0, vcc_lo
	v_lshlrev_b32_e32 v1, 2, v1
	v_add_co_u32 v1, s4, s14, v1
	v_add_co_ci_u32_e64 v2, null, s15, 0, s4
	s_and_b32 s4, s0, 0xfffffc00
	v_add_co_u32 v1, vcc_lo, v1, s12
	v_add_co_ci_u32_e64 v2, null, s13, v2, vcc_lo
	s_mov_b32 s15, 0
	s_mov_b32 s14, exec_lo
	v_cmpx_gt_i32_e64 s4, v0
	s_cbranch_execz .LBB225_18
; %bb.15:
	v_mad_u64_u32 v[3:4], null, s10, v0, 0
	v_mov_b32_e32 v7, 0
	v_mov_b32_e32 v8, v0
	s_lshl_b64 s[12:13], s[10:11], 12
	v_mad_u64_u32 v[4:5], null, s11, v0, v[4:5]
	v_lshlrev_b64 v[5:6], 2, v[3:4]
	v_mov_b32_e32 v4, v2
	v_mov_b32_e32 v3, v1
	v_add_co_u32 v5, vcc_lo, s8, v5
	v_add_co_ci_u32_e64 v6, null, s9, v6, vcc_lo
	.p2align	6
.LBB225_16:                             ; =>This Inner Loop Header: Depth=1
	flat_load_dword v9, v[3:4]
	flat_load_dword v10, v[5:6]
	v_add_nc_u32_e32 v8, 0x400, v8
	v_add_co_u32 v3, vcc_lo, 0x1000, v3
	v_add_co_ci_u32_e64 v4, null, 0, v4, vcc_lo
	v_add_co_u32 v5, vcc_lo, v5, s12
	v_cmp_le_i32_e64 s0, s4, v8
	v_add_co_ci_u32_e64 v6, null, s13, v6, vcc_lo
	s_or_b32 s15, s0, s15
	s_waitcnt vmcnt(0) lgkmcnt(0)
	v_fmac_f32_e32 v7, v9, v10
	s_andn2_b32 exec_lo, exec_lo, s15
	s_cbranch_execnz .LBB225_16
; %bb.17:
	s_or_b32 exec_lo, exec_lo, s15
.LBB225_18:
	s_or_b32 exec_lo, exec_lo, s14
	v_or_b32_e32 v3, s4, v0
	s_mov_b32 s0, exec_lo
	v_cmpx_gt_i32_e64 s5, v3
	s_cbranch_execz .LBB225_20
; %bb.19:
	v_ashrrev_i32_e32 v5, 31, v3
	v_mul_lo_u32 v6, s11, v3
	v_mad_u64_u32 v[3:4], null, s10, v3, 0
	s_ashr_i32 s5, s4, 31
	v_mul_lo_u32 v5, s10, v5
	s_lshl_b64 s[4:5], s[4:5], 2
	v_add_co_u32 v1, vcc_lo, v1, s4
	v_add_co_ci_u32_e64 v2, null, s5, v2, vcc_lo
	v_add3_u32 v4, v4, v5, v6
	v_lshlrev_b64 v[3:4], 2, v[3:4]
	v_add_co_u32 v3, vcc_lo, s8, v3
	v_add_co_ci_u32_e64 v4, null, s9, v4, vcc_lo
	flat_load_dword v1, v[1:2]
	flat_load_dword v2, v[3:4]
	s_waitcnt vmcnt(0) lgkmcnt(0)
	v_fmac_f32_e32 v7, v1, v2
.LBB225_20:
	s_or_b32 exec_lo, exec_lo, s0
	v_and_b32_e32 v8, 31, v0
	v_cmp_gt_u32_e32 vcc_lo, 32, v0
	v_lshlrev_b32_e32 v1, 2, v8
	s_and_saveexec_b32 s0, vcc_lo
; %bb.21:
	v_mov_b32_e32 v2, 0
	ds_write_b32 v1, v2
; %bb.22:
	s_or_b32 exec_lo, exec_lo, s0
	v_mbcnt_lo_u32_b32 v6, -1, 0
	s_mov_b32 s4, exec_lo
	s_waitcnt lgkmcnt(0)
	s_barrier
	buffer_gl0_inv
	v_lshl_or_b32 v2, v6, 2, 64
	v_cmp_gt_u32_e64 s0, 24, v6
	ds_bpermute_b32 v4, v2, v7
	v_cndmask_b32_e64 v3, 0, 8, s0
	v_cmp_gt_u32_e64 s0, 28, v6
	v_add_lshl_u32 v3, v3, v6, 2
	s_waitcnt lgkmcnt(0)
	v_add_f32_e32 v5, v7, v4
	v_cndmask_b32_e64 v4, 0, 4, s0
	v_cmp_gt_u32_e64 s0, 30, v6
	ds_bpermute_b32 v7, v3, v5
	v_add_lshl_u32 v4, v4, v6, 2
	s_waitcnt lgkmcnt(0)
	v_add_f32_e32 v7, v5, v7
	v_cndmask_b32_e64 v5, 0, 2, s0
	v_cmp_ne_u32_e64 s0, 31, v6
	ds_bpermute_b32 v9, v4, v7
	v_add_lshl_u32 v5, v5, v6, 2
	v_add_co_ci_u32_e64 v6, null, 0, v6, s0
	v_lshlrev_b32_e32 v6, 2, v6
	s_waitcnt lgkmcnt(0)
	v_add_f32_e32 v7, v7, v9
	ds_bpermute_b32 v9, v5, v7
	s_waitcnt lgkmcnt(0)
	v_add_f32_e32 v7, v7, v9
	ds_bpermute_b32 v9, v6, v7
	v_cmpx_eq_u32_e32 0, v8
	s_cbranch_execz .LBB225_24
; %bb.23:
	v_lshrrev_b32_e32 v8, 3, v0
	s_waitcnt lgkmcnt(0)
	v_add_f32_e32 v7, v7, v9
	v_and_b32_e32 v8, 0x7c, v8
	ds_write_b32 v8, v7
.LBB225_24:
	s_or_b32 exec_lo, exec_lo, s4
	v_mov_b32_e32 v7, 0
	s_waitcnt lgkmcnt(0)
	s_barrier
	buffer_gl0_inv
	s_and_saveexec_b32 s0, vcc_lo
; %bb.25:
	ds_read_b32 v7, v1
; %bb.26:
	s_or_b32 exec_lo, exec_lo, s0
	s_and_saveexec_b32 s0, vcc_lo
	s_cbranch_execz .LBB225_28
; %bb.27:
	s_waitcnt lgkmcnt(0)
	ds_bpermute_b32 v1, v2, v7
	s_waitcnt lgkmcnt(0)
	v_add_f32_e32 v1, v7, v1
	ds_bpermute_b32 v2, v3, v1
	s_waitcnt lgkmcnt(0)
	v_add_f32_e32 v1, v1, v2
	;; [unrolled: 3-line block ×5, first 2 shown]
.LBB225_28:
	s_or_b32 exec_lo, exec_lo, s0
	s_mov_b32 s0, exec_lo
                                        ; implicit-def: $vgpr1
                                        ; implicit-def: $sgpr16_sgpr17
	v_cmpx_eq_u32_e32 0, v0
	s_cbranch_execz .LBB225_32
; %bb.29:
	v_cmp_eq_f32_e64 s8, s7, 0
	s_mul_i32 s4, s2, s21
	s_mul_hi_u32 s5, s2, s6
	s_waitcnt lgkmcnt(0)
	v_mul_f32_e32 v1, s18, v7
	s_add_i32 s4, s5, s4
	s_mul_i32 s3, s3, s6
	s_and_b32 vcc_lo, exec_lo, s8
	s_add_i32 s17, s4, s3
	s_mul_i32 s16, s2, s6
	s_cbranch_vccnz .LBB225_31
; %bb.30:
	s_lshl_b64 s[2:3], s[16:17], 2
	s_add_u32 s2, s1, s2
	s_addc_u32 s3, s19, s3
	v_mov_b32_e32 v2, s2
	v_mov_b32_e32 v3, s3
	flat_load_dword v0, v[2:3]
	s_waitcnt vmcnt(0) lgkmcnt(0)
	v_fmac_f32_e32 v1, s7, v0
.LBB225_31:
	s_or_b32 s20, s20, exec_lo
.LBB225_32:
	s_or_b32 exec_lo, exec_lo, s0
.LBB225_33:
	s_and_saveexec_b32 s0, s20
	s_cbranch_execz .LBB225_35
; %bb.34:
	s_lshl_b64 s[2:3], s[16:17], 2
	s_add_u32 s0, s1, s2
	s_addc_u32 s1, s19, s3
	v_mov_b32_e32 v3, s1
	v_mov_b32_e32 v2, s0
	flat_store_dword v[2:3], v1
.LBB225_35:
	s_endpgm
	.section	.rodata,"a",@progbits
	.p2align	6, 0x0
	.amdhsa_kernel _ZL32rocblas_gemvt_warp_reduce_kernelILb0ELi1024ElPKffKPfEviiT3_lPKT2_lT1_lS7_lS8_lS4_lPT4_lS8_li
		.amdhsa_group_segment_fixed_size 128
		.amdhsa_private_segment_fixed_size 0
		.amdhsa_kernarg_size 140
		.amdhsa_user_sgpr_count 6
		.amdhsa_user_sgpr_private_segment_buffer 1
		.amdhsa_user_sgpr_dispatch_ptr 0
		.amdhsa_user_sgpr_queue_ptr 0
		.amdhsa_user_sgpr_kernarg_segment_ptr 1
		.amdhsa_user_sgpr_dispatch_id 0
		.amdhsa_user_sgpr_flat_scratch_init 0
		.amdhsa_user_sgpr_private_segment_size 0
		.amdhsa_wavefront_size32 1
		.amdhsa_uses_dynamic_stack 0
		.amdhsa_system_sgpr_private_segment_wavefront_offset 0
		.amdhsa_system_sgpr_workgroup_id_x 1
		.amdhsa_system_sgpr_workgroup_id_y 0
		.amdhsa_system_sgpr_workgroup_id_z 1
		.amdhsa_system_sgpr_workgroup_info 0
		.amdhsa_system_vgpr_workitem_id 0
		.amdhsa_next_free_vgpr 11
		.amdhsa_next_free_sgpr 28
		.amdhsa_reserve_vcc 1
		.amdhsa_reserve_flat_scratch 0
		.amdhsa_float_round_mode_32 0
		.amdhsa_float_round_mode_16_64 0
		.amdhsa_float_denorm_mode_32 3
		.amdhsa_float_denorm_mode_16_64 3
		.amdhsa_dx10_clamp 1
		.amdhsa_ieee_mode 1
		.amdhsa_fp16_overflow 0
		.amdhsa_workgroup_processor_mode 1
		.amdhsa_memory_ordered 1
		.amdhsa_forward_progress 1
		.amdhsa_shared_vgpr_count 0
		.amdhsa_exception_fp_ieee_invalid_op 0
		.amdhsa_exception_fp_denorm_src 0
		.amdhsa_exception_fp_ieee_div_zero 0
		.amdhsa_exception_fp_ieee_overflow 0
		.amdhsa_exception_fp_ieee_underflow 0
		.amdhsa_exception_fp_ieee_inexact 0
		.amdhsa_exception_int_div_zero 0
	.end_amdhsa_kernel
	.section	.text._ZL32rocblas_gemvt_warp_reduce_kernelILb0ELi1024ElPKffKPfEviiT3_lPKT2_lT1_lS7_lS8_lS4_lPT4_lS8_li,"axG",@progbits,_ZL32rocblas_gemvt_warp_reduce_kernelILb0ELi1024ElPKffKPfEviiT3_lPKT2_lT1_lS7_lS8_lS4_lPT4_lS8_li,comdat
.Lfunc_end225:
	.size	_ZL32rocblas_gemvt_warp_reduce_kernelILb0ELi1024ElPKffKPfEviiT3_lPKT2_lT1_lS7_lS8_lS4_lPT4_lS8_li, .Lfunc_end225-_ZL32rocblas_gemvt_warp_reduce_kernelILb0ELi1024ElPKffKPfEviiT3_lPKT2_lT1_lS7_lS8_lS4_lPT4_lS8_li
                                        ; -- End function
	.set _ZL32rocblas_gemvt_warp_reduce_kernelILb0ELi1024ElPKffKPfEviiT3_lPKT2_lT1_lS7_lS8_lS4_lPT4_lS8_li.num_vgpr, 11
	.set _ZL32rocblas_gemvt_warp_reduce_kernelILb0ELi1024ElPKffKPfEviiT3_lPKT2_lT1_lS7_lS8_lS4_lPT4_lS8_li.num_agpr, 0
	.set _ZL32rocblas_gemvt_warp_reduce_kernelILb0ELi1024ElPKffKPfEviiT3_lPKT2_lT1_lS7_lS8_lS4_lPT4_lS8_li.numbered_sgpr, 28
	.set _ZL32rocblas_gemvt_warp_reduce_kernelILb0ELi1024ElPKffKPfEviiT3_lPKT2_lT1_lS7_lS8_lS4_lPT4_lS8_li.num_named_barrier, 0
	.set _ZL32rocblas_gemvt_warp_reduce_kernelILb0ELi1024ElPKffKPfEviiT3_lPKT2_lT1_lS7_lS8_lS4_lPT4_lS8_li.private_seg_size, 0
	.set _ZL32rocblas_gemvt_warp_reduce_kernelILb0ELi1024ElPKffKPfEviiT3_lPKT2_lT1_lS7_lS8_lS4_lPT4_lS8_li.uses_vcc, 1
	.set _ZL32rocblas_gemvt_warp_reduce_kernelILb0ELi1024ElPKffKPfEviiT3_lPKT2_lT1_lS7_lS8_lS4_lPT4_lS8_li.uses_flat_scratch, 0
	.set _ZL32rocblas_gemvt_warp_reduce_kernelILb0ELi1024ElPKffKPfEviiT3_lPKT2_lT1_lS7_lS8_lS4_lPT4_lS8_li.has_dyn_sized_stack, 0
	.set _ZL32rocblas_gemvt_warp_reduce_kernelILb0ELi1024ElPKffKPfEviiT3_lPKT2_lT1_lS7_lS8_lS4_lPT4_lS8_li.has_recursion, 0
	.set _ZL32rocblas_gemvt_warp_reduce_kernelILb0ELi1024ElPKffKPfEviiT3_lPKT2_lT1_lS7_lS8_lS4_lPT4_lS8_li.has_indirect_call, 0
	.section	.AMDGPU.csdata,"",@progbits
; Kernel info:
; codeLenInByte = 1480
; TotalNumSgprs: 30
; NumVgprs: 11
; ScratchSize: 0
; MemoryBound: 0
; FloatMode: 240
; IeeeMode: 1
; LDSByteSize: 128 bytes/workgroup (compile time only)
; SGPRBlocks: 0
; VGPRBlocks: 1
; NumSGPRsForWavesPerEU: 30
; NumVGPRsForWavesPerEU: 11
; Occupancy: 16
; WaveLimiterHint : 1
; COMPUTE_PGM_RSRC2:SCRATCH_EN: 0
; COMPUTE_PGM_RSRC2:USER_SGPR: 6
; COMPUTE_PGM_RSRC2:TRAP_HANDLER: 0
; COMPUTE_PGM_RSRC2:TGID_X_EN: 1
; COMPUTE_PGM_RSRC2:TGID_Y_EN: 0
; COMPUTE_PGM_RSRC2:TGID_Z_EN: 1
; COMPUTE_PGM_RSRC2:TIDIG_COMP_CNT: 0
	.section	.text._ZL22rocblas_gemvtsm_kernelILb1ELi256EPKfS1_KPfEviiT2_lPKT1_lilS7_lilS4_lPT3_lil,"axG",@progbits,_ZL22rocblas_gemvtsm_kernelILb1ELi256EPKfS1_KPfEviiT2_lPKT1_lilS7_lilS4_lPT3_lil,comdat
	.globl	_ZL22rocblas_gemvtsm_kernelILb1ELi256EPKfS1_KPfEviiT2_lPKT1_lilS7_lilS4_lPT3_lil ; -- Begin function _ZL22rocblas_gemvtsm_kernelILb1ELi256EPKfS1_KPfEviiT2_lPKT1_lilS7_lilS4_lPT3_lil
	.p2align	8
	.type	_ZL22rocblas_gemvtsm_kernelILb1ELi256EPKfS1_KPfEviiT2_lPKT1_lilS7_lilS4_lPT3_lil,@function
_ZL22rocblas_gemvtsm_kernelILb1ELi256EPKfS1_KPfEviiT2_lPKT1_lilS7_lilS4_lPT3_lil: ; @_ZL22rocblas_gemvtsm_kernelILb1ELi256EPKfS1_KPfEviiT2_lPKT1_lilS7_lilS4_lPT3_lil
; %bb.0:
	s_clause 0x1
	s_load_dwordx8 s[16:23], s[4:5], 0x8
	s_load_dwordx8 s[8:15], s[4:5], 0x58
	s_mov_b32 s7, 0
	s_waitcnt lgkmcnt(0)
	s_mul_i32 s1, s19, s6
	s_mul_hi_u32 s2, s18, s6
	s_mul_i32 s0, s18, s6
	s_add_i32 s1, s2, s1
	s_mul_i32 s2, s11, s6
	s_lshl_b64 s[0:1], s[0:1], 2
	s_mul_hi_u32 s3, s10, s6
	s_add_u32 s0, s16, s0
	s_addc_u32 s1, s17, s1
	s_add_i32 s3, s3, s2
	s_mul_i32 s2, s10, s6
	s_lshl_b64 s[2:3], s[2:3], 2
	s_add_u32 s2, s8, s2
	s_addc_u32 s3, s9, s3
	s_load_dword s17, s[0:1], 0x0
	s_load_dword s16, s[2:3], 0x0
	s_waitcnt lgkmcnt(0)
	v_cmp_eq_f32_e64 s0, s17, 0
	v_cmp_eq_f32_e64 s1, s16, 1.0
	s_and_b32 s1, s0, s1
	s_and_b32 vcc_lo, exec_lo, s1
	s_cbranch_vccnz .LBB226_38
; %bb.1:
	v_cmp_neq_f32_e64 s1, s17, 0
	s_mov_b64 s[10:11], 0
	s_and_b32 vcc_lo, exec_lo, s0
	s_mov_b64 s[8:9], 0
	s_cbranch_vccnz .LBB226_3
; %bb.2:
	s_lshl_b64 s[2:3], s[6:7], 3
	s_add_u32 s2, s20, s2
	s_addc_u32 s3, s21, s3
	s_lshl_b64 s[8:9], s[22:23], 2
	s_load_dwordx2 s[2:3], s[2:3], 0x0
	s_waitcnt lgkmcnt(0)
	s_add_u32 s8, s2, s8
	s_addc_u32 s9, s3, s9
.LBB226_3:
	s_andn2_b32 vcc_lo, exec_lo, s1
	s_cbranch_vccnz .LBB226_5
; %bb.4:
	s_load_dwordx4 s[20:23], s[4:5], 0x38
	s_lshl_b64 s[2:3], s[6:7], 3
	s_waitcnt lgkmcnt(0)
	s_add_u32 s2, s20, s2
	s_addc_u32 s3, s21, s3
	s_lshl_b64 s[10:11], s[22:23], 2
	s_load_dwordx2 s[2:3], s[2:3], 0x0
	s_waitcnt lgkmcnt(0)
	s_add_u32 s10, s2, s10
	s_addc_u32 s11, s3, s11
.LBB226_5:
	s_lshl_b64 s[2:3], s[6:7], 3
	s_add_u32 s12, s12, s2
	s_addc_u32 s13, s13, s3
	s_clause 0x1
	s_load_dwordx2 s[2:3], s[4:5], 0x0
	s_load_dword s6, s[4:5], 0x78
	s_load_dwordx2 s[12:13], s[12:13], 0x0
	s_andn2_b32 vcc_lo, exec_lo, s0
	s_mov_b32 s0, -1
	s_cbranch_vccnz .LBB226_20
; %bb.6:
	s_waitcnt lgkmcnt(0)
	s_cmp_gt_i32 s3, 0
	v_cmp_neq_f32_e64 s0, s16, 0
	s_cselect_b32 s18, -1, 0
	v_cndmask_b32_e64 v1, 0, 1, s18
	s_and_b32 vcc_lo, exec_lo, s0
	v_cmp_ne_u32_e64 s0, 1, v1
	s_cbranch_vccnz .LBB226_13
; %bb.7:
	s_and_b32 vcc_lo, exec_lo, s0
	s_cbranch_vccnz .LBB226_12
; %bb.8:
	v_mad_i64_i32 v[1:2], null, s6, v0, 0
	s_lshl_b64 s[0:1], s[14:15], 2
	s_ashr_i32 s7, s6, 31
	s_add_u32 s0, s12, s0
	s_addc_u32 s1, s13, s1
	v_mov_b32_e32 v3, 0
	v_lshlrev_b64 v[1:2], 2, v[1:2]
	v_add_co_u32 v1, vcc_lo, s0, v1
	v_add_co_ci_u32_e64 v2, null, s1, v2, vcc_lo
	s_lshl_b64 s[0:1], s[6:7], 10
	s_mov_b32 s7, 0
	s_branch .LBB226_10
.LBB226_9:                              ;   in Loop: Header=BB226_10 Depth=1
	s_or_b32 exec_lo, exec_lo, s19
	v_add_co_u32 v1, vcc_lo, v1, s0
	v_add_co_ci_u32_e64 v2, null, s1, v2, vcc_lo
	s_addk_i32 s7, 0x100
	s_cmp_ge_i32 s7, s3
	s_cbranch_scc1 .LBB226_12
.LBB226_10:                             ; =>This Inner Loop Header: Depth=1
	v_add_nc_u32_e32 v4, s7, v0
	s_mov_b32 s19, exec_lo
	v_cmpx_gt_i32_e64 s3, v4
	s_cbranch_execz .LBB226_9
; %bb.11:                               ;   in Loop: Header=BB226_10 Depth=1
	flat_store_dword v[1:2], v3
	s_branch .LBB226_9
.LBB226_12:
	s_cbranch_execz .LBB226_14
	s_branch .LBB226_19
.LBB226_13:
.LBB226_14:
	s_andn2_b32 vcc_lo, exec_lo, s18
	s_cbranch_vccnz .LBB226_19
; %bb.15:
	v_mad_i64_i32 v[1:2], null, s6, v0, 0
	s_lshl_b64 s[0:1], s[14:15], 2
	s_ashr_i32 s7, s6, 31
	s_add_u32 s0, s12, s0
	s_addc_u32 s1, s13, s1
	v_lshlrev_b64 v[1:2], 2, v[1:2]
	v_add_co_u32 v1, vcc_lo, s0, v1
	v_add_co_ci_u32_e64 v2, null, s1, v2, vcc_lo
	s_lshl_b64 s[0:1], s[6:7], 10
	s_mov_b32 s7, 0
	s_branch .LBB226_17
	.p2align	6
.LBB226_16:                             ;   in Loop: Header=BB226_17 Depth=1
	s_or_b32 exec_lo, exec_lo, s18
	v_add_co_u32 v1, vcc_lo, v1, s0
	v_add_co_ci_u32_e64 v2, null, s1, v2, vcc_lo
	s_addk_i32 s7, 0x100
	s_cmp_ge_i32 s7, s3
	s_cbranch_scc1 .LBB226_19
.LBB226_17:                             ; =>This Inner Loop Header: Depth=1
	v_add_nc_u32_e32 v3, s7, v0
	s_mov_b32 s18, exec_lo
	v_cmpx_gt_i32_e64 s3, v3
	s_cbranch_execz .LBB226_16
; %bb.18:                               ;   in Loop: Header=BB226_17 Depth=1
	flat_load_dword v3, v[1:2]
	s_waitcnt vmcnt(0) lgkmcnt(0)
	v_mul_f32_e32 v3, s16, v3
	flat_store_dword v[1:2], v3
	s_branch .LBB226_16
.LBB226_19:
	s_mov_b32 s0, 0
.LBB226_20:
	s_andn2_b32 vcc_lo, exec_lo, s0
	s_cbranch_vccnz .LBB226_38
; %bb.21:
	s_mov_b32 s0, exec_lo
	s_waitcnt lgkmcnt(0)
	v_cmpx_gt_i32_e64 s2, v0
	s_cbranch_execz .LBB226_23
; %bb.22:
	s_load_dword s1, s[4:5], 0x48
	s_waitcnt lgkmcnt(0)
	v_mad_i64_i32 v[1:2], null, s1, v0, 0
	v_lshlrev_b64 v[1:2], 2, v[1:2]
	v_add_co_u32 v1, vcc_lo, s10, v1
	v_add_co_ci_u32_e64 v2, null, s11, v2, vcc_lo
	flat_load_dword v1, v[1:2]
	v_lshlrev_b32_e32 v2, 2, v0
	s_waitcnt vmcnt(0) lgkmcnt(0)
	v_mul_f32_e32 v1, s17, v1
	ds_write_b32 v2, v1
.LBB226_23:
	s_or_b32 exec_lo, exec_lo, s0
	s_cmp_lt_i32 s3, 1
	s_waitcnt lgkmcnt(0)
	s_waitcnt_vscnt null, 0x0
	s_barrier
	buffer_gl0_inv
	s_cbranch_scc1 .LBB226_38
; %bb.24:
	s_load_dword s4, s[4:5], 0x28
	s_lshl_b64 s[0:1], s[14:15], 2
	s_add_u32 s7, s12, s0
	s_addc_u32 s10, s13, s1
	s_ashr_i32 s11, s6, 31
	v_cmp_neq_f32_e64 s12, s16, 0
	s_mov_b32 s1, 0
	s_waitcnt lgkmcnt(0)
	v_mad_i64_i32 v[1:2], null, s4, v0, 0
	s_ashr_i32 s5, s4, 31
	s_cmp_gt_i32 s2, 0
	s_cselect_b32 s13, -1, 0
	s_and_b32 s14, s2, 7
	s_cmp_gt_u32 s2, 7
	v_lshlrev_b64 v[1:2], 2, v[1:2]
	s_cselect_b32 s15, -1, 0
	s_and_b32 s2, s2, 0x7ffffff8
	s_cmp_lg_u32 s14, 0
	v_add_co_u32 v1, vcc_lo, s8, v1
	v_add_co_ci_u32_e64 v2, null, s9, v2, vcc_lo
	s_cselect_b32 s8, -1, 0
	s_lshl_b64 s[4:5], s[4:5], 10
	s_mov_b32 s9, 0
	s_branch .LBB226_27
.LBB226_25:                             ;   in Loop: Header=BB226_27 Depth=1
	v_add_co_u32 v3, vcc_lo, s7, v3
	v_add_co_ci_u32_e64 v4, null, s10, v4, vcc_lo
	flat_store_dword v[3:4], v7
.LBB226_26:                             ;   in Loop: Header=BB226_27 Depth=1
	s_or_b32 exec_lo, exec_lo, s17
	v_add_co_u32 v1, vcc_lo, v1, s4
	v_add_co_ci_u32_e64 v2, null, s5, v2, vcc_lo
	s_addk_i32 s9, 0x100
	s_cmp_ge_i32 s9, s3
	s_cbranch_scc1 .LBB226_38
.LBB226_27:                             ; =>This Loop Header: Depth=1
                                        ;     Child Loop BB226_33 Depth 2
                                        ;     Child Loop BB226_37 Depth 2
	v_add_nc_u32_e32 v3, s9, v0
	s_mov_b32 s17, exec_lo
	v_cmpx_gt_i32_e64 s3, v3
	s_cbranch_execz .LBB226_26
; %bb.28:                               ;   in Loop: Header=BB226_27 Depth=1
	v_mad_u64_u32 v[4:5], null, v3, s6, 0
	s_andn2_b32 vcc_lo, exec_lo, s12
	v_mad_u64_u32 v[5:6], null, v3, s11, v[5:6]
	v_lshlrev_b64 v[3:4], 2, v[4:5]
	s_cbranch_vccnz .LBB226_30
; %bb.29:                               ;   in Loop: Header=BB226_27 Depth=1
	v_add_co_u32 v5, vcc_lo, s7, v3
	v_add_co_ci_u32_e64 v6, null, s10, v4, vcc_lo
	flat_load_dword v5, v[5:6]
	s_waitcnt vmcnt(0) lgkmcnt(0)
	v_mul_f32_e32 v7, s16, v5
	s_andn2_b32 vcc_lo, exec_lo, s13
	s_cbranch_vccz .LBB226_31
	s_branch .LBB226_25
.LBB226_30:                             ;   in Loop: Header=BB226_27 Depth=1
	v_mov_b32_e32 v7, 0
	s_andn2_b32 vcc_lo, exec_lo, s13
	s_cbranch_vccnz .LBB226_25
.LBB226_31:                             ;   in Loop: Header=BB226_27 Depth=1
	s_andn2_b32 vcc_lo, exec_lo, s15
	s_mov_b32 s0, 0
	s_cbranch_vccnz .LBB226_35
; %bb.32:                               ;   in Loop: Header=BB226_27 Depth=1
	v_mov_b32_e32 v6, v2
	v_mov_b32_e32 v5, v1
	s_mov_b32 s18, 0
	.p2align	6
.LBB226_33:                             ;   Parent Loop BB226_27 Depth=1
                                        ; =>  This Inner Loop Header: Depth=2
	s_clause 0x1
	flat_load_dwordx4 v[8:11], v[5:6]
	flat_load_dwordx4 v[12:15], v[5:6] offset:16
	v_mov_b32_e32 v20, s0
	v_add_co_u32 v5, vcc_lo, v5, 32
	v_add_co_ci_u32_e64 v6, null, 0, v6, vcc_lo
	ds_read_b128 v[16:19], v20
	ds_read_b128 v[20:23], v20 offset:16
	s_add_i32 s18, s18, 8
	s_add_i32 s0, s0, 32
	s_cmp_eq_u32 s2, s18
	s_waitcnt vmcnt(1) lgkmcnt(1)
	v_fmac_f32_e32 v7, v16, v8
	v_fmac_f32_e32 v7, v17, v9
	;; [unrolled: 1-line block ×4, first 2 shown]
	s_waitcnt vmcnt(0) lgkmcnt(0)
	v_fmac_f32_e32 v7, v20, v12
	v_fmac_f32_e32 v7, v21, v13
	;; [unrolled: 1-line block ×4, first 2 shown]
	s_cbranch_scc0 .LBB226_33
; %bb.34:                               ;   in Loop: Header=BB226_27 Depth=1
	s_mov_b32 s0, s2
.LBB226_35:                             ;   in Loop: Header=BB226_27 Depth=1
	s_andn2_b32 vcc_lo, exec_lo, s8
	s_cbranch_vccnz .LBB226_25
; %bb.36:                               ;   in Loop: Header=BB226_27 Depth=1
	s_lshl_b64 s[18:19], s[0:1], 2
	s_lshl_b32 s0, s0, 2
	v_add_co_u32 v5, vcc_lo, v1, s18
	v_add_co_ci_u32_e64 v6, null, s19, v2, vcc_lo
	s_mov_b32 s18, s14
.LBB226_37:                             ;   Parent Loop BB226_27 Depth=1
                                        ; =>  This Inner Loop Header: Depth=2
	flat_load_dword v8, v[5:6]
	v_mov_b32_e32 v9, s0
	v_add_co_u32 v5, vcc_lo, v5, 4
	v_add_co_ci_u32_e64 v6, null, 0, v6, vcc_lo
	ds_read_b32 v9, v9
	s_add_i32 s18, s18, -1
	s_add_i32 s0, s0, 4
	s_cmp_lg_u32 s18, 0
	s_waitcnt vmcnt(0) lgkmcnt(0)
	v_fmac_f32_e32 v7, v9, v8
	s_cbranch_scc1 .LBB226_37
	s_branch .LBB226_25
.LBB226_38:
	s_endpgm
	.section	.rodata,"a",@progbits
	.p2align	6, 0x0
	.amdhsa_kernel _ZL22rocblas_gemvtsm_kernelILb1ELi256EPKfS1_KPfEviiT2_lPKT1_lilS7_lilS4_lPT3_lil
		.amdhsa_group_segment_fixed_size 256
		.amdhsa_private_segment_fixed_size 0
		.amdhsa_kernarg_size 136
		.amdhsa_user_sgpr_count 6
		.amdhsa_user_sgpr_private_segment_buffer 1
		.amdhsa_user_sgpr_dispatch_ptr 0
		.amdhsa_user_sgpr_queue_ptr 0
		.amdhsa_user_sgpr_kernarg_segment_ptr 1
		.amdhsa_user_sgpr_dispatch_id 0
		.amdhsa_user_sgpr_flat_scratch_init 0
		.amdhsa_user_sgpr_private_segment_size 0
		.amdhsa_wavefront_size32 1
		.amdhsa_uses_dynamic_stack 0
		.amdhsa_system_sgpr_private_segment_wavefront_offset 0
		.amdhsa_system_sgpr_workgroup_id_x 1
		.amdhsa_system_sgpr_workgroup_id_y 0
		.amdhsa_system_sgpr_workgroup_id_z 0
		.amdhsa_system_sgpr_workgroup_info 0
		.amdhsa_system_vgpr_workitem_id 0
		.amdhsa_next_free_vgpr 24
		.amdhsa_next_free_sgpr 24
		.amdhsa_reserve_vcc 1
		.amdhsa_reserve_flat_scratch 1
		.amdhsa_float_round_mode_32 0
		.amdhsa_float_round_mode_16_64 0
		.amdhsa_float_denorm_mode_32 3
		.amdhsa_float_denorm_mode_16_64 3
		.amdhsa_dx10_clamp 1
		.amdhsa_ieee_mode 1
		.amdhsa_fp16_overflow 0
		.amdhsa_workgroup_processor_mode 1
		.amdhsa_memory_ordered 1
		.amdhsa_forward_progress 1
		.amdhsa_shared_vgpr_count 0
		.amdhsa_exception_fp_ieee_invalid_op 0
		.amdhsa_exception_fp_denorm_src 0
		.amdhsa_exception_fp_ieee_div_zero 0
		.amdhsa_exception_fp_ieee_overflow 0
		.amdhsa_exception_fp_ieee_underflow 0
		.amdhsa_exception_fp_ieee_inexact 0
		.amdhsa_exception_int_div_zero 0
	.end_amdhsa_kernel
	.section	.text._ZL22rocblas_gemvtsm_kernelILb1ELi256EPKfS1_KPfEviiT2_lPKT1_lilS7_lilS4_lPT3_lil,"axG",@progbits,_ZL22rocblas_gemvtsm_kernelILb1ELi256EPKfS1_KPfEviiT2_lPKT1_lilS7_lilS4_lPT3_lil,comdat
.Lfunc_end226:
	.size	_ZL22rocblas_gemvtsm_kernelILb1ELi256EPKfS1_KPfEviiT2_lPKT1_lilS7_lilS4_lPT3_lil, .Lfunc_end226-_ZL22rocblas_gemvtsm_kernelILb1ELi256EPKfS1_KPfEviiT2_lPKT1_lilS7_lilS4_lPT3_lil
                                        ; -- End function
	.set _ZL22rocblas_gemvtsm_kernelILb1ELi256EPKfS1_KPfEviiT2_lPKT1_lilS7_lilS4_lPT3_lil.num_vgpr, 24
	.set _ZL22rocblas_gemvtsm_kernelILb1ELi256EPKfS1_KPfEviiT2_lPKT1_lilS7_lilS4_lPT3_lil.num_agpr, 0
	.set _ZL22rocblas_gemvtsm_kernelILb1ELi256EPKfS1_KPfEviiT2_lPKT1_lilS7_lilS4_lPT3_lil.numbered_sgpr, 24
	.set _ZL22rocblas_gemvtsm_kernelILb1ELi256EPKfS1_KPfEviiT2_lPKT1_lilS7_lilS4_lPT3_lil.num_named_barrier, 0
	.set _ZL22rocblas_gemvtsm_kernelILb1ELi256EPKfS1_KPfEviiT2_lPKT1_lilS7_lilS4_lPT3_lil.private_seg_size, 0
	.set _ZL22rocblas_gemvtsm_kernelILb1ELi256EPKfS1_KPfEviiT2_lPKT1_lilS7_lilS4_lPT3_lil.uses_vcc, 1
	.set _ZL22rocblas_gemvtsm_kernelILb1ELi256EPKfS1_KPfEviiT2_lPKT1_lilS7_lilS4_lPT3_lil.uses_flat_scratch, 1
	.set _ZL22rocblas_gemvtsm_kernelILb1ELi256EPKfS1_KPfEviiT2_lPKT1_lilS7_lilS4_lPT3_lil.has_dyn_sized_stack, 0
	.set _ZL22rocblas_gemvtsm_kernelILb1ELi256EPKfS1_KPfEviiT2_lPKT1_lilS7_lilS4_lPT3_lil.has_recursion, 0
	.set _ZL22rocblas_gemvtsm_kernelILb1ELi256EPKfS1_KPfEviiT2_lPKT1_lilS7_lilS4_lPT3_lil.has_indirect_call, 0
	.section	.AMDGPU.csdata,"",@progbits
; Kernel info:
; codeLenInByte = 1372
; TotalNumSgprs: 26
; NumVgprs: 24
; ScratchSize: 0
; MemoryBound: 0
; FloatMode: 240
; IeeeMode: 1
; LDSByteSize: 256 bytes/workgroup (compile time only)
; SGPRBlocks: 0
; VGPRBlocks: 2
; NumSGPRsForWavesPerEU: 26
; NumVGPRsForWavesPerEU: 24
; Occupancy: 16
; WaveLimiterHint : 1
; COMPUTE_PGM_RSRC2:SCRATCH_EN: 0
; COMPUTE_PGM_RSRC2:USER_SGPR: 6
; COMPUTE_PGM_RSRC2:TRAP_HANDLER: 0
; COMPUTE_PGM_RSRC2:TGID_X_EN: 1
; COMPUTE_PGM_RSRC2:TGID_Y_EN: 0
; COMPUTE_PGM_RSRC2:TGID_Z_EN: 0
; COMPUTE_PGM_RSRC2:TIDIG_COMP_CNT: 0
	.section	.text._ZL22rocblas_gemvtsm_kernelILb1ELi256EPKffKPfEviiT2_lPKT1_lilS7_lilS4_lPT3_lil,"axG",@progbits,_ZL22rocblas_gemvtsm_kernelILb1ELi256EPKffKPfEviiT2_lPKT1_lilS7_lilS4_lPT3_lil,comdat
	.globl	_ZL22rocblas_gemvtsm_kernelILb1ELi256EPKffKPfEviiT2_lPKT1_lilS7_lilS4_lPT3_lil ; -- Begin function _ZL22rocblas_gemvtsm_kernelILb1ELi256EPKffKPfEviiT2_lPKT1_lilS7_lilS4_lPT3_lil
	.p2align	8
	.type	_ZL22rocblas_gemvtsm_kernelILb1ELi256EPKffKPfEviiT2_lPKT1_lilS7_lilS4_lPT3_lil,@function
_ZL22rocblas_gemvtsm_kernelILb1ELi256EPKffKPfEviiT2_lPKT1_lilS7_lilS4_lPT3_lil: ; @_ZL22rocblas_gemvtsm_kernelILb1ELi256EPKffKPfEviiT2_lPKT1_lilS7_lilS4_lPT3_lil
; %bb.0:
	s_load_dwordx4 s[8:11], s[4:5], 0x0
	s_waitcnt lgkmcnt(0)
	s_load_dword s11, s[4:5], 0x58
	s_mov_b32 s7, 0
	v_cmp_eq_f32_e64 s18, s10, 0
	s_waitcnt lgkmcnt(0)
	v_cmp_eq_f32_e64 s0, s11, 1.0
	s_and_b32 s0, s18, s0
	s_and_b32 vcc_lo, exec_lo, s0
	s_cbranch_vccnz .LBB227_40
; %bb.1:
	v_cmp_neq_f32_e64 s0, s10, 0
	s_and_b32 vcc_lo, exec_lo, s0
	s_cbranch_vccnz .LBB227_3
; %bb.2:
	s_mov_b32 s17, 0
	s_mov_b32 s16, s6
	;; [unrolled: 1-line block ×3, first 2 shown]
	s_mov_b64 s[14:15], 0
	s_andn2_b32 vcc_lo, exec_lo, s1
	s_mov_b64 s[12:13], 0
	s_cbranch_vccz .LBB227_4
	s_branch .LBB227_5
.LBB227_3:
	s_mov_b64 s[16:17], s[6:7]
	s_mov_b64 s[14:15], 0
	;; [unrolled: 1-line block ×3, first 2 shown]
.LBB227_4:
	s_load_dwordx4 s[20:23], s[4:5], 0x18
	s_lshl_b64 s[2:3], s[6:7], 3
	s_waitcnt lgkmcnt(0)
	s_add_u32 s2, s20, s2
	s_addc_u32 s3, s21, s3
	s_lshl_b64 s[6:7], s[22:23], 2
	s_load_dwordx2 s[2:3], s[2:3], 0x0
	s_waitcnt lgkmcnt(0)
	s_add_u32 s12, s2, s6
	s_addc_u32 s13, s3, s7
.LBB227_5:
	s_andn2_b32 vcc_lo, exec_lo, s0
	s_cbranch_vccnz .LBB227_7
; %bb.6:
	s_load_dwordx4 s[0:3], s[4:5], 0x38
	s_lshl_b64 s[6:7], s[16:17], 3
	s_waitcnt lgkmcnt(0)
	s_add_u32 s0, s0, s6
	s_addc_u32 s1, s1, s7
	s_lshl_b64 s[2:3], s[2:3], 2
	s_load_dwordx2 s[0:1], s[0:1], 0x0
	s_waitcnt lgkmcnt(0)
	s_add_u32 s14, s0, s2
	s_addc_u32 s15, s1, s3
.LBB227_7:
	s_clause 0x1
	s_load_dwordx4 s[0:3], s[4:5], 0x68
	s_load_dword s6, s[4:5], 0x78
	s_lshl_b64 s[16:17], s[16:17], 3
	s_waitcnt lgkmcnt(0)
	s_add_u32 s0, s0, s16
	s_addc_u32 s1, s1, s17
	s_andn2_b32 vcc_lo, exec_lo, s18
	s_load_dwordx2 s[16:17], s[0:1], 0x0
	s_mov_b32 s0, -1
	s_cbranch_vccnz .LBB227_22
; %bb.8:
	s_cmp_gt_i32 s9, 0
	v_cmp_neq_f32_e64 s0, s11, 0
	s_cselect_b32 s18, -1, 0
	v_cndmask_b32_e64 v1, 0, 1, s18
	s_and_b32 vcc_lo, exec_lo, s0
	v_cmp_ne_u32_e64 s0, 1, v1
	s_cbranch_vccnz .LBB227_15
; %bb.9:
	s_and_b32 vcc_lo, exec_lo, s0
	s_cbranch_vccnz .LBB227_14
; %bb.10:
	v_mad_i64_i32 v[1:2], null, s6, v0, 0
	s_lshl_b64 s[0:1], s[2:3], 2
	s_ashr_i32 s7, s6, 31
	s_waitcnt lgkmcnt(0)
	s_add_u32 s0, s16, s0
	s_addc_u32 s1, s17, s1
	v_mov_b32_e32 v3, 0
	v_lshlrev_b64 v[1:2], 2, v[1:2]
	v_add_co_u32 v1, vcc_lo, s0, v1
	v_add_co_ci_u32_e64 v2, null, s1, v2, vcc_lo
	s_lshl_b64 s[0:1], s[6:7], 10
	s_mov_b32 s7, 0
	s_branch .LBB227_12
.LBB227_11:                             ;   in Loop: Header=BB227_12 Depth=1
	s_or_b32 exec_lo, exec_lo, s19
	v_add_co_u32 v1, vcc_lo, v1, s0
	v_add_co_ci_u32_e64 v2, null, s1, v2, vcc_lo
	s_addk_i32 s7, 0x100
	s_cmp_ge_i32 s7, s9
	s_cbranch_scc1 .LBB227_14
.LBB227_12:                             ; =>This Inner Loop Header: Depth=1
	v_add_nc_u32_e32 v4, s7, v0
	s_mov_b32 s19, exec_lo
	v_cmpx_gt_i32_e64 s9, v4
	s_cbranch_execz .LBB227_11
; %bb.13:                               ;   in Loop: Header=BB227_12 Depth=1
	flat_store_dword v[1:2], v3
	s_branch .LBB227_11
.LBB227_14:
	s_cbranch_execz .LBB227_16
	s_branch .LBB227_21
.LBB227_15:
.LBB227_16:
	s_andn2_b32 vcc_lo, exec_lo, s18
	s_cbranch_vccnz .LBB227_21
; %bb.17:
	v_mad_i64_i32 v[1:2], null, s6, v0, 0
	s_lshl_b64 s[0:1], s[2:3], 2
	s_ashr_i32 s7, s6, 31
	s_waitcnt lgkmcnt(0)
	s_add_u32 s0, s16, s0
	s_addc_u32 s1, s17, s1
	v_lshlrev_b64 v[1:2], 2, v[1:2]
	v_add_co_u32 v1, vcc_lo, s0, v1
	v_add_co_ci_u32_e64 v2, null, s1, v2, vcc_lo
	s_lshl_b64 s[0:1], s[6:7], 10
	s_mov_b32 s7, 0
	s_branch .LBB227_19
	.p2align	6
.LBB227_18:                             ;   in Loop: Header=BB227_19 Depth=1
	s_or_b32 exec_lo, exec_lo, s18
	v_add_co_u32 v1, vcc_lo, v1, s0
	v_add_co_ci_u32_e64 v2, null, s1, v2, vcc_lo
	s_addk_i32 s7, 0x100
	s_cmp_ge_i32 s7, s9
	s_cbranch_scc1 .LBB227_21
.LBB227_19:                             ; =>This Inner Loop Header: Depth=1
	v_add_nc_u32_e32 v3, s7, v0
	s_mov_b32 s18, exec_lo
	v_cmpx_gt_i32_e64 s9, v3
	s_cbranch_execz .LBB227_18
; %bb.20:                               ;   in Loop: Header=BB227_19 Depth=1
	flat_load_dword v3, v[1:2]
	s_waitcnt vmcnt(0) lgkmcnt(0)
	v_mul_f32_e32 v3, s11, v3
	flat_store_dword v[1:2], v3
	s_branch .LBB227_18
.LBB227_21:
	s_mov_b32 s0, 0
.LBB227_22:
	s_andn2_b32 vcc_lo, exec_lo, s0
	s_cbranch_vccnz .LBB227_40
; %bb.23:
	s_mov_b32 s0, exec_lo
	v_cmpx_gt_i32_e64 s8, v0
	s_cbranch_execz .LBB227_25
; %bb.24:
	s_load_dword s1, s[4:5], 0x48
	s_waitcnt lgkmcnt(0)
	v_mad_i64_i32 v[1:2], null, s1, v0, 0
	v_lshlrev_b64 v[1:2], 2, v[1:2]
	v_add_co_u32 v1, vcc_lo, s14, v1
	v_add_co_ci_u32_e64 v2, null, s15, v2, vcc_lo
	flat_load_dword v1, v[1:2]
	v_lshlrev_b32_e32 v2, 2, v0
	s_waitcnt vmcnt(0) lgkmcnt(0)
	v_mul_f32_e32 v1, s10, v1
	ds_write_b32 v2, v1
.LBB227_25:
	s_or_b32 exec_lo, exec_lo, s0
	s_cmp_lt_i32 s9, 1
	s_waitcnt lgkmcnt(0)
	s_waitcnt_vscnt null, 0x0
	s_barrier
	buffer_gl0_inv
	s_cbranch_scc1 .LBB227_40
; %bb.26:
	s_load_dword s18, s[4:5], 0x28
	s_lshl_b64 s[0:1], s[2:3], 2
	v_cmp_neq_f32_e64 s10, s11, 0
	s_add_u32 s4, s16, s0
	s_addc_u32 s5, s17, s1
	s_ashr_i32 s7, s6, 31
	s_mov_b32 s1, 0
	s_waitcnt lgkmcnt(0)
	v_mad_i64_i32 v[1:2], null, s18, v0, 0
	s_ashr_i32 s19, s18, 31
	s_cmp_gt_i32 s8, 0
	s_cselect_b32 s14, -1, 0
	s_and_b32 s15, s8, 7
	s_cmp_gt_u32 s8, 7
	v_lshlrev_b64 v[1:2], 2, v[1:2]
	s_cselect_b32 s16, -1, 0
	s_and_b32 s8, s8, 0x7ffffff8
	s_cmp_lg_u32 s15, 0
	v_add_co_u32 v1, vcc_lo, s12, v1
	v_add_co_ci_u32_e64 v2, null, s13, v2, vcc_lo
	s_cselect_b32 s12, -1, 0
	s_lshl_b64 s[2:3], s[18:19], 10
	s_mov_b32 s13, 0
	s_branch .LBB227_29
.LBB227_27:                             ;   in Loop: Header=BB227_29 Depth=1
	v_add_co_u32 v3, vcc_lo, s4, v3
	v_add_co_ci_u32_e64 v4, null, s5, v4, vcc_lo
	flat_store_dword v[3:4], v7
.LBB227_28:                             ;   in Loop: Header=BB227_29 Depth=1
	s_or_b32 exec_lo, exec_lo, s17
	v_add_co_u32 v1, vcc_lo, v1, s2
	v_add_co_ci_u32_e64 v2, null, s3, v2, vcc_lo
	s_addk_i32 s13, 0x100
	s_cmp_ge_i32 s13, s9
	s_cbranch_scc1 .LBB227_40
.LBB227_29:                             ; =>This Loop Header: Depth=1
                                        ;     Child Loop BB227_35 Depth 2
                                        ;     Child Loop BB227_39 Depth 2
	v_add_nc_u32_e32 v3, s13, v0
	s_mov_b32 s17, exec_lo
	v_cmpx_gt_i32_e64 s9, v3
	s_cbranch_execz .LBB227_28
; %bb.30:                               ;   in Loop: Header=BB227_29 Depth=1
	v_mad_u64_u32 v[4:5], null, v3, s6, 0
	s_andn2_b32 vcc_lo, exec_lo, s10
	v_mad_u64_u32 v[5:6], null, v3, s7, v[5:6]
	v_lshlrev_b64 v[3:4], 2, v[4:5]
	s_cbranch_vccnz .LBB227_32
; %bb.31:                               ;   in Loop: Header=BB227_29 Depth=1
	v_add_co_u32 v5, vcc_lo, s4, v3
	v_add_co_ci_u32_e64 v6, null, s5, v4, vcc_lo
	flat_load_dword v5, v[5:6]
	s_waitcnt vmcnt(0) lgkmcnt(0)
	v_mul_f32_e32 v7, s11, v5
	s_andn2_b32 vcc_lo, exec_lo, s14
	s_cbranch_vccz .LBB227_33
	s_branch .LBB227_27
.LBB227_32:                             ;   in Loop: Header=BB227_29 Depth=1
	v_mov_b32_e32 v7, 0
	s_andn2_b32 vcc_lo, exec_lo, s14
	s_cbranch_vccnz .LBB227_27
.LBB227_33:                             ;   in Loop: Header=BB227_29 Depth=1
	s_andn2_b32 vcc_lo, exec_lo, s16
	s_mov_b32 s0, 0
	s_cbranch_vccnz .LBB227_37
; %bb.34:                               ;   in Loop: Header=BB227_29 Depth=1
	v_mov_b32_e32 v6, v2
	v_mov_b32_e32 v5, v1
	s_mov_b32 s18, 0
	.p2align	6
.LBB227_35:                             ;   Parent Loop BB227_29 Depth=1
                                        ; =>  This Inner Loop Header: Depth=2
	s_clause 0x1
	flat_load_dwordx4 v[8:11], v[5:6]
	flat_load_dwordx4 v[12:15], v[5:6] offset:16
	v_mov_b32_e32 v20, s0
	v_add_co_u32 v5, vcc_lo, v5, 32
	v_add_co_ci_u32_e64 v6, null, 0, v6, vcc_lo
	ds_read_b128 v[16:19], v20
	ds_read_b128 v[20:23], v20 offset:16
	s_add_i32 s18, s18, 8
	s_add_i32 s0, s0, 32
	s_cmp_eq_u32 s8, s18
	s_waitcnt vmcnt(1) lgkmcnt(1)
	v_fmac_f32_e32 v7, v16, v8
	v_fmac_f32_e32 v7, v17, v9
	;; [unrolled: 1-line block ×4, first 2 shown]
	s_waitcnt vmcnt(0) lgkmcnt(0)
	v_fmac_f32_e32 v7, v20, v12
	v_fmac_f32_e32 v7, v21, v13
	;; [unrolled: 1-line block ×4, first 2 shown]
	s_cbranch_scc0 .LBB227_35
; %bb.36:                               ;   in Loop: Header=BB227_29 Depth=1
	s_mov_b32 s0, s8
.LBB227_37:                             ;   in Loop: Header=BB227_29 Depth=1
	s_andn2_b32 vcc_lo, exec_lo, s12
	s_cbranch_vccnz .LBB227_27
; %bb.38:                               ;   in Loop: Header=BB227_29 Depth=1
	s_lshl_b64 s[18:19], s[0:1], 2
	s_lshl_b32 s0, s0, 2
	v_add_co_u32 v5, vcc_lo, v1, s18
	v_add_co_ci_u32_e64 v6, null, s19, v2, vcc_lo
	s_mov_b32 s18, s15
.LBB227_39:                             ;   Parent Loop BB227_29 Depth=1
                                        ; =>  This Inner Loop Header: Depth=2
	flat_load_dword v8, v[5:6]
	v_mov_b32_e32 v9, s0
	v_add_co_u32 v5, vcc_lo, v5, 4
	v_add_co_ci_u32_e64 v6, null, 0, v6, vcc_lo
	ds_read_b32 v9, v9
	s_add_i32 s18, s18, -1
	s_add_i32 s0, s0, 4
	s_cmp_lg_u32 s18, 0
	s_waitcnt vmcnt(0) lgkmcnt(0)
	v_fmac_f32_e32 v7, v9, v8
	s_cbranch_scc1 .LBB227_39
	s_branch .LBB227_27
.LBB227_40:
	s_endpgm
	.section	.rodata,"a",@progbits
	.p2align	6, 0x0
	.amdhsa_kernel _ZL22rocblas_gemvtsm_kernelILb1ELi256EPKffKPfEviiT2_lPKT1_lilS7_lilS4_lPT3_lil
		.amdhsa_group_segment_fixed_size 256
		.amdhsa_private_segment_fixed_size 0
		.amdhsa_kernarg_size 136
		.amdhsa_user_sgpr_count 6
		.amdhsa_user_sgpr_private_segment_buffer 1
		.amdhsa_user_sgpr_dispatch_ptr 0
		.amdhsa_user_sgpr_queue_ptr 0
		.amdhsa_user_sgpr_kernarg_segment_ptr 1
		.amdhsa_user_sgpr_dispatch_id 0
		.amdhsa_user_sgpr_flat_scratch_init 0
		.amdhsa_user_sgpr_private_segment_size 0
		.amdhsa_wavefront_size32 1
		.amdhsa_uses_dynamic_stack 0
		.amdhsa_system_sgpr_private_segment_wavefront_offset 0
		.amdhsa_system_sgpr_workgroup_id_x 1
		.amdhsa_system_sgpr_workgroup_id_y 0
		.amdhsa_system_sgpr_workgroup_id_z 0
		.amdhsa_system_sgpr_workgroup_info 0
		.amdhsa_system_vgpr_workitem_id 0
		.amdhsa_next_free_vgpr 24
		.amdhsa_next_free_sgpr 24
		.amdhsa_reserve_vcc 1
		.amdhsa_reserve_flat_scratch 1
		.amdhsa_float_round_mode_32 0
		.amdhsa_float_round_mode_16_64 0
		.amdhsa_float_denorm_mode_32 3
		.amdhsa_float_denorm_mode_16_64 3
		.amdhsa_dx10_clamp 1
		.amdhsa_ieee_mode 1
		.amdhsa_fp16_overflow 0
		.amdhsa_workgroup_processor_mode 1
		.amdhsa_memory_ordered 1
		.amdhsa_forward_progress 1
		.amdhsa_shared_vgpr_count 0
		.amdhsa_exception_fp_ieee_invalid_op 0
		.amdhsa_exception_fp_denorm_src 0
		.amdhsa_exception_fp_ieee_div_zero 0
		.amdhsa_exception_fp_ieee_overflow 0
		.amdhsa_exception_fp_ieee_underflow 0
		.amdhsa_exception_fp_ieee_inexact 0
		.amdhsa_exception_int_div_zero 0
	.end_amdhsa_kernel
	.section	.text._ZL22rocblas_gemvtsm_kernelILb1ELi256EPKffKPfEviiT2_lPKT1_lilS7_lilS4_lPT3_lil,"axG",@progbits,_ZL22rocblas_gemvtsm_kernelILb1ELi256EPKffKPfEviiT2_lPKT1_lilS7_lilS4_lPT3_lil,comdat
.Lfunc_end227:
	.size	_ZL22rocblas_gemvtsm_kernelILb1ELi256EPKffKPfEviiT2_lPKT1_lilS7_lilS4_lPT3_lil, .Lfunc_end227-_ZL22rocblas_gemvtsm_kernelILb1ELi256EPKffKPfEviiT2_lPKT1_lilS7_lilS4_lPT3_lil
                                        ; -- End function
	.set _ZL22rocblas_gemvtsm_kernelILb1ELi256EPKffKPfEviiT2_lPKT1_lilS7_lilS4_lPT3_lil.num_vgpr, 24
	.set _ZL22rocblas_gemvtsm_kernelILb1ELi256EPKffKPfEviiT2_lPKT1_lilS7_lilS4_lPT3_lil.num_agpr, 0
	.set _ZL22rocblas_gemvtsm_kernelILb1ELi256EPKffKPfEviiT2_lPKT1_lilS7_lilS4_lPT3_lil.numbered_sgpr, 24
	.set _ZL22rocblas_gemvtsm_kernelILb1ELi256EPKffKPfEviiT2_lPKT1_lilS7_lilS4_lPT3_lil.num_named_barrier, 0
	.set _ZL22rocblas_gemvtsm_kernelILb1ELi256EPKffKPfEviiT2_lPKT1_lilS7_lilS4_lPT3_lil.private_seg_size, 0
	.set _ZL22rocblas_gemvtsm_kernelILb1ELi256EPKffKPfEviiT2_lPKT1_lilS7_lilS4_lPT3_lil.uses_vcc, 1
	.set _ZL22rocblas_gemvtsm_kernelILb1ELi256EPKffKPfEviiT2_lPKT1_lilS7_lilS4_lPT3_lil.uses_flat_scratch, 1
	.set _ZL22rocblas_gemvtsm_kernelILb1ELi256EPKffKPfEviiT2_lPKT1_lilS7_lilS4_lPT3_lil.has_dyn_sized_stack, 0
	.set _ZL22rocblas_gemvtsm_kernelILb1ELi256EPKffKPfEviiT2_lPKT1_lilS7_lilS4_lPT3_lil.has_recursion, 0
	.set _ZL22rocblas_gemvtsm_kernelILb1ELi256EPKffKPfEviiT2_lPKT1_lilS7_lilS4_lPT3_lil.has_indirect_call, 0
	.section	.AMDGPU.csdata,"",@progbits
; Kernel info:
; codeLenInByte = 1372
; TotalNumSgprs: 26
; NumVgprs: 24
; ScratchSize: 0
; MemoryBound: 0
; FloatMode: 240
; IeeeMode: 1
; LDSByteSize: 256 bytes/workgroup (compile time only)
; SGPRBlocks: 0
; VGPRBlocks: 2
; NumSGPRsForWavesPerEU: 26
; NumVGPRsForWavesPerEU: 24
; Occupancy: 16
; WaveLimiterHint : 1
; COMPUTE_PGM_RSRC2:SCRATCH_EN: 0
; COMPUTE_PGM_RSRC2:USER_SGPR: 6
; COMPUTE_PGM_RSRC2:TRAP_HANDLER: 0
; COMPUTE_PGM_RSRC2:TGID_X_EN: 1
; COMPUTE_PGM_RSRC2:TGID_Y_EN: 0
; COMPUTE_PGM_RSRC2:TGID_Z_EN: 0
; COMPUTE_PGM_RSRC2:TIDIG_COMP_CNT: 0
	.section	.text._ZL23rocblas_gemvt_sn_kernelILb1ELi256ELi4EiPKfS1_fEviiT4_lPKT3_lilS5_lilPT5_i,"axG",@progbits,_ZL23rocblas_gemvt_sn_kernelILb1ELi256ELi4EiPKfS1_fEviiT4_lPKT3_lilS5_lilPT5_i,comdat
	.globl	_ZL23rocblas_gemvt_sn_kernelILb1ELi256ELi4EiPKfS1_fEviiT4_lPKT3_lilS5_lilPT5_i ; -- Begin function _ZL23rocblas_gemvt_sn_kernelILb1ELi256ELi4EiPKfS1_fEviiT4_lPKT3_lilS5_lilPT5_i
	.p2align	8
	.type	_ZL23rocblas_gemvt_sn_kernelILb1ELi256ELi4EiPKfS1_fEviiT4_lPKT3_lilS5_lilPT5_i,@function
_ZL23rocblas_gemvt_sn_kernelILb1ELi256ELi4EiPKfS1_fEviiT4_lPKT3_lilS5_lilPT5_i: ; @_ZL23rocblas_gemvt_sn_kernelILb1ELi256ELi4EiPKfS1_fEviiT4_lPKT3_lilS5_lilPT5_i
; %bb.0:
	s_load_dwordx8 s[8:15], s[4:5], 0x8
	s_mov_b32 s2, s7
	s_mov_b32 s3, 0
	s_waitcnt lgkmcnt(0)
	s_mul_i32 s0, s11, s7
	s_mul_hi_u32 s1, s10, s7
	s_add_i32 s1, s1, s0
	s_mul_i32 s0, s10, s7
	s_mov_b64 s[10:11], 0
	s_lshl_b64 s[0:1], s[0:1], 2
	s_add_u32 s0, s8, s0
	s_addc_u32 s1, s9, s1
	s_load_dword s28, s[0:1], 0x0
	s_mov_b64 s[0:1], 0
	s_waitcnt lgkmcnt(0)
	v_cmp_eq_f32_e64 s7, s28, 0
	v_cmp_neq_f32_e64 s8, s28, 0
	s_and_b32 vcc_lo, exec_lo, s7
	s_cbranch_vccnz .LBB228_2
; %bb.1:
	s_lshl_b64 s[0:1], s[2:3], 3
	s_add_u32 s0, s12, s0
	s_addc_u32 s1, s13, s1
	s_lshl_b64 s[12:13], s[14:15], 2
	s_load_dwordx2 s[0:1], s[0:1], 0x0
	s_waitcnt lgkmcnt(0)
	s_add_u32 s0, s0, s12
	s_addc_u32 s1, s1, s13
.LBB228_2:
	s_andn2_b32 vcc_lo, exec_lo, s8
	s_cbranch_vccnz .LBB228_4
; %bb.3:
	s_load_dwordx4 s[8:11], s[4:5], 0x38
	s_lshl_b64 s[12:13], s[2:3], 3
	s_waitcnt lgkmcnt(0)
	s_add_u32 s8, s8, s12
	s_addc_u32 s9, s9, s13
	s_lshl_b64 s[10:11], s[10:11], 2
	s_load_dwordx2 s[8:9], s[8:9], 0x0
	s_waitcnt lgkmcnt(0)
	s_add_u32 s10, s8, s10
	s_addc_u32 s11, s9, s11
.LBB228_4:
	s_clause 0x2
	s_load_dwordx2 s[12:13], s[4:5], 0x0
	s_load_dword s14, s[4:5], 0x68
	s_load_dwordx2 s[8:9], s[4:5], 0x58
	s_waitcnt lgkmcnt(0)
	s_ashr_i32 s17, s13, 31
	s_mul_hi_u32 s3, s13, s2
	s_mul_i32 s15, s17, s2
	s_mul_i32 s2, s13, s2
	s_add_i32 s3, s3, s15
	s_mul_hi_u32 s15, s2, s14
	s_mul_i32 s3, s3, s14
	s_mul_i32 s2, s2, s14
	s_add_i32 s3, s15, s3
	s_mov_b32 s15, 0
	s_lshl_b64 s[2:3], s[2:3], 2
	s_add_u32 s30, s8, s2
	s_addc_u32 s31, s9, s3
	s_andn2_b32 vcc_lo, exec_lo, s7
	s_mov_b32 s2, -1
	s_cbranch_vccnz .LBB228_9
; %bb.5:
	v_cmp_eq_u32_e32 vcc_lo, 0, v0
	s_cmp_gt_i32 s13, 0
	s_cselect_b32 s2, -1, 0
	s_and_b32 s2, vcc_lo, s2
	s_and_saveexec_b32 s16, s2
	s_cbranch_execz .LBB228_8
; %bb.6:
	s_mov_b32 s7, 0
	v_mov_b32_e32 v1, 0
	s_lshl_b64 s[2:3], s[6:7], 2
	s_mov_b32 s7, s13
	s_add_u32 s2, s30, s2
	s_addc_u32 s3, s31, s3
	s_lshl_b64 s[8:9], s[14:15], 2
.LBB228_7:                              ; =>This Inner Loop Header: Depth=1
	s_add_i32 s7, s7, -1
	global_store_dword v1, v1, s[2:3]
	s_add_u32 s2, s2, s8
	s_addc_u32 s3, s3, s9
	s_cmp_eq_u32 s7, 0
	s_cbranch_scc0 .LBB228_7
.LBB228_8:
	s_or_b32 exec_lo, exec_lo, s16
	s_mov_b32 s2, 0
.LBB228_9:
	s_andn2_b32 vcc_lo, exec_lo, s2
	s_cbranch_vccnz .LBB228_84
; %bb.10:
	s_clause 0x1
	s_load_dword s16, s[4:5], 0x28
	s_load_dword s15, s[4:5], 0x48
	s_lshl_b32 s2, s6, 10
	s_lshr_b32 s3, s17, 30
	v_lshl_or_b32 v1, v0, 2, s2
	s_ashr_i32 s2, s12, 31
	s_add_i32 s3, s13, s3
	s_lshr_b32 s2, s2, 30
	v_and_b32_e32 v21, 31, v0
	v_ashrrev_i32_e32 v2, 31, v1
	s_add_i32 s2, s12, s2
	v_add_nc_u32_e32 v24, 4, v1
	s_and_b32 s2, s2, -4
	v_mbcnt_lo_u32_b32 v23, -1, 0
	v_lshlrev_b64 v[2:3], 2, v[1:2]
	s_sub_i32 s29, s12, s2
	v_lshrrev_b32_e32 v22, 3, v0
	v_add_nc_u32_e32 v25, s29, v1
	v_cmp_eq_u32_e64 s2, 0, v0
	s_and_b32 s33, s3, -4
	v_add_co_u32 v19, vcc_lo, s0, v2
	s_waitcnt lgkmcnt(0)
	v_mul_lo_u32 v9, s15, v1
	v_add_co_ci_u32_e64 v20, null, s1, v3, vcc_lo
	v_cmp_gt_u32_e64 s0, 32, v0
	v_cmp_gt_u32_e64 s1, 8, v0
	s_cmp_lt_i32 s33, 1
	s_cbranch_scc1 .LBB228_59
; %bb.11:
	v_cmp_gt_u32_e32 vcc_lo, 24, v23
	v_mul_lo_u32 v10, s15, v1
	s_cmp_gt_i32 s29, 0
	s_mov_b32 s19, 0
	v_cmp_ge_i32_e64 s3, s12, v24
	v_cndmask_b32_e64 v2, 0, 8, vcc_lo
	v_cmp_gt_u32_e32 vcc_lo, 28, v23
	v_cmp_ge_i32_e64 s4, s12, v25
	v_lshl_or_b32 v26, v23, 2, 64
	v_add_nc_u32_e32 v1, s15, v10
	v_ashrrev_i32_e32 v11, 31, v10
	v_cndmask_b32_e64 v3, 0, 4, vcc_lo
	v_cmp_gt_u32_e32 vcc_lo, 30, v23
	v_add_lshl_u32 v27, v2, v23, 2
	v_ashrrev_i32_e32 v2, 31, v1
	v_cmp_eq_u32_e64 s5, 0, v21
	v_add_lshl_u32 v28, v3, v23, 2
	v_cndmask_b32_e64 v4, 0, 2, vcc_lo
	v_cmp_ne_u32_e32 vcc_lo, 31, v23
	v_add_nc_u32_e32 v3, s15, v1
	v_lshlrev_b64 v[1:2], 2, v[1:2]
	v_lshlrev_b32_e32 v31, 2, v21
	v_add_lshl_u32 v29, v4, v23, 2
	v_add_co_ci_u32_e64 v5, null, 0, v23, vcc_lo
	v_add_nc_u32_e32 v7, s15, v3
	v_ashrrev_i32_e32 v4, 31, v3
	v_and_b32_e32 v32, 28, v22
	v_lshlrev_b32_e32 v30, 2, v5
	v_lshlrev_b64 v[5:6], 2, v[10:11]
	v_ashrrev_i32_e32 v8, 31, v7
	v_lshlrev_b64 v[3:4], 2, v[3:4]
	s_cselect_b32 s34, -1, 0
	s_mov_b32 s17, s19
	s_lshl_b32 s18, s16, 1
	v_add_co_u32 v11, vcc_lo, s10, v5
	v_add_co_ci_u32_e64 v12, null, s11, v6, vcc_lo
	v_add_co_u32 v13, vcc_lo, s10, v1
	v_mov_b32_e32 v5, 0
	v_add_co_ci_u32_e64 v14, null, s11, v2, vcc_lo
	v_lshlrev_b64 v[1:2], 2, v[7:8]
	v_add_co_u32 v15, vcc_lo, s10, v3
	v_mov_b32_e32 v6, v5
	v_mov_b32_e32 v7, v5
	;; [unrolled: 1-line block ×3, first 2 shown]
	v_add_co_ci_u32_e64 v16, null, s11, v4, vcc_lo
	v_add_co_u32 v17, vcc_lo, s10, v1
	v_add_co_ci_u32_e64 v18, null, s11, v2, vcc_lo
	v_mov_b32_e32 v1, v5
	v_mov_b32_e32 v2, v6
	;; [unrolled: 1-line block ×4, first 2 shown]
	s_lshl_b32 s35, s16, 2
	s_mul_i32 s36, s16, 3
	s_mov_b32 s37, s19
	s_mov_b32 s20, s19
	s_mov_b64 s[22:23], s[18:19]
	s_mov_b64 s[24:25], s[16:17]
	s_mov_b32 s17, 0
	s_branch .LBB228_13
.LBB228_12:                             ;   in Loop: Header=BB228_13 Depth=1
	s_or_b32 exec_lo, exec_lo, s7
	s_add_i32 s17, s17, 4
	s_add_u32 s24, s24, s35
	s_addc_u32 s25, s25, 0
	s_add_u32 s22, s22, s35
	s_addc_u32 s23, s23, 0
	;; [unrolled: 2-line block ×3, first 2 shown]
	s_add_i32 s20, s20, s35
	s_cmp_ge_i32 s17, s33
	s_cbranch_scc1 .LBB228_60
.LBB228_13:                             ; =>This Loop Header: Depth=1
                                        ;     Child Loop BB228_44 Depth 2
                                        ;     Child Loop BB228_47 Depth 2
                                        ; implicit-def: $vgpr8
                                        ; implicit-def: $vgpr33
                                        ; implicit-def: $vgpr34
                                        ; implicit-def: $vgpr35
	s_and_saveexec_b32 s7, s3
	s_xor_b32 s7, exec_lo, s7
	s_cbranch_execnz .LBB228_40
; %bb.14:                               ;   in Loop: Header=BB228_13 Depth=1
	s_andn2_saveexec_b32 s18, s7
	s_cbranch_execnz .LBB228_41
.LBB228_15:                             ;   in Loop: Header=BB228_13 Depth=1
	s_or_b32 exec_lo, exec_lo, s18
	s_and_saveexec_b32 s7, s0
.LBB228_16:                             ;   in Loop: Header=BB228_13 Depth=1
	ds_write_b32 v31, v5
.LBB228_17:                             ;   in Loop: Header=BB228_13 Depth=1
	s_or_b32 exec_lo, exec_lo, s7
	ds_bpermute_b32 v6, v26, v35
	s_waitcnt lgkmcnt(0)
	s_waitcnt_vscnt null, 0x0
	s_barrier
	buffer_gl0_inv
	v_add_f32_e32 v6, v35, v6
	ds_bpermute_b32 v7, v27, v6
	s_waitcnt lgkmcnt(0)
	v_add_f32_e32 v6, v6, v7
	ds_bpermute_b32 v7, v28, v6
	s_waitcnt lgkmcnt(0)
	;; [unrolled: 3-line block ×3, first 2 shown]
	v_add_f32_e32 v6, v6, v7
	ds_bpermute_b32 v7, v30, v6
	s_and_saveexec_b32 s7, s5
	s_cbranch_execz .LBB228_19
; %bb.18:                               ;   in Loop: Header=BB228_13 Depth=1
	s_waitcnt lgkmcnt(0)
	v_add_f32_e32 v6, v6, v7
	ds_write_b32 v32, v6
.LBB228_19:                             ;   in Loop: Header=BB228_13 Depth=1
	s_or_b32 exec_lo, exec_lo, s7
	v_mov_b32_e32 v6, 0
	s_waitcnt lgkmcnt(0)
	s_barrier
	buffer_gl0_inv
	s_and_saveexec_b32 s7, s1
	s_cbranch_execnz .LBB228_48
; %bb.20:                               ;   in Loop: Header=BB228_13 Depth=1
	s_or_b32 exec_lo, exec_lo, s7
	s_and_saveexec_b32 s7, s0
	s_cbranch_execnz .LBB228_49
.LBB228_21:                             ;   in Loop: Header=BB228_13 Depth=1
	s_or_b32 exec_lo, exec_lo, s7
	s_and_saveexec_b32 s7, s0
.LBB228_22:                             ;   in Loop: Header=BB228_13 Depth=1
	ds_write_b32 v31, v5
.LBB228_23:                             ;   in Loop: Header=BB228_13 Depth=1
	s_or_b32 exec_lo, exec_lo, s7
	ds_bpermute_b32 v7, v26, v34
	s_waitcnt lgkmcnt(0)
	s_barrier
	buffer_gl0_inv
	v_add_f32_e32 v7, v34, v7
	ds_bpermute_b32 v34, v27, v7
	s_waitcnt lgkmcnt(0)
	v_add_f32_e32 v7, v7, v34
	ds_bpermute_b32 v34, v28, v7
	s_waitcnt lgkmcnt(0)
	;; [unrolled: 3-line block ×3, first 2 shown]
	v_add_f32_e32 v7, v7, v34
	ds_bpermute_b32 v34, v30, v7
	s_and_saveexec_b32 s7, s5
	s_cbranch_execz .LBB228_25
; %bb.24:                               ;   in Loop: Header=BB228_13 Depth=1
	s_waitcnt lgkmcnt(0)
	v_add_f32_e32 v7, v7, v34
	ds_write_b32 v32, v7
.LBB228_25:                             ;   in Loop: Header=BB228_13 Depth=1
	s_or_b32 exec_lo, exec_lo, s7
	v_mov_b32_e32 v7, 0
	s_waitcnt lgkmcnt(0)
	s_barrier
	buffer_gl0_inv
	s_and_saveexec_b32 s7, s1
	s_cbranch_execnz .LBB228_50
; %bb.26:                               ;   in Loop: Header=BB228_13 Depth=1
	s_or_b32 exec_lo, exec_lo, s7
	s_and_saveexec_b32 s7, s0
	s_cbranch_execnz .LBB228_51
.LBB228_27:                             ;   in Loop: Header=BB228_13 Depth=1
	s_or_b32 exec_lo, exec_lo, s7
	s_and_saveexec_b32 s7, s0
.LBB228_28:                             ;   in Loop: Header=BB228_13 Depth=1
	ds_write_b32 v31, v5
.LBB228_29:                             ;   in Loop: Header=BB228_13 Depth=1
	s_or_b32 exec_lo, exec_lo, s7
	ds_bpermute_b32 v34, v26, v33
	s_waitcnt lgkmcnt(0)
	s_barrier
	buffer_gl0_inv
	v_add_f32_e32 v33, v33, v34
	ds_bpermute_b32 v34, v27, v33
	s_waitcnt lgkmcnt(0)
	v_add_f32_e32 v33, v33, v34
	ds_bpermute_b32 v34, v28, v33
	s_waitcnt lgkmcnt(0)
	;; [unrolled: 3-line block ×3, first 2 shown]
	v_add_f32_e32 v33, v33, v34
	ds_bpermute_b32 v34, v30, v33
	s_and_saveexec_b32 s7, s5
	s_cbranch_execz .LBB228_31
; %bb.30:                               ;   in Loop: Header=BB228_13 Depth=1
	s_waitcnt lgkmcnt(0)
	v_add_f32_e32 v33, v33, v34
	ds_write_b32 v32, v33
.LBB228_31:                             ;   in Loop: Header=BB228_13 Depth=1
	s_or_b32 exec_lo, exec_lo, s7
	v_mov_b32_e32 v33, 0
	s_waitcnt lgkmcnt(0)
	s_barrier
	buffer_gl0_inv
	s_and_saveexec_b32 s7, s1
	s_cbranch_execnz .LBB228_52
; %bb.32:                               ;   in Loop: Header=BB228_13 Depth=1
	s_or_b32 exec_lo, exec_lo, s7
	s_and_saveexec_b32 s7, s0
	s_cbranch_execnz .LBB228_53
.LBB228_33:                             ;   in Loop: Header=BB228_13 Depth=1
	s_or_b32 exec_lo, exec_lo, s7
	s_and_saveexec_b32 s7, s0
.LBB228_34:                             ;   in Loop: Header=BB228_13 Depth=1
	ds_write_b32 v31, v5
.LBB228_35:                             ;   in Loop: Header=BB228_13 Depth=1
	s_or_b32 exec_lo, exec_lo, s7
	ds_bpermute_b32 v34, v26, v8
	s_waitcnt lgkmcnt(0)
	s_barrier
	buffer_gl0_inv
	v_add_f32_e32 v8, v8, v34
	ds_bpermute_b32 v34, v27, v8
	s_waitcnt lgkmcnt(0)
	v_add_f32_e32 v8, v8, v34
	ds_bpermute_b32 v34, v28, v8
	s_waitcnt lgkmcnt(0)
	;; [unrolled: 3-line block ×3, first 2 shown]
	v_add_f32_e32 v8, v8, v34
	ds_bpermute_b32 v34, v30, v8
	s_and_saveexec_b32 s7, s5
	s_cbranch_execz .LBB228_37
; %bb.36:                               ;   in Loop: Header=BB228_13 Depth=1
	s_waitcnt lgkmcnt(0)
	v_add_f32_e32 v8, v8, v34
	ds_write_b32 v32, v8
.LBB228_37:                             ;   in Loop: Header=BB228_13 Depth=1
	s_or_b32 exec_lo, exec_lo, s7
	v_mov_b32_e32 v8, 0
	s_waitcnt lgkmcnt(0)
	s_barrier
	buffer_gl0_inv
	s_and_saveexec_b32 s7, s1
	s_cbranch_execnz .LBB228_54
; %bb.38:                               ;   in Loop: Header=BB228_13 Depth=1
	s_or_b32 exec_lo, exec_lo, s7
	s_and_saveexec_b32 s7, s0
	s_cbranch_execnz .LBB228_55
.LBB228_39:                             ;   in Loop: Header=BB228_13 Depth=1
	s_or_b32 exec_lo, exec_lo, s7
	s_and_saveexec_b32 s7, s2
	s_cbranch_execz .LBB228_12
	s_branch .LBB228_56
.LBB228_40:                             ;   in Loop: Header=BB228_13 Depth=1
	s_mul_i32 s8, s17, s16
	s_ashr_i32 s9, s8, 31
	s_add_i32 s26, s8, s16
	s_lshl_b64 s[8:9], s[8:9], 2
	s_ashr_i32 s27, s26, 31
	v_add_co_u32 v2, vcc_lo, v19, s8
	v_add_co_ci_u32_e64 v3, null, s9, v20, vcc_lo
	s_lshl_b64 s[8:9], s[26:27], 2
	s_add_i32 s26, s26, s16
	v_add_co_u32 v6, vcc_lo, v19, s8
	s_ashr_i32 s27, s26, 31
	s_add_i32 s8, s26, s16
	v_add_co_ci_u32_e64 v7, null, s9, v20, vcc_lo
	s_lshl_b64 s[26:27], s[26:27], 2
	s_ashr_i32 s9, s8, 31
	v_add_co_u32 v33, vcc_lo, v19, s26
	s_lshl_b64 s[8:9], s[8:9], 2
	v_add_co_ci_u32_e64 v34, null, s27, v20, vcc_lo
	v_add_co_u32 v47, vcc_lo, v19, s8
	v_add_co_ci_u32_e64 v48, null, s9, v20, vcc_lo
	flat_load_dword v1, v[11:12]
	s_clause 0x3
	flat_load_dwordx4 v[35:38], v[2:3]
	flat_load_dwordx4 v[39:42], v[6:7]
	;; [unrolled: 1-line block ×4, first 2 shown]
	s_clause 0x2
	flat_load_dword v2, v[13:14]
	flat_load_dword v3, v[15:16]
	;; [unrolled: 1-line block ×3, first 2 shown]
	s_waitcnt vmcnt(6) lgkmcnt(6)
	v_fma_f32 v35, v1, v35, 0
	s_waitcnt vmcnt(5) lgkmcnt(5)
	v_fma_f32 v34, v1, v39, 0
	;; [unrolled: 2-line block ×4, first 2 shown]
	s_waitcnt vmcnt(2) lgkmcnt(2)
	v_fmac_f32_e32 v35, v2, v36
	v_fmac_f32_e32 v34, v2, v40
	v_fmac_f32_e32 v33, v2, v44
	v_fmac_f32_e32 v8, v2, v48
	s_waitcnt vmcnt(1) lgkmcnt(1)
	v_fmac_f32_e32 v35, v3, v37
	v_fmac_f32_e32 v34, v3, v41
	v_fmac_f32_e32 v33, v3, v45
	v_fmac_f32_e32 v8, v3, v49
	;; [unrolled: 5-line block ×3, first 2 shown]
	s_andn2_saveexec_b32 s18, s7
	s_cbranch_execz .LBB228_15
.LBB228_41:                             ;   in Loop: Header=BB228_13 Depth=1
	s_waitcnt lgkmcnt(0)
	v_mov_b32_e32 v8, 0
	v_mov_b32_e32 v33, 0
	v_mov_b32_e32 v34, 0
	v_mov_b32_e32 v35, 0
	s_and_saveexec_b32 s38, s4
	s_cbranch_execz .LBB228_58
; %bb.42:                               ;   in Loop: Header=BB228_13 Depth=1
	s_andn2_b32 vcc_lo, exec_lo, s34
	s_cbranch_vccnz .LBB228_45
; %bb.43:                               ;   in Loop: Header=BB228_13 Depth=1
	v_mov_b32_e32 v6, v10
	s_mov_b64 s[26:27], 0
	.p2align	6
.LBB228_44:                             ;   Parent Loop BB228_13 Depth=1
                                        ; =>  This Inner Loop Header: Depth=2
	v_ashrrev_i32_e32 v7, 31, v6
	s_cmp_eq_u32 s26, 3
	v_lshlrev_b64 v[7:8], 2, v[6:7]
	v_add_nc_u32_e32 v6, s15, v6
	v_add_co_u32 v7, vcc_lo, s10, v7
	v_add_co_ci_u32_e64 v8, null, s11, v8, vcc_lo
	s_cselect_b32 vcc_lo, -1, 0
	s_cmp_eq_u32 s26, 2
	s_cselect_b32 s7, -1, 0
	flat_load_dword v7, v[7:8]
	s_cmp_eq_u32 s26, 1
	s_cselect_b32 s8, -1, 0
	s_cmp_eq_u32 s26, 0
	s_cselect_b32 s9, -1, 0
	s_add_u32 s26, s26, 1
	s_addc_u32 s27, s27, 0
	s_cmp_eq_u32 s29, s26
	s_waitcnt vmcnt(0) lgkmcnt(0)
	v_cndmask_b32_e32 v4, v4, v7, vcc_lo
	v_cndmask_b32_e64 v3, v3, v7, s7
	v_cndmask_b32_e64 v2, v2, v7, s8
	;; [unrolled: 1-line block ×3, first 2 shown]
	s_cbranch_scc0 .LBB228_44
.LBB228_45:                             ;   in Loop: Header=BB228_13 Depth=1
	s_andn2_b32 vcc_lo, exec_lo, s34
	s_cbranch_vccnz .LBB228_57
; %bb.46:                               ;   in Loop: Header=BB228_13 Depth=1
	s_ashr_i32 s21, s20, 31
	v_mov_b32_e32 v35, 0
	s_lshl_b64 s[8:9], s[20:21], 2
	v_mov_b32_e32 v34, 0
	v_add_co_u32 v6, vcc_lo, v19, s8
	v_add_co_ci_u32_e64 v7, null, s9, v20, vcc_lo
	v_mov_b32_e32 v33, 0
	v_mov_b32_e32 v8, 0
	s_mov_b64 s[8:9], 0
.LBB228_47:                             ;   Parent Loop BB228_13 Depth=1
                                        ; =>  This Inner Loop Header: Depth=2
	s_cmp_eq_u32 s8, 1
	s_cselect_b32 vcc_lo, -1, 0
	s_cmp_eq_u32 s8, 2
	v_cndmask_b32_e32 v36, v1, v2, vcc_lo
	s_cselect_b32 vcc_lo, -1, 0
	s_cmp_eq_u32 s8, 3
	v_cndmask_b32_e32 v42, v36, v3, vcc_lo
	s_cselect_b32 vcc_lo, -1, 0
	s_add_i32 s26, s24, s8
	s_add_i32 s40, s22, s8
	s_ashr_i32 s27, s26, 31
	s_add_i32 s42, s36, s8
	s_ashr_i32 s41, s40, 31
	s_lshl_b64 s[26:27], s[26:27], 2
	s_ashr_i32 s43, s42, 31
	s_lshl_b64 s[40:41], s[40:41], 2
	v_add_co_u32 v36, s7, v19, s26
	s_lshl_b64 s[42:43], s[42:43], 2
	v_add_co_ci_u32_e64 v37, null, s27, v20, s7
	v_add_co_u32 v38, s7, v19, s40
	v_add_co_ci_u32_e64 v39, null, s41, v20, s7
	v_add_co_u32 v40, s7, v19, s42
	v_add_co_ci_u32_e64 v41, null, s43, v20, s7
	flat_load_dword v43, v[6:7]
	s_clause 0x2
	flat_load_dword v36, v[36:37]
	flat_load_dword v37, v[38:39]
	;; [unrolled: 1-line block ×3, first 2 shown]
	v_cndmask_b32_e32 v39, v42, v4, vcc_lo
	v_add_co_u32 v6, s7, v6, 4
	v_add_co_ci_u32_e64 v7, null, 0, v7, s7
	s_add_u32 s8, s8, 1
	s_addc_u32 s9, s9, 0
	s_cmp_lg_u32 s29, s8
	s_waitcnt vmcnt(3) lgkmcnt(3)
	v_fmac_f32_e32 v35, v39, v43
	s_waitcnt vmcnt(2) lgkmcnt(2)
	v_fmac_f32_e32 v34, v39, v36
	;; [unrolled: 2-line block ×4, first 2 shown]
	s_cbranch_scc1 .LBB228_47
	s_branch .LBB228_58
.LBB228_48:                             ;   in Loop: Header=BB228_13 Depth=1
	ds_read_b32 v6, v31
	s_or_b32 exec_lo, exec_lo, s7
	s_and_saveexec_b32 s7, s0
	s_cbranch_execz .LBB228_21
.LBB228_49:                             ;   in Loop: Header=BB228_13 Depth=1
	s_waitcnt lgkmcnt(0)
	ds_bpermute_b32 v7, v28, v6
	s_waitcnt lgkmcnt(0)
	v_add_f32_e32 v6, v6, v7
	ds_bpermute_b32 v7, v29, v6
	s_waitcnt lgkmcnt(0)
	v_add_f32_e32 v6, v6, v7
	;; [unrolled: 3-line block ×3, first 2 shown]
	s_or_b32 exec_lo, exec_lo, s7
	s_and_saveexec_b32 s7, s0
	s_cbranch_execnz .LBB228_22
	s_branch .LBB228_23
.LBB228_50:                             ;   in Loop: Header=BB228_13 Depth=1
	ds_read_b32 v7, v31
	s_or_b32 exec_lo, exec_lo, s7
	s_and_saveexec_b32 s7, s0
	s_cbranch_execz .LBB228_27
.LBB228_51:                             ;   in Loop: Header=BB228_13 Depth=1
	s_waitcnt lgkmcnt(0)
	ds_bpermute_b32 v34, v28, v7
	s_waitcnt lgkmcnt(0)
	v_add_f32_e32 v7, v7, v34
	ds_bpermute_b32 v34, v29, v7
	s_waitcnt lgkmcnt(0)
	v_add_f32_e32 v7, v7, v34
	;; [unrolled: 3-line block ×3, first 2 shown]
	s_or_b32 exec_lo, exec_lo, s7
	s_and_saveexec_b32 s7, s0
	s_cbranch_execnz .LBB228_28
	s_branch .LBB228_29
.LBB228_52:                             ;   in Loop: Header=BB228_13 Depth=1
	ds_read_b32 v33, v31
	s_or_b32 exec_lo, exec_lo, s7
	s_and_saveexec_b32 s7, s0
	s_cbranch_execz .LBB228_33
.LBB228_53:                             ;   in Loop: Header=BB228_13 Depth=1
	s_waitcnt lgkmcnt(0)
	ds_bpermute_b32 v34, v28, v33
	s_waitcnt lgkmcnt(0)
	v_add_f32_e32 v33, v33, v34
	ds_bpermute_b32 v34, v29, v33
	s_waitcnt lgkmcnt(0)
	v_add_f32_e32 v33, v33, v34
	ds_bpermute_b32 v34, v30, v33
	s_waitcnt lgkmcnt(0)
	v_add_f32_e32 v33, v33, v34
	s_or_b32 exec_lo, exec_lo, s7
	s_and_saveexec_b32 s7, s0
	s_cbranch_execnz .LBB228_34
	s_branch .LBB228_35
.LBB228_54:                             ;   in Loop: Header=BB228_13 Depth=1
	ds_read_b32 v8, v31
	s_or_b32 exec_lo, exec_lo, s7
	s_and_saveexec_b32 s7, s0
	s_cbranch_execz .LBB228_39
.LBB228_55:                             ;   in Loop: Header=BB228_13 Depth=1
	s_waitcnt lgkmcnt(0)
	ds_bpermute_b32 v34, v28, v8
	s_waitcnt lgkmcnt(0)
	v_add_f32_e32 v8, v8, v34
	ds_bpermute_b32 v34, v29, v8
	s_waitcnt lgkmcnt(0)
	v_add_f32_e32 v8, v8, v34
	;; [unrolled: 3-line block ×3, first 2 shown]
	s_or_b32 exec_lo, exec_lo, s7
	s_and_saveexec_b32 s7, s2
	s_cbranch_execz .LBB228_12
.LBB228_56:                             ;   in Loop: Header=BB228_13 Depth=1
	s_mul_i32 s8, s17, s14
	v_mul_f32_e32 v6, s28, v6
	s_add_i32 s18, s8, s6
	v_mul_f32_e32 v7, s28, v7
	s_lshl_b64 s[8:9], s[18:19], 2
	v_mul_f32_e32 v33, s28, v33
	s_add_u32 s8, s30, s8
	s_addc_u32 s9, s31, s9
	s_add_i32 s18, s18, s14
	global_store_dword v5, v6, s[8:9]
	s_lshl_b64 s[26:27], s[18:19], 2
	s_waitcnt lgkmcnt(0)
	v_mul_f32_e32 v6, s28, v8
	s_add_u32 s26, s30, s26
	s_addc_u32 s27, s31, s27
	s_add_i32 s18, s18, s14
	global_store_dword v5, v7, s[26:27]
	s_lshl_b64 s[38:39], s[18:19], 2
	s_add_u32 s8, s30, s38
	s_addc_u32 s9, s31, s39
	s_add_i32 s18, s18, s14
	s_lshl_b64 s[38:39], s[18:19], 2
	s_add_u32 s26, s30, s38
	s_addc_u32 s27, s31, s39
	global_store_dword v5, v33, s[8:9]
	global_store_dword v5, v6, s[26:27]
	s_branch .LBB228_12
.LBB228_57:                             ;   in Loop: Header=BB228_13 Depth=1
	v_mov_b32_e32 v8, 0
	v_mov_b32_e32 v33, 0
	;; [unrolled: 1-line block ×4, first 2 shown]
.LBB228_58:                             ;   in Loop: Header=BB228_13 Depth=1
	s_or_b32 exec_lo, exec_lo, s38
	s_or_b32 exec_lo, exec_lo, s18
	s_and_saveexec_b32 s7, s0
	s_cbranch_execnz .LBB228_16
	s_branch .LBB228_17
.LBB228_59:
	v_mov_b32_e32 v1, 0
	s_mov_b32 s17, 0
	v_mov_b32_e32 v2, v1
	v_mov_b32_e32 v3, v1
	;; [unrolled: 1-line block ×3, first 2 shown]
.LBB228_60:
	s_cmp_ge_i32 s17, s13
	s_cbranch_scc1 .LBB228_84
; %bb.61:
	v_cmp_gt_u32_e32 vcc_lo, 24, v23
	v_cmp_ge_i32_e64 s0, s12, v24
	v_lshl_or_b32 v17, v23, 2, 64
	v_ashrrev_i32_e32 v10, 31, v9
	v_cmp_ge_i32_e64 s1, s12, v25
	v_cndmask_b32_e64 v5, 0, 8, vcc_lo
	v_cmp_gt_u32_e32 vcc_lo, 28, v23
	s_cmp_gt_i32 s29, 0
	v_lshlrev_b64 v[10:11], 2, v[9:10]
	s_mov_b32 s7, 0
	v_add_lshl_u32 v18, v5, v23, 2
	v_cndmask_b32_e64 v6, 0, 4, vcc_lo
	v_cmp_gt_u32_e32 vcc_lo, 30, v23
	v_add_nc_u32_e32 v5, s15, v9
	s_cselect_b32 s12, -1, 0
	v_cmp_gt_u32_e64 s2, 32, v0
	v_add_lshl_u32 v24, v6, v23, 2
	v_cndmask_b32_e64 v7, 0, 2, vcc_lo
	v_cmp_ne_u32_e32 vcc_lo, 31, v23
	v_ashrrev_i32_e32 v6, 31, v5
	v_lshlrev_b32_e32 v16, 2, v21
	v_cmp_eq_u32_e64 s3, 0, v21
	v_and_b32_e32 v21, 28, v22
	s_waitcnt lgkmcnt(0)
	v_add_co_ci_u32_e64 v8, null, 0, v23, vcc_lo
	v_add_lshl_u32 v23, v7, v23, 2
	v_add_nc_u32_e32 v7, s15, v5
	v_lshlrev_b64 v[12:13], 2, v[5:6]
	v_lshlrev_b32_e32 v25, 2, v8
	v_add_co_u32 v5, vcc_lo, s10, v10
	v_add_nc_u32_e32 v14, s15, v7
	v_ashrrev_i32_e32 v8, 31, v7
	v_add_co_ci_u32_e64 v6, null, s11, v11, vcc_lo
	v_cmp_gt_u32_e64 s4, 8, v0
	v_ashrrev_i32_e32 v15, 31, v14
	v_lshlrev_b64 v[10:11], 2, v[7:8]
	v_add_co_u32 v7, vcc_lo, s10, v12
	v_add_co_ci_u32_e64 v8, null, s11, v13, vcc_lo
	v_lshlrev_b64 v[12:13], 2, v[14:15]
	v_add_co_u32 v10, vcc_lo, s10, v10
	v_add_co_ci_u32_e64 v11, null, s11, v11, vcc_lo
	v_cmp_eq_u32_e64 s5, 0, v0
	v_add_co_u32 v12, vcc_lo, s10, v12
	s_lshl_b64 s[8:9], s[6:7], 2
	v_add_co_ci_u32_e64 v13, null, s11, v13, vcc_lo
	v_mov_b32_e32 v0, 0
	s_add_u32 s22, s30, s8
	s_addc_u32 s23, s31, s9
	s_mul_i32 s18, s17, s16
	s_branch .LBB228_63
.LBB228_62:                             ;   in Loop: Header=BB228_63 Depth=1
	s_or_b32 exec_lo, exec_lo, s6
	s_add_i32 s17, s17, 1
	s_add_i32 s18, s18, s16
	s_cmp_ge_i32 s17, s13
	s_cbranch_scc1 .LBB228_84
.LBB228_63:                             ; =>This Loop Header: Depth=1
                                        ;     Child Loop BB228_76 Depth 2
                                        ;     Child Loop BB228_79 Depth 2
	v_mov_b32_e32 v22, s7
	s_and_saveexec_b32 s6, s0
	s_xor_b32 s6, exec_lo, s6
	s_cbranch_execnz .LBB228_72
; %bb.64:                               ;   in Loop: Header=BB228_63 Depth=1
	s_andn2_saveexec_b32 s24, s6
	s_cbranch_execnz .LBB228_73
.LBB228_65:                             ;   in Loop: Header=BB228_63 Depth=1
	s_or_b32 exec_lo, exec_lo, s24
	s_and_saveexec_b32 s6, s2
.LBB228_66:                             ;   in Loop: Header=BB228_63 Depth=1
	ds_write_b32 v16, v0
.LBB228_67:                             ;   in Loop: Header=BB228_63 Depth=1
	s_or_b32 exec_lo, exec_lo, s6
	s_waitcnt lgkmcnt(0)
	ds_bpermute_b32 v14, v17, v22
	s_waitcnt lgkmcnt(0)
	s_waitcnt_vscnt null, 0x0
	s_barrier
	buffer_gl0_inv
	v_add_f32_e32 v14, v22, v14
	ds_bpermute_b32 v15, v18, v14
	s_waitcnt lgkmcnt(0)
	v_add_f32_e32 v14, v14, v15
	ds_bpermute_b32 v15, v24, v14
	s_waitcnt lgkmcnt(0)
	;; [unrolled: 3-line block ×3, first 2 shown]
	v_add_f32_e32 v14, v14, v15
	ds_bpermute_b32 v15, v25, v14
	s_and_saveexec_b32 s6, s3
	s_cbranch_execz .LBB228_69
; %bb.68:                               ;   in Loop: Header=BB228_63 Depth=1
	s_waitcnt lgkmcnt(0)
	v_add_f32_e32 v14, v14, v15
	ds_write_b32 v21, v14
.LBB228_69:                             ;   in Loop: Header=BB228_63 Depth=1
	s_or_b32 exec_lo, exec_lo, s6
	v_mov_b32_e32 v14, 0
	s_waitcnt lgkmcnt(0)
	s_barrier
	buffer_gl0_inv
	s_and_saveexec_b32 s6, s4
	s_cbranch_execnz .LBB228_81
; %bb.70:                               ;   in Loop: Header=BB228_63 Depth=1
	s_or_b32 exec_lo, exec_lo, s6
	s_and_saveexec_b32 s6, s2
	s_cbranch_execnz .LBB228_82
.LBB228_71:                             ;   in Loop: Header=BB228_63 Depth=1
	s_or_b32 exec_lo, exec_lo, s6
	s_and_saveexec_b32 s6, s5
	s_cbranch_execz .LBB228_62
	s_branch .LBB228_83
.LBB228_72:                             ;   in Loop: Header=BB228_63 Depth=1
	s_mul_i32 s8, s17, s16
	s_ashr_i32 s9, s8, 31
	s_lshl_b64 s[8:9], s[8:9], 2
	v_add_co_u32 v1, vcc_lo, v19, s8
	v_add_co_ci_u32_e64 v2, null, s9, v20, vcc_lo
	flat_load_dwordx4 v[26:29], v[1:2]
	s_clause 0x3
	flat_load_dword v1, v[5:6]
	flat_load_dword v2, v[7:8]
	;; [unrolled: 1-line block ×4, first 2 shown]
	s_waitcnt vmcnt(3) lgkmcnt(3)
	v_fma_f32 v22, v1, v26, 0
	s_waitcnt vmcnt(2) lgkmcnt(2)
	v_fmac_f32_e32 v22, v2, v27
	s_waitcnt vmcnt(1) lgkmcnt(1)
	v_fmac_f32_e32 v22, v3, v28
	;; [unrolled: 2-line block ×3, first 2 shown]
	s_andn2_saveexec_b32 s24, s6
	s_cbranch_execz .LBB228_65
.LBB228_73:                             ;   in Loop: Header=BB228_63 Depth=1
	s_and_saveexec_b32 s25, s1
	s_cbranch_execz .LBB228_80
; %bb.74:                               ;   in Loop: Header=BB228_63 Depth=1
	s_andn2_b32 vcc_lo, exec_lo, s12
	s_cbranch_vccnz .LBB228_77
; %bb.75:                               ;   in Loop: Header=BB228_63 Depth=1
	s_waitcnt lgkmcnt(0)
	v_mov_b32_e32 v14, v9
	s_mov_b64 s[20:21], 0
	.p2align	6
.LBB228_76:                             ;   Parent Loop BB228_63 Depth=1
                                        ; =>  This Inner Loop Header: Depth=2
	v_ashrrev_i32_e32 v15, 31, v14
	s_cmp_eq_u32 s20, 3
	v_lshlrev_b64 v[26:27], 2, v[14:15]
	v_add_nc_u32_e32 v14, s15, v14
	v_add_co_u32 v26, vcc_lo, s10, v26
	v_add_co_ci_u32_e64 v27, null, s11, v27, vcc_lo
	s_cselect_b32 vcc_lo, -1, 0
	s_cmp_eq_u32 s20, 2
	s_cselect_b32 s6, -1, 0
	flat_load_dword v15, v[26:27]
	s_cmp_eq_u32 s20, 1
	s_cselect_b32 s8, -1, 0
	s_cmp_eq_u32 s20, 0
	s_cselect_b32 s9, -1, 0
	s_add_u32 s20, s20, 1
	s_addc_u32 s21, s21, 0
	s_cmp_eq_u32 s29, s20
	s_waitcnt vmcnt(0) lgkmcnt(0)
	v_cndmask_b32_e32 v4, v4, v15, vcc_lo
	v_cndmask_b32_e64 v3, v3, v15, s6
	v_cndmask_b32_e64 v2, v2, v15, s8
	;; [unrolled: 1-line block ×3, first 2 shown]
	s_cbranch_scc0 .LBB228_76
.LBB228_77:                             ;   in Loop: Header=BB228_63 Depth=1
	s_andn2_b32 vcc_lo, exec_lo, s12
	s_cbranch_vccnz .LBB228_80
; %bb.78:                               ;   in Loop: Header=BB228_63 Depth=1
	s_ashr_i32 s19, s18, 31
	s_lshl_b64 s[8:9], s[18:19], 2
	s_waitcnt lgkmcnt(0)
	v_add_co_u32 v14, vcc_lo, v19, s8
	v_add_co_ci_u32_e64 v15, null, s9, v20, vcc_lo
	s_mov_b64 s[8:9], 0
	.p2align	6
.LBB228_79:                             ;   Parent Loop BB228_63 Depth=1
                                        ; =>  This Inner Loop Header: Depth=2
	flat_load_dword v26, v[14:15]
	s_cmp_eq_u32 s8, 1
	s_cselect_b32 vcc_lo, -1, 0
	s_cmp_eq_u32 s8, 2
	v_cndmask_b32_e32 v27, v1, v2, vcc_lo
	s_cselect_b32 vcc_lo, -1, 0
	s_cmp_eq_u32 s8, 3
	v_cndmask_b32_e32 v27, v27, v3, vcc_lo
	s_cselect_b32 vcc_lo, -1, 0
	s_add_u32 s8, s8, 1
	s_addc_u32 s9, s9, 0
	s_cmp_lg_u32 s29, s8
	v_cndmask_b32_e32 v27, v27, v4, vcc_lo
	v_add_co_u32 v14, vcc_lo, v14, 4
	v_add_co_ci_u32_e64 v15, null, 0, v15, vcc_lo
	s_waitcnt vmcnt(0) lgkmcnt(0)
	v_fmac_f32_e32 v22, v27, v26
	s_cbranch_scc1 .LBB228_79
.LBB228_80:                             ;   in Loop: Header=BB228_63 Depth=1
	s_or_b32 exec_lo, exec_lo, s25
	s_or_b32 exec_lo, exec_lo, s24
	s_and_saveexec_b32 s6, s2
	s_cbranch_execnz .LBB228_66
	s_branch .LBB228_67
.LBB228_81:                             ;   in Loop: Header=BB228_63 Depth=1
	ds_read_b32 v14, v16
	s_or_b32 exec_lo, exec_lo, s6
	s_and_saveexec_b32 s6, s2
	s_cbranch_execz .LBB228_71
.LBB228_82:                             ;   in Loop: Header=BB228_63 Depth=1
	s_waitcnt lgkmcnt(0)
	ds_bpermute_b32 v15, v24, v14
	s_waitcnt lgkmcnt(0)
	v_add_f32_e32 v14, v14, v15
	ds_bpermute_b32 v15, v23, v14
	s_waitcnt lgkmcnt(0)
	v_add_f32_e32 v14, v14, v15
	ds_bpermute_b32 v15, v25, v14
	s_waitcnt lgkmcnt(0)
	v_add_f32_e32 v14, v14, v15
	s_or_b32 exec_lo, exec_lo, s6
	s_and_saveexec_b32 s6, s5
	s_cbranch_execz .LBB228_62
.LBB228_83:                             ;   in Loop: Header=BB228_63 Depth=1
	s_mul_hi_u32 s9, s17, s14
	s_mul_i32 s8, s17, s14
	s_waitcnt lgkmcnt(0)
	v_mul_f32_e32 v14, s28, v14
	s_lshl_b64 s[8:9], s[8:9], 2
	s_add_u32 s8, s22, s8
	s_addc_u32 s9, s23, s9
	global_store_dword v0, v14, s[8:9]
	s_branch .LBB228_62
.LBB228_84:
	s_endpgm
	.section	.rodata,"a",@progbits
	.p2align	6, 0x0
	.amdhsa_kernel _ZL23rocblas_gemvt_sn_kernelILb1ELi256ELi4EiPKfS1_fEviiT4_lPKT3_lilS5_lilPT5_i
		.amdhsa_group_segment_fixed_size 128
		.amdhsa_private_segment_fixed_size 0
		.amdhsa_kernarg_size 360
		.amdhsa_user_sgpr_count 6
		.amdhsa_user_sgpr_private_segment_buffer 1
		.amdhsa_user_sgpr_dispatch_ptr 0
		.amdhsa_user_sgpr_queue_ptr 0
		.amdhsa_user_sgpr_kernarg_segment_ptr 1
		.amdhsa_user_sgpr_dispatch_id 0
		.amdhsa_user_sgpr_flat_scratch_init 0
		.amdhsa_user_sgpr_private_segment_size 0
		.amdhsa_wavefront_size32 1
		.amdhsa_uses_dynamic_stack 0
		.amdhsa_system_sgpr_private_segment_wavefront_offset 0
		.amdhsa_system_sgpr_workgroup_id_x 1
		.amdhsa_system_sgpr_workgroup_id_y 0
		.amdhsa_system_sgpr_workgroup_id_z 1
		.amdhsa_system_sgpr_workgroup_info 0
		.amdhsa_system_vgpr_workitem_id 0
		.amdhsa_next_free_vgpr 51
		.amdhsa_next_free_sgpr 44
		.amdhsa_reserve_vcc 1
		.amdhsa_reserve_flat_scratch 1
		.amdhsa_float_round_mode_32 0
		.amdhsa_float_round_mode_16_64 0
		.amdhsa_float_denorm_mode_32 3
		.amdhsa_float_denorm_mode_16_64 3
		.amdhsa_dx10_clamp 1
		.amdhsa_ieee_mode 1
		.amdhsa_fp16_overflow 0
		.amdhsa_workgroup_processor_mode 1
		.amdhsa_memory_ordered 1
		.amdhsa_forward_progress 1
		.amdhsa_shared_vgpr_count 0
		.amdhsa_exception_fp_ieee_invalid_op 0
		.amdhsa_exception_fp_denorm_src 0
		.amdhsa_exception_fp_ieee_div_zero 0
		.amdhsa_exception_fp_ieee_overflow 0
		.amdhsa_exception_fp_ieee_underflow 0
		.amdhsa_exception_fp_ieee_inexact 0
		.amdhsa_exception_int_div_zero 0
	.end_amdhsa_kernel
	.section	.text._ZL23rocblas_gemvt_sn_kernelILb1ELi256ELi4EiPKfS1_fEviiT4_lPKT3_lilS5_lilPT5_i,"axG",@progbits,_ZL23rocblas_gemvt_sn_kernelILb1ELi256ELi4EiPKfS1_fEviiT4_lPKT3_lilS5_lilPT5_i,comdat
.Lfunc_end228:
	.size	_ZL23rocblas_gemvt_sn_kernelILb1ELi256ELi4EiPKfS1_fEviiT4_lPKT3_lilS5_lilPT5_i, .Lfunc_end228-_ZL23rocblas_gemvt_sn_kernelILb1ELi256ELi4EiPKfS1_fEviiT4_lPKT3_lilS5_lilPT5_i
                                        ; -- End function
	.set _ZL23rocblas_gemvt_sn_kernelILb1ELi256ELi4EiPKfS1_fEviiT4_lPKT3_lilS5_lilPT5_i.num_vgpr, 51
	.set _ZL23rocblas_gemvt_sn_kernelILb1ELi256ELi4EiPKfS1_fEviiT4_lPKT3_lilS5_lilPT5_i.num_agpr, 0
	.set _ZL23rocblas_gemvt_sn_kernelILb1ELi256ELi4EiPKfS1_fEviiT4_lPKT3_lilS5_lilPT5_i.numbered_sgpr, 44
	.set _ZL23rocblas_gemvt_sn_kernelILb1ELi256ELi4EiPKfS1_fEviiT4_lPKT3_lilS5_lilPT5_i.num_named_barrier, 0
	.set _ZL23rocblas_gemvt_sn_kernelILb1ELi256ELi4EiPKfS1_fEviiT4_lPKT3_lilS5_lilPT5_i.private_seg_size, 0
	.set _ZL23rocblas_gemvt_sn_kernelILb1ELi256ELi4EiPKfS1_fEviiT4_lPKT3_lilS5_lilPT5_i.uses_vcc, 1
	.set _ZL23rocblas_gemvt_sn_kernelILb1ELi256ELi4EiPKfS1_fEviiT4_lPKT3_lilS5_lilPT5_i.uses_flat_scratch, 1
	.set _ZL23rocblas_gemvt_sn_kernelILb1ELi256ELi4EiPKfS1_fEviiT4_lPKT3_lilS5_lilPT5_i.has_dyn_sized_stack, 0
	.set _ZL23rocblas_gemvt_sn_kernelILb1ELi256ELi4EiPKfS1_fEviiT4_lPKT3_lilS5_lilPT5_i.has_recursion, 0
	.set _ZL23rocblas_gemvt_sn_kernelILb1ELi256ELi4EiPKfS1_fEviiT4_lPKT3_lilS5_lilPT5_i.has_indirect_call, 0
	.section	.AMDGPU.csdata,"",@progbits
; Kernel info:
; codeLenInByte = 4072
; TotalNumSgprs: 46
; NumVgprs: 51
; ScratchSize: 0
; MemoryBound: 0
; FloatMode: 240
; IeeeMode: 1
; LDSByteSize: 128 bytes/workgroup (compile time only)
; SGPRBlocks: 0
; VGPRBlocks: 6
; NumSGPRsForWavesPerEU: 46
; NumVGPRsForWavesPerEU: 51
; Occupancy: 16
; WaveLimiterHint : 0
; COMPUTE_PGM_RSRC2:SCRATCH_EN: 0
; COMPUTE_PGM_RSRC2:USER_SGPR: 6
; COMPUTE_PGM_RSRC2:TRAP_HANDLER: 0
; COMPUTE_PGM_RSRC2:TGID_X_EN: 1
; COMPUTE_PGM_RSRC2:TGID_Y_EN: 0
; COMPUTE_PGM_RSRC2:TGID_Z_EN: 1
; COMPUTE_PGM_RSRC2:TIDIG_COMP_CNT: 0
	.section	.text._ZL23rocblas_gemvt_sn_kernelILb1ELi256ELi4ElPKfS1_fEviiT4_lPKT3_lilS5_lilPT5_i,"axG",@progbits,_ZL23rocblas_gemvt_sn_kernelILb1ELi256ELi4ElPKfS1_fEviiT4_lPKT3_lilS5_lilPT5_i,comdat
	.globl	_ZL23rocblas_gemvt_sn_kernelILb1ELi256ELi4ElPKfS1_fEviiT4_lPKT3_lilS5_lilPT5_i ; -- Begin function _ZL23rocblas_gemvt_sn_kernelILb1ELi256ELi4ElPKfS1_fEviiT4_lPKT3_lilS5_lilPT5_i
	.p2align	8
	.type	_ZL23rocblas_gemvt_sn_kernelILb1ELi256ELi4ElPKfS1_fEviiT4_lPKT3_lilS5_lilPT5_i,@function
_ZL23rocblas_gemvt_sn_kernelILb1ELi256ELi4ElPKfS1_fEviiT4_lPKT3_lilS5_lilPT5_i: ; @_ZL23rocblas_gemvt_sn_kernelILb1ELi256ELi4ElPKfS1_fEviiT4_lPKT3_lilS5_lilPT5_i
; %bb.0:
	s_load_dwordx8 s[8:15], s[4:5], 0x8
	s_mov_b32 s0, s7
	s_mov_b64 s[20:21], 0
	s_mov_b64 s[18:19], 0
	s_waitcnt lgkmcnt(0)
	s_mul_i32 s1, s11, s7
	s_mul_hi_u32 s2, s10, s7
	s_add_i32 s3, s2, s1
	s_mul_i32 s2, s10, s7
	s_mov_b32 s1, 0
	s_lshl_b64 s[2:3], s[2:3], 2
	s_add_u32 s2, s8, s2
	s_addc_u32 s3, s9, s3
	s_load_dword s33, s[2:3], 0x0
	s_waitcnt lgkmcnt(0)
	v_cmp_eq_f32_e64 s2, s33, 0
	v_cmp_neq_f32_e64 s3, s33, 0
	s_and_b32 vcc_lo, exec_lo, s2
	s_cbranch_vccnz .LBB229_2
; %bb.1:
	s_lshl_b64 s[8:9], s[0:1], 3
	s_add_u32 s8, s12, s8
	s_addc_u32 s9, s13, s9
	s_lshl_b64 s[10:11], s[14:15], 2
	s_load_dwordx2 s[8:9], s[8:9], 0x0
	s_waitcnt lgkmcnt(0)
	s_add_u32 s18, s8, s10
	s_addc_u32 s19, s9, s11
.LBB229_2:
	s_andn2_b32 vcc_lo, exec_lo, s3
	s_cbranch_vccnz .LBB229_4
; %bb.3:
	s_load_dwordx4 s[8:11], s[4:5], 0x38
	s_lshl_b64 s[12:13], s[0:1], 3
	s_waitcnt lgkmcnt(0)
	s_add_u32 s8, s8, s12
	s_addc_u32 s9, s9, s13
	s_lshl_b64 s[10:11], s[10:11], 2
	s_load_dwordx2 s[8:9], s[8:9], 0x0
	s_waitcnt lgkmcnt(0)
	s_add_u32 s20, s8, s10
	s_addc_u32 s21, s9, s11
.LBB229_4:
	s_clause 0x2
	s_load_dwordx2 s[12:13], s[4:5], 0x0
	s_load_dword s14, s[4:5], 0x68
	s_load_dwordx2 s[10:11], s[4:5], 0x58
	s_mov_b32 s15, 0
	s_waitcnt lgkmcnt(0)
	s_ashr_i32 s8, s13, 31
	s_mul_hi_u32 s1, s13, s0
	s_mul_i32 s3, s8, s0
	s_mul_i32 s0, s13, s0
	s_add_i32 s1, s1, s3
	s_mul_hi_u32 s3, s0, s14
	s_mul_i32 s1, s1, s14
	s_mul_i32 s0, s0, s14
	s_add_i32 s1, s3, s1
	s_lshl_b64 s[0:1], s[0:1], 2
	s_add_u32 s36, s10, s0
	s_addc_u32 s37, s11, s1
	s_andn2_b32 vcc_lo, exec_lo, s2
	s_mov_b32 s0, -1
	s_cbranch_vccnz .LBB229_9
; %bb.5:
	v_cmp_eq_u32_e32 vcc_lo, 0, v0
	s_cmp_gt_i32 s13, 0
	s_cselect_b32 s0, -1, 0
	s_and_b32 s0, vcc_lo, s0
	s_and_saveexec_b32 s9, s0
	s_cbranch_execz .LBB229_8
; %bb.6:
	s_mov_b32 s7, 0
	v_mov_b32_e32 v1, 0
	s_lshl_b64 s[0:1], s[6:7], 2
	s_mov_b32 s7, s13
	s_add_u32 s0, s36, s0
	s_addc_u32 s1, s37, s1
	s_lshl_b64 s[2:3], s[14:15], 2
.LBB229_7:                              ; =>This Inner Loop Header: Depth=1
	s_add_i32 s7, s7, -1
	global_store_dword v1, v1, s[0:1]
	s_add_u32 s0, s0, s2
	s_addc_u32 s1, s1, s3
	s_cmp_eq_u32 s7, 0
	s_cbranch_scc0 .LBB229_7
.LBB229_8:
	s_or_b32 exec_lo, exec_lo, s9
	s_mov_b32 s0, 0
.LBB229_9:
	s_andn2_b32 vcc_lo, exec_lo, s0
	s_cbranch_vccnz .LBB229_84
; %bb.10:
	s_lshl_b32 s0, s6, 10
	s_clause 0x1
	s_load_dword s16, s[4:5], 0x28
	s_load_dword s22, s[4:5], 0x48
	v_lshl_or_b32 v13, v0, 2, s0
	s_ashr_i32 s0, s12, 31
	s_lshr_b32 s1, s8, 30
	s_lshr_b32 s0, s0, 30
	s_add_i32 s1, s13, s1
	v_ashrrev_i32_e32 v14, 31, v13
	s_add_i32 s0, s12, s0
	s_and_b32 s38, s1, -4
	s_and_b32 s0, s0, -4
	v_add_nc_u32_e32 v30, 4, v13
	v_lshlrev_b64 v[11:12], 2, v[13:14]
	s_sub_i32 s15, s12, s0
	v_and_b32_e32 v27, 31, v0
	v_add_nc_u32_e32 v31, s15, v13
	v_cmp_gt_u32_e64 s0, 32, v0
	v_mbcnt_lo_u32_b32 v29, -1, 0
	v_add_co_u32 v9, vcc_lo, s18, v11
	v_add_co_ci_u32_e64 v10, null, s19, v12, vcc_lo
	v_cmp_gt_u32_e64 s1, 8, v0
	v_lshrrev_b32_e32 v28, 3, v0
	v_cmp_eq_u32_e64 s2, 0, v0
	v_or_b32_e32 v26, 1, v13
	v_or_b32_e32 v25, 2, v13
	;; [unrolled: 1-line block ×3, first 2 shown]
	s_waitcnt lgkmcnt(0)
	s_ashr_i32 s17, s16, 31
	s_ashr_i32 s23, s22, 31
	s_cmp_lt_i32 s38, 1
	s_cbranch_scc1 .LBB229_59
; %bb.11:
	v_cmp_gt_u32_e32 vcc_lo, 24, v29
	v_mad_i64_i32 v[5:6], null, s22, v25, 0
	v_mad_i64_i32 v[7:8], null, s22, v24, 0
	v_cndmask_b32_e64 v1, 0, 8, vcc_lo
	v_cmp_gt_u32_e32 vcc_lo, 28, v29
	s_cmp_gt_i32 s15, 0
	s_mov_b32 s7, 0
	v_mov_b32_e32 v23, v10
	v_add_lshl_u32 v33, v1, v29, 2
	v_cndmask_b32_e64 v2, 0, 4, vcc_lo
	v_cmp_gt_u32_e32 vcc_lo, 30, v29
	v_cmp_ge_i32_e64 s3, s12, v30
	v_cmp_ge_i32_e64 s4, s12, v31
	s_cselect_b32 s39, -1, 0
	v_add_lshl_u32 v34, v2, v29, 2
	v_cndmask_b32_e64 v3, 0, 2, vcc_lo
	v_cmp_ne_u32_e32 vcc_lo, 31, v29
	v_mad_i64_i32 v[1:2], null, s22, v13, 0
	v_lshl_or_b32 v32, v29, 2, 64
	v_add_lshl_u32 v35, v3, v29, 2
	v_add_co_ci_u32_e64 v4, null, 0, v29, vcc_lo
	v_cmp_eq_u32_e64 s5, 0, v27
	v_lshlrev_b32_e32 v37, 2, v27
	v_lshlrev_b64 v[1:2], 2, v[1:2]
	v_lshlrev_b32_e32 v36, 2, v4
	v_mad_i64_i32 v[3:4], null, s22, v26, 0
	s_lshl_b64 s[8:9], s[6:7], 2
	v_and_b32_e32 v38, 28, v28
	v_add_co_u32 v14, vcc_lo, s20, v1
	v_add_co_ci_u32_e64 v15, null, s21, v2, vcc_lo
	v_lshlrev_b64 v[3:4], 2, v[3:4]
	v_lshlrev_b64 v[1:2], 2, v[5:6]
	v_mov_b32_e32 v5, 0
	v_mov_b32_e32 v22, v9
	s_add_u32 s40, s36, s8
	s_addc_u32 s41, s37, s9
	v_add_co_u32 v16, vcc_lo, s20, v3
	v_add_co_ci_u32_e64 v17, null, s21, v4, vcc_lo
	v_lshlrev_b64 v[3:4], 2, v[7:8]
	v_add_co_u32 v18, vcc_lo, s20, v1
	v_mov_b32_e32 v6, v5
	v_mov_b32_e32 v7, v5
	;; [unrolled: 1-line block ×3, first 2 shown]
	v_add_co_ci_u32_e64 v19, null, s21, v2, vcc_lo
	v_add_co_u32 v20, vcc_lo, s20, v3
	v_add_co_ci_u32_e64 v21, null, s21, v4, vcc_lo
	v_mov_b32_e32 v1, v5
	v_mov_b32_e32 v2, v6
	;; [unrolled: 1-line block ×4, first 2 shown]
	s_lshl_b64 s[24:25], s[22:23], 2
	s_mul_hi_i32 s42, s16, 12
	s_mul_i32 s43, s16, 12
	s_lshl_b64 s[26:27], s[16:17], 4
	s_lshl_b64 s[28:29], s[16:17], 3
	;; [unrolled: 1-line block ×3, first 2 shown]
	s_branch .LBB229_13
.LBB229_12:                             ;   in Loop: Header=BB229_13 Depth=1
	s_or_b32 exec_lo, exec_lo, s8
	v_add_co_u32 v22, vcc_lo, v22, s26
	v_add_co_ci_u32_e64 v23, null, s27, v23, vcc_lo
	s_add_i32 s7, s7, 4
	s_cmp_ge_i32 s7, s38
	s_cbranch_scc1 .LBB229_60
.LBB229_13:                             ; =>This Loop Header: Depth=1
                                        ;     Child Loop BB229_44 Depth 2
                                        ;     Child Loop BB229_47 Depth 2
                                        ; implicit-def: $vgpr8
                                        ; implicit-def: $vgpr39
                                        ; implicit-def: $vgpr40
                                        ; implicit-def: $vgpr41
	s_and_saveexec_b32 s8, s3
	s_xor_b32 s8, exec_lo, s8
	s_cbranch_execnz .LBB229_40
; %bb.14:                               ;   in Loop: Header=BB229_13 Depth=1
	s_andn2_saveexec_b32 s44, s8
	s_cbranch_execnz .LBB229_41
.LBB229_15:                             ;   in Loop: Header=BB229_13 Depth=1
	s_or_b32 exec_lo, exec_lo, s44
	s_and_saveexec_b32 s8, s0
.LBB229_16:                             ;   in Loop: Header=BB229_13 Depth=1
	ds_write_b32 v37, v5
.LBB229_17:                             ;   in Loop: Header=BB229_13 Depth=1
	s_or_b32 exec_lo, exec_lo, s8
	ds_bpermute_b32 v6, v32, v41
	s_waitcnt lgkmcnt(0)
	s_waitcnt_vscnt null, 0x0
	s_barrier
	buffer_gl0_inv
	v_add_f32_e32 v6, v41, v6
	ds_bpermute_b32 v7, v33, v6
	s_waitcnt lgkmcnt(0)
	v_add_f32_e32 v6, v6, v7
	ds_bpermute_b32 v7, v34, v6
	s_waitcnt lgkmcnt(0)
	;; [unrolled: 3-line block ×3, first 2 shown]
	v_add_f32_e32 v6, v6, v7
	ds_bpermute_b32 v7, v36, v6
	s_and_saveexec_b32 s8, s5
	s_cbranch_execz .LBB229_19
; %bb.18:                               ;   in Loop: Header=BB229_13 Depth=1
	s_waitcnt lgkmcnt(0)
	v_add_f32_e32 v6, v6, v7
	ds_write_b32 v38, v6
.LBB229_19:                             ;   in Loop: Header=BB229_13 Depth=1
	s_or_b32 exec_lo, exec_lo, s8
	v_mov_b32_e32 v6, 0
	s_waitcnt lgkmcnt(0)
	s_barrier
	buffer_gl0_inv
	s_and_saveexec_b32 s8, s1
	s_cbranch_execnz .LBB229_48
; %bb.20:                               ;   in Loop: Header=BB229_13 Depth=1
	s_or_b32 exec_lo, exec_lo, s8
	s_and_saveexec_b32 s8, s0
	s_cbranch_execnz .LBB229_49
.LBB229_21:                             ;   in Loop: Header=BB229_13 Depth=1
	s_or_b32 exec_lo, exec_lo, s8
	s_and_saveexec_b32 s8, s0
.LBB229_22:                             ;   in Loop: Header=BB229_13 Depth=1
	ds_write_b32 v37, v5
.LBB229_23:                             ;   in Loop: Header=BB229_13 Depth=1
	s_or_b32 exec_lo, exec_lo, s8
	ds_bpermute_b32 v7, v32, v40
	s_waitcnt lgkmcnt(0)
	s_barrier
	buffer_gl0_inv
	v_add_f32_e32 v7, v40, v7
	ds_bpermute_b32 v40, v33, v7
	s_waitcnt lgkmcnt(0)
	v_add_f32_e32 v7, v7, v40
	ds_bpermute_b32 v40, v34, v7
	s_waitcnt lgkmcnt(0)
	;; [unrolled: 3-line block ×3, first 2 shown]
	v_add_f32_e32 v7, v7, v40
	ds_bpermute_b32 v40, v36, v7
	s_and_saveexec_b32 s8, s5
	s_cbranch_execz .LBB229_25
; %bb.24:                               ;   in Loop: Header=BB229_13 Depth=1
	s_waitcnt lgkmcnt(0)
	v_add_f32_e32 v7, v7, v40
	ds_write_b32 v38, v7
.LBB229_25:                             ;   in Loop: Header=BB229_13 Depth=1
	s_or_b32 exec_lo, exec_lo, s8
	v_mov_b32_e32 v7, 0
	s_waitcnt lgkmcnt(0)
	s_barrier
	buffer_gl0_inv
	s_and_saveexec_b32 s8, s1
	s_cbranch_execnz .LBB229_50
; %bb.26:                               ;   in Loop: Header=BB229_13 Depth=1
	s_or_b32 exec_lo, exec_lo, s8
	s_and_saveexec_b32 s8, s0
	s_cbranch_execnz .LBB229_51
.LBB229_27:                             ;   in Loop: Header=BB229_13 Depth=1
	s_or_b32 exec_lo, exec_lo, s8
	s_and_saveexec_b32 s8, s0
.LBB229_28:                             ;   in Loop: Header=BB229_13 Depth=1
	ds_write_b32 v37, v5
.LBB229_29:                             ;   in Loop: Header=BB229_13 Depth=1
	s_or_b32 exec_lo, exec_lo, s8
	ds_bpermute_b32 v40, v32, v39
	s_waitcnt lgkmcnt(0)
	s_barrier
	buffer_gl0_inv
	v_add_f32_e32 v39, v39, v40
	ds_bpermute_b32 v40, v33, v39
	s_waitcnt lgkmcnt(0)
	v_add_f32_e32 v39, v39, v40
	ds_bpermute_b32 v40, v34, v39
	s_waitcnt lgkmcnt(0)
	;; [unrolled: 3-line block ×3, first 2 shown]
	v_add_f32_e32 v39, v39, v40
	ds_bpermute_b32 v40, v36, v39
	s_and_saveexec_b32 s8, s5
	s_cbranch_execz .LBB229_31
; %bb.30:                               ;   in Loop: Header=BB229_13 Depth=1
	s_waitcnt lgkmcnt(0)
	v_add_f32_e32 v39, v39, v40
	ds_write_b32 v38, v39
.LBB229_31:                             ;   in Loop: Header=BB229_13 Depth=1
	s_or_b32 exec_lo, exec_lo, s8
	v_mov_b32_e32 v39, 0
	s_waitcnt lgkmcnt(0)
	s_barrier
	buffer_gl0_inv
	s_and_saveexec_b32 s8, s1
	s_cbranch_execnz .LBB229_52
; %bb.32:                               ;   in Loop: Header=BB229_13 Depth=1
	s_or_b32 exec_lo, exec_lo, s8
	s_and_saveexec_b32 s8, s0
	s_cbranch_execnz .LBB229_53
.LBB229_33:                             ;   in Loop: Header=BB229_13 Depth=1
	s_or_b32 exec_lo, exec_lo, s8
	s_and_saveexec_b32 s8, s0
.LBB229_34:                             ;   in Loop: Header=BB229_13 Depth=1
	ds_write_b32 v37, v5
.LBB229_35:                             ;   in Loop: Header=BB229_13 Depth=1
	s_or_b32 exec_lo, exec_lo, s8
	ds_bpermute_b32 v40, v32, v8
	s_waitcnt lgkmcnt(0)
	s_barrier
	buffer_gl0_inv
	v_add_f32_e32 v8, v8, v40
	ds_bpermute_b32 v40, v33, v8
	s_waitcnt lgkmcnt(0)
	v_add_f32_e32 v8, v8, v40
	ds_bpermute_b32 v40, v34, v8
	s_waitcnt lgkmcnt(0)
	;; [unrolled: 3-line block ×3, first 2 shown]
	v_add_f32_e32 v8, v8, v40
	ds_bpermute_b32 v40, v36, v8
	s_and_saveexec_b32 s8, s5
	s_cbranch_execz .LBB229_37
; %bb.36:                               ;   in Loop: Header=BB229_13 Depth=1
	s_waitcnt lgkmcnt(0)
	v_add_f32_e32 v8, v8, v40
	ds_write_b32 v38, v8
.LBB229_37:                             ;   in Loop: Header=BB229_13 Depth=1
	s_or_b32 exec_lo, exec_lo, s8
	v_mov_b32_e32 v8, 0
	s_waitcnt lgkmcnt(0)
	s_barrier
	buffer_gl0_inv
	s_and_saveexec_b32 s8, s1
	s_cbranch_execnz .LBB229_54
; %bb.38:                               ;   in Loop: Header=BB229_13 Depth=1
	s_or_b32 exec_lo, exec_lo, s8
	s_and_saveexec_b32 s8, s0
	s_cbranch_execnz .LBB229_55
.LBB229_39:                             ;   in Loop: Header=BB229_13 Depth=1
	s_or_b32 exec_lo, exec_lo, s8
	s_and_saveexec_b32 s8, s2
	s_cbranch_execz .LBB229_12
	s_branch .LBB229_56
.LBB229_40:                             ;   in Loop: Header=BB229_13 Depth=1
	s_mul_i32 s9, s7, s17
	s_mul_hi_u32 s10, s7, s16
	s_add_i32 s11, s10, s9
	s_mul_i32 s10, s7, s16
	s_or_b32 s9, s7, 1
	s_lshl_b64 s[10:11], s[10:11], 2
	s_mul_i32 s34, s9, s17
	s_mul_hi_u32 s35, s9, s16
	v_add_co_u32 v2, vcc_lo, v9, s10
	v_add_co_ci_u32_e64 v3, null, s11, v10, vcc_lo
	s_add_i32 s11, s35, s34
	s_mul_i32 s10, s9, s16
	s_or_b32 s9, s7, 2
	s_lshl_b64 s[10:11], s[10:11], 2
	s_mul_i32 s34, s9, s17
	s_mul_hi_u32 s35, s9, s16
	v_add_co_u32 v6, vcc_lo, v9, s10
	v_add_co_ci_u32_e64 v7, null, s11, v10, vcc_lo
	s_add_i32 s11, s35, s34
	s_or_b32 s34, s7, 3
	s_mul_i32 s10, s9, s16
	s_mul_i32 s9, s34, s17
	s_mul_hi_u32 s35, s34, s16
	s_lshl_b64 s[10:11], s[10:11], 2
	s_add_i32 s35, s35, s9
	s_mul_i32 s34, s34, s16
	v_add_co_u32 v39, vcc_lo, v9, s10
	v_add_co_ci_u32_e64 v40, null, s11, v10, vcc_lo
	s_lshl_b64 s[10:11], s[34:35], 2
	v_add_co_u32 v53, vcc_lo, v9, s10
	v_add_co_ci_u32_e64 v54, null, s11, v10, vcc_lo
	flat_load_dword v1, v[14:15]
	s_clause 0x3
	flat_load_dwordx4 v[41:44], v[2:3]
	flat_load_dwordx4 v[45:48], v[6:7]
	;; [unrolled: 1-line block ×4, first 2 shown]
	s_clause 0x2
	flat_load_dword v2, v[16:17]
	flat_load_dword v3, v[18:19]
	;; [unrolled: 1-line block ×3, first 2 shown]
	s_waitcnt vmcnt(6) lgkmcnt(6)
	v_fma_f32 v41, v1, v41, 0
	s_waitcnt vmcnt(5) lgkmcnt(5)
	v_fma_f32 v40, v1, v45, 0
	;; [unrolled: 2-line block ×4, first 2 shown]
	s_waitcnt vmcnt(2) lgkmcnt(2)
	v_fmac_f32_e32 v41, v2, v42
	v_fmac_f32_e32 v40, v2, v46
	v_fmac_f32_e32 v39, v2, v50
	v_fmac_f32_e32 v8, v2, v54
	s_waitcnt vmcnt(1) lgkmcnt(1)
	v_fmac_f32_e32 v41, v3, v43
	v_fmac_f32_e32 v40, v3, v47
	v_fmac_f32_e32 v39, v3, v51
	v_fmac_f32_e32 v8, v3, v55
	s_waitcnt vmcnt(0) lgkmcnt(0)
	v_fmac_f32_e32 v41, v4, v44
	v_fmac_f32_e32 v40, v4, v48
	v_fmac_f32_e32 v39, v4, v52
	v_fmac_f32_e32 v8, v4, v56
	s_andn2_saveexec_b32 s44, s8
	s_cbranch_execz .LBB229_15
.LBB229_41:                             ;   in Loop: Header=BB229_13 Depth=1
	s_waitcnt lgkmcnt(0)
	v_mov_b32_e32 v8, 0
	v_mov_b32_e32 v39, 0
	;; [unrolled: 1-line block ×4, first 2 shown]
	s_and_saveexec_b32 s45, s4
	s_cbranch_execz .LBB229_58
; %bb.42:                               ;   in Loop: Header=BB229_13 Depth=1
	s_andn2_b32 vcc_lo, exec_lo, s39
	s_cbranch_vccnz .LBB229_45
; %bb.43:                               ;   in Loop: Header=BB229_13 Depth=1
	v_mov_b32_e32 v6, v14
	v_mov_b32_e32 v7, v15
	s_mov_b64 s[34:35], 0
	.p2align	6
.LBB229_44:                             ;   Parent Loop BB229_13 Depth=1
                                        ; =>  This Inner Loop Header: Depth=2
	flat_load_dword v8, v[6:7]
	s_cmp_eq_u32 s34, 3
	v_add_co_u32 v6, vcc_lo, v6, s24
	v_add_co_ci_u32_e64 v7, null, s25, v7, vcc_lo
	s_cselect_b32 vcc_lo, -1, 0
	s_cmp_eq_u32 s34, 2
	s_cselect_b32 s8, -1, 0
	s_cmp_eq_u32 s34, 1
	s_cselect_b32 s9, -1, 0
	;; [unrolled: 2-line block ×3, first 2 shown]
	s_add_u32 s34, s34, 1
	s_addc_u32 s35, s35, 0
	s_cmp_eq_u32 s15, s34
	s_waitcnt vmcnt(0) lgkmcnt(0)
	v_cndmask_b32_e32 v4, v4, v8, vcc_lo
	v_cndmask_b32_e64 v3, v3, v8, s8
	v_cndmask_b32_e64 v2, v2, v8, s9
	;; [unrolled: 1-line block ×3, first 2 shown]
	s_cbranch_scc0 .LBB229_44
.LBB229_45:                             ;   in Loop: Header=BB229_13 Depth=1
	s_andn2_b32 vcc_lo, exec_lo, s39
	s_cbranch_vccnz .LBB229_57
; %bb.46:                               ;   in Loop: Header=BB229_13 Depth=1
	v_mov_b32_e32 v6, v22
	v_mov_b32_e32 v41, 0
	;; [unrolled: 1-line block ×6, first 2 shown]
	s_mov_b64 s[10:11], 0
	s_inst_prefetch 0x1
	.p2align	6
.LBB229_47:                             ;   Parent Loop BB229_13 Depth=1
                                        ; =>  This Inner Loop Header: Depth=2
	v_add_co_u32 v42, vcc_lo, v6, s30
	v_add_co_ci_u32_e64 v43, null, s31, v7, vcc_lo
	v_add_co_u32 v44, vcc_lo, v6, s28
	v_add_co_ci_u32_e64 v45, null, s29, v7, vcc_lo
	;; [unrolled: 2-line block ×3, first 2 shown]
	s_clause 0x3
	flat_load_dword v48, v[6:7]
	flat_load_dword v42, v[42:43]
	;; [unrolled: 1-line block ×4, first 2 shown]
	s_cmp_eq_u32 s10, 1
	v_add_co_u32 v6, s8, v6, 4
	s_cselect_b32 vcc_lo, -1, 0
	s_cmp_eq_u32 s10, 2
	v_cndmask_b32_e32 v45, v1, v2, vcc_lo
	s_cselect_b32 vcc_lo, -1, 0
	s_cmp_eq_u32 s10, 3
	v_add_co_ci_u32_e64 v7, null, 0, v7, s8
	v_cndmask_b32_e32 v45, v45, v3, vcc_lo
	s_cselect_b32 vcc_lo, -1, 0
	s_add_u32 s10, s10, 1
	s_addc_u32 s11, s11, 0
	s_cmp_lg_u32 s15, s10
	v_cndmask_b32_e32 v45, v45, v4, vcc_lo
	s_waitcnt vmcnt(3) lgkmcnt(3)
	v_fmac_f32_e32 v41, v45, v48
	s_waitcnt vmcnt(2) lgkmcnt(2)
	v_fmac_f32_e32 v40, v45, v42
	;; [unrolled: 2-line block ×4, first 2 shown]
	s_cbranch_scc1 .LBB229_47
	s_branch .LBB229_58
.LBB229_48:                             ;   in Loop: Header=BB229_13 Depth=1
	ds_read_b32 v6, v37
	s_or_b32 exec_lo, exec_lo, s8
	s_and_saveexec_b32 s8, s0
	s_cbranch_execz .LBB229_21
.LBB229_49:                             ;   in Loop: Header=BB229_13 Depth=1
	s_waitcnt lgkmcnt(0)
	ds_bpermute_b32 v7, v34, v6
	s_waitcnt lgkmcnt(0)
	v_add_f32_e32 v6, v6, v7
	ds_bpermute_b32 v7, v35, v6
	s_waitcnt lgkmcnt(0)
	v_add_f32_e32 v6, v6, v7
	;; [unrolled: 3-line block ×3, first 2 shown]
	s_or_b32 exec_lo, exec_lo, s8
	s_and_saveexec_b32 s8, s0
	s_cbranch_execnz .LBB229_22
	s_branch .LBB229_23
.LBB229_50:                             ;   in Loop: Header=BB229_13 Depth=1
	ds_read_b32 v7, v37
	s_or_b32 exec_lo, exec_lo, s8
	s_and_saveexec_b32 s8, s0
	s_cbranch_execz .LBB229_27
.LBB229_51:                             ;   in Loop: Header=BB229_13 Depth=1
	s_waitcnt lgkmcnt(0)
	ds_bpermute_b32 v40, v34, v7
	s_waitcnt lgkmcnt(0)
	v_add_f32_e32 v7, v7, v40
	ds_bpermute_b32 v40, v35, v7
	s_waitcnt lgkmcnt(0)
	v_add_f32_e32 v7, v7, v40
	;; [unrolled: 3-line block ×3, first 2 shown]
	s_or_b32 exec_lo, exec_lo, s8
	s_and_saveexec_b32 s8, s0
	s_cbranch_execnz .LBB229_28
	s_branch .LBB229_29
.LBB229_52:                             ;   in Loop: Header=BB229_13 Depth=1
	ds_read_b32 v39, v37
	s_or_b32 exec_lo, exec_lo, s8
	s_and_saveexec_b32 s8, s0
	s_cbranch_execz .LBB229_33
.LBB229_53:                             ;   in Loop: Header=BB229_13 Depth=1
	s_waitcnt lgkmcnt(0)
	ds_bpermute_b32 v40, v34, v39
	s_waitcnt lgkmcnt(0)
	v_add_f32_e32 v39, v39, v40
	ds_bpermute_b32 v40, v35, v39
	s_waitcnt lgkmcnt(0)
	v_add_f32_e32 v39, v39, v40
	;; [unrolled: 3-line block ×3, first 2 shown]
	s_or_b32 exec_lo, exec_lo, s8
	s_and_saveexec_b32 s8, s0
	s_cbranch_execnz .LBB229_34
	s_branch .LBB229_35
.LBB229_54:                             ;   in Loop: Header=BB229_13 Depth=1
	ds_read_b32 v8, v37
	s_or_b32 exec_lo, exec_lo, s8
	s_and_saveexec_b32 s8, s0
	s_cbranch_execz .LBB229_39
.LBB229_55:                             ;   in Loop: Header=BB229_13 Depth=1
	s_waitcnt lgkmcnt(0)
	ds_bpermute_b32 v40, v34, v8
	s_waitcnt lgkmcnt(0)
	v_add_f32_e32 v8, v8, v40
	ds_bpermute_b32 v40, v35, v8
	s_waitcnt lgkmcnt(0)
	v_add_f32_e32 v8, v8, v40
	;; [unrolled: 3-line block ×3, first 2 shown]
	s_or_b32 exec_lo, exec_lo, s8
	s_and_saveexec_b32 s8, s2
	s_cbranch_execz .LBB229_12
.LBB229_56:                             ;   in Loop: Header=BB229_13 Depth=1
	s_mul_hi_u32 s11, s7, s14
	s_mul_i32 s10, s7, s14
	v_mul_f32_e32 v6, s33, v6
	s_lshl_b64 s[10:11], s[10:11], 2
	v_mul_f32_e32 v7, s33, v7
	s_add_u32 s10, s40, s10
	s_addc_u32 s11, s41, s11
	s_or_b32 s9, s7, 1
	global_store_dword v5, v6, s[10:11]
	s_mul_hi_u32 s35, s9, s14
	s_mul_i32 s34, s9, s14
	v_mul_f32_e32 v6, s33, v39
	s_lshl_b64 s[34:35], s[34:35], 2
	s_waitcnt lgkmcnt(0)
	v_mul_f32_e32 v8, s33, v8
	s_add_u32 s34, s40, s34
	s_addc_u32 s35, s41, s35
	s_or_b32 s9, s7, 2
	global_store_dword v5, v7, s[34:35]
	s_mul_hi_u32 s45, s9, s14
	s_mul_i32 s44, s9, s14
	s_lshl_b64 s[44:45], s[44:45], 2
	s_add_u32 s10, s40, s44
	s_addc_u32 s11, s41, s45
	s_or_b32 s9, s7, 3
	s_mul_hi_u32 s45, s9, s14
	s_mul_i32 s44, s9, s14
	s_lshl_b64 s[44:45], s[44:45], 2
	s_add_u32 s34, s40, s44
	s_addc_u32 s35, s41, s45
	global_store_dword v5, v6, s[10:11]
	global_store_dword v5, v8, s[34:35]
	s_branch .LBB229_12
.LBB229_57:                             ;   in Loop: Header=BB229_13 Depth=1
	v_mov_b32_e32 v8, 0
	v_mov_b32_e32 v39, 0
	;; [unrolled: 1-line block ×4, first 2 shown]
.LBB229_58:                             ;   in Loop: Header=BB229_13 Depth=1
	s_inst_prefetch 0x2
	s_or_b32 exec_lo, exec_lo, s45
	s_or_b32 exec_lo, exec_lo, s44
	s_and_saveexec_b32 s8, s0
	s_cbranch_execnz .LBB229_16
	s_branch .LBB229_17
.LBB229_59:
	v_mov_b32_e32 v1, 0
	s_mov_b32 s7, 0
	v_mov_b32_e32 v2, v1
	v_mov_b32_e32 v3, v1
	;; [unrolled: 1-line block ×3, first 2 shown]
.LBB229_60:
	s_cmp_ge_i32 s7, s13
	s_cbranch_scc1 .LBB229_84
; %bb.61:
	v_cmp_gt_u32_e32 vcc_lo, 24, v29
	v_lshl_or_b32 v20, v29, 2, 64
	v_mad_i64_i32 v[15:16], null, s22, v24, 0
	s_cmp_gt_i32 s15, 0
	v_cndmask_b32_e64 v5, 0, 8, vcc_lo
	v_cmp_gt_u32_e32 vcc_lo, 28, v29
	s_mov_b32 s11, 0
	s_mov_b32 s10, s6
	v_cmp_ge_i32_e64 s0, s12, v30
	v_add_lshl_u32 v21, v5, v29, 2
	v_cndmask_b32_e64 v6, 0, 4, vcc_lo
	v_cmp_gt_u32_e32 vcc_lo, 30, v29
	v_lshlrev_b64 v[15:16], 2, v[15:16]
	v_cmp_ge_i32_e64 s1, s12, v31
	s_cselect_b32 s12, -1, 0
	v_add_lshl_u32 v22, v6, v29, 2
	v_cndmask_b32_e64 v7, 0, 2, vcc_lo
	v_cmp_ne_u32_e32 vcc_lo, 31, v29
	v_mad_i64_i32 v[5:6], null, s22, v13, 0
	v_mad_i64_i32 v[13:14], null, s22, v25, 0
	s_waitcnt lgkmcnt(0)
	v_add_co_ci_u32_e64 v8, null, 0, v29, vcc_lo
	v_add_lshl_u32 v23, v7, v29, 2
	s_lshl_b64 s[8:9], s[10:11], 2
	v_lshlrev_b64 v[5:6], 2, v[5:6]
	v_lshlrev_b32_e32 v29, 2, v8
	v_mad_i64_i32 v[7:8], null, s22, v26, 0
	v_lshlrev_b64 v[13:14], 2, v[13:14]
	s_add_u32 s10, s36, s8
	v_add_co_u32 v5, vcc_lo, s20, v5
	v_add_co_ci_u32_e64 v6, null, s21, v6, vcc_lo
	v_lshlrev_b64 v[7:8], 2, v[7:8]
	s_mul_i32 s6, s17, s7
	s_mul_hi_u32 s8, s16, s7
	s_addc_u32 s24, s37, s9
	s_add_i32 s9, s8, s6
	s_mul_i32 s8, s16, s7
	v_add_co_u32 v7, vcc_lo, s20, v7
	v_add_co_ci_u32_e64 v8, null, s21, v8, vcc_lo
	v_add_co_u32 v13, vcc_lo, s20, v13
	v_add_co_ci_u32_e64 v14, null, s21, v14, vcc_lo
	v_add_co_u32 v15, vcc_lo, s20, v15
	s_lshl_b64 s[8:9], s[8:9], 2
	v_add_co_ci_u32_e64 v16, null, s21, v16, vcc_lo
	s_lshl_b64 s[20:21], s[22:23], 2
	s_add_u32 s6, s18, s8
	s_addc_u32 s8, s19, s9
	v_add_co_u32 v11, vcc_lo, s6, v11
	v_cmp_gt_u32_e64 s2, 32, v0
	v_lshlrev_b32_e32 v19, 2, v27
	v_cmp_eq_u32_e64 s3, 0, v27
	v_and_b32_e32 v27, 28, v28
	v_cmp_gt_u32_e64 s4, 8, v0
	v_cmp_eq_u32_e64 s5, 0, v0
	v_add_co_ci_u32_e64 v12, null, s8, v12, vcc_lo
	v_mov_b32_e32 v0, 0
	s_lshl_b64 s[18:19], s[16:17], 2
	s_branch .LBB229_63
.LBB229_62:                             ;   in Loop: Header=BB229_63 Depth=1
	s_or_b32 exec_lo, exec_lo, s6
	v_add_co_u32 v11, vcc_lo, v11, s18
	v_add_co_ci_u32_e64 v12, null, s19, v12, vcc_lo
	s_add_i32 s7, s7, 1
	s_cmp_ge_i32 s7, s13
	s_cbranch_scc1 .LBB229_84
.LBB229_63:                             ; =>This Loop Header: Depth=1
                                        ;     Child Loop BB229_76 Depth 2
                                        ;     Child Loop BB229_79 Depth 2
	v_mov_b32_e32 v24, s11
	s_and_saveexec_b32 s6, s0
	s_xor_b32 s6, exec_lo, s6
	s_cbranch_execnz .LBB229_72
; %bb.64:                               ;   in Loop: Header=BB229_63 Depth=1
	s_andn2_saveexec_b32 s25, s6
	s_cbranch_execnz .LBB229_73
.LBB229_65:                             ;   in Loop: Header=BB229_63 Depth=1
	s_or_b32 exec_lo, exec_lo, s25
	s_and_saveexec_b32 s6, s2
.LBB229_66:                             ;   in Loop: Header=BB229_63 Depth=1
	ds_write_b32 v19, v0
.LBB229_67:                             ;   in Loop: Header=BB229_63 Depth=1
	s_or_b32 exec_lo, exec_lo, s6
	s_waitcnt lgkmcnt(0)
	ds_bpermute_b32 v17, v20, v24
	s_waitcnt lgkmcnt(0)
	s_waitcnt_vscnt null, 0x0
	s_barrier
	buffer_gl0_inv
	v_add_f32_e32 v17, v24, v17
	ds_bpermute_b32 v18, v21, v17
	s_waitcnt lgkmcnt(0)
	v_add_f32_e32 v17, v17, v18
	ds_bpermute_b32 v18, v22, v17
	s_waitcnt lgkmcnt(0)
	;; [unrolled: 3-line block ×3, first 2 shown]
	v_add_f32_e32 v17, v17, v18
	ds_bpermute_b32 v18, v29, v17
	s_and_saveexec_b32 s6, s3
	s_cbranch_execz .LBB229_69
; %bb.68:                               ;   in Loop: Header=BB229_63 Depth=1
	s_waitcnt lgkmcnt(0)
	v_add_f32_e32 v17, v17, v18
	ds_write_b32 v27, v17
.LBB229_69:                             ;   in Loop: Header=BB229_63 Depth=1
	s_or_b32 exec_lo, exec_lo, s6
	v_mov_b32_e32 v17, 0
	s_waitcnt lgkmcnt(0)
	s_barrier
	buffer_gl0_inv
	s_and_saveexec_b32 s6, s4
	s_cbranch_execnz .LBB229_81
; %bb.70:                               ;   in Loop: Header=BB229_63 Depth=1
	s_or_b32 exec_lo, exec_lo, s6
	s_and_saveexec_b32 s6, s2
	s_cbranch_execnz .LBB229_82
.LBB229_71:                             ;   in Loop: Header=BB229_63 Depth=1
	s_or_b32 exec_lo, exec_lo, s6
	s_and_saveexec_b32 s6, s5
	s_cbranch_execz .LBB229_62
	s_branch .LBB229_83
.LBB229_72:                             ;   in Loop: Header=BB229_63 Depth=1
	s_mul_i32 s9, s7, s17
	s_mul_hi_u32 s22, s7, s16
	s_mul_i32 s8, s7, s16
	s_add_i32 s9, s22, s9
	s_lshl_b64 s[8:9], s[8:9], 2
	v_add_co_u32 v1, vcc_lo, v9, s8
	v_add_co_ci_u32_e64 v2, null, s9, v10, vcc_lo
	flat_load_dwordx4 v[30:33], v[1:2]
	s_clause 0x3
	flat_load_dword v1, v[5:6]
	flat_load_dword v2, v[7:8]
	;; [unrolled: 1-line block ×4, first 2 shown]
	s_waitcnt vmcnt(3) lgkmcnt(3)
	v_fma_f32 v24, v1, v30, 0
	s_waitcnt vmcnt(2) lgkmcnt(2)
	v_fmac_f32_e32 v24, v2, v31
	s_waitcnt vmcnt(1) lgkmcnt(1)
	v_fmac_f32_e32 v24, v3, v32
	s_waitcnt vmcnt(0) lgkmcnt(0)
	v_fmac_f32_e32 v24, v4, v33
	s_andn2_saveexec_b32 s25, s6
	s_cbranch_execz .LBB229_65
.LBB229_73:                             ;   in Loop: Header=BB229_63 Depth=1
	s_and_saveexec_b32 s26, s1
	s_cbranch_execz .LBB229_80
; %bb.74:                               ;   in Loop: Header=BB229_63 Depth=1
	s_andn2_b32 vcc_lo, exec_lo, s12
	s_cbranch_vccnz .LBB229_77
; %bb.75:                               ;   in Loop: Header=BB229_63 Depth=1
	s_waitcnt lgkmcnt(0)
	v_mov_b32_e32 v18, v6
	v_mov_b32_e32 v17, v5
	s_mov_b64 s[22:23], 0
	.p2align	6
.LBB229_76:                             ;   Parent Loop BB229_63 Depth=1
                                        ; =>  This Inner Loop Header: Depth=2
	flat_load_dword v25, v[17:18]
	s_cmp_eq_u32 s22, 3
	v_add_co_u32 v17, vcc_lo, v17, s20
	v_add_co_ci_u32_e64 v18, null, s21, v18, vcc_lo
	s_cselect_b32 vcc_lo, -1, 0
	s_cmp_eq_u32 s22, 2
	s_cselect_b32 s6, -1, 0
	s_cmp_eq_u32 s22, 1
	s_cselect_b32 s8, -1, 0
	;; [unrolled: 2-line block ×3, first 2 shown]
	s_add_u32 s22, s22, 1
	s_addc_u32 s23, s23, 0
	s_cmp_eq_u32 s15, s22
	s_waitcnt vmcnt(0) lgkmcnt(0)
	v_cndmask_b32_e32 v4, v4, v25, vcc_lo
	v_cndmask_b32_e64 v3, v3, v25, s6
	v_cndmask_b32_e64 v2, v2, v25, s8
	;; [unrolled: 1-line block ×3, first 2 shown]
	s_cbranch_scc0 .LBB229_76
.LBB229_77:                             ;   in Loop: Header=BB229_63 Depth=1
	s_andn2_b32 vcc_lo, exec_lo, s12
	s_cbranch_vccnz .LBB229_80
; %bb.78:                               ;   in Loop: Header=BB229_63 Depth=1
	s_waitcnt lgkmcnt(0)
	v_mov_b32_e32 v18, v12
	v_mov_b32_e32 v17, v11
	s_mov_b64 s[8:9], 0
	.p2align	6
.LBB229_79:                             ;   Parent Loop BB229_63 Depth=1
                                        ; =>  This Inner Loop Header: Depth=2
	flat_load_dword v25, v[17:18]
	s_cmp_eq_u32 s8, 1
	s_cselect_b32 vcc_lo, -1, 0
	s_cmp_eq_u32 s8, 2
	v_cndmask_b32_e32 v26, v1, v2, vcc_lo
	s_cselect_b32 vcc_lo, -1, 0
	s_cmp_eq_u32 s8, 3
	v_cndmask_b32_e32 v26, v26, v3, vcc_lo
	s_cselect_b32 vcc_lo, -1, 0
	s_add_u32 s8, s8, 1
	s_addc_u32 s9, s9, 0
	s_cmp_lg_u32 s15, s8
	v_cndmask_b32_e32 v26, v26, v4, vcc_lo
	v_add_co_u32 v17, vcc_lo, v17, 4
	v_add_co_ci_u32_e64 v18, null, 0, v18, vcc_lo
	s_waitcnt vmcnt(0) lgkmcnt(0)
	v_fmac_f32_e32 v24, v26, v25
	s_cbranch_scc1 .LBB229_79
.LBB229_80:                             ;   in Loop: Header=BB229_63 Depth=1
	s_or_b32 exec_lo, exec_lo, s26
	s_or_b32 exec_lo, exec_lo, s25
	s_and_saveexec_b32 s6, s2
	s_cbranch_execnz .LBB229_66
	s_branch .LBB229_67
.LBB229_81:                             ;   in Loop: Header=BB229_63 Depth=1
	ds_read_b32 v17, v19
	s_or_b32 exec_lo, exec_lo, s6
	s_and_saveexec_b32 s6, s2
	s_cbranch_execz .LBB229_71
.LBB229_82:                             ;   in Loop: Header=BB229_63 Depth=1
	s_waitcnt lgkmcnt(0)
	ds_bpermute_b32 v18, v22, v17
	s_waitcnt lgkmcnt(0)
	v_add_f32_e32 v17, v17, v18
	ds_bpermute_b32 v18, v23, v17
	s_waitcnt lgkmcnt(0)
	v_add_f32_e32 v17, v17, v18
	;; [unrolled: 3-line block ×3, first 2 shown]
	s_or_b32 exec_lo, exec_lo, s6
	s_and_saveexec_b32 s6, s5
	s_cbranch_execz .LBB229_62
.LBB229_83:                             ;   in Loop: Header=BB229_63 Depth=1
	s_mul_hi_u32 s9, s7, s14
	s_mul_i32 s8, s7, s14
	s_waitcnt lgkmcnt(0)
	v_mul_f32_e32 v17, s33, v17
	s_lshl_b64 s[8:9], s[8:9], 2
	s_add_u32 s8, s10, s8
	s_addc_u32 s9, s24, s9
	global_store_dword v0, v17, s[8:9]
	s_branch .LBB229_62
.LBB229_84:
	s_endpgm
	.section	.rodata,"a",@progbits
	.p2align	6, 0x0
	.amdhsa_kernel _ZL23rocblas_gemvt_sn_kernelILb1ELi256ELi4ElPKfS1_fEviiT4_lPKT3_lilS5_lilPT5_i
		.amdhsa_group_segment_fixed_size 128
		.amdhsa_private_segment_fixed_size 0
		.amdhsa_kernarg_size 360
		.amdhsa_user_sgpr_count 6
		.amdhsa_user_sgpr_private_segment_buffer 1
		.amdhsa_user_sgpr_dispatch_ptr 0
		.amdhsa_user_sgpr_queue_ptr 0
		.amdhsa_user_sgpr_kernarg_segment_ptr 1
		.amdhsa_user_sgpr_dispatch_id 0
		.amdhsa_user_sgpr_flat_scratch_init 0
		.amdhsa_user_sgpr_private_segment_size 0
		.amdhsa_wavefront_size32 1
		.amdhsa_uses_dynamic_stack 0
		.amdhsa_system_sgpr_private_segment_wavefront_offset 0
		.amdhsa_system_sgpr_workgroup_id_x 1
		.amdhsa_system_sgpr_workgroup_id_y 0
		.amdhsa_system_sgpr_workgroup_id_z 1
		.amdhsa_system_sgpr_workgroup_info 0
		.amdhsa_system_vgpr_workitem_id 0
		.amdhsa_next_free_vgpr 57
		.amdhsa_next_free_sgpr 46
		.amdhsa_reserve_vcc 1
		.amdhsa_reserve_flat_scratch 1
		.amdhsa_float_round_mode_32 0
		.amdhsa_float_round_mode_16_64 0
		.amdhsa_float_denorm_mode_32 3
		.amdhsa_float_denorm_mode_16_64 3
		.amdhsa_dx10_clamp 1
		.amdhsa_ieee_mode 1
		.amdhsa_fp16_overflow 0
		.amdhsa_workgroup_processor_mode 1
		.amdhsa_memory_ordered 1
		.amdhsa_forward_progress 1
		.amdhsa_shared_vgpr_count 0
		.amdhsa_exception_fp_ieee_invalid_op 0
		.amdhsa_exception_fp_denorm_src 0
		.amdhsa_exception_fp_ieee_div_zero 0
		.amdhsa_exception_fp_ieee_overflow 0
		.amdhsa_exception_fp_ieee_underflow 0
		.amdhsa_exception_fp_ieee_inexact 0
		.amdhsa_exception_int_div_zero 0
	.end_amdhsa_kernel
	.section	.text._ZL23rocblas_gemvt_sn_kernelILb1ELi256ELi4ElPKfS1_fEviiT4_lPKT3_lilS5_lilPT5_i,"axG",@progbits,_ZL23rocblas_gemvt_sn_kernelILb1ELi256ELi4ElPKfS1_fEviiT4_lPKT3_lilS5_lilPT5_i,comdat
.Lfunc_end229:
	.size	_ZL23rocblas_gemvt_sn_kernelILb1ELi256ELi4ElPKfS1_fEviiT4_lPKT3_lilS5_lilPT5_i, .Lfunc_end229-_ZL23rocblas_gemvt_sn_kernelILb1ELi256ELi4ElPKfS1_fEviiT4_lPKT3_lilS5_lilPT5_i
                                        ; -- End function
	.set _ZL23rocblas_gemvt_sn_kernelILb1ELi256ELi4ElPKfS1_fEviiT4_lPKT3_lilS5_lilPT5_i.num_vgpr, 57
	.set _ZL23rocblas_gemvt_sn_kernelILb1ELi256ELi4ElPKfS1_fEviiT4_lPKT3_lilS5_lilPT5_i.num_agpr, 0
	.set _ZL23rocblas_gemvt_sn_kernelILb1ELi256ELi4ElPKfS1_fEviiT4_lPKT3_lilS5_lilPT5_i.numbered_sgpr, 46
	.set _ZL23rocblas_gemvt_sn_kernelILb1ELi256ELi4ElPKfS1_fEviiT4_lPKT3_lilS5_lilPT5_i.num_named_barrier, 0
	.set _ZL23rocblas_gemvt_sn_kernelILb1ELi256ELi4ElPKfS1_fEviiT4_lPKT3_lilS5_lilPT5_i.private_seg_size, 0
	.set _ZL23rocblas_gemvt_sn_kernelILb1ELi256ELi4ElPKfS1_fEviiT4_lPKT3_lilS5_lilPT5_i.uses_vcc, 1
	.set _ZL23rocblas_gemvt_sn_kernelILb1ELi256ELi4ElPKfS1_fEviiT4_lPKT3_lilS5_lilPT5_i.uses_flat_scratch, 1
	.set _ZL23rocblas_gemvt_sn_kernelILb1ELi256ELi4ElPKfS1_fEviiT4_lPKT3_lilS5_lilPT5_i.has_dyn_sized_stack, 0
	.set _ZL23rocblas_gemvt_sn_kernelILb1ELi256ELi4ElPKfS1_fEviiT4_lPKT3_lilS5_lilPT5_i.has_recursion, 0
	.set _ZL23rocblas_gemvt_sn_kernelILb1ELi256ELi4ElPKfS1_fEviiT4_lPKT3_lilS5_lilPT5_i.has_indirect_call, 0
	.section	.AMDGPU.csdata,"",@progbits
; Kernel info:
; codeLenInByte = 4136
; TotalNumSgprs: 48
; NumVgprs: 57
; ScratchSize: 0
; MemoryBound: 0
; FloatMode: 240
; IeeeMode: 1
; LDSByteSize: 128 bytes/workgroup (compile time only)
; SGPRBlocks: 0
; VGPRBlocks: 7
; NumSGPRsForWavesPerEU: 48
; NumVGPRsForWavesPerEU: 57
; Occupancy: 16
; WaveLimiterHint : 0
; COMPUTE_PGM_RSRC2:SCRATCH_EN: 0
; COMPUTE_PGM_RSRC2:USER_SGPR: 6
; COMPUTE_PGM_RSRC2:TRAP_HANDLER: 0
; COMPUTE_PGM_RSRC2:TGID_X_EN: 1
; COMPUTE_PGM_RSRC2:TGID_Y_EN: 0
; COMPUTE_PGM_RSRC2:TGID_Z_EN: 1
; COMPUTE_PGM_RSRC2:TIDIG_COMP_CNT: 0
	.section	.text._ZL23rocblas_gemvt_sn_kernelILb1ELi256ELi4EiPKfffEviiT4_lPKT3_lilS5_lilPT5_i,"axG",@progbits,_ZL23rocblas_gemvt_sn_kernelILb1ELi256ELi4EiPKfffEviiT4_lPKT3_lilS5_lilPT5_i,comdat
	.globl	_ZL23rocblas_gemvt_sn_kernelILb1ELi256ELi4EiPKfffEviiT4_lPKT3_lilS5_lilPT5_i ; -- Begin function _ZL23rocblas_gemvt_sn_kernelILb1ELi256ELi4EiPKfffEviiT4_lPKT3_lilS5_lilPT5_i
	.p2align	8
	.type	_ZL23rocblas_gemvt_sn_kernelILb1ELi256ELi4EiPKfffEviiT4_lPKT3_lilS5_lilPT5_i,@function
_ZL23rocblas_gemvt_sn_kernelILb1ELi256ELi4EiPKfffEviiT4_lPKT3_lilS5_lilPT5_i: ; @_ZL23rocblas_gemvt_sn_kernelILb1ELi256ELi4EiPKfffEviiT4_lPKT3_lilS5_lilPT5_i
; %bb.0:
	s_load_dwordx4 s[12:15], s[4:5], 0x0
	s_mov_b32 s2, s7
	s_mov_b32 s3, 0
	s_waitcnt lgkmcnt(0)
	v_cmp_neq_f32_e64 s8, s14, 0
	v_cmp_eq_f32_e64 s7, s14, 0
	s_and_b32 vcc_lo, exec_lo, s8
	s_cbranch_vccnz .LBB230_2
; %bb.1:
	s_mov_b32 s0, s3
	s_mov_b64 s[10:11], 0
	s_andn2_b32 vcc_lo, exec_lo, s0
	s_mov_b64 s[0:1], 0
	s_cbranch_vccz .LBB230_3
	s_branch .LBB230_4
.LBB230_2:
	s_mov_b64 s[10:11], 0
	s_mov_b64 s[0:1], 0
.LBB230_3:
	s_load_dwordx4 s[16:19], s[4:5], 0x18
	s_lshl_b64 s[0:1], s[2:3], 3
	s_waitcnt lgkmcnt(0)
	s_add_u32 s0, s16, s0
	s_addc_u32 s1, s17, s1
	s_lshl_b64 s[16:17], s[18:19], 2
	s_load_dwordx2 s[0:1], s[0:1], 0x0
	s_waitcnt lgkmcnt(0)
	s_add_u32 s0, s0, s16
	s_addc_u32 s1, s1, s17
.LBB230_4:
	s_andn2_b32 vcc_lo, exec_lo, s8
	s_cbranch_vccnz .LBB230_6
; %bb.5:
	s_load_dwordx4 s[8:11], s[4:5], 0x38
	s_lshl_b64 s[16:17], s[2:3], 3
	s_waitcnt lgkmcnt(0)
	s_add_u32 s8, s8, s16
	s_addc_u32 s9, s9, s17
	s_lshl_b64 s[10:11], s[10:11], 2
	s_load_dwordx2 s[8:9], s[8:9], 0x0
	s_waitcnt lgkmcnt(0)
	s_add_u32 s10, s8, s10
	s_addc_u32 s11, s9, s11
.LBB230_6:
	s_clause 0x1
	s_load_dword s16, s[4:5], 0x68
	s_load_dwordx2 s[8:9], s[4:5], 0x58
	s_ashr_i32 s19, s13, 31
	s_mul_hi_u32 s3, s2, s13
	s_mul_i32 s15, s2, s19
	s_mul_i32 s2, s2, s13
	s_add_i32 s3, s3, s15
	s_mov_b32 s17, 0
	s_waitcnt lgkmcnt(0)
	s_mul_i32 s3, s3, s16
	s_mul_hi_u32 s15, s2, s16
	s_mul_i32 s2, s2, s16
	s_add_i32 s3, s15, s3
	s_lshl_b64 s[2:3], s[2:3], 2
	s_add_u32 s30, s8, s2
	s_addc_u32 s31, s9, s3
	s_andn2_b32 vcc_lo, exec_lo, s7
	s_mov_b32 s2, -1
	s_cbranch_vccnz .LBB230_11
; %bb.7:
	v_cmp_eq_u32_e32 vcc_lo, 0, v0
	s_cmp_gt_i32 s13, 0
	s_cselect_b32 s2, -1, 0
	s_and_b32 s2, vcc_lo, s2
	s_and_saveexec_b32 s15, s2
	s_cbranch_execz .LBB230_10
; %bb.8:
	s_mov_b32 s7, 0
	v_mov_b32_e32 v1, 0
	s_lshl_b64 s[2:3], s[6:7], 2
	s_mov_b32 s7, s13
	s_add_u32 s2, s30, s2
	s_addc_u32 s3, s31, s3
	s_lshl_b64 s[8:9], s[16:17], 2
.LBB230_9:                              ; =>This Inner Loop Header: Depth=1
	s_add_i32 s7, s7, -1
	global_store_dword v1, v1, s[2:3]
	s_add_u32 s2, s2, s8
	s_addc_u32 s3, s3, s9
	s_cmp_eq_u32 s7, 0
	s_cbranch_scc0 .LBB230_9
.LBB230_10:
	s_or_b32 exec_lo, exec_lo, s15
	s_mov_b32 s2, 0
.LBB230_11:
	s_andn2_b32 vcc_lo, exec_lo, s2
	s_cbranch_vccnz .LBB230_86
; %bb.12:
	s_clause 0x1
	s_load_dword s18, s[4:5], 0x28
	s_load_dword s15, s[4:5], 0x48
	s_lshl_b32 s2, s6, 10
	s_lshr_b32 s3, s19, 30
	v_lshl_or_b32 v1, v0, 2, s2
	s_ashr_i32 s2, s12, 31
	s_add_i32 s3, s13, s3
	s_lshr_b32 s2, s2, 30
	v_and_b32_e32 v21, 31, v0
	v_ashrrev_i32_e32 v2, 31, v1
	s_add_i32 s2, s12, s2
	v_add_nc_u32_e32 v24, 4, v1
	s_and_b32 s2, s2, -4
	v_mbcnt_lo_u32_b32 v23, -1, 0
	v_lshlrev_b64 v[2:3], 2, v[1:2]
	s_sub_i32 s17, s12, s2
	v_lshrrev_b32_e32 v22, 3, v0
	v_add_nc_u32_e32 v25, s17, v1
	v_cmp_eq_u32_e64 s2, 0, v0
	s_and_b32 s33, s3, -4
	v_add_co_u32 v19, vcc_lo, s0, v2
	s_waitcnt lgkmcnt(0)
	v_mul_lo_u32 v9, s15, v1
	v_add_co_ci_u32_e64 v20, null, s1, v3, vcc_lo
	v_cmp_gt_u32_e64 s0, 32, v0
	v_cmp_gt_u32_e64 s1, 8, v0
	s_cmp_lt_i32 s33, 1
	s_cbranch_scc1 .LBB230_61
; %bb.13:
	v_cmp_gt_u32_e32 vcc_lo, 24, v23
	v_mul_lo_u32 v10, s15, v1
	s_cmp_gt_i32 s17, 0
	s_mov_b32 s21, 0
	v_cmp_ge_i32_e64 s3, s12, v24
	v_cndmask_b32_e64 v2, 0, 8, vcc_lo
	v_cmp_gt_u32_e32 vcc_lo, 28, v23
	v_cmp_ge_i32_e64 s4, s12, v25
	v_lshl_or_b32 v26, v23, 2, 64
	v_add_nc_u32_e32 v1, s15, v10
	v_ashrrev_i32_e32 v11, 31, v10
	v_cndmask_b32_e64 v3, 0, 4, vcc_lo
	v_cmp_gt_u32_e32 vcc_lo, 30, v23
	v_add_lshl_u32 v27, v2, v23, 2
	v_ashrrev_i32_e32 v2, 31, v1
	v_cmp_eq_u32_e64 s5, 0, v21
	v_add_lshl_u32 v28, v3, v23, 2
	v_cndmask_b32_e64 v4, 0, 2, vcc_lo
	v_cmp_ne_u32_e32 vcc_lo, 31, v23
	v_add_nc_u32_e32 v3, s15, v1
	v_lshlrev_b64 v[1:2], 2, v[1:2]
	v_lshlrev_b32_e32 v31, 2, v21
	v_add_lshl_u32 v29, v4, v23, 2
	v_add_co_ci_u32_e64 v5, null, 0, v23, vcc_lo
	v_add_nc_u32_e32 v7, s15, v3
	v_ashrrev_i32_e32 v4, 31, v3
	v_and_b32_e32 v32, 28, v22
	v_lshlrev_b32_e32 v30, 2, v5
	v_lshlrev_b64 v[5:6], 2, v[10:11]
	v_ashrrev_i32_e32 v8, 31, v7
	v_lshlrev_b64 v[3:4], 2, v[3:4]
	s_cselect_b32 s34, -1, 0
	s_mov_b32 s19, s21
	s_lshl_b32 s20, s18, 1
	v_add_co_u32 v11, vcc_lo, s10, v5
	v_add_co_ci_u32_e64 v12, null, s11, v6, vcc_lo
	v_add_co_u32 v13, vcc_lo, s10, v1
	v_mov_b32_e32 v5, 0
	v_add_co_ci_u32_e64 v14, null, s11, v2, vcc_lo
	v_lshlrev_b64 v[1:2], 2, v[7:8]
	v_add_co_u32 v15, vcc_lo, s10, v3
	v_mov_b32_e32 v6, v5
	v_mov_b32_e32 v7, v5
	;; [unrolled: 1-line block ×3, first 2 shown]
	v_add_co_ci_u32_e64 v16, null, s11, v4, vcc_lo
	v_add_co_u32 v17, vcc_lo, s10, v1
	v_add_co_ci_u32_e64 v18, null, s11, v2, vcc_lo
	v_mov_b32_e32 v1, v5
	v_mov_b32_e32 v2, v6
	v_mov_b32_e32 v3, v7
	v_mov_b32_e32 v4, v8
	s_lshl_b32 s35, s18, 2
	s_mul_i32 s36, s18, 3
	s_mov_b32 s37, s21
	s_mov_b32 s22, s21
	s_mov_b64 s[24:25], s[20:21]
	s_mov_b64 s[26:27], s[18:19]
	s_mov_b32 s19, 0
	s_branch .LBB230_15
.LBB230_14:                             ;   in Loop: Header=BB230_15 Depth=1
	s_or_b32 exec_lo, exec_lo, s7
	s_add_i32 s19, s19, 4
	s_add_u32 s26, s26, s35
	s_addc_u32 s27, s27, 0
	s_add_u32 s24, s24, s35
	s_addc_u32 s25, s25, 0
	;; [unrolled: 2-line block ×3, first 2 shown]
	s_add_i32 s22, s22, s35
	s_cmp_ge_i32 s19, s33
	s_cbranch_scc1 .LBB230_62
.LBB230_15:                             ; =>This Loop Header: Depth=1
                                        ;     Child Loop BB230_46 Depth 2
                                        ;     Child Loop BB230_49 Depth 2
                                        ; implicit-def: $vgpr8
                                        ; implicit-def: $vgpr33
                                        ; implicit-def: $vgpr34
                                        ; implicit-def: $vgpr35
	s_and_saveexec_b32 s7, s3
	s_xor_b32 s7, exec_lo, s7
	s_cbranch_execnz .LBB230_42
; %bb.16:                               ;   in Loop: Header=BB230_15 Depth=1
	s_andn2_saveexec_b32 s20, s7
	s_cbranch_execnz .LBB230_43
.LBB230_17:                             ;   in Loop: Header=BB230_15 Depth=1
	s_or_b32 exec_lo, exec_lo, s20
	s_and_saveexec_b32 s7, s0
.LBB230_18:                             ;   in Loop: Header=BB230_15 Depth=1
	ds_write_b32 v31, v5
.LBB230_19:                             ;   in Loop: Header=BB230_15 Depth=1
	s_or_b32 exec_lo, exec_lo, s7
	ds_bpermute_b32 v6, v26, v35
	s_waitcnt lgkmcnt(0)
	s_waitcnt_vscnt null, 0x0
	s_barrier
	buffer_gl0_inv
	v_add_f32_e32 v6, v35, v6
	ds_bpermute_b32 v7, v27, v6
	s_waitcnt lgkmcnt(0)
	v_add_f32_e32 v6, v6, v7
	ds_bpermute_b32 v7, v28, v6
	s_waitcnt lgkmcnt(0)
	;; [unrolled: 3-line block ×3, first 2 shown]
	v_add_f32_e32 v6, v6, v7
	ds_bpermute_b32 v7, v30, v6
	s_and_saveexec_b32 s7, s5
	s_cbranch_execz .LBB230_21
; %bb.20:                               ;   in Loop: Header=BB230_15 Depth=1
	s_waitcnt lgkmcnt(0)
	v_add_f32_e32 v6, v6, v7
	ds_write_b32 v32, v6
.LBB230_21:                             ;   in Loop: Header=BB230_15 Depth=1
	s_or_b32 exec_lo, exec_lo, s7
	v_mov_b32_e32 v6, 0
	s_waitcnt lgkmcnt(0)
	s_barrier
	buffer_gl0_inv
	s_and_saveexec_b32 s7, s1
	s_cbranch_execnz .LBB230_50
; %bb.22:                               ;   in Loop: Header=BB230_15 Depth=1
	s_or_b32 exec_lo, exec_lo, s7
	s_and_saveexec_b32 s7, s0
	s_cbranch_execnz .LBB230_51
.LBB230_23:                             ;   in Loop: Header=BB230_15 Depth=1
	s_or_b32 exec_lo, exec_lo, s7
	s_and_saveexec_b32 s7, s0
.LBB230_24:                             ;   in Loop: Header=BB230_15 Depth=1
	ds_write_b32 v31, v5
.LBB230_25:                             ;   in Loop: Header=BB230_15 Depth=1
	s_or_b32 exec_lo, exec_lo, s7
	ds_bpermute_b32 v7, v26, v34
	s_waitcnt lgkmcnt(0)
	s_barrier
	buffer_gl0_inv
	v_add_f32_e32 v7, v34, v7
	ds_bpermute_b32 v34, v27, v7
	s_waitcnt lgkmcnt(0)
	v_add_f32_e32 v7, v7, v34
	ds_bpermute_b32 v34, v28, v7
	s_waitcnt lgkmcnt(0)
	;; [unrolled: 3-line block ×3, first 2 shown]
	v_add_f32_e32 v7, v7, v34
	ds_bpermute_b32 v34, v30, v7
	s_and_saveexec_b32 s7, s5
	s_cbranch_execz .LBB230_27
; %bb.26:                               ;   in Loop: Header=BB230_15 Depth=1
	s_waitcnt lgkmcnt(0)
	v_add_f32_e32 v7, v7, v34
	ds_write_b32 v32, v7
.LBB230_27:                             ;   in Loop: Header=BB230_15 Depth=1
	s_or_b32 exec_lo, exec_lo, s7
	v_mov_b32_e32 v7, 0
	s_waitcnt lgkmcnt(0)
	s_barrier
	buffer_gl0_inv
	s_and_saveexec_b32 s7, s1
	s_cbranch_execnz .LBB230_52
; %bb.28:                               ;   in Loop: Header=BB230_15 Depth=1
	s_or_b32 exec_lo, exec_lo, s7
	s_and_saveexec_b32 s7, s0
	s_cbranch_execnz .LBB230_53
.LBB230_29:                             ;   in Loop: Header=BB230_15 Depth=1
	s_or_b32 exec_lo, exec_lo, s7
	s_and_saveexec_b32 s7, s0
.LBB230_30:                             ;   in Loop: Header=BB230_15 Depth=1
	ds_write_b32 v31, v5
.LBB230_31:                             ;   in Loop: Header=BB230_15 Depth=1
	s_or_b32 exec_lo, exec_lo, s7
	ds_bpermute_b32 v34, v26, v33
	s_waitcnt lgkmcnt(0)
	s_barrier
	buffer_gl0_inv
	v_add_f32_e32 v33, v33, v34
	ds_bpermute_b32 v34, v27, v33
	s_waitcnt lgkmcnt(0)
	v_add_f32_e32 v33, v33, v34
	ds_bpermute_b32 v34, v28, v33
	s_waitcnt lgkmcnt(0)
	;; [unrolled: 3-line block ×3, first 2 shown]
	v_add_f32_e32 v33, v33, v34
	ds_bpermute_b32 v34, v30, v33
	s_and_saveexec_b32 s7, s5
	s_cbranch_execz .LBB230_33
; %bb.32:                               ;   in Loop: Header=BB230_15 Depth=1
	s_waitcnt lgkmcnt(0)
	v_add_f32_e32 v33, v33, v34
	ds_write_b32 v32, v33
.LBB230_33:                             ;   in Loop: Header=BB230_15 Depth=1
	s_or_b32 exec_lo, exec_lo, s7
	v_mov_b32_e32 v33, 0
	s_waitcnt lgkmcnt(0)
	s_barrier
	buffer_gl0_inv
	s_and_saveexec_b32 s7, s1
	s_cbranch_execnz .LBB230_54
; %bb.34:                               ;   in Loop: Header=BB230_15 Depth=1
	s_or_b32 exec_lo, exec_lo, s7
	s_and_saveexec_b32 s7, s0
	s_cbranch_execnz .LBB230_55
.LBB230_35:                             ;   in Loop: Header=BB230_15 Depth=1
	s_or_b32 exec_lo, exec_lo, s7
	s_and_saveexec_b32 s7, s0
.LBB230_36:                             ;   in Loop: Header=BB230_15 Depth=1
	ds_write_b32 v31, v5
.LBB230_37:                             ;   in Loop: Header=BB230_15 Depth=1
	s_or_b32 exec_lo, exec_lo, s7
	ds_bpermute_b32 v34, v26, v8
	s_waitcnt lgkmcnt(0)
	s_barrier
	buffer_gl0_inv
	v_add_f32_e32 v8, v8, v34
	ds_bpermute_b32 v34, v27, v8
	s_waitcnt lgkmcnt(0)
	v_add_f32_e32 v8, v8, v34
	ds_bpermute_b32 v34, v28, v8
	s_waitcnt lgkmcnt(0)
	;; [unrolled: 3-line block ×3, first 2 shown]
	v_add_f32_e32 v8, v8, v34
	ds_bpermute_b32 v34, v30, v8
	s_and_saveexec_b32 s7, s5
	s_cbranch_execz .LBB230_39
; %bb.38:                               ;   in Loop: Header=BB230_15 Depth=1
	s_waitcnt lgkmcnt(0)
	v_add_f32_e32 v8, v8, v34
	ds_write_b32 v32, v8
.LBB230_39:                             ;   in Loop: Header=BB230_15 Depth=1
	s_or_b32 exec_lo, exec_lo, s7
	v_mov_b32_e32 v8, 0
	s_waitcnt lgkmcnt(0)
	s_barrier
	buffer_gl0_inv
	s_and_saveexec_b32 s7, s1
	s_cbranch_execnz .LBB230_56
; %bb.40:                               ;   in Loop: Header=BB230_15 Depth=1
	s_or_b32 exec_lo, exec_lo, s7
	s_and_saveexec_b32 s7, s0
	s_cbranch_execnz .LBB230_57
.LBB230_41:                             ;   in Loop: Header=BB230_15 Depth=1
	s_or_b32 exec_lo, exec_lo, s7
	s_and_saveexec_b32 s7, s2
	s_cbranch_execz .LBB230_14
	s_branch .LBB230_58
.LBB230_42:                             ;   in Loop: Header=BB230_15 Depth=1
	s_mul_i32 s8, s19, s18
	s_ashr_i32 s9, s8, 31
	s_add_i32 s28, s8, s18
	s_lshl_b64 s[8:9], s[8:9], 2
	s_ashr_i32 s29, s28, 31
	v_add_co_u32 v2, vcc_lo, v19, s8
	v_add_co_ci_u32_e64 v3, null, s9, v20, vcc_lo
	s_lshl_b64 s[8:9], s[28:29], 2
	s_add_i32 s28, s28, s18
	v_add_co_u32 v6, vcc_lo, v19, s8
	s_ashr_i32 s29, s28, 31
	s_add_i32 s8, s28, s18
	v_add_co_ci_u32_e64 v7, null, s9, v20, vcc_lo
	s_lshl_b64 s[28:29], s[28:29], 2
	s_ashr_i32 s9, s8, 31
	v_add_co_u32 v33, vcc_lo, v19, s28
	s_lshl_b64 s[8:9], s[8:9], 2
	v_add_co_ci_u32_e64 v34, null, s29, v20, vcc_lo
	v_add_co_u32 v47, vcc_lo, v19, s8
	v_add_co_ci_u32_e64 v48, null, s9, v20, vcc_lo
	flat_load_dword v1, v[11:12]
	s_clause 0x3
	flat_load_dwordx4 v[35:38], v[2:3]
	flat_load_dwordx4 v[39:42], v[6:7]
	;; [unrolled: 1-line block ×4, first 2 shown]
	s_clause 0x2
	flat_load_dword v2, v[13:14]
	flat_load_dword v3, v[15:16]
	;; [unrolled: 1-line block ×3, first 2 shown]
	s_waitcnt vmcnt(6) lgkmcnt(6)
	v_fma_f32 v35, v1, v35, 0
	s_waitcnt vmcnt(5) lgkmcnt(5)
	v_fma_f32 v34, v1, v39, 0
	;; [unrolled: 2-line block ×4, first 2 shown]
	s_waitcnt vmcnt(2) lgkmcnt(2)
	v_fmac_f32_e32 v35, v2, v36
	v_fmac_f32_e32 v34, v2, v40
	v_fmac_f32_e32 v33, v2, v44
	v_fmac_f32_e32 v8, v2, v48
	s_waitcnt vmcnt(1) lgkmcnt(1)
	v_fmac_f32_e32 v35, v3, v37
	v_fmac_f32_e32 v34, v3, v41
	v_fmac_f32_e32 v33, v3, v45
	v_fmac_f32_e32 v8, v3, v49
	;; [unrolled: 5-line block ×3, first 2 shown]
	s_andn2_saveexec_b32 s20, s7
	s_cbranch_execz .LBB230_17
.LBB230_43:                             ;   in Loop: Header=BB230_15 Depth=1
	s_waitcnt lgkmcnt(0)
	v_mov_b32_e32 v8, 0
	v_mov_b32_e32 v33, 0
	;; [unrolled: 1-line block ×4, first 2 shown]
	s_and_saveexec_b32 s38, s4
	s_cbranch_execz .LBB230_60
; %bb.44:                               ;   in Loop: Header=BB230_15 Depth=1
	s_andn2_b32 vcc_lo, exec_lo, s34
	s_cbranch_vccnz .LBB230_47
; %bb.45:                               ;   in Loop: Header=BB230_15 Depth=1
	v_mov_b32_e32 v6, v10
	s_mov_b64 s[28:29], 0
	.p2align	6
.LBB230_46:                             ;   Parent Loop BB230_15 Depth=1
                                        ; =>  This Inner Loop Header: Depth=2
	v_ashrrev_i32_e32 v7, 31, v6
	s_cmp_eq_u32 s28, 3
	v_lshlrev_b64 v[7:8], 2, v[6:7]
	v_add_nc_u32_e32 v6, s15, v6
	v_add_co_u32 v7, vcc_lo, s10, v7
	v_add_co_ci_u32_e64 v8, null, s11, v8, vcc_lo
	s_cselect_b32 vcc_lo, -1, 0
	s_cmp_eq_u32 s28, 2
	s_cselect_b32 s7, -1, 0
	flat_load_dword v7, v[7:8]
	s_cmp_eq_u32 s28, 1
	s_cselect_b32 s8, -1, 0
	s_cmp_eq_u32 s28, 0
	s_cselect_b32 s9, -1, 0
	s_add_u32 s28, s28, 1
	s_addc_u32 s29, s29, 0
	s_cmp_eq_u32 s17, s28
	s_waitcnt vmcnt(0) lgkmcnt(0)
	v_cndmask_b32_e32 v4, v4, v7, vcc_lo
	v_cndmask_b32_e64 v3, v3, v7, s7
	v_cndmask_b32_e64 v2, v2, v7, s8
	;; [unrolled: 1-line block ×3, first 2 shown]
	s_cbranch_scc0 .LBB230_46
.LBB230_47:                             ;   in Loop: Header=BB230_15 Depth=1
	s_andn2_b32 vcc_lo, exec_lo, s34
	s_cbranch_vccnz .LBB230_59
; %bb.48:                               ;   in Loop: Header=BB230_15 Depth=1
	s_ashr_i32 s23, s22, 31
	v_mov_b32_e32 v35, 0
	s_lshl_b64 s[8:9], s[22:23], 2
	v_mov_b32_e32 v34, 0
	v_add_co_u32 v6, vcc_lo, v19, s8
	v_add_co_ci_u32_e64 v7, null, s9, v20, vcc_lo
	v_mov_b32_e32 v33, 0
	v_mov_b32_e32 v8, 0
	s_mov_b64 s[8:9], 0
.LBB230_49:                             ;   Parent Loop BB230_15 Depth=1
                                        ; =>  This Inner Loop Header: Depth=2
	s_cmp_eq_u32 s8, 1
	s_cselect_b32 vcc_lo, -1, 0
	s_cmp_eq_u32 s8, 2
	v_cndmask_b32_e32 v36, v1, v2, vcc_lo
	s_cselect_b32 vcc_lo, -1, 0
	s_cmp_eq_u32 s8, 3
	v_cndmask_b32_e32 v42, v36, v3, vcc_lo
	s_cselect_b32 vcc_lo, -1, 0
	s_add_i32 s28, s26, s8
	s_add_i32 s40, s24, s8
	s_ashr_i32 s29, s28, 31
	s_add_i32 s42, s36, s8
	s_ashr_i32 s41, s40, 31
	s_lshl_b64 s[28:29], s[28:29], 2
	s_ashr_i32 s43, s42, 31
	s_lshl_b64 s[40:41], s[40:41], 2
	v_add_co_u32 v36, s7, v19, s28
	s_lshl_b64 s[42:43], s[42:43], 2
	v_add_co_ci_u32_e64 v37, null, s29, v20, s7
	v_add_co_u32 v38, s7, v19, s40
	v_add_co_ci_u32_e64 v39, null, s41, v20, s7
	v_add_co_u32 v40, s7, v19, s42
	v_add_co_ci_u32_e64 v41, null, s43, v20, s7
	flat_load_dword v43, v[6:7]
	s_clause 0x2
	flat_load_dword v36, v[36:37]
	flat_load_dword v37, v[38:39]
	;; [unrolled: 1-line block ×3, first 2 shown]
	v_cndmask_b32_e32 v39, v42, v4, vcc_lo
	v_add_co_u32 v6, s7, v6, 4
	v_add_co_ci_u32_e64 v7, null, 0, v7, s7
	s_add_u32 s8, s8, 1
	s_addc_u32 s9, s9, 0
	s_cmp_lg_u32 s17, s8
	s_waitcnt vmcnt(3) lgkmcnt(3)
	v_fmac_f32_e32 v35, v39, v43
	s_waitcnt vmcnt(2) lgkmcnt(2)
	v_fmac_f32_e32 v34, v39, v36
	;; [unrolled: 2-line block ×4, first 2 shown]
	s_cbranch_scc1 .LBB230_49
	s_branch .LBB230_60
.LBB230_50:                             ;   in Loop: Header=BB230_15 Depth=1
	ds_read_b32 v6, v31
	s_or_b32 exec_lo, exec_lo, s7
	s_and_saveexec_b32 s7, s0
	s_cbranch_execz .LBB230_23
.LBB230_51:                             ;   in Loop: Header=BB230_15 Depth=1
	s_waitcnt lgkmcnt(0)
	ds_bpermute_b32 v7, v28, v6
	s_waitcnt lgkmcnt(0)
	v_add_f32_e32 v6, v6, v7
	ds_bpermute_b32 v7, v29, v6
	s_waitcnt lgkmcnt(0)
	v_add_f32_e32 v6, v6, v7
	;; [unrolled: 3-line block ×3, first 2 shown]
	s_or_b32 exec_lo, exec_lo, s7
	s_and_saveexec_b32 s7, s0
	s_cbranch_execnz .LBB230_24
	s_branch .LBB230_25
.LBB230_52:                             ;   in Loop: Header=BB230_15 Depth=1
	ds_read_b32 v7, v31
	s_or_b32 exec_lo, exec_lo, s7
	s_and_saveexec_b32 s7, s0
	s_cbranch_execz .LBB230_29
.LBB230_53:                             ;   in Loop: Header=BB230_15 Depth=1
	s_waitcnt lgkmcnt(0)
	ds_bpermute_b32 v34, v28, v7
	s_waitcnt lgkmcnt(0)
	v_add_f32_e32 v7, v7, v34
	ds_bpermute_b32 v34, v29, v7
	s_waitcnt lgkmcnt(0)
	v_add_f32_e32 v7, v7, v34
	;; [unrolled: 3-line block ×3, first 2 shown]
	s_or_b32 exec_lo, exec_lo, s7
	s_and_saveexec_b32 s7, s0
	s_cbranch_execnz .LBB230_30
	s_branch .LBB230_31
.LBB230_54:                             ;   in Loop: Header=BB230_15 Depth=1
	ds_read_b32 v33, v31
	s_or_b32 exec_lo, exec_lo, s7
	s_and_saveexec_b32 s7, s0
	s_cbranch_execz .LBB230_35
.LBB230_55:                             ;   in Loop: Header=BB230_15 Depth=1
	s_waitcnt lgkmcnt(0)
	ds_bpermute_b32 v34, v28, v33
	s_waitcnt lgkmcnt(0)
	v_add_f32_e32 v33, v33, v34
	ds_bpermute_b32 v34, v29, v33
	s_waitcnt lgkmcnt(0)
	v_add_f32_e32 v33, v33, v34
	;; [unrolled: 3-line block ×3, first 2 shown]
	s_or_b32 exec_lo, exec_lo, s7
	s_and_saveexec_b32 s7, s0
	s_cbranch_execnz .LBB230_36
	s_branch .LBB230_37
.LBB230_56:                             ;   in Loop: Header=BB230_15 Depth=1
	ds_read_b32 v8, v31
	s_or_b32 exec_lo, exec_lo, s7
	s_and_saveexec_b32 s7, s0
	s_cbranch_execz .LBB230_41
.LBB230_57:                             ;   in Loop: Header=BB230_15 Depth=1
	s_waitcnt lgkmcnt(0)
	ds_bpermute_b32 v34, v28, v8
	s_waitcnt lgkmcnt(0)
	v_add_f32_e32 v8, v8, v34
	ds_bpermute_b32 v34, v29, v8
	s_waitcnt lgkmcnt(0)
	v_add_f32_e32 v8, v8, v34
	;; [unrolled: 3-line block ×3, first 2 shown]
	s_or_b32 exec_lo, exec_lo, s7
	s_and_saveexec_b32 s7, s2
	s_cbranch_execz .LBB230_14
.LBB230_58:                             ;   in Loop: Header=BB230_15 Depth=1
	s_mul_i32 s8, s19, s16
	v_mul_f32_e32 v6, s14, v6
	s_add_i32 s20, s8, s6
	v_mul_f32_e32 v7, s14, v7
	s_lshl_b64 s[8:9], s[20:21], 2
	v_mul_f32_e32 v33, s14, v33
	s_add_u32 s8, s30, s8
	s_addc_u32 s9, s31, s9
	s_add_i32 s20, s20, s16
	global_store_dword v5, v6, s[8:9]
	s_lshl_b64 s[28:29], s[20:21], 2
	s_waitcnt lgkmcnt(0)
	v_mul_f32_e32 v6, s14, v8
	s_add_u32 s28, s30, s28
	s_addc_u32 s29, s31, s29
	s_add_i32 s20, s20, s16
	global_store_dword v5, v7, s[28:29]
	s_lshl_b64 s[38:39], s[20:21], 2
	s_add_u32 s8, s30, s38
	s_addc_u32 s9, s31, s39
	s_add_i32 s20, s20, s16
	s_lshl_b64 s[38:39], s[20:21], 2
	s_add_u32 s28, s30, s38
	s_addc_u32 s29, s31, s39
	global_store_dword v5, v33, s[8:9]
	global_store_dword v5, v6, s[28:29]
	s_branch .LBB230_14
.LBB230_59:                             ;   in Loop: Header=BB230_15 Depth=1
	v_mov_b32_e32 v8, 0
	v_mov_b32_e32 v33, 0
	;; [unrolled: 1-line block ×4, first 2 shown]
.LBB230_60:                             ;   in Loop: Header=BB230_15 Depth=1
	s_or_b32 exec_lo, exec_lo, s38
	s_or_b32 exec_lo, exec_lo, s20
	s_and_saveexec_b32 s7, s0
	s_cbranch_execnz .LBB230_18
	s_branch .LBB230_19
.LBB230_61:
	v_mov_b32_e32 v1, 0
	s_mov_b32 s19, 0
	v_mov_b32_e32 v2, v1
	v_mov_b32_e32 v3, v1
	;; [unrolled: 1-line block ×3, first 2 shown]
.LBB230_62:
	s_cmp_ge_i32 s19, s13
	s_cbranch_scc1 .LBB230_86
; %bb.63:
	v_cmp_gt_u32_e32 vcc_lo, 24, v23
	v_cmp_ge_i32_e64 s0, s12, v24
	v_lshl_or_b32 v17, v23, 2, 64
	v_ashrrev_i32_e32 v10, 31, v9
	v_cmp_ge_i32_e64 s1, s12, v25
	v_cndmask_b32_e64 v5, 0, 8, vcc_lo
	v_cmp_gt_u32_e32 vcc_lo, 28, v23
	s_cmp_gt_i32 s17, 0
	v_lshlrev_b64 v[10:11], 2, v[9:10]
	s_mov_b32 s7, 0
	v_add_lshl_u32 v18, v5, v23, 2
	v_cndmask_b32_e64 v6, 0, 4, vcc_lo
	v_cmp_gt_u32_e32 vcc_lo, 30, v23
	v_add_nc_u32_e32 v5, s15, v9
	s_cselect_b32 s12, -1, 0
	v_cmp_gt_u32_e64 s2, 32, v0
	v_add_lshl_u32 v24, v6, v23, 2
	v_cndmask_b32_e64 v7, 0, 2, vcc_lo
	v_cmp_ne_u32_e32 vcc_lo, 31, v23
	v_ashrrev_i32_e32 v6, 31, v5
	v_lshlrev_b32_e32 v16, 2, v21
	v_cmp_eq_u32_e64 s3, 0, v21
	v_and_b32_e32 v21, 28, v22
	s_waitcnt lgkmcnt(0)
	v_add_co_ci_u32_e64 v8, null, 0, v23, vcc_lo
	v_add_lshl_u32 v23, v7, v23, 2
	v_add_nc_u32_e32 v7, s15, v5
	v_lshlrev_b64 v[12:13], 2, v[5:6]
	v_lshlrev_b32_e32 v25, 2, v8
	v_add_co_u32 v5, vcc_lo, s10, v10
	v_add_nc_u32_e32 v14, s15, v7
	v_ashrrev_i32_e32 v8, 31, v7
	v_add_co_ci_u32_e64 v6, null, s11, v11, vcc_lo
	v_cmp_gt_u32_e64 s4, 8, v0
	v_ashrrev_i32_e32 v15, 31, v14
	v_lshlrev_b64 v[10:11], 2, v[7:8]
	v_add_co_u32 v7, vcc_lo, s10, v12
	v_add_co_ci_u32_e64 v8, null, s11, v13, vcc_lo
	v_lshlrev_b64 v[12:13], 2, v[14:15]
	v_add_co_u32 v10, vcc_lo, s10, v10
	v_add_co_ci_u32_e64 v11, null, s11, v11, vcc_lo
	v_cmp_eq_u32_e64 s5, 0, v0
	v_add_co_u32 v12, vcc_lo, s10, v12
	s_lshl_b64 s[8:9], s[6:7], 2
	v_add_co_ci_u32_e64 v13, null, s11, v13, vcc_lo
	v_mov_b32_e32 v0, 0
	s_add_u32 s24, s30, s8
	s_addc_u32 s25, s31, s9
	s_mul_i32 s20, s19, s18
	s_branch .LBB230_65
.LBB230_64:                             ;   in Loop: Header=BB230_65 Depth=1
	s_or_b32 exec_lo, exec_lo, s6
	s_add_i32 s19, s19, 1
	s_add_i32 s20, s20, s18
	s_cmp_ge_i32 s19, s13
	s_cbranch_scc1 .LBB230_86
.LBB230_65:                             ; =>This Loop Header: Depth=1
                                        ;     Child Loop BB230_78 Depth 2
                                        ;     Child Loop BB230_81 Depth 2
	v_mov_b32_e32 v22, s7
	s_and_saveexec_b32 s6, s0
	s_xor_b32 s6, exec_lo, s6
	s_cbranch_execnz .LBB230_74
; %bb.66:                               ;   in Loop: Header=BB230_65 Depth=1
	s_andn2_saveexec_b32 s26, s6
	s_cbranch_execnz .LBB230_75
.LBB230_67:                             ;   in Loop: Header=BB230_65 Depth=1
	s_or_b32 exec_lo, exec_lo, s26
	s_and_saveexec_b32 s6, s2
.LBB230_68:                             ;   in Loop: Header=BB230_65 Depth=1
	ds_write_b32 v16, v0
.LBB230_69:                             ;   in Loop: Header=BB230_65 Depth=1
	s_or_b32 exec_lo, exec_lo, s6
	s_waitcnt lgkmcnt(0)
	ds_bpermute_b32 v14, v17, v22
	s_waitcnt lgkmcnt(0)
	s_waitcnt_vscnt null, 0x0
	s_barrier
	buffer_gl0_inv
	v_add_f32_e32 v14, v22, v14
	ds_bpermute_b32 v15, v18, v14
	s_waitcnt lgkmcnt(0)
	v_add_f32_e32 v14, v14, v15
	ds_bpermute_b32 v15, v24, v14
	s_waitcnt lgkmcnt(0)
	;; [unrolled: 3-line block ×3, first 2 shown]
	v_add_f32_e32 v14, v14, v15
	ds_bpermute_b32 v15, v25, v14
	s_and_saveexec_b32 s6, s3
	s_cbranch_execz .LBB230_71
; %bb.70:                               ;   in Loop: Header=BB230_65 Depth=1
	s_waitcnt lgkmcnt(0)
	v_add_f32_e32 v14, v14, v15
	ds_write_b32 v21, v14
.LBB230_71:                             ;   in Loop: Header=BB230_65 Depth=1
	s_or_b32 exec_lo, exec_lo, s6
	v_mov_b32_e32 v14, 0
	s_waitcnt lgkmcnt(0)
	s_barrier
	buffer_gl0_inv
	s_and_saveexec_b32 s6, s4
	s_cbranch_execnz .LBB230_83
; %bb.72:                               ;   in Loop: Header=BB230_65 Depth=1
	s_or_b32 exec_lo, exec_lo, s6
	s_and_saveexec_b32 s6, s2
	s_cbranch_execnz .LBB230_84
.LBB230_73:                             ;   in Loop: Header=BB230_65 Depth=1
	s_or_b32 exec_lo, exec_lo, s6
	s_and_saveexec_b32 s6, s5
	s_cbranch_execz .LBB230_64
	s_branch .LBB230_85
.LBB230_74:                             ;   in Loop: Header=BB230_65 Depth=1
	s_mul_i32 s8, s19, s18
	s_ashr_i32 s9, s8, 31
	s_lshl_b64 s[8:9], s[8:9], 2
	v_add_co_u32 v1, vcc_lo, v19, s8
	v_add_co_ci_u32_e64 v2, null, s9, v20, vcc_lo
	flat_load_dwordx4 v[26:29], v[1:2]
	s_clause 0x3
	flat_load_dword v1, v[5:6]
	flat_load_dword v2, v[7:8]
	;; [unrolled: 1-line block ×4, first 2 shown]
	s_waitcnt vmcnt(3) lgkmcnt(3)
	v_fma_f32 v22, v1, v26, 0
	s_waitcnt vmcnt(2) lgkmcnt(2)
	v_fmac_f32_e32 v22, v2, v27
	s_waitcnt vmcnt(1) lgkmcnt(1)
	v_fmac_f32_e32 v22, v3, v28
	;; [unrolled: 2-line block ×3, first 2 shown]
	s_andn2_saveexec_b32 s26, s6
	s_cbranch_execz .LBB230_67
.LBB230_75:                             ;   in Loop: Header=BB230_65 Depth=1
	s_and_saveexec_b32 s27, s1
	s_cbranch_execz .LBB230_82
; %bb.76:                               ;   in Loop: Header=BB230_65 Depth=1
	s_andn2_b32 vcc_lo, exec_lo, s12
	s_cbranch_vccnz .LBB230_79
; %bb.77:                               ;   in Loop: Header=BB230_65 Depth=1
	s_waitcnt lgkmcnt(0)
	v_mov_b32_e32 v14, v9
	s_mov_b64 s[22:23], 0
	.p2align	6
.LBB230_78:                             ;   Parent Loop BB230_65 Depth=1
                                        ; =>  This Inner Loop Header: Depth=2
	v_ashrrev_i32_e32 v15, 31, v14
	s_cmp_eq_u32 s22, 3
	v_lshlrev_b64 v[26:27], 2, v[14:15]
	v_add_nc_u32_e32 v14, s15, v14
	v_add_co_u32 v26, vcc_lo, s10, v26
	v_add_co_ci_u32_e64 v27, null, s11, v27, vcc_lo
	s_cselect_b32 vcc_lo, -1, 0
	s_cmp_eq_u32 s22, 2
	s_cselect_b32 s6, -1, 0
	flat_load_dword v15, v[26:27]
	s_cmp_eq_u32 s22, 1
	s_cselect_b32 s8, -1, 0
	s_cmp_eq_u32 s22, 0
	s_cselect_b32 s9, -1, 0
	s_add_u32 s22, s22, 1
	s_addc_u32 s23, s23, 0
	s_cmp_eq_u32 s17, s22
	s_waitcnt vmcnt(0) lgkmcnt(0)
	v_cndmask_b32_e32 v4, v4, v15, vcc_lo
	v_cndmask_b32_e64 v3, v3, v15, s6
	v_cndmask_b32_e64 v2, v2, v15, s8
	;; [unrolled: 1-line block ×3, first 2 shown]
	s_cbranch_scc0 .LBB230_78
.LBB230_79:                             ;   in Loop: Header=BB230_65 Depth=1
	s_andn2_b32 vcc_lo, exec_lo, s12
	s_cbranch_vccnz .LBB230_82
; %bb.80:                               ;   in Loop: Header=BB230_65 Depth=1
	s_ashr_i32 s21, s20, 31
	s_lshl_b64 s[8:9], s[20:21], 2
	s_waitcnt lgkmcnt(0)
	v_add_co_u32 v14, vcc_lo, v19, s8
	v_add_co_ci_u32_e64 v15, null, s9, v20, vcc_lo
	s_mov_b64 s[8:9], 0
	.p2align	6
.LBB230_81:                             ;   Parent Loop BB230_65 Depth=1
                                        ; =>  This Inner Loop Header: Depth=2
	flat_load_dword v26, v[14:15]
	s_cmp_eq_u32 s8, 1
	s_cselect_b32 vcc_lo, -1, 0
	s_cmp_eq_u32 s8, 2
	v_cndmask_b32_e32 v27, v1, v2, vcc_lo
	s_cselect_b32 vcc_lo, -1, 0
	s_cmp_eq_u32 s8, 3
	v_cndmask_b32_e32 v27, v27, v3, vcc_lo
	s_cselect_b32 vcc_lo, -1, 0
	s_add_u32 s8, s8, 1
	s_addc_u32 s9, s9, 0
	s_cmp_lg_u32 s17, s8
	v_cndmask_b32_e32 v27, v27, v4, vcc_lo
	v_add_co_u32 v14, vcc_lo, v14, 4
	v_add_co_ci_u32_e64 v15, null, 0, v15, vcc_lo
	s_waitcnt vmcnt(0) lgkmcnt(0)
	v_fmac_f32_e32 v22, v27, v26
	s_cbranch_scc1 .LBB230_81
.LBB230_82:                             ;   in Loop: Header=BB230_65 Depth=1
	s_or_b32 exec_lo, exec_lo, s27
	s_or_b32 exec_lo, exec_lo, s26
	s_and_saveexec_b32 s6, s2
	s_cbranch_execnz .LBB230_68
	s_branch .LBB230_69
.LBB230_83:                             ;   in Loop: Header=BB230_65 Depth=1
	ds_read_b32 v14, v16
	s_or_b32 exec_lo, exec_lo, s6
	s_and_saveexec_b32 s6, s2
	s_cbranch_execz .LBB230_73
.LBB230_84:                             ;   in Loop: Header=BB230_65 Depth=1
	s_waitcnt lgkmcnt(0)
	ds_bpermute_b32 v15, v24, v14
	s_waitcnt lgkmcnt(0)
	v_add_f32_e32 v14, v14, v15
	ds_bpermute_b32 v15, v23, v14
	s_waitcnt lgkmcnt(0)
	v_add_f32_e32 v14, v14, v15
	;; [unrolled: 3-line block ×3, first 2 shown]
	s_or_b32 exec_lo, exec_lo, s6
	s_and_saveexec_b32 s6, s5
	s_cbranch_execz .LBB230_64
.LBB230_85:                             ;   in Loop: Header=BB230_65 Depth=1
	s_mul_hi_u32 s9, s19, s16
	s_mul_i32 s8, s19, s16
	s_waitcnt lgkmcnt(0)
	v_mul_f32_e32 v14, s14, v14
	s_lshl_b64 s[8:9], s[8:9], 2
	s_add_u32 s8, s24, s8
	s_addc_u32 s9, s25, s9
	global_store_dword v0, v14, s[8:9]
	s_branch .LBB230_64
.LBB230_86:
	s_endpgm
	.section	.rodata,"a",@progbits
	.p2align	6, 0x0
	.amdhsa_kernel _ZL23rocblas_gemvt_sn_kernelILb1ELi256ELi4EiPKfffEviiT4_lPKT3_lilS5_lilPT5_i
		.amdhsa_group_segment_fixed_size 128
		.amdhsa_private_segment_fixed_size 0
		.amdhsa_kernarg_size 360
		.amdhsa_user_sgpr_count 6
		.amdhsa_user_sgpr_private_segment_buffer 1
		.amdhsa_user_sgpr_dispatch_ptr 0
		.amdhsa_user_sgpr_queue_ptr 0
		.amdhsa_user_sgpr_kernarg_segment_ptr 1
		.amdhsa_user_sgpr_dispatch_id 0
		.amdhsa_user_sgpr_flat_scratch_init 0
		.amdhsa_user_sgpr_private_segment_size 0
		.amdhsa_wavefront_size32 1
		.amdhsa_uses_dynamic_stack 0
		.amdhsa_system_sgpr_private_segment_wavefront_offset 0
		.amdhsa_system_sgpr_workgroup_id_x 1
		.amdhsa_system_sgpr_workgroup_id_y 0
		.amdhsa_system_sgpr_workgroup_id_z 1
		.amdhsa_system_sgpr_workgroup_info 0
		.amdhsa_system_vgpr_workitem_id 0
		.amdhsa_next_free_vgpr 51
		.amdhsa_next_free_sgpr 44
		.amdhsa_reserve_vcc 1
		.amdhsa_reserve_flat_scratch 1
		.amdhsa_float_round_mode_32 0
		.amdhsa_float_round_mode_16_64 0
		.amdhsa_float_denorm_mode_32 3
		.amdhsa_float_denorm_mode_16_64 3
		.amdhsa_dx10_clamp 1
		.amdhsa_ieee_mode 1
		.amdhsa_fp16_overflow 0
		.amdhsa_workgroup_processor_mode 1
		.amdhsa_memory_ordered 1
		.amdhsa_forward_progress 1
		.amdhsa_shared_vgpr_count 0
		.amdhsa_exception_fp_ieee_invalid_op 0
		.amdhsa_exception_fp_denorm_src 0
		.amdhsa_exception_fp_ieee_div_zero 0
		.amdhsa_exception_fp_ieee_overflow 0
		.amdhsa_exception_fp_ieee_underflow 0
		.amdhsa_exception_fp_ieee_inexact 0
		.amdhsa_exception_int_div_zero 0
	.end_amdhsa_kernel
	.section	.text._ZL23rocblas_gemvt_sn_kernelILb1ELi256ELi4EiPKfffEviiT4_lPKT3_lilS5_lilPT5_i,"axG",@progbits,_ZL23rocblas_gemvt_sn_kernelILb1ELi256ELi4EiPKfffEviiT4_lPKT3_lilS5_lilPT5_i,comdat
.Lfunc_end230:
	.size	_ZL23rocblas_gemvt_sn_kernelILb1ELi256ELi4EiPKfffEviiT4_lPKT3_lilS5_lilPT5_i, .Lfunc_end230-_ZL23rocblas_gemvt_sn_kernelILb1ELi256ELi4EiPKfffEviiT4_lPKT3_lilS5_lilPT5_i
                                        ; -- End function
	.set _ZL23rocblas_gemvt_sn_kernelILb1ELi256ELi4EiPKfffEviiT4_lPKT3_lilS5_lilPT5_i.num_vgpr, 51
	.set _ZL23rocblas_gemvt_sn_kernelILb1ELi256ELi4EiPKfffEviiT4_lPKT3_lilS5_lilPT5_i.num_agpr, 0
	.set _ZL23rocblas_gemvt_sn_kernelILb1ELi256ELi4EiPKfffEviiT4_lPKT3_lilS5_lilPT5_i.numbered_sgpr, 44
	.set _ZL23rocblas_gemvt_sn_kernelILb1ELi256ELi4EiPKfffEviiT4_lPKT3_lilS5_lilPT5_i.num_named_barrier, 0
	.set _ZL23rocblas_gemvt_sn_kernelILb1ELi256ELi4EiPKfffEviiT4_lPKT3_lilS5_lilPT5_i.private_seg_size, 0
	.set _ZL23rocblas_gemvt_sn_kernelILb1ELi256ELi4EiPKfffEviiT4_lPKT3_lilS5_lilPT5_i.uses_vcc, 1
	.set _ZL23rocblas_gemvt_sn_kernelILb1ELi256ELi4EiPKfffEviiT4_lPKT3_lilS5_lilPT5_i.uses_flat_scratch, 1
	.set _ZL23rocblas_gemvt_sn_kernelILb1ELi256ELi4EiPKfffEviiT4_lPKT3_lilS5_lilPT5_i.has_dyn_sized_stack, 0
	.set _ZL23rocblas_gemvt_sn_kernelILb1ELi256ELi4EiPKfffEviiT4_lPKT3_lilS5_lilPT5_i.has_recursion, 0
	.set _ZL23rocblas_gemvt_sn_kernelILb1ELi256ELi4EiPKfffEviiT4_lPKT3_lilS5_lilPT5_i.has_indirect_call, 0
	.section	.AMDGPU.csdata,"",@progbits
; Kernel info:
; codeLenInByte = 4072
; TotalNumSgprs: 46
; NumVgprs: 51
; ScratchSize: 0
; MemoryBound: 0
; FloatMode: 240
; IeeeMode: 1
; LDSByteSize: 128 bytes/workgroup (compile time only)
; SGPRBlocks: 0
; VGPRBlocks: 6
; NumSGPRsForWavesPerEU: 46
; NumVGPRsForWavesPerEU: 51
; Occupancy: 16
; WaveLimiterHint : 0
; COMPUTE_PGM_RSRC2:SCRATCH_EN: 0
; COMPUTE_PGM_RSRC2:USER_SGPR: 6
; COMPUTE_PGM_RSRC2:TRAP_HANDLER: 0
; COMPUTE_PGM_RSRC2:TGID_X_EN: 1
; COMPUTE_PGM_RSRC2:TGID_Y_EN: 0
; COMPUTE_PGM_RSRC2:TGID_Z_EN: 1
; COMPUTE_PGM_RSRC2:TIDIG_COMP_CNT: 0
	.section	.text._ZL23rocblas_gemvt_sn_kernelILb1ELi256ELi4ElPKfffEviiT4_lPKT3_lilS5_lilPT5_i,"axG",@progbits,_ZL23rocblas_gemvt_sn_kernelILb1ELi256ELi4ElPKfffEviiT4_lPKT3_lilS5_lilPT5_i,comdat
	.globl	_ZL23rocblas_gemvt_sn_kernelILb1ELi256ELi4ElPKfffEviiT4_lPKT3_lilS5_lilPT5_i ; -- Begin function _ZL23rocblas_gemvt_sn_kernelILb1ELi256ELi4ElPKfffEviiT4_lPKT3_lilS5_lilPT5_i
	.p2align	8
	.type	_ZL23rocblas_gemvt_sn_kernelILb1ELi256ELi4ElPKfffEviiT4_lPKT3_lilS5_lilPT5_i,@function
_ZL23rocblas_gemvt_sn_kernelILb1ELi256ELi4ElPKfffEviiT4_lPKT3_lilS5_lilPT5_i: ; @_ZL23rocblas_gemvt_sn_kernelILb1ELi256ELi4ElPKfffEviiT4_lPKT3_lilS5_lilPT5_i
; %bb.0:
	s_load_dwordx4 s[12:15], s[4:5], 0x0
	s_mov_b32 s0, s7
	s_mov_b32 s1, 0
	s_waitcnt lgkmcnt(0)
	v_cmp_neq_f32_e64 s3, s14, 0
	v_cmp_eq_f32_e64 s2, s14, 0
	s_and_b32 vcc_lo, exec_lo, s3
	s_cbranch_vccnz .LBB231_2
; %bb.1:
	s_mov_b32 s7, s1
	s_mov_b64 s[22:23], 0
	s_andn2_b32 vcc_lo, exec_lo, s7
	s_mov_b64 s[20:21], 0
	s_cbranch_vccz .LBB231_3
	s_branch .LBB231_4
.LBB231_2:
	s_mov_b64 s[22:23], 0
	s_mov_b64 s[20:21], 0
.LBB231_3:
	s_load_dwordx4 s[8:11], s[4:5], 0x18
	s_lshl_b64 s[16:17], s[0:1], 3
	s_waitcnt lgkmcnt(0)
	s_add_u32 s8, s8, s16
	s_addc_u32 s9, s9, s17
	s_lshl_b64 s[10:11], s[10:11], 2
	s_load_dwordx2 s[8:9], s[8:9], 0x0
	s_waitcnt lgkmcnt(0)
	s_add_u32 s20, s8, s10
	s_addc_u32 s21, s9, s11
.LBB231_4:
	s_andn2_b32 vcc_lo, exec_lo, s3
	s_cbranch_vccnz .LBB231_6
; %bb.5:
	s_load_dwordx4 s[8:11], s[4:5], 0x38
	s_lshl_b64 s[16:17], s[0:1], 3
	s_waitcnt lgkmcnt(0)
	s_add_u32 s8, s8, s16
	s_addc_u32 s9, s9, s17
	s_lshl_b64 s[10:11], s[10:11], 2
	s_load_dwordx2 s[8:9], s[8:9], 0x0
	s_waitcnt lgkmcnt(0)
	s_add_u32 s22, s8, s10
	s_addc_u32 s23, s9, s11
.LBB231_6:
	s_clause 0x1
	s_load_dword s16, s[4:5], 0x68
	s_load_dwordx2 s[10:11], s[4:5], 0x58
	s_ashr_i32 s8, s13, 31
	s_mul_hi_u32 s1, s0, s13
	s_mul_i32 s3, s0, s8
	s_mul_i32 s0, s0, s13
	s_add_i32 s1, s1, s3
	s_mov_b32 s17, 0
	s_waitcnt lgkmcnt(0)
	s_mul_i32 s1, s1, s16
	s_mul_hi_u32 s3, s0, s16
	s_mul_i32 s0, s0, s16
	s_add_i32 s1, s3, s1
	s_lshl_b64 s[0:1], s[0:1], 2
	s_add_u32 s33, s10, s0
	s_addc_u32 s38, s11, s1
	s_andn2_b32 vcc_lo, exec_lo, s2
	s_mov_b32 s0, -1
	s_cbranch_vccnz .LBB231_11
; %bb.7:
	v_cmp_eq_u32_e32 vcc_lo, 0, v0
	s_cmp_gt_i32 s13, 0
	s_cselect_b32 s0, -1, 0
	s_and_b32 s0, vcc_lo, s0
	s_and_saveexec_b32 s9, s0
	s_cbranch_execz .LBB231_10
; %bb.8:
	s_mov_b32 s7, 0
	v_mov_b32_e32 v1, 0
	s_lshl_b64 s[0:1], s[6:7], 2
	s_mov_b32 s7, s13
	s_add_u32 s0, s33, s0
	s_addc_u32 s1, s38, s1
	s_lshl_b64 s[2:3], s[16:17], 2
.LBB231_9:                              ; =>This Inner Loop Header: Depth=1
	s_add_i32 s7, s7, -1
	global_store_dword v1, v1, s[0:1]
	s_add_u32 s0, s0, s2
	s_addc_u32 s1, s1, s3
	s_cmp_eq_u32 s7, 0
	s_cbranch_scc0 .LBB231_9
.LBB231_10:
	s_or_b32 exec_lo, exec_lo, s9
	s_mov_b32 s0, 0
.LBB231_11:
	s_andn2_b32 vcc_lo, exec_lo, s0
	s_cbranch_vccnz .LBB231_86
; %bb.12:
	s_lshl_b32 s0, s6, 10
	s_clause 0x1
	s_load_dword s18, s[4:5], 0x28
	s_load_dword s24, s[4:5], 0x48
	v_lshl_or_b32 v13, v0, 2, s0
	s_ashr_i32 s0, s12, 31
	s_lshr_b32 s1, s8, 30
	s_lshr_b32 s0, s0, 30
	s_add_i32 s1, s13, s1
	v_ashrrev_i32_e32 v14, 31, v13
	s_add_i32 s0, s12, s0
	s_and_b32 s17, s1, -4
	s_and_b32 s0, s0, -4
	v_add_nc_u32_e32 v30, 4, v13
	v_lshlrev_b64 v[11:12], 2, v[13:14]
	s_sub_i32 s15, s12, s0
	v_and_b32_e32 v27, 31, v0
	v_add_nc_u32_e32 v31, s15, v13
	v_cmp_gt_u32_e64 s0, 32, v0
	v_mbcnt_lo_u32_b32 v29, -1, 0
	v_add_co_u32 v9, vcc_lo, s20, v11
	v_add_co_ci_u32_e64 v10, null, s21, v12, vcc_lo
	v_cmp_gt_u32_e64 s1, 8, v0
	v_lshrrev_b32_e32 v28, 3, v0
	v_cmp_eq_u32_e64 s2, 0, v0
	v_or_b32_e32 v26, 1, v13
	v_or_b32_e32 v25, 2, v13
	;; [unrolled: 1-line block ×3, first 2 shown]
	s_waitcnt lgkmcnt(0)
	s_ashr_i32 s19, s18, 31
	s_ashr_i32 s25, s24, 31
	s_cmp_lt_i32 s17, 1
	s_cbranch_scc1 .LBB231_61
; %bb.13:
	v_cmp_gt_u32_e32 vcc_lo, 24, v29
	v_mad_i64_i32 v[5:6], null, s24, v25, 0
	v_mad_i64_i32 v[7:8], null, s24, v24, 0
	v_cndmask_b32_e64 v1, 0, 8, vcc_lo
	v_cmp_gt_u32_e32 vcc_lo, 28, v29
	s_cmp_gt_i32 s15, 0
	s_mov_b32 s7, 0
	v_mov_b32_e32 v23, v10
	v_add_lshl_u32 v33, v1, v29, 2
	v_cndmask_b32_e64 v2, 0, 4, vcc_lo
	v_cmp_gt_u32_e32 vcc_lo, 30, v29
	v_cmp_ge_i32_e64 s3, s12, v30
	v_cmp_ge_i32_e64 s4, s12, v31
	s_cselect_b32 s39, -1, 0
	v_add_lshl_u32 v34, v2, v29, 2
	v_cndmask_b32_e64 v3, 0, 2, vcc_lo
	v_cmp_ne_u32_e32 vcc_lo, 31, v29
	v_mad_i64_i32 v[1:2], null, s24, v13, 0
	v_lshl_or_b32 v32, v29, 2, 64
	v_add_lshl_u32 v35, v3, v29, 2
	v_add_co_ci_u32_e64 v4, null, 0, v29, vcc_lo
	v_cmp_eq_u32_e64 s5, 0, v27
	v_lshlrev_b32_e32 v37, 2, v27
	v_lshlrev_b64 v[1:2], 2, v[1:2]
	v_lshlrev_b32_e32 v36, 2, v4
	v_mad_i64_i32 v[3:4], null, s24, v26, 0
	s_lshl_b64 s[8:9], s[6:7], 2
	v_and_b32_e32 v38, 28, v28
	v_add_co_u32 v14, vcc_lo, s22, v1
	v_add_co_ci_u32_e64 v15, null, s23, v2, vcc_lo
	v_lshlrev_b64 v[3:4], 2, v[3:4]
	v_lshlrev_b64 v[1:2], 2, v[5:6]
	v_mov_b32_e32 v5, 0
	v_mov_b32_e32 v22, v9
	s_add_u32 s40, s33, s8
	s_addc_u32 s41, s38, s9
	v_add_co_u32 v16, vcc_lo, s22, v3
	v_add_co_ci_u32_e64 v17, null, s23, v4, vcc_lo
	v_lshlrev_b64 v[3:4], 2, v[7:8]
	v_add_co_u32 v18, vcc_lo, s22, v1
	v_mov_b32_e32 v6, v5
	v_mov_b32_e32 v7, v5
	v_mov_b32_e32 v8, v5
	v_add_co_ci_u32_e64 v19, null, s23, v2, vcc_lo
	v_add_co_u32 v20, vcc_lo, s22, v3
	v_add_co_ci_u32_e64 v21, null, s23, v4, vcc_lo
	v_mov_b32_e32 v1, v5
	v_mov_b32_e32 v2, v6
	;; [unrolled: 1-line block ×4, first 2 shown]
	s_lshl_b64 s[26:27], s[24:25], 2
	s_mul_hi_i32 s42, s18, 12
	s_mul_i32 s43, s18, 12
	s_lshl_b64 s[28:29], s[18:19], 4
	s_lshl_b64 s[30:31], s[18:19], 3
	;; [unrolled: 1-line block ×3, first 2 shown]
	s_branch .LBB231_15
.LBB231_14:                             ;   in Loop: Header=BB231_15 Depth=1
	s_or_b32 exec_lo, exec_lo, s8
	v_add_co_u32 v22, vcc_lo, v22, s28
	v_add_co_ci_u32_e64 v23, null, s29, v23, vcc_lo
	s_add_i32 s7, s7, 4
	s_cmp_ge_i32 s7, s17
	s_cbranch_scc1 .LBB231_62
.LBB231_15:                             ; =>This Loop Header: Depth=1
                                        ;     Child Loop BB231_46 Depth 2
                                        ;     Child Loop BB231_49 Depth 2
                                        ; implicit-def: $vgpr8
                                        ; implicit-def: $vgpr39
                                        ; implicit-def: $vgpr40
                                        ; implicit-def: $vgpr41
	s_and_saveexec_b32 s8, s3
	s_xor_b32 s8, exec_lo, s8
	s_cbranch_execnz .LBB231_42
; %bb.16:                               ;   in Loop: Header=BB231_15 Depth=1
	s_andn2_saveexec_b32 s44, s8
	s_cbranch_execnz .LBB231_43
.LBB231_17:                             ;   in Loop: Header=BB231_15 Depth=1
	s_or_b32 exec_lo, exec_lo, s44
	s_and_saveexec_b32 s8, s0
.LBB231_18:                             ;   in Loop: Header=BB231_15 Depth=1
	ds_write_b32 v37, v5
.LBB231_19:                             ;   in Loop: Header=BB231_15 Depth=1
	s_or_b32 exec_lo, exec_lo, s8
	ds_bpermute_b32 v6, v32, v41
	s_waitcnt lgkmcnt(0)
	s_waitcnt_vscnt null, 0x0
	s_barrier
	buffer_gl0_inv
	v_add_f32_e32 v6, v41, v6
	ds_bpermute_b32 v7, v33, v6
	s_waitcnt lgkmcnt(0)
	v_add_f32_e32 v6, v6, v7
	ds_bpermute_b32 v7, v34, v6
	s_waitcnt lgkmcnt(0)
	v_add_f32_e32 v6, v6, v7
	ds_bpermute_b32 v7, v35, v6
	s_waitcnt lgkmcnt(0)
	v_add_f32_e32 v6, v6, v7
	ds_bpermute_b32 v7, v36, v6
	s_and_saveexec_b32 s8, s5
	s_cbranch_execz .LBB231_21
; %bb.20:                               ;   in Loop: Header=BB231_15 Depth=1
	s_waitcnt lgkmcnt(0)
	v_add_f32_e32 v6, v6, v7
	ds_write_b32 v38, v6
.LBB231_21:                             ;   in Loop: Header=BB231_15 Depth=1
	s_or_b32 exec_lo, exec_lo, s8
	v_mov_b32_e32 v6, 0
	s_waitcnt lgkmcnt(0)
	s_barrier
	buffer_gl0_inv
	s_and_saveexec_b32 s8, s1
	s_cbranch_execnz .LBB231_50
; %bb.22:                               ;   in Loop: Header=BB231_15 Depth=1
	s_or_b32 exec_lo, exec_lo, s8
	s_and_saveexec_b32 s8, s0
	s_cbranch_execnz .LBB231_51
.LBB231_23:                             ;   in Loop: Header=BB231_15 Depth=1
	s_or_b32 exec_lo, exec_lo, s8
	s_and_saveexec_b32 s8, s0
.LBB231_24:                             ;   in Loop: Header=BB231_15 Depth=1
	ds_write_b32 v37, v5
.LBB231_25:                             ;   in Loop: Header=BB231_15 Depth=1
	s_or_b32 exec_lo, exec_lo, s8
	ds_bpermute_b32 v7, v32, v40
	s_waitcnt lgkmcnt(0)
	s_barrier
	buffer_gl0_inv
	v_add_f32_e32 v7, v40, v7
	ds_bpermute_b32 v40, v33, v7
	s_waitcnt lgkmcnt(0)
	v_add_f32_e32 v7, v7, v40
	ds_bpermute_b32 v40, v34, v7
	s_waitcnt lgkmcnt(0)
	;; [unrolled: 3-line block ×3, first 2 shown]
	v_add_f32_e32 v7, v7, v40
	ds_bpermute_b32 v40, v36, v7
	s_and_saveexec_b32 s8, s5
	s_cbranch_execz .LBB231_27
; %bb.26:                               ;   in Loop: Header=BB231_15 Depth=1
	s_waitcnt lgkmcnt(0)
	v_add_f32_e32 v7, v7, v40
	ds_write_b32 v38, v7
.LBB231_27:                             ;   in Loop: Header=BB231_15 Depth=1
	s_or_b32 exec_lo, exec_lo, s8
	v_mov_b32_e32 v7, 0
	s_waitcnt lgkmcnt(0)
	s_barrier
	buffer_gl0_inv
	s_and_saveexec_b32 s8, s1
	s_cbranch_execnz .LBB231_52
; %bb.28:                               ;   in Loop: Header=BB231_15 Depth=1
	s_or_b32 exec_lo, exec_lo, s8
	s_and_saveexec_b32 s8, s0
	s_cbranch_execnz .LBB231_53
.LBB231_29:                             ;   in Loop: Header=BB231_15 Depth=1
	s_or_b32 exec_lo, exec_lo, s8
	s_and_saveexec_b32 s8, s0
.LBB231_30:                             ;   in Loop: Header=BB231_15 Depth=1
	ds_write_b32 v37, v5
.LBB231_31:                             ;   in Loop: Header=BB231_15 Depth=1
	s_or_b32 exec_lo, exec_lo, s8
	ds_bpermute_b32 v40, v32, v39
	s_waitcnt lgkmcnt(0)
	s_barrier
	buffer_gl0_inv
	v_add_f32_e32 v39, v39, v40
	ds_bpermute_b32 v40, v33, v39
	s_waitcnt lgkmcnt(0)
	v_add_f32_e32 v39, v39, v40
	ds_bpermute_b32 v40, v34, v39
	s_waitcnt lgkmcnt(0)
	;; [unrolled: 3-line block ×3, first 2 shown]
	v_add_f32_e32 v39, v39, v40
	ds_bpermute_b32 v40, v36, v39
	s_and_saveexec_b32 s8, s5
	s_cbranch_execz .LBB231_33
; %bb.32:                               ;   in Loop: Header=BB231_15 Depth=1
	s_waitcnt lgkmcnt(0)
	v_add_f32_e32 v39, v39, v40
	ds_write_b32 v38, v39
.LBB231_33:                             ;   in Loop: Header=BB231_15 Depth=1
	s_or_b32 exec_lo, exec_lo, s8
	v_mov_b32_e32 v39, 0
	s_waitcnt lgkmcnt(0)
	s_barrier
	buffer_gl0_inv
	s_and_saveexec_b32 s8, s1
	s_cbranch_execnz .LBB231_54
; %bb.34:                               ;   in Loop: Header=BB231_15 Depth=1
	s_or_b32 exec_lo, exec_lo, s8
	s_and_saveexec_b32 s8, s0
	s_cbranch_execnz .LBB231_55
.LBB231_35:                             ;   in Loop: Header=BB231_15 Depth=1
	s_or_b32 exec_lo, exec_lo, s8
	s_and_saveexec_b32 s8, s0
.LBB231_36:                             ;   in Loop: Header=BB231_15 Depth=1
	ds_write_b32 v37, v5
.LBB231_37:                             ;   in Loop: Header=BB231_15 Depth=1
	s_or_b32 exec_lo, exec_lo, s8
	ds_bpermute_b32 v40, v32, v8
	s_waitcnt lgkmcnt(0)
	s_barrier
	buffer_gl0_inv
	v_add_f32_e32 v8, v8, v40
	ds_bpermute_b32 v40, v33, v8
	s_waitcnt lgkmcnt(0)
	v_add_f32_e32 v8, v8, v40
	ds_bpermute_b32 v40, v34, v8
	s_waitcnt lgkmcnt(0)
	;; [unrolled: 3-line block ×3, first 2 shown]
	v_add_f32_e32 v8, v8, v40
	ds_bpermute_b32 v40, v36, v8
	s_and_saveexec_b32 s8, s5
	s_cbranch_execz .LBB231_39
; %bb.38:                               ;   in Loop: Header=BB231_15 Depth=1
	s_waitcnt lgkmcnt(0)
	v_add_f32_e32 v8, v8, v40
	ds_write_b32 v38, v8
.LBB231_39:                             ;   in Loop: Header=BB231_15 Depth=1
	s_or_b32 exec_lo, exec_lo, s8
	v_mov_b32_e32 v8, 0
	s_waitcnt lgkmcnt(0)
	s_barrier
	buffer_gl0_inv
	s_and_saveexec_b32 s8, s1
	s_cbranch_execnz .LBB231_56
; %bb.40:                               ;   in Loop: Header=BB231_15 Depth=1
	s_or_b32 exec_lo, exec_lo, s8
	s_and_saveexec_b32 s8, s0
	s_cbranch_execnz .LBB231_57
.LBB231_41:                             ;   in Loop: Header=BB231_15 Depth=1
	s_or_b32 exec_lo, exec_lo, s8
	s_and_saveexec_b32 s8, s2
	s_cbranch_execz .LBB231_14
	s_branch .LBB231_58
.LBB231_42:                             ;   in Loop: Header=BB231_15 Depth=1
	s_mul_i32 s9, s7, s19
	s_mul_hi_u32 s10, s7, s18
	s_add_i32 s11, s10, s9
	s_mul_i32 s10, s7, s18
	s_or_b32 s9, s7, 1
	s_lshl_b64 s[10:11], s[10:11], 2
	s_mul_i32 s36, s9, s19
	s_mul_hi_u32 s37, s9, s18
	v_add_co_u32 v2, vcc_lo, v9, s10
	v_add_co_ci_u32_e64 v3, null, s11, v10, vcc_lo
	s_add_i32 s11, s37, s36
	s_mul_i32 s10, s9, s18
	s_or_b32 s9, s7, 2
	s_lshl_b64 s[10:11], s[10:11], 2
	s_mul_i32 s36, s9, s19
	s_mul_hi_u32 s37, s9, s18
	v_add_co_u32 v6, vcc_lo, v9, s10
	v_add_co_ci_u32_e64 v7, null, s11, v10, vcc_lo
	s_add_i32 s11, s37, s36
	s_or_b32 s36, s7, 3
	s_mul_i32 s10, s9, s18
	s_mul_i32 s9, s36, s19
	s_mul_hi_u32 s37, s36, s18
	s_lshl_b64 s[10:11], s[10:11], 2
	s_add_i32 s37, s37, s9
	s_mul_i32 s36, s36, s18
	v_add_co_u32 v39, vcc_lo, v9, s10
	v_add_co_ci_u32_e64 v40, null, s11, v10, vcc_lo
	s_lshl_b64 s[10:11], s[36:37], 2
	v_add_co_u32 v53, vcc_lo, v9, s10
	v_add_co_ci_u32_e64 v54, null, s11, v10, vcc_lo
	flat_load_dword v1, v[14:15]
	s_clause 0x3
	flat_load_dwordx4 v[41:44], v[2:3]
	flat_load_dwordx4 v[45:48], v[6:7]
	flat_load_dwordx4 v[49:52], v[39:40]
	flat_load_dwordx4 v[53:56], v[53:54]
	s_clause 0x2
	flat_load_dword v2, v[16:17]
	flat_load_dword v3, v[18:19]
	;; [unrolled: 1-line block ×3, first 2 shown]
	s_waitcnt vmcnt(6) lgkmcnt(6)
	v_fma_f32 v41, v1, v41, 0
	s_waitcnt vmcnt(5) lgkmcnt(5)
	v_fma_f32 v40, v1, v45, 0
	;; [unrolled: 2-line block ×4, first 2 shown]
	s_waitcnt vmcnt(2) lgkmcnt(2)
	v_fmac_f32_e32 v41, v2, v42
	v_fmac_f32_e32 v40, v2, v46
	v_fmac_f32_e32 v39, v2, v50
	v_fmac_f32_e32 v8, v2, v54
	s_waitcnt vmcnt(1) lgkmcnt(1)
	v_fmac_f32_e32 v41, v3, v43
	v_fmac_f32_e32 v40, v3, v47
	v_fmac_f32_e32 v39, v3, v51
	v_fmac_f32_e32 v8, v3, v55
	;; [unrolled: 5-line block ×3, first 2 shown]
	s_andn2_saveexec_b32 s44, s8
	s_cbranch_execz .LBB231_17
.LBB231_43:                             ;   in Loop: Header=BB231_15 Depth=1
	s_waitcnt lgkmcnt(0)
	v_mov_b32_e32 v8, 0
	v_mov_b32_e32 v39, 0
	;; [unrolled: 1-line block ×4, first 2 shown]
	s_and_saveexec_b32 s45, s4
	s_cbranch_execz .LBB231_60
; %bb.44:                               ;   in Loop: Header=BB231_15 Depth=1
	s_andn2_b32 vcc_lo, exec_lo, s39
	s_cbranch_vccnz .LBB231_47
; %bb.45:                               ;   in Loop: Header=BB231_15 Depth=1
	v_mov_b32_e32 v6, v14
	v_mov_b32_e32 v7, v15
	s_mov_b64 s[36:37], 0
	.p2align	6
.LBB231_46:                             ;   Parent Loop BB231_15 Depth=1
                                        ; =>  This Inner Loop Header: Depth=2
	flat_load_dword v8, v[6:7]
	s_cmp_eq_u32 s36, 3
	v_add_co_u32 v6, vcc_lo, v6, s26
	v_add_co_ci_u32_e64 v7, null, s27, v7, vcc_lo
	s_cselect_b32 vcc_lo, -1, 0
	s_cmp_eq_u32 s36, 2
	s_cselect_b32 s8, -1, 0
	s_cmp_eq_u32 s36, 1
	s_cselect_b32 s9, -1, 0
	;; [unrolled: 2-line block ×3, first 2 shown]
	s_add_u32 s36, s36, 1
	s_addc_u32 s37, s37, 0
	s_cmp_eq_u32 s15, s36
	s_waitcnt vmcnt(0) lgkmcnt(0)
	v_cndmask_b32_e32 v4, v4, v8, vcc_lo
	v_cndmask_b32_e64 v3, v3, v8, s8
	v_cndmask_b32_e64 v2, v2, v8, s9
	;; [unrolled: 1-line block ×3, first 2 shown]
	s_cbranch_scc0 .LBB231_46
.LBB231_47:                             ;   in Loop: Header=BB231_15 Depth=1
	s_andn2_b32 vcc_lo, exec_lo, s39
	s_cbranch_vccnz .LBB231_59
; %bb.48:                               ;   in Loop: Header=BB231_15 Depth=1
	v_mov_b32_e32 v6, v22
	v_mov_b32_e32 v41, 0
	;; [unrolled: 1-line block ×6, first 2 shown]
	s_mov_b64 s[10:11], 0
	s_inst_prefetch 0x1
	.p2align	6
.LBB231_49:                             ;   Parent Loop BB231_15 Depth=1
                                        ; =>  This Inner Loop Header: Depth=2
	v_add_co_u32 v42, vcc_lo, v6, s34
	v_add_co_ci_u32_e64 v43, null, s35, v7, vcc_lo
	v_add_co_u32 v44, vcc_lo, v6, s30
	v_add_co_ci_u32_e64 v45, null, s31, v7, vcc_lo
	;; [unrolled: 2-line block ×3, first 2 shown]
	s_clause 0x3
	flat_load_dword v48, v[6:7]
	flat_load_dword v42, v[42:43]
	;; [unrolled: 1-line block ×4, first 2 shown]
	s_cmp_eq_u32 s10, 1
	v_add_co_u32 v6, s8, v6, 4
	s_cselect_b32 vcc_lo, -1, 0
	s_cmp_eq_u32 s10, 2
	v_cndmask_b32_e32 v45, v1, v2, vcc_lo
	s_cselect_b32 vcc_lo, -1, 0
	s_cmp_eq_u32 s10, 3
	v_add_co_ci_u32_e64 v7, null, 0, v7, s8
	v_cndmask_b32_e32 v45, v45, v3, vcc_lo
	s_cselect_b32 vcc_lo, -1, 0
	s_add_u32 s10, s10, 1
	s_addc_u32 s11, s11, 0
	s_cmp_lg_u32 s15, s10
	v_cndmask_b32_e32 v45, v45, v4, vcc_lo
	s_waitcnt vmcnt(3) lgkmcnt(3)
	v_fmac_f32_e32 v41, v45, v48
	s_waitcnt vmcnt(2) lgkmcnt(2)
	v_fmac_f32_e32 v40, v45, v42
	;; [unrolled: 2-line block ×4, first 2 shown]
	s_cbranch_scc1 .LBB231_49
	s_branch .LBB231_60
.LBB231_50:                             ;   in Loop: Header=BB231_15 Depth=1
	ds_read_b32 v6, v37
	s_or_b32 exec_lo, exec_lo, s8
	s_and_saveexec_b32 s8, s0
	s_cbranch_execz .LBB231_23
.LBB231_51:                             ;   in Loop: Header=BB231_15 Depth=1
	s_waitcnt lgkmcnt(0)
	ds_bpermute_b32 v7, v34, v6
	s_waitcnt lgkmcnt(0)
	v_add_f32_e32 v6, v6, v7
	ds_bpermute_b32 v7, v35, v6
	s_waitcnt lgkmcnt(0)
	v_add_f32_e32 v6, v6, v7
	;; [unrolled: 3-line block ×3, first 2 shown]
	s_or_b32 exec_lo, exec_lo, s8
	s_and_saveexec_b32 s8, s0
	s_cbranch_execnz .LBB231_24
	s_branch .LBB231_25
.LBB231_52:                             ;   in Loop: Header=BB231_15 Depth=1
	ds_read_b32 v7, v37
	s_or_b32 exec_lo, exec_lo, s8
	s_and_saveexec_b32 s8, s0
	s_cbranch_execz .LBB231_29
.LBB231_53:                             ;   in Loop: Header=BB231_15 Depth=1
	s_waitcnt lgkmcnt(0)
	ds_bpermute_b32 v40, v34, v7
	s_waitcnt lgkmcnt(0)
	v_add_f32_e32 v7, v7, v40
	ds_bpermute_b32 v40, v35, v7
	s_waitcnt lgkmcnt(0)
	v_add_f32_e32 v7, v7, v40
	;; [unrolled: 3-line block ×3, first 2 shown]
	s_or_b32 exec_lo, exec_lo, s8
	s_and_saveexec_b32 s8, s0
	s_cbranch_execnz .LBB231_30
	s_branch .LBB231_31
.LBB231_54:                             ;   in Loop: Header=BB231_15 Depth=1
	ds_read_b32 v39, v37
	s_or_b32 exec_lo, exec_lo, s8
	s_and_saveexec_b32 s8, s0
	s_cbranch_execz .LBB231_35
.LBB231_55:                             ;   in Loop: Header=BB231_15 Depth=1
	s_waitcnt lgkmcnt(0)
	ds_bpermute_b32 v40, v34, v39
	s_waitcnt lgkmcnt(0)
	v_add_f32_e32 v39, v39, v40
	ds_bpermute_b32 v40, v35, v39
	s_waitcnt lgkmcnt(0)
	v_add_f32_e32 v39, v39, v40
	;; [unrolled: 3-line block ×3, first 2 shown]
	s_or_b32 exec_lo, exec_lo, s8
	s_and_saveexec_b32 s8, s0
	s_cbranch_execnz .LBB231_36
	s_branch .LBB231_37
.LBB231_56:                             ;   in Loop: Header=BB231_15 Depth=1
	ds_read_b32 v8, v37
	s_or_b32 exec_lo, exec_lo, s8
	s_and_saveexec_b32 s8, s0
	s_cbranch_execz .LBB231_41
.LBB231_57:                             ;   in Loop: Header=BB231_15 Depth=1
	s_waitcnt lgkmcnt(0)
	ds_bpermute_b32 v40, v34, v8
	s_waitcnt lgkmcnt(0)
	v_add_f32_e32 v8, v8, v40
	ds_bpermute_b32 v40, v35, v8
	s_waitcnt lgkmcnt(0)
	v_add_f32_e32 v8, v8, v40
	;; [unrolled: 3-line block ×3, first 2 shown]
	s_or_b32 exec_lo, exec_lo, s8
	s_and_saveexec_b32 s8, s2
	s_cbranch_execz .LBB231_14
.LBB231_58:                             ;   in Loop: Header=BB231_15 Depth=1
	s_mul_hi_u32 s11, s7, s16
	s_mul_i32 s10, s7, s16
	v_mul_f32_e32 v6, s14, v6
	s_lshl_b64 s[10:11], s[10:11], 2
	v_mul_f32_e32 v7, s14, v7
	s_add_u32 s10, s40, s10
	s_addc_u32 s11, s41, s11
	s_or_b32 s9, s7, 1
	global_store_dword v5, v6, s[10:11]
	s_mul_hi_u32 s37, s9, s16
	s_mul_i32 s36, s9, s16
	v_mul_f32_e32 v6, s14, v39
	s_lshl_b64 s[36:37], s[36:37], 2
	s_waitcnt lgkmcnt(0)
	v_mul_f32_e32 v8, s14, v8
	s_add_u32 s36, s40, s36
	s_addc_u32 s37, s41, s37
	s_or_b32 s9, s7, 2
	global_store_dword v5, v7, s[36:37]
	s_mul_hi_u32 s45, s9, s16
	s_mul_i32 s44, s9, s16
	s_lshl_b64 s[44:45], s[44:45], 2
	s_add_u32 s10, s40, s44
	s_addc_u32 s11, s41, s45
	s_or_b32 s9, s7, 3
	s_mul_hi_u32 s45, s9, s16
	s_mul_i32 s44, s9, s16
	s_lshl_b64 s[44:45], s[44:45], 2
	s_add_u32 s36, s40, s44
	s_addc_u32 s37, s41, s45
	global_store_dword v5, v6, s[10:11]
	global_store_dword v5, v8, s[36:37]
	s_branch .LBB231_14
.LBB231_59:                             ;   in Loop: Header=BB231_15 Depth=1
	v_mov_b32_e32 v8, 0
	v_mov_b32_e32 v39, 0
	v_mov_b32_e32 v40, 0
	v_mov_b32_e32 v41, 0
.LBB231_60:                             ;   in Loop: Header=BB231_15 Depth=1
	s_inst_prefetch 0x2
	s_or_b32 exec_lo, exec_lo, s45
	s_or_b32 exec_lo, exec_lo, s44
	s_and_saveexec_b32 s8, s0
	s_cbranch_execnz .LBB231_18
	s_branch .LBB231_19
.LBB231_61:
	v_mov_b32_e32 v1, 0
	s_mov_b32 s7, 0
	v_mov_b32_e32 v2, v1
	v_mov_b32_e32 v3, v1
	;; [unrolled: 1-line block ×3, first 2 shown]
.LBB231_62:
	s_cmp_ge_i32 s7, s13
	s_cbranch_scc1 .LBB231_86
; %bb.63:
	v_cmp_gt_u32_e32 vcc_lo, 24, v29
	v_lshl_or_b32 v20, v29, 2, 64
	v_mad_i64_i32 v[15:16], null, s24, v24, 0
	s_cmp_gt_i32 s15, 0
	v_cndmask_b32_e64 v5, 0, 8, vcc_lo
	v_cmp_gt_u32_e32 vcc_lo, 28, v29
	s_mov_b32 s11, 0
	s_mov_b32 s10, s6
	v_cmp_ge_i32_e64 s0, s12, v30
	v_add_lshl_u32 v21, v5, v29, 2
	v_cndmask_b32_e64 v6, 0, 4, vcc_lo
	v_cmp_gt_u32_e32 vcc_lo, 30, v29
	v_lshlrev_b64 v[15:16], 2, v[15:16]
	v_cmp_ge_i32_e64 s1, s12, v31
	s_cselect_b32 s12, -1, 0
	v_add_lshl_u32 v22, v6, v29, 2
	v_cndmask_b32_e64 v7, 0, 2, vcc_lo
	v_cmp_ne_u32_e32 vcc_lo, 31, v29
	v_mad_i64_i32 v[5:6], null, s24, v13, 0
	v_mad_i64_i32 v[13:14], null, s24, v25, 0
	s_waitcnt lgkmcnt(0)
	v_add_co_ci_u32_e64 v8, null, 0, v29, vcc_lo
	v_add_lshl_u32 v23, v7, v29, 2
	s_lshl_b64 s[8:9], s[10:11], 2
	v_lshlrev_b64 v[5:6], 2, v[5:6]
	v_lshlrev_b32_e32 v29, 2, v8
	v_mad_i64_i32 v[7:8], null, s24, v26, 0
	v_lshlrev_b64 v[13:14], 2, v[13:14]
	s_add_u32 s10, s33, s8
	v_add_co_u32 v5, vcc_lo, s22, v5
	v_add_co_ci_u32_e64 v6, null, s23, v6, vcc_lo
	v_lshlrev_b64 v[7:8], 2, v[7:8]
	s_mul_i32 s6, s19, s7
	s_mul_hi_u32 s8, s18, s7
	s_addc_u32 s17, s38, s9
	s_add_i32 s9, s8, s6
	s_mul_i32 s8, s18, s7
	v_add_co_u32 v7, vcc_lo, s22, v7
	v_add_co_ci_u32_e64 v8, null, s23, v8, vcc_lo
	v_add_co_u32 v13, vcc_lo, s22, v13
	v_add_co_ci_u32_e64 v14, null, s23, v14, vcc_lo
	v_add_co_u32 v15, vcc_lo, s22, v15
	s_lshl_b64 s[8:9], s[8:9], 2
	v_add_co_ci_u32_e64 v16, null, s23, v16, vcc_lo
	s_lshl_b64 s[22:23], s[24:25], 2
	s_add_u32 s6, s20, s8
	s_addc_u32 s8, s21, s9
	v_add_co_u32 v11, vcc_lo, s6, v11
	v_cmp_gt_u32_e64 s2, 32, v0
	v_lshlrev_b32_e32 v19, 2, v27
	v_cmp_eq_u32_e64 s3, 0, v27
	v_and_b32_e32 v27, 28, v28
	v_cmp_gt_u32_e64 s4, 8, v0
	v_cmp_eq_u32_e64 s5, 0, v0
	v_add_co_ci_u32_e64 v12, null, s8, v12, vcc_lo
	v_mov_b32_e32 v0, 0
	s_lshl_b64 s[20:21], s[18:19], 2
	s_branch .LBB231_65
.LBB231_64:                             ;   in Loop: Header=BB231_65 Depth=1
	s_or_b32 exec_lo, exec_lo, s6
	v_add_co_u32 v11, vcc_lo, v11, s20
	v_add_co_ci_u32_e64 v12, null, s21, v12, vcc_lo
	s_add_i32 s7, s7, 1
	s_cmp_ge_i32 s7, s13
	s_cbranch_scc1 .LBB231_86
.LBB231_65:                             ; =>This Loop Header: Depth=1
                                        ;     Child Loop BB231_78 Depth 2
                                        ;     Child Loop BB231_81 Depth 2
	v_mov_b32_e32 v24, s11
	s_and_saveexec_b32 s6, s0
	s_xor_b32 s6, exec_lo, s6
	s_cbranch_execnz .LBB231_74
; %bb.66:                               ;   in Loop: Header=BB231_65 Depth=1
	s_andn2_saveexec_b32 s26, s6
	s_cbranch_execnz .LBB231_75
.LBB231_67:                             ;   in Loop: Header=BB231_65 Depth=1
	s_or_b32 exec_lo, exec_lo, s26
	s_and_saveexec_b32 s6, s2
.LBB231_68:                             ;   in Loop: Header=BB231_65 Depth=1
	ds_write_b32 v19, v0
.LBB231_69:                             ;   in Loop: Header=BB231_65 Depth=1
	s_or_b32 exec_lo, exec_lo, s6
	s_waitcnt lgkmcnt(0)
	ds_bpermute_b32 v17, v20, v24
	s_waitcnt lgkmcnt(0)
	s_waitcnt_vscnt null, 0x0
	s_barrier
	buffer_gl0_inv
	v_add_f32_e32 v17, v24, v17
	ds_bpermute_b32 v18, v21, v17
	s_waitcnt lgkmcnt(0)
	v_add_f32_e32 v17, v17, v18
	ds_bpermute_b32 v18, v22, v17
	s_waitcnt lgkmcnt(0)
	v_add_f32_e32 v17, v17, v18
	ds_bpermute_b32 v18, v23, v17
	s_waitcnt lgkmcnt(0)
	v_add_f32_e32 v17, v17, v18
	ds_bpermute_b32 v18, v29, v17
	s_and_saveexec_b32 s6, s3
	s_cbranch_execz .LBB231_71
; %bb.70:                               ;   in Loop: Header=BB231_65 Depth=1
	s_waitcnt lgkmcnt(0)
	v_add_f32_e32 v17, v17, v18
	ds_write_b32 v27, v17
.LBB231_71:                             ;   in Loop: Header=BB231_65 Depth=1
	s_or_b32 exec_lo, exec_lo, s6
	v_mov_b32_e32 v17, 0
	s_waitcnt lgkmcnt(0)
	s_barrier
	buffer_gl0_inv
	s_and_saveexec_b32 s6, s4
	s_cbranch_execnz .LBB231_83
; %bb.72:                               ;   in Loop: Header=BB231_65 Depth=1
	s_or_b32 exec_lo, exec_lo, s6
	s_and_saveexec_b32 s6, s2
	s_cbranch_execnz .LBB231_84
.LBB231_73:                             ;   in Loop: Header=BB231_65 Depth=1
	s_or_b32 exec_lo, exec_lo, s6
	s_and_saveexec_b32 s6, s5
	s_cbranch_execz .LBB231_64
	s_branch .LBB231_85
.LBB231_74:                             ;   in Loop: Header=BB231_65 Depth=1
	s_mul_i32 s9, s7, s19
	s_mul_hi_u32 s24, s7, s18
	s_mul_i32 s8, s7, s18
	s_add_i32 s9, s24, s9
	s_lshl_b64 s[8:9], s[8:9], 2
	v_add_co_u32 v1, vcc_lo, v9, s8
	v_add_co_ci_u32_e64 v2, null, s9, v10, vcc_lo
	flat_load_dwordx4 v[30:33], v[1:2]
	s_clause 0x3
	flat_load_dword v1, v[5:6]
	flat_load_dword v2, v[7:8]
	;; [unrolled: 1-line block ×4, first 2 shown]
	s_waitcnt vmcnt(3) lgkmcnt(3)
	v_fma_f32 v24, v1, v30, 0
	s_waitcnt vmcnt(2) lgkmcnt(2)
	v_fmac_f32_e32 v24, v2, v31
	s_waitcnt vmcnt(1) lgkmcnt(1)
	v_fmac_f32_e32 v24, v3, v32
	;; [unrolled: 2-line block ×3, first 2 shown]
	s_andn2_saveexec_b32 s26, s6
	s_cbranch_execz .LBB231_67
.LBB231_75:                             ;   in Loop: Header=BB231_65 Depth=1
	s_and_saveexec_b32 s27, s1
	s_cbranch_execz .LBB231_82
; %bb.76:                               ;   in Loop: Header=BB231_65 Depth=1
	s_andn2_b32 vcc_lo, exec_lo, s12
	s_cbranch_vccnz .LBB231_79
; %bb.77:                               ;   in Loop: Header=BB231_65 Depth=1
	s_waitcnt lgkmcnt(0)
	v_mov_b32_e32 v18, v6
	v_mov_b32_e32 v17, v5
	s_mov_b64 s[24:25], 0
	.p2align	6
.LBB231_78:                             ;   Parent Loop BB231_65 Depth=1
                                        ; =>  This Inner Loop Header: Depth=2
	flat_load_dword v25, v[17:18]
	s_cmp_eq_u32 s24, 3
	v_add_co_u32 v17, vcc_lo, v17, s22
	v_add_co_ci_u32_e64 v18, null, s23, v18, vcc_lo
	s_cselect_b32 vcc_lo, -1, 0
	s_cmp_eq_u32 s24, 2
	s_cselect_b32 s6, -1, 0
	s_cmp_eq_u32 s24, 1
	s_cselect_b32 s8, -1, 0
	;; [unrolled: 2-line block ×3, first 2 shown]
	s_add_u32 s24, s24, 1
	s_addc_u32 s25, s25, 0
	s_cmp_eq_u32 s15, s24
	s_waitcnt vmcnt(0) lgkmcnt(0)
	v_cndmask_b32_e32 v4, v4, v25, vcc_lo
	v_cndmask_b32_e64 v3, v3, v25, s6
	v_cndmask_b32_e64 v2, v2, v25, s8
	;; [unrolled: 1-line block ×3, first 2 shown]
	s_cbranch_scc0 .LBB231_78
.LBB231_79:                             ;   in Loop: Header=BB231_65 Depth=1
	s_andn2_b32 vcc_lo, exec_lo, s12
	s_cbranch_vccnz .LBB231_82
; %bb.80:                               ;   in Loop: Header=BB231_65 Depth=1
	s_waitcnt lgkmcnt(0)
	v_mov_b32_e32 v18, v12
	v_mov_b32_e32 v17, v11
	s_mov_b64 s[8:9], 0
	.p2align	6
.LBB231_81:                             ;   Parent Loop BB231_65 Depth=1
                                        ; =>  This Inner Loop Header: Depth=2
	flat_load_dword v25, v[17:18]
	s_cmp_eq_u32 s8, 1
	s_cselect_b32 vcc_lo, -1, 0
	s_cmp_eq_u32 s8, 2
	v_cndmask_b32_e32 v26, v1, v2, vcc_lo
	s_cselect_b32 vcc_lo, -1, 0
	s_cmp_eq_u32 s8, 3
	v_cndmask_b32_e32 v26, v26, v3, vcc_lo
	s_cselect_b32 vcc_lo, -1, 0
	s_add_u32 s8, s8, 1
	s_addc_u32 s9, s9, 0
	s_cmp_lg_u32 s15, s8
	v_cndmask_b32_e32 v26, v26, v4, vcc_lo
	v_add_co_u32 v17, vcc_lo, v17, 4
	v_add_co_ci_u32_e64 v18, null, 0, v18, vcc_lo
	s_waitcnt vmcnt(0) lgkmcnt(0)
	v_fmac_f32_e32 v24, v26, v25
	s_cbranch_scc1 .LBB231_81
.LBB231_82:                             ;   in Loop: Header=BB231_65 Depth=1
	s_or_b32 exec_lo, exec_lo, s27
	s_or_b32 exec_lo, exec_lo, s26
	s_and_saveexec_b32 s6, s2
	s_cbranch_execnz .LBB231_68
	s_branch .LBB231_69
.LBB231_83:                             ;   in Loop: Header=BB231_65 Depth=1
	ds_read_b32 v17, v19
	s_or_b32 exec_lo, exec_lo, s6
	s_and_saveexec_b32 s6, s2
	s_cbranch_execz .LBB231_73
.LBB231_84:                             ;   in Loop: Header=BB231_65 Depth=1
	s_waitcnt lgkmcnt(0)
	ds_bpermute_b32 v18, v22, v17
	s_waitcnt lgkmcnt(0)
	v_add_f32_e32 v17, v17, v18
	ds_bpermute_b32 v18, v23, v17
	s_waitcnt lgkmcnt(0)
	v_add_f32_e32 v17, v17, v18
	;; [unrolled: 3-line block ×3, first 2 shown]
	s_or_b32 exec_lo, exec_lo, s6
	s_and_saveexec_b32 s6, s5
	s_cbranch_execz .LBB231_64
.LBB231_85:                             ;   in Loop: Header=BB231_65 Depth=1
	s_mul_hi_u32 s9, s7, s16
	s_mul_i32 s8, s7, s16
	s_waitcnt lgkmcnt(0)
	v_mul_f32_e32 v17, s14, v17
	s_lshl_b64 s[8:9], s[8:9], 2
	s_add_u32 s8, s10, s8
	s_addc_u32 s9, s17, s9
	global_store_dword v0, v17, s[8:9]
	s_branch .LBB231_64
.LBB231_86:
	s_endpgm
	.section	.rodata,"a",@progbits
	.p2align	6, 0x0
	.amdhsa_kernel _ZL23rocblas_gemvt_sn_kernelILb1ELi256ELi4ElPKfffEviiT4_lPKT3_lilS5_lilPT5_i
		.amdhsa_group_segment_fixed_size 128
		.amdhsa_private_segment_fixed_size 0
		.amdhsa_kernarg_size 360
		.amdhsa_user_sgpr_count 6
		.amdhsa_user_sgpr_private_segment_buffer 1
		.amdhsa_user_sgpr_dispatch_ptr 0
		.amdhsa_user_sgpr_queue_ptr 0
		.amdhsa_user_sgpr_kernarg_segment_ptr 1
		.amdhsa_user_sgpr_dispatch_id 0
		.amdhsa_user_sgpr_flat_scratch_init 0
		.amdhsa_user_sgpr_private_segment_size 0
		.amdhsa_wavefront_size32 1
		.amdhsa_uses_dynamic_stack 0
		.amdhsa_system_sgpr_private_segment_wavefront_offset 0
		.amdhsa_system_sgpr_workgroup_id_x 1
		.amdhsa_system_sgpr_workgroup_id_y 0
		.amdhsa_system_sgpr_workgroup_id_z 1
		.amdhsa_system_sgpr_workgroup_info 0
		.amdhsa_system_vgpr_workitem_id 0
		.amdhsa_next_free_vgpr 57
		.amdhsa_next_free_sgpr 46
		.amdhsa_reserve_vcc 1
		.amdhsa_reserve_flat_scratch 1
		.amdhsa_float_round_mode_32 0
		.amdhsa_float_round_mode_16_64 0
		.amdhsa_float_denorm_mode_32 3
		.amdhsa_float_denorm_mode_16_64 3
		.amdhsa_dx10_clamp 1
		.amdhsa_ieee_mode 1
		.amdhsa_fp16_overflow 0
		.amdhsa_workgroup_processor_mode 1
		.amdhsa_memory_ordered 1
		.amdhsa_forward_progress 1
		.amdhsa_shared_vgpr_count 0
		.amdhsa_exception_fp_ieee_invalid_op 0
		.amdhsa_exception_fp_denorm_src 0
		.amdhsa_exception_fp_ieee_div_zero 0
		.amdhsa_exception_fp_ieee_overflow 0
		.amdhsa_exception_fp_ieee_underflow 0
		.amdhsa_exception_fp_ieee_inexact 0
		.amdhsa_exception_int_div_zero 0
	.end_amdhsa_kernel
	.section	.text._ZL23rocblas_gemvt_sn_kernelILb1ELi256ELi4ElPKfffEviiT4_lPKT3_lilS5_lilPT5_i,"axG",@progbits,_ZL23rocblas_gemvt_sn_kernelILb1ELi256ELi4ElPKfffEviiT4_lPKT3_lilS5_lilPT5_i,comdat
.Lfunc_end231:
	.size	_ZL23rocblas_gemvt_sn_kernelILb1ELi256ELi4ElPKfffEviiT4_lPKT3_lilS5_lilPT5_i, .Lfunc_end231-_ZL23rocblas_gemvt_sn_kernelILb1ELi256ELi4ElPKfffEviiT4_lPKT3_lilS5_lilPT5_i
                                        ; -- End function
	.set _ZL23rocblas_gemvt_sn_kernelILb1ELi256ELi4ElPKfffEviiT4_lPKT3_lilS5_lilPT5_i.num_vgpr, 57
	.set _ZL23rocblas_gemvt_sn_kernelILb1ELi256ELi4ElPKfffEviiT4_lPKT3_lilS5_lilPT5_i.num_agpr, 0
	.set _ZL23rocblas_gemvt_sn_kernelILb1ELi256ELi4ElPKfffEviiT4_lPKT3_lilS5_lilPT5_i.numbered_sgpr, 46
	.set _ZL23rocblas_gemvt_sn_kernelILb1ELi256ELi4ElPKfffEviiT4_lPKT3_lilS5_lilPT5_i.num_named_barrier, 0
	.set _ZL23rocblas_gemvt_sn_kernelILb1ELi256ELi4ElPKfffEviiT4_lPKT3_lilS5_lilPT5_i.private_seg_size, 0
	.set _ZL23rocblas_gemvt_sn_kernelILb1ELi256ELi4ElPKfffEviiT4_lPKT3_lilS5_lilPT5_i.uses_vcc, 1
	.set _ZL23rocblas_gemvt_sn_kernelILb1ELi256ELi4ElPKfffEviiT4_lPKT3_lilS5_lilPT5_i.uses_flat_scratch, 1
	.set _ZL23rocblas_gemvt_sn_kernelILb1ELi256ELi4ElPKfffEviiT4_lPKT3_lilS5_lilPT5_i.has_dyn_sized_stack, 0
	.set _ZL23rocblas_gemvt_sn_kernelILb1ELi256ELi4ElPKfffEviiT4_lPKT3_lilS5_lilPT5_i.has_recursion, 0
	.set _ZL23rocblas_gemvt_sn_kernelILb1ELi256ELi4ElPKfffEviiT4_lPKT3_lilS5_lilPT5_i.has_indirect_call, 0
	.section	.AMDGPU.csdata,"",@progbits
; Kernel info:
; codeLenInByte = 4136
; TotalNumSgprs: 48
; NumVgprs: 57
; ScratchSize: 0
; MemoryBound: 0
; FloatMode: 240
; IeeeMode: 1
; LDSByteSize: 128 bytes/workgroup (compile time only)
; SGPRBlocks: 0
; VGPRBlocks: 7
; NumSGPRsForWavesPerEU: 48
; NumVGPRsForWavesPerEU: 57
; Occupancy: 16
; WaveLimiterHint : 0
; COMPUTE_PGM_RSRC2:SCRATCH_EN: 0
; COMPUTE_PGM_RSRC2:USER_SGPR: 6
; COMPUTE_PGM_RSRC2:TRAP_HANDLER: 0
; COMPUTE_PGM_RSRC2:TGID_X_EN: 1
; COMPUTE_PGM_RSRC2:TGID_Y_EN: 0
; COMPUTE_PGM_RSRC2:TGID_Z_EN: 1
; COMPUTE_PGM_RSRC2:TIDIG_COMP_CNT: 0
	.section	.text._ZL36rocblas_gemvt_double_buffered_kernelILb1ELi128ELi8ELi8EPKfS1_KPfEviiT4_lPKT3_lilS7_lilPT5_lili,"axG",@progbits,_ZL36rocblas_gemvt_double_buffered_kernelILb1ELi128ELi8ELi8EPKfS1_KPfEviiT4_lPKT3_lilS7_lilPT5_lili,comdat
	.globl	_ZL36rocblas_gemvt_double_buffered_kernelILb1ELi128ELi8ELi8EPKfS1_KPfEviiT4_lPKT3_lilS7_lilPT5_lili ; -- Begin function _ZL36rocblas_gemvt_double_buffered_kernelILb1ELi128ELi8ELi8EPKfS1_KPfEviiT4_lPKT3_lilS7_lilPT5_lili
	.p2align	8
	.type	_ZL36rocblas_gemvt_double_buffered_kernelILb1ELi128ELi8ELi8EPKfS1_KPfEviiT4_lPKT3_lilS7_lilPT5_lili,@function
_ZL36rocblas_gemvt_double_buffered_kernelILb1ELi128ELi8ELi8EPKfS1_KPfEviiT4_lPKT3_lilS7_lilPT5_lili: ; @_ZL36rocblas_gemvt_double_buffered_kernelILb1ELi128ELi8ELi8EPKfS1_KPfEviiT4_lPKT3_lilS7_lilPT5_lili
; %bb.0:
	s_load_dwordx8 s[12:19], s[4:5], 0x8
	s_mov_b32 s9, 0
	s_waitcnt lgkmcnt(0)
	s_mul_i32 s0, s15, s8
	s_mul_hi_u32 s1, s14, s8
	s_add_i32 s1, s1, s0
	s_mul_i32 s0, s14, s8
	s_lshl_b64 s[0:1], s[0:1], 2
	s_add_u32 s0, s12, s0
	s_addc_u32 s1, s13, s1
	s_load_dword s20, s[0:1], 0x0
	s_waitcnt lgkmcnt(0)
	v_cmp_eq_f32_e64 s0, s20, 0
	s_and_b32 vcc_lo, exec_lo, s0
	s_cbranch_vccnz .LBB232_12
; %bb.1:
	s_clause 0x1
	s_load_dword s0, s[4:5], 0x84
	s_load_dword s1, s[4:5], 0x0
	s_waitcnt lgkmcnt(0)
	v_cvt_f32_u32_e32 v2, s0
	s_ashr_i32 s3, s1, 31
	s_sub_i32 s10, 0, s0
	s_lshr_b32 s3, s3, 25
	s_add_i32 s1, s1, s3
	v_rcp_iflag_f32_e32 v2, v2
	s_ashr_i32 s1, s1, 7
	v_mul_f32_e32 v2, 0x4f7ffffe, v2
	v_cvt_u32_f32_e32 v2, v2
	v_readfirstlane_b32 s2, v2
	s_mul_i32 s10, s10, s2
	s_mul_hi_u32 s3, s2, s10
	s_add_i32 s2, s2, s3
	s_mul_hi_u32 s2, s1, s2
	s_mul_i32 s3, s2, s0
	s_add_i32 s10, s2, 1
	s_sub_i32 s3, s1, s3
	s_sub_i32 s11, s3, s0
	s_cmp_ge_u32 s3, s0
	s_cselect_b32 s2, s10, s2
	s_cselect_b32 s3, s11, s3
	s_add_i32 s10, s2, 1
	s_cmp_ge_u32 s3, s0
	s_cselect_b32 s12, s10, s2
	s_mul_i32 s0, s12, s0
	s_sub_i32 s13, s1, s0
	s_cmp_lt_u32 s7, s13
	s_cselect_b32 s0, -1, 0
	s_cmp_lg_u32 s0, 0
	s_addc_u32 s21, s12, 0
	s_cmp_eq_u32 s21, 0
	s_cbranch_scc1 .LBB232_12
; %bb.2:
	s_load_dwordx4 s[0:3], s[4:5], 0x58
	s_lshl_b64 s[10:11], s[8:9], 3
	v_lshl_add_u32 v4, v1, 7, v0
	v_and_b32_e32 v2, 63, v0
	v_lshrrev_b32_e32 v13, 3, v4
	v_lshlrev_b32_e32 v12, 2, v2
	v_and_b32_e32 v14, 0x7ff8, v13
	s_waitcnt lgkmcnt(0)
	s_add_u32 s0, s0, s10
	s_addc_u32 s1, s1, s11
	s_lshl_b32 s8, s6, 7
	s_load_dwordx2 s[0:1], s[0:1], 0x0
	s_ashr_i32 s9, s8, 31
	s_cmp_lt_i32 s21, 1
	s_cbranch_scc1 .LBB232_8
; %bb.3:
	v_cvt_f64_i32_e32 v[5:6], s7
	v_cvt_f64_u32_e32 v[7:8], s13
	s_mul_i32 s12, s12, s7
	s_load_dword s14, s[4:5], 0x28
	v_cvt_f64_u32_e32 v[9:10], s12
	s_clause 0x1
	s_load_dwordx4 s[24:27], s[4:5], 0x38
	s_load_dword s12, s[4:5], 0x48
	v_mov_b32_e32 v3, 0
	v_lshrrev_b32_e32 v4, 1, v4
	v_mov_b32_e32 v39, v3
	v_and_b32_e32 v4, 0x1ffe0, v4
	v_mov_b32_e32 v38, v3
	s_waitcnt lgkmcnt(0)
	s_ashr_i32 s15, s14, 31
	v_min_f64 v[5:6], v[5:6], v[7:8]
	s_add_u32 s6, s16, s10
	s_addc_u32 s7, s17, s11
	s_load_dwordx2 s[28:29], s[6:7], 0x0
	s_add_u32 s6, s24, s10
	s_addc_u32 s7, s25, s11
	s_lshl_b64 s[24:25], s[18:19], 2
	s_load_dwordx2 s[6:7], s[6:7], 0x0
	s_ashr_i32 s13, s12, 31
	s_mul_hi_i32 s11, s14, s8
	s_mul_i32 s10, s14, s8
	v_add_f64 v[5:6], v[5:6], v[9:10]
	s_waitcnt lgkmcnt(0)
	s_add_u32 s22, s28, s24
	s_addc_u32 s23, s29, s25
	s_lshl_b64 s[16:17], s[26:27], 2
	s_add_u32 s18, s6, s16
	s_addc_u32 s19, s7, s17
	s_lshl_b64 s[6:7], s[10:11], 2
	s_add_u32 s10, s22, s6
	s_addc_u32 s11, s23, s7
	v_cvt_i32_f64_e32 v7, v[5:6]
	v_mad_i64_i32 v[5:6], null, s14, v14, v[2:3]
	v_lshlrev_b64 v[5:6], 2, v[5:6]
	v_readfirstlane_b32 s16, v7
	s_lshl_b32 s6, s16, 7
	s_ashr_i32 s7, s6, 31
	s_lshl_b64 s[16:17], s[6:7], 2
	s_add_u32 s6, s10, s16
	s_addc_u32 s7, s11, s17
	v_add_co_u32 v5, vcc_lo, s6, v5
	v_add_co_ci_u32_e64 v6, null, s7, v6, vcc_lo
	s_lshl_b64 s[6:7], s[14:15], 2
	s_lshl_b64 s[26:27], s[8:9], 2
	v_add_co_u32 v7, vcc_lo, v5, s6
	v_add_co_ci_u32_e64 v8, null, s7, v6, vcc_lo
	v_add_co_u32 v33, s9, v4, s26
	v_add_co_u32 v9, vcc_lo, v7, s6
	v_add_co_ci_u32_e64 v10, null, s7, v8, vcc_lo
	v_add_co_ci_u32_e64 v34, null, 0, s27, s9
	v_add_co_u32 v15, vcc_lo, v9, s6
	v_add_co_ci_u32_e64 v16, null, s7, v10, vcc_lo
	s_add_i32 s22, s21, -1
	v_add_co_u32 v17, vcc_lo, v15, s6
	v_add_co_ci_u32_e64 v18, null, s7, v16, vcc_lo
	s_lshl_b64 s[10:11], s[12:13], 9
	v_add_co_u32 v19, vcc_lo, v17, s6
	v_add_co_ci_u32_e64 v20, null, s7, v18, vcc_lo
	s_add_u32 s9, s28, s16
	v_add_co_u32 v27, vcc_lo, v19, s6
	v_add_co_ci_u32_e64 v28, null, s7, v20, vcc_lo
	s_addc_u32 s23, s29, s17
	v_add_co_u32 v29, vcc_lo, v27, s6
	v_add_co_ci_u32_e64 v30, null, s7, v28, vcc_lo
	s_clause 0x6
	flat_load_dword v21, v[5:6]
	flat_load_dword v22, v[7:8]
	;; [unrolled: 1-line block ×8, first 2 shown]
	v_add_co_u32 v8, vcc_lo, v33, 4
	s_add_u32 s24, s9, s24
	v_add_co_ci_u32_e64 v9, null, 0, v34, vcc_lo
	s_addc_u32 s25, s23, s25
	v_mul_lo_u32 v10, v33, s15
	v_mad_u64_u32 v[4:5], null, v33, s14, s[24:25]
	v_mul_lo_u32 v11, v34, s14
	v_add_co_u32 v17, vcc_lo, v33, 8
	v_mad_u64_u32 v[6:7], null, v8, s14, s[24:25]
	v_mul_lo_u32 v15, v8, s15
	v_mul_lo_u32 v16, v9, s14
	v_add_co_ci_u32_e64 v18, null, 0, v34, vcc_lo
	v_mad_u64_u32 v[8:9], null, v17, s14, s[24:25]
	v_mul_lo_u32 v17, v17, s15
	v_mul_lo_u32 v18, v18, s14
	v_add3_u32 v5, v11, v5, v10
	v_add_co_u32 v11, vcc_lo, v33, 12
	v_add3_u32 v7, v16, v7, v15
	v_add_co_ci_u32_e64 v15, null, 0, v34, vcc_lo
	s_mul_i32 s9, s17, s12
	v_add3_u32 v18, v18, v9, v17
	v_mad_u64_u32 v[9:10], null, v11, s14, s[24:25]
	v_mul_lo_u32 v11, v11, s15
	v_mul_lo_u32 v19, v15, s14
	v_add_co_u32 v15, vcc_lo, 0x200, v6
	v_add_co_ci_u32_e64 v16, null, 0, v7, vcc_lo
	v_add_co_u32 v17, vcc_lo, 0x200, v8
	v_add_co_ci_u32_e64 v18, null, 0, v18, vcc_lo
	v_add_co_u32 v8, vcc_lo, v33, 16
	v_add3_u32 v20, v19, v10, v11
	v_add_co_ci_u32_e64 v10, null, 0, v34, vcc_lo
	v_mad_u64_u32 v[6:7], null, v8, s14, s[24:25]
	v_mul_lo_u32 v8, v8, s15
	v_mul_lo_u32 v30, v10, s14
	v_add_co_u32 v19, vcc_lo, v33, 20
	v_add_co_ci_u32_e64 v29, null, 0, v34, vcc_lo
	v_mad_u64_u32 v[10:11], null, v19, s14, s[24:25]
	v_mul_lo_u32 v31, v19, s15
	v_add_co_u32 v19, vcc_lo, 0x200, v9
	v_add_co_ci_u32_e64 v20, null, 0, v20, vcc_lo
	v_add3_u32 v9, v30, v7, v8
	v_add_co_u32 v30, vcc_lo, v33, 24
	v_mul_lo_u32 v29, v29, s14
	v_add_co_ci_u32_e64 v32, null, 0, v34, vcc_lo
	v_mad_u64_u32 v[7:8], null, v30, s14, s[24:25]
	v_mul_lo_u32 v35, v30, s15
	v_mul_lo_u32 v36, v32, s14
	v_add3_u32 v11, v29, v11, v31
	v_add_co_u32 v29, vcc_lo, 0x200, v6
	v_add_co_ci_u32_e64 v30, null, 0, v9, vcc_lo
	v_add_co_u32 v31, vcc_lo, 0x200, v10
	v_add_co_ci_u32_e64 v32, null, 0, v11, vcc_lo
	v_add3_u32 v6, v36, v8, v35
	v_add_co_u32 v8, vcc_lo, v33, 28
	v_add_co_ci_u32_e64 v9, null, 0, v34, vcc_lo
	v_or_b32_e32 v33, s16, v12
	v_mad_u64_u32 v[10:11], null, v8, s14, s[24:25]
	v_mul_lo_u32 v34, v8, s15
	v_mul_lo_u32 v35, v9, s14
	v_or_b32_e32 v8, 0x100, v33
	v_add_co_u32 v40, vcc_lo, 0x200, v7
	v_add_co_ci_u32_e64 v41, null, 0, v6, vcc_lo
	v_mul_lo_u32 v36, v8, s13
	v_mad_u64_u32 v[6:7], null, v8, s12, 0
	v_mul_lo_u32 v37, v33, s13
	v_mad_u64_u32 v[8:9], null, v33, s12, 0
	v_add3_u32 v11, v35, v11, v34
	v_add_co_u32 v42, vcc_lo, 0x200, v10
	v_add3_u32 v7, v7, v36, s9
	v_mov_b32_e32 v35, v3
	v_add_co_ci_u32_e64 v43, null, 0, v11, vcc_lo
	v_add3_u32 v9, v9, v37, s9
	v_mov_b32_e32 v37, v3
	v_mov_b32_e32 v36, v3
	;; [unrolled: 1-line block ×4, first 2 shown]
	s_mov_b32 s9, 0
	s_waitcnt vmcnt(7) lgkmcnt(7)
	v_mov_b32_e32 v44, v21
	s_waitcnt vmcnt(6) lgkmcnt(6)
	v_mov_b32_e32 v45, v22
	;; [unrolled: 2-line block ×8, first 2 shown]
.LBB232_4:                              ; =>This Inner Loop Header: Depth=1
	v_add_co_u32 v10, vcc_lo, v4, v12
	v_add_co_ci_u32_e64 v11, null, 0, v5, vcc_lo
	s_cmp_lg_u32 s22, s9
	v_add_co_u32 v52, vcc_lo, 0x100, v10
	v_add_co_ci_u32_e64 v54, null, 0, v11, vcc_lo
	v_add_co_u32 v53, vcc_lo, v52, s6
	v_add_co_ci_u32_e64 v54, null, s7, v54, vcc_lo
	;; [unrolled: 2-line block ×9, first 2 shown]
	s_clause 0x7
	flat_load_dword v52, v[10:11] offset:256
	flat_load_dword v53, v[53:54]
	flat_load_dword v54, v[55:56]
	;; [unrolled: 1-line block ×8, first 2 shown]
	s_cbranch_scc0 .LBB232_6
; %bb.5:                                ;   in Loop: Header=BB232_4 Depth=1
	v_add_co_u32 v45, vcc_lo, v15, v12
	v_add_co_ci_u32_e64 v46, null, 0, v16, vcc_lo
	v_add_co_u32 v47, vcc_lo, v17, v12
	v_add_co_ci_u32_e64 v48, null, 0, v18, vcc_lo
	flat_load_dword v44, v[10:11] offset:512
	flat_load_dword v45, v[45:46]
	flat_load_dword v46, v[47:48]
	v_add_co_u32 v10, vcc_lo, v19, v12
	v_add_co_ci_u32_e64 v11, null, 0, v20, vcc_lo
	v_add_co_u32 v48, vcc_lo, v29, v12
	v_add_co_ci_u32_e64 v49, null, 0, v30, vcc_lo
	;; [unrolled: 2-line block ×5, first 2 shown]
	flat_load_dword v47, v[10:11]
	flat_load_dword v48, v[48:49]
	;; [unrolled: 1-line block ×5, first 2 shown]
.LBB232_6:                              ;   in Loop: Header=BB232_4 Depth=1
	v_add_co_u32 v10, vcc_lo, s18, v6
	v_add_co_ci_u32_e64 v11, null, s19, v7, vcc_lo
	v_add_co_u32 v4, vcc_lo, 0x200, v4
	v_add_co_ci_u32_e64 v5, null, 0, v5, vcc_lo
	flat_load_dword v10, v[10:11]
	v_add_co_u32 v15, vcc_lo, 0x200, v15
	v_add_co_ci_u32_e64 v16, null, 0, v16, vcc_lo
	v_add_co_u32 v17, vcc_lo, 0x200, v17
	v_add_co_ci_u32_e64 v18, null, 0, v18, vcc_lo
	;; [unrolled: 2-line block ×4, first 2 shown]
	v_add_co_u32 v31, vcc_lo, 0x200, v31
	s_waitcnt vmcnt(1) lgkmcnt(1)
	v_fmac_f32_e32 v3, v21, v60
	v_fmac_f32_e32 v39, v22, v60
	;; [unrolled: 1-line block ×8, first 2 shown]
	v_add_co_ci_u32_e64 v32, null, 0, v32, vcc_lo
	v_add_co_u32 v40, vcc_lo, 0x200, v40
	v_add_co_ci_u32_e64 v41, null, 0, v41, vcc_lo
	v_add_co_u32 v42, vcc_lo, 0x200, v42
	s_add_i32 s9, s9, 1
	v_add_co_ci_u32_e64 v43, null, 0, v43, vcc_lo
	s_add_u32 s18, s18, s10
	s_addc_u32 s19, s19, s11
	s_cmp_ge_i32 s9, s21
	s_waitcnt vmcnt(0) lgkmcnt(0)
	v_fmac_f32_e32 v3, v52, v10
	v_fmac_f32_e32 v39, v53, v10
	;; [unrolled: 1-line block ×8, first 2 shown]
	s_cbranch_scc1 .LBB232_9
; %bb.7:                                ;   in Loop: Header=BB232_4 Depth=1
	v_mov_b32_e32 v21, v44
	v_mov_b32_e32 v22, v45
	;; [unrolled: 1-line block ×8, first 2 shown]
	s_branch .LBB232_4
.LBB232_8:
	v_mov_b32_e32 v33, 0
	v_mov_b32_e32 v34, 0
	;; [unrolled: 1-line block ×8, first 2 shown]
.LBB232_9:
	v_lshlrev_b32_e32 v4, 8, v13
	v_lshl_or_b32 v5, v14, 8, v12
	v_cmp_eq_u32_e32 vcc_lo, 0, v1
	s_mov_b32 s6, 0
	v_or3_b32 v1, v4, v12, 0x700
	ds_write2st64_b32 v5, v3, v39 offset1:1
	ds_write2st64_b32 v5, v37, v38 offset0:2 offset1:3
	ds_write2st64_b32 v5, v35, v36 offset0:4 offset1:5
	ds_write_b32 v5, v34 offset:1536
	ds_write_b32 v1, v33
	s_waitcnt lgkmcnt(0)
	s_barrier
	buffer_gl0_inv
	s_and_saveexec_b32 s7, vcc_lo
	s_cbranch_execz .LBB232_12
; %bb.10:
	v_lshlrev_b32_e32 v5, 8, v0
	v_add_nc_u32_e32 v1, 1, v0
	v_add_nc_u32_e32 v3, 2, v0
	;; [unrolled: 1-line block ×4, first 2 shown]
	v_lshl_or_b32 v6, v2, 2, v5
	v_and_b32_e32 v1, 63, v1
	v_and_b32_e32 v3, 63, v3
	v_add_nc_u32_e32 v8, 5, v0
	v_add_nc_u32_e32 v9, 6, v0
	ds_read_b32 v6, v6
	v_lshl_or_b32 v1, v1, 2, v5
	v_lshl_or_b32 v3, v3, 2, v5
	v_add_nc_u32_e32 v10, 7, v0
	v_and_b32_e32 v4, 63, v4
	ds_read_b32 v1, v1
	ds_read_b32 v3, v3
	v_and_b32_e32 v7, 63, v7
	v_and_b32_e32 v8, 63, v8
	;; [unrolled: 1-line block ×4, first 2 shown]
	v_lshl_or_b32 v4, v4, 2, v5
	v_lshl_or_b32 v7, v7, 2, v5
	;; [unrolled: 1-line block ×5, first 2 shown]
	ds_read_b32 v4, v4
	ds_read_b32 v7, v7
	;; [unrolled: 1-line block ×5, first 2 shown]
	v_add_nc_u32_e32 v11, 8, v0
	v_add_nc_u32_e32 v12, 9, v0
	;; [unrolled: 1-line block ×3, first 2 shown]
	s_waitcnt lgkmcnt(7)
	v_add_f32_e32 v6, 0, v6
	v_add_nc_u32_e32 v14, 12, v0
	v_add_nc_u32_e32 v15, 13, v0
	v_and_b32_e32 v12, 63, v12
	v_and_b32_e32 v13, 63, v13
	s_waitcnt lgkmcnt(6)
	v_add_f32_e32 v1, v6, v1
	v_add_nc_u32_e32 v6, 11, v0
	v_add_nc_u32_e32 v16, 14, v0
	v_lshl_or_b32 v12, v12, 2, v5
	v_lshl_or_b32 v13, v13, 2, v5
	s_waitcnt lgkmcnt(5)
	v_add_f32_e32 v1, v1, v3
	v_and_b32_e32 v3, 63, v11
	v_add_nc_u32_e32 v11, 15, v0
	s_load_dword s4, s[4:5], 0x68
	s_lshl_b64 s[2:3], s[2:3], 2
	s_waitcnt lgkmcnt(0)
	v_add_f32_e32 v1, v1, v4
	v_lshl_or_b32 v3, v3, 2, v5
	v_and_b32_e32 v4, 63, v6
	v_and_b32_e32 v6, 63, v14
	;; [unrolled: 1-line block ×3, first 2 shown]
	v_add_f32_e32 v1, v1, v7
	ds_read_b32 v3, v3
	v_and_b32_e32 v7, 63, v15
	v_and_b32_e32 v11, 63, v11
	v_lshl_or_b32 v4, v4, 2, v5
	v_add_f32_e32 v1, v1, v8
	ds_read_b32 v8, v12
	v_lshl_or_b32 v6, v6, 2, v5
	v_lshl_or_b32 v7, v7, 2, v5
	;; [unrolled: 1-line block ×3, first 2 shown]
	v_add_f32_e32 v1, v1, v9
	ds_read_b32 v9, v13
	v_lshl_or_b32 v12, v14, 2, v5
	v_add_nc_u32_e32 v13, 19, v0
	v_add_nc_u32_e32 v14, 20, v0
	v_add_f32_e32 v1, v1, v10
	ds_read_b32 v4, v4
	ds_read_b32 v6, v6
	;; [unrolled: 1-line block ×5, first 2 shown]
	v_add_nc_u32_e32 v12, 17, v0
	v_add_nc_u32_e32 v15, 21, v0
	;; [unrolled: 1-line block ×3, first 2 shown]
	s_mul_hi_i32 s5, s4, s8
	s_waitcnt lgkmcnt(7)
	v_add_f32_e32 v1, v1, v3
	v_add_nc_u32_e32 v3, 16, v0
	v_and_b32_e32 v12, 63, v12
	s_add_u32 s2, s0, s2
	s_addc_u32 s3, s1, s3
	s_waitcnt lgkmcnt(6)
	v_add_f32_e32 v1, v1, v8
	v_and_b32_e32 v3, 63, v3
	v_add_nc_u32_e32 v8, 18, v0
	v_xor_b32_e32 v2, 32, v2
	s_waitcnt lgkmcnt(5)
	v_add_f32_e32 v1, v1, v9
	v_lshl_or_b32 v3, v3, 2, v5
	v_add_nc_u32_e32 v9, 22, v0
	v_lshl_or_b32 v2, v2, 2, v5
	s_waitcnt lgkmcnt(4)
	v_add_f32_e32 v1, v1, v4
	ds_read_b32 v3, v3
	v_and_b32_e32 v4, 63, v8
	v_and_b32_e32 v8, 63, v13
	v_and_b32_e32 v13, 63, v14
	s_waitcnt lgkmcnt(4)
	v_add_f32_e32 v1, v1, v6
	v_lshl_or_b32 v6, v12, 2, v5
	v_lshl_or_b32 v4, v4, 2, v5
	v_and_b32_e32 v12, 63, v15
	v_and_b32_e32 v9, 63, v9
	s_waitcnt lgkmcnt(3)
	v_add_f32_e32 v1, v1, v7
	ds_read_b32 v6, v6
	v_and_b32_e32 v7, 63, v16
	v_lshl_or_b32 v8, v8, 2, v5
	v_lshl_or_b32 v9, v9, 2, v5
	s_waitcnt lgkmcnt(3)
	v_add_f32_e32 v1, v1, v10
	v_lshl_or_b32 v10, v13, 2, v5
	ds_read_b32 v13, v4
	v_lshl_or_b32 v4, v12, 2, v5
	v_lshl_or_b32 v7, v7, 2, v5
	s_waitcnt lgkmcnt(3)
	v_add_f32_e32 v1, v1, v11
	ds_read_b32 v8, v8
	ds_read_b32 v10, v10
	;; [unrolled: 1-line block ×5, first 2 shown]
	v_add_nc_u32_e32 v12, 26, v0
	v_add_nc_u32_e32 v14, 31, v0
	s_waitcnt lgkmcnt(7)
	v_add_f32_e32 v1, v1, v3
	v_mad_i64_i32 v[3:4], null, s4, v0, 0
	s_mul_i32 s4, s4, s8
	v_and_b32_e32 v14, 63, v14
	s_lshl_b64 s[0:1], s[4:5], 2
	s_waitcnt lgkmcnt(6)
	v_add_f32_e32 v1, v1, v6
	s_add_u32 s0, s2, s0
	s_addc_u32 s1, s3, s1
	v_lshlrev_b64 v[3:4], 2, v[3:4]
	v_lshl_or_b32 v14, v14, 2, v5
	s_waitcnt lgkmcnt(5)
	v_add_f32_e32 v1, v1, v13
	v_add_nc_u32_e32 v13, 30, v0
	v_add_co_u32 v3, vcc_lo, s0, v3
	s_waitcnt lgkmcnt(4)
	v_add_f32_e32 v1, v1, v8
	v_add_co_ci_u32_e64 v4, null, s1, v4, vcc_lo
	v_add_nc_u32_e32 v8, 24, v0
	v_and_b32_e32 v13, 63, v13
	s_waitcnt lgkmcnt(3)
	v_add_f32_e32 v6, v1, v10
	flat_load_dword v1, v[3:4]
	v_add_nc_u32_e32 v10, 25, v0
	v_and_b32_e32 v8, 63, v8
	v_lshl_or_b32 v13, v13, 2, v5
	s_waitcnt lgkmcnt(3)
	v_add_f32_e32 v6, v6, v11
	v_and_b32_e32 v11, 63, v12
	v_and_b32_e32 v10, 63, v10
	v_lshl_or_b32 v8, v8, 2, v5
	v_add_nc_u32_e32 v12, 29, v0
	s_waitcnt lgkmcnt(2)
	v_add_f32_e32 v6, v6, v9
	v_lshl_or_b32 v9, v10, 2, v5
	v_lshl_or_b32 v10, v11, 2, v5
	v_add_nc_u32_e32 v11, 28, v0
	s_waitcnt lgkmcnt(1)
	v_add_f32_e32 v6, v6, v7
	ds_read_b32 v7, v8
	ds_read_b32 v8, v9
	;; [unrolled: 1-line block ×3, first 2 shown]
	v_add_nc_u32_e32 v10, 27, v0
	v_and_b32_e32 v12, 63, v12
	v_and_b32_e32 v11, 63, v11
	v_and_b32_e32 v10, 63, v10
	v_lshl_or_b32 v12, v12, 2, v5
	v_lshl_or_b32 v11, v11, 2, v5
	;; [unrolled: 1-line block ×3, first 2 shown]
	ds_read_b32 v10, v10
	ds_read_b32 v11, v11
	;; [unrolled: 1-line block ×5, first 2 shown]
	s_waitcnt lgkmcnt(7)
	v_add_f32_e32 v6, v6, v7
	v_add_nc_u32_e32 v7, 33, v0
	s_waitcnt lgkmcnt(6)
	v_add_f32_e32 v6, v6, v8
	v_add_nc_u32_e32 v8, 34, v0
	v_and_b32_e32 v7, 63, v7
	s_waitcnt lgkmcnt(5)
	v_add_f32_e32 v6, v6, v9
	v_and_b32_e32 v8, 63, v8
	v_lshl_or_b32 v7, v7, 2, v5
	v_add_nc_u32_e32 v9, 35, v0
	s_waitcnt lgkmcnt(4)
	v_add_f32_e32 v6, v6, v10
	v_lshl_or_b32 v8, v8, 2, v5
	ds_read_b32 v2, v2
	ds_read_b32 v7, v7
	;; [unrolled: 1-line block ×3, first 2 shown]
	s_waitcnt lgkmcnt(6)
	v_add_f32_e32 v6, v6, v11
	v_add_nc_u32_e32 v10, 36, v0
	v_add_nc_u32_e32 v11, 37, v0
	v_and_b32_e32 v9, 63, v9
	s_waitcnt lgkmcnt(5)
	v_add_f32_e32 v6, v6, v12
	v_add_nc_u32_e32 v12, 38, v0
	v_and_b32_e32 v10, 63, v10
	v_and_b32_e32 v11, 63, v11
	v_lshl_or_b32 v9, v9, 2, v5
	s_waitcnt lgkmcnt(4)
	v_add_f32_e32 v6, v6, v13
	v_add_nc_u32_e32 v13, 39, v0
	v_and_b32_e32 v12, 63, v12
	v_lshl_or_b32 v10, v10, 2, v5
	v_lshl_or_b32 v11, v11, 2, v5
	s_waitcnt lgkmcnt(3)
	v_add_f32_e32 v6, v6, v14
	v_and_b32_e32 v13, 63, v13
	v_lshl_or_b32 v12, v12, 2, v5
	s_waitcnt lgkmcnt(2)
	v_add_f32_e32 v2, v6, v2
	v_lshl_or_b32 v13, v13, 2, v5
	ds_read_b32 v9, v9
	ds_read_b32 v10, v10
	;; [unrolled: 1-line block ×5, first 2 shown]
	v_add_nc_u32_e32 v6, 40, v0
	s_waitcnt lgkmcnt(6)
	v_add_f32_e32 v2, v2, v7
	v_add_nc_u32_e32 v7, 41, v0
	v_and_b32_e32 v6, 63, v6
	s_waitcnt lgkmcnt(5)
	v_add_f32_e32 v2, v2, v8
	v_add_nc_u32_e32 v8, 42, v0
	v_and_b32_e32 v7, 63, v7
	v_lshl_or_b32 v6, v6, 2, v5
	v_and_b32_e32 v8, 63, v8
	v_lshl_or_b32 v7, v7, 2, v5
	s_waitcnt lgkmcnt(4)
	v_add_f32_e32 v2, v2, v9
	v_add_nc_u32_e32 v9, 43, v0
	v_lshl_or_b32 v8, v8, 2, v5
	ds_read_b32 v6, v6
	ds_read_b32 v7, v7
	;; [unrolled: 1-line block ×3, first 2 shown]
	s_waitcnt lgkmcnt(6)
	v_add_f32_e32 v2, v2, v10
	v_add_nc_u32_e32 v10, 44, v0
	v_and_b32_e32 v9, 63, v9
	s_waitcnt lgkmcnt(5)
	v_add_f32_e32 v2, v2, v11
	v_add_nc_u32_e32 v11, 45, v0
	v_and_b32_e32 v10, 63, v10
	v_lshl_or_b32 v9, v9, 2, v5
	s_waitcnt lgkmcnt(4)
	v_add_f32_e32 v2, v2, v12
	v_add_nc_u32_e32 v12, 46, v0
	v_and_b32_e32 v11, 63, v11
	v_lshl_or_b32 v10, v10, 2, v5
	;; [unrolled: 5-line block ×3, first 2 shown]
	s_waitcnt lgkmcnt(2)
	v_add_f32_e32 v2, v2, v6
	v_and_b32_e32 v13, 63, v13
	v_lshl_or_b32 v12, v12, 2, v5
	v_add_nc_u32_e32 v6, 48, v0
	s_waitcnt lgkmcnt(1)
	v_add_f32_e32 v2, v2, v7
	v_lshl_or_b32 v13, v13, 2, v5
	ds_read_b32 v9, v9
	ds_read_b32 v10, v10
	;; [unrolled: 1-line block ×5, first 2 shown]
	v_add_nc_u32_e32 v7, 49, v0
	v_and_b32_e32 v6, 63, v6
	s_waitcnt lgkmcnt(5)
	v_add_f32_e32 v2, v2, v8
	v_add_nc_u32_e32 v8, 50, v0
	v_and_b32_e32 v7, 63, v7
	v_lshl_or_b32 v6, v6, 2, v5
	v_and_b32_e32 v8, 63, v8
	v_lshl_or_b32 v7, v7, 2, v5
	v_lshl_or_b32 v8, v8, 2, v5
	ds_read_b32 v6, v6
	ds_read_b32 v7, v7
	;; [unrolled: 1-line block ×3, first 2 shown]
	s_waitcnt lgkmcnt(7)
	v_add_f32_e32 v2, v2, v9
	v_add_nc_u32_e32 v9, 51, v0
	s_waitcnt lgkmcnt(6)
	v_add_f32_e32 v2, v2, v10
	v_add_nc_u32_e32 v10, 52, v0
	v_and_b32_e32 v9, 63, v9
	s_waitcnt lgkmcnt(5)
	v_add_f32_e32 v2, v2, v11
	v_add_nc_u32_e32 v11, 53, v0
	v_and_b32_e32 v10, 63, v10
	v_lshl_or_b32 v9, v9, 2, v5
	s_waitcnt lgkmcnt(4)
	v_add_f32_e32 v2, v2, v12
	v_add_nc_u32_e32 v12, 54, v0
	v_and_b32_e32 v11, 63, v11
	v_lshl_or_b32 v10, v10, 2, v5
	;; [unrolled: 5-line block ×3, first 2 shown]
	s_waitcnt lgkmcnt(2)
	v_add_f32_e32 v2, v2, v6
	v_and_b32_e32 v13, 63, v13
	v_lshl_or_b32 v12, v12, 2, v5
	v_add_nc_u32_e32 v6, 56, v0
	s_waitcnt lgkmcnt(1)
	v_add_f32_e32 v2, v2, v7
	v_lshl_or_b32 v13, v13, 2, v5
	ds_read_b32 v9, v9
	ds_read_b32 v10, v10
	;; [unrolled: 1-line block ×5, first 2 shown]
	v_add_nc_u32_e32 v7, 57, v0
	v_and_b32_e32 v6, 63, v6
	s_waitcnt lgkmcnt(5)
	v_add_f32_e32 v2, v2, v8
	v_add_nc_u32_e32 v8, 58, v0
	v_and_b32_e32 v7, 63, v7
	v_lshl_or_b32 v6, v6, 2, v5
	v_and_b32_e32 v8, 63, v8
	v_lshl_or_b32 v7, v7, 2, v5
	v_lshl_or_b32 v8, v8, 2, v5
	ds_read_b32 v6, v6
	ds_read_b32 v7, v7
	;; [unrolled: 1-line block ×3, first 2 shown]
	s_waitcnt lgkmcnt(7)
	v_add_f32_e32 v2, v2, v9
	v_add_nc_u32_e32 v9, 59, v0
	s_waitcnt lgkmcnt(6)
	v_add_f32_e32 v2, v2, v10
	v_add_nc_u32_e32 v10, 60, v0
	v_and_b32_e32 v9, 63, v9
	s_waitcnt lgkmcnt(5)
	v_add_f32_e32 v2, v2, v11
	v_add_nc_u32_e32 v11, 61, v0
	v_and_b32_e32 v10, 63, v10
	v_lshl_or_b32 v9, v9, 2, v5
	s_waitcnt lgkmcnt(4)
	v_add_f32_e32 v2, v2, v12
	v_add_nc_u32_e32 v12, 62, v0
	v_add_nc_u32_e32 v0, -1, v0
	v_and_b32_e32 v11, 63, v11
	v_lshl_or_b32 v10, v10, 2, v5
	s_waitcnt lgkmcnt(3)
	v_add_f32_e32 v2, v2, v13
	v_and_b32_e32 v12, 63, v12
	v_and_b32_e32 v0, 63, v0
	v_lshl_or_b32 v11, v11, 2, v5
	s_waitcnt lgkmcnt(2)
	v_add_f32_e32 v2, v2, v6
	v_lshl_or_b32 v12, v12, 2, v5
	v_lshl_or_b32 v0, v0, 2, v5
	ds_read_b32 v5, v9
	ds_read_b32 v9, v10
	;; [unrolled: 1-line block ×5, first 2 shown]
	s_waitcnt lgkmcnt(6)
	v_add_f32_e32 v2, v2, v7
	s_waitcnt lgkmcnt(5)
	v_add_f32_e32 v2, v2, v8
	;; [unrolled: 2-line block ×7, first 2 shown]
	v_mul_f32_e32 v2, s20, v0
.LBB232_11:                             ; =>This Inner Loop Header: Depth=1
	s_waitcnt vmcnt(0)
	v_add_f32_e32 v0, v1, v2
	flat_atomic_cmpswap v0, v[3:4], v[0:1] glc
	s_waitcnt vmcnt(0) lgkmcnt(0)
	v_cmp_eq_u32_e32 vcc_lo, v0, v1
	v_mov_b32_e32 v1, v0
	s_or_b32 s6, vcc_lo, s6
	s_andn2_b32 exec_lo, exec_lo, s6
	s_cbranch_execnz .LBB232_11
.LBB232_12:
	s_endpgm
	.section	.rodata,"a",@progbits
	.p2align	6, 0x0
	.amdhsa_kernel _ZL36rocblas_gemvt_double_buffered_kernelILb1ELi128ELi8ELi8EPKfS1_KPfEviiT4_lPKT3_lilS7_lilPT5_lili
		.amdhsa_group_segment_fixed_size 32768
		.amdhsa_private_segment_fixed_size 0
		.amdhsa_kernarg_size 384
		.amdhsa_user_sgpr_count 6
		.amdhsa_user_sgpr_private_segment_buffer 1
		.amdhsa_user_sgpr_dispatch_ptr 0
		.amdhsa_user_sgpr_queue_ptr 0
		.amdhsa_user_sgpr_kernarg_segment_ptr 1
		.amdhsa_user_sgpr_dispatch_id 0
		.amdhsa_user_sgpr_flat_scratch_init 0
		.amdhsa_user_sgpr_private_segment_size 0
		.amdhsa_wavefront_size32 1
		.amdhsa_uses_dynamic_stack 0
		.amdhsa_system_sgpr_private_segment_wavefront_offset 0
		.amdhsa_system_sgpr_workgroup_id_x 1
		.amdhsa_system_sgpr_workgroup_id_y 1
		.amdhsa_system_sgpr_workgroup_id_z 1
		.amdhsa_system_sgpr_workgroup_info 0
		.amdhsa_system_vgpr_workitem_id 1
		.amdhsa_next_free_vgpr 69
		.amdhsa_next_free_sgpr 30
		.amdhsa_reserve_vcc 1
		.amdhsa_reserve_flat_scratch 1
		.amdhsa_float_round_mode_32 0
		.amdhsa_float_round_mode_16_64 0
		.amdhsa_float_denorm_mode_32 3
		.amdhsa_float_denorm_mode_16_64 3
		.amdhsa_dx10_clamp 1
		.amdhsa_ieee_mode 1
		.amdhsa_fp16_overflow 0
		.amdhsa_workgroup_processor_mode 1
		.amdhsa_memory_ordered 1
		.amdhsa_forward_progress 1
		.amdhsa_shared_vgpr_count 0
		.amdhsa_exception_fp_ieee_invalid_op 0
		.amdhsa_exception_fp_denorm_src 0
		.amdhsa_exception_fp_ieee_div_zero 0
		.amdhsa_exception_fp_ieee_overflow 0
		.amdhsa_exception_fp_ieee_underflow 0
		.amdhsa_exception_fp_ieee_inexact 0
		.amdhsa_exception_int_div_zero 0
	.end_amdhsa_kernel
	.section	.text._ZL36rocblas_gemvt_double_buffered_kernelILb1ELi128ELi8ELi8EPKfS1_KPfEviiT4_lPKT3_lilS7_lilPT5_lili,"axG",@progbits,_ZL36rocblas_gemvt_double_buffered_kernelILb1ELi128ELi8ELi8EPKfS1_KPfEviiT4_lPKT3_lilS7_lilPT5_lili,comdat
.Lfunc_end232:
	.size	_ZL36rocblas_gemvt_double_buffered_kernelILb1ELi128ELi8ELi8EPKfS1_KPfEviiT4_lPKT3_lilS7_lilPT5_lili, .Lfunc_end232-_ZL36rocblas_gemvt_double_buffered_kernelILb1ELi128ELi8ELi8EPKfS1_KPfEviiT4_lPKT3_lilS7_lilPT5_lili
                                        ; -- End function
	.set _ZL36rocblas_gemvt_double_buffered_kernelILb1ELi128ELi8ELi8EPKfS1_KPfEviiT4_lPKT3_lilS7_lilPT5_lili.num_vgpr, 69
	.set _ZL36rocblas_gemvt_double_buffered_kernelILb1ELi128ELi8ELi8EPKfS1_KPfEviiT4_lPKT3_lilS7_lilPT5_lili.num_agpr, 0
	.set _ZL36rocblas_gemvt_double_buffered_kernelILb1ELi128ELi8ELi8EPKfS1_KPfEviiT4_lPKT3_lilS7_lilPT5_lili.numbered_sgpr, 30
	.set _ZL36rocblas_gemvt_double_buffered_kernelILb1ELi128ELi8ELi8EPKfS1_KPfEviiT4_lPKT3_lilS7_lilPT5_lili.num_named_barrier, 0
	.set _ZL36rocblas_gemvt_double_buffered_kernelILb1ELi128ELi8ELi8EPKfS1_KPfEviiT4_lPKT3_lilS7_lilPT5_lili.private_seg_size, 0
	.set _ZL36rocblas_gemvt_double_buffered_kernelILb1ELi128ELi8ELi8EPKfS1_KPfEviiT4_lPKT3_lilS7_lilPT5_lili.uses_vcc, 1
	.set _ZL36rocblas_gemvt_double_buffered_kernelILb1ELi128ELi8ELi8EPKfS1_KPfEviiT4_lPKT3_lilS7_lilPT5_lili.uses_flat_scratch, 1
	.set _ZL36rocblas_gemvt_double_buffered_kernelILb1ELi128ELi8ELi8EPKfS1_KPfEviiT4_lPKT3_lilS7_lilPT5_lili.has_dyn_sized_stack, 0
	.set _ZL36rocblas_gemvt_double_buffered_kernelILb1ELi128ELi8ELi8EPKfS1_KPfEviiT4_lPKT3_lilS7_lilPT5_lili.has_recursion, 0
	.set _ZL36rocblas_gemvt_double_buffered_kernelILb1ELi128ELi8ELi8EPKfS1_KPfEviiT4_lPKT3_lilS7_lilPT5_lili.has_indirect_call, 0
	.section	.AMDGPU.csdata,"",@progbits
; Kernel info:
; codeLenInByte = 4444
; TotalNumSgprs: 32
; NumVgprs: 69
; ScratchSize: 0
; MemoryBound: 0
; FloatMode: 240
; IeeeMode: 1
; LDSByteSize: 32768 bytes/workgroup (compile time only)
; SGPRBlocks: 0
; VGPRBlocks: 8
; NumSGPRsForWavesPerEU: 32
; NumVGPRsForWavesPerEU: 69
; Occupancy: 12
; WaveLimiterHint : 1
; COMPUTE_PGM_RSRC2:SCRATCH_EN: 0
; COMPUTE_PGM_RSRC2:USER_SGPR: 6
; COMPUTE_PGM_RSRC2:TRAP_HANDLER: 0
; COMPUTE_PGM_RSRC2:TGID_X_EN: 1
; COMPUTE_PGM_RSRC2:TGID_Y_EN: 1
; COMPUTE_PGM_RSRC2:TGID_Z_EN: 1
; COMPUTE_PGM_RSRC2:TIDIG_COMP_CNT: 1
	.section	.text._ZL36rocblas_gemvt_double_buffered_kernelILb1ELi128ELi8ELi8EPKffKPfEviiT4_lPKT3_lilS7_lilPT5_lili,"axG",@progbits,_ZL36rocblas_gemvt_double_buffered_kernelILb1ELi128ELi8ELi8EPKffKPfEviiT4_lPKT3_lilS7_lilPT5_lili,comdat
	.globl	_ZL36rocblas_gemvt_double_buffered_kernelILb1ELi128ELi8ELi8EPKffKPfEviiT4_lPKT3_lilS7_lilPT5_lili ; -- Begin function _ZL36rocblas_gemvt_double_buffered_kernelILb1ELi128ELi8ELi8EPKffKPfEviiT4_lPKT3_lilS7_lilPT5_lili
	.p2align	8
	.type	_ZL36rocblas_gemvt_double_buffered_kernelILb1ELi128ELi8ELi8EPKffKPfEviiT4_lPKT3_lilS7_lilPT5_lili,@function
_ZL36rocblas_gemvt_double_buffered_kernelILb1ELi128ELi8ELi8EPKffKPfEviiT4_lPKT3_lilS7_lilPT5_lili: ; @_ZL36rocblas_gemvt_double_buffered_kernelILb1ELi128ELi8ELi8EPKffKPfEviiT4_lPKT3_lilS7_lilPT5_lili
; %bb.0:
	s_load_dword s20, s[4:5], 0x8
	s_waitcnt lgkmcnt(0)
	v_cmp_eq_f32_e64 s0, s20, 0
	s_and_b32 vcc_lo, exec_lo, s0
	s_cbranch_vccnz .LBB233_12
; %bb.1:
	s_clause 0x1
	s_load_dword s0, s[4:5], 0x84
	s_load_dword s1, s[4:5], 0x0
	s_waitcnt lgkmcnt(0)
	v_cvt_f32_u32_e32 v2, s0
	s_ashr_i32 s3, s1, 31
	s_sub_i32 s9, 0, s0
	s_lshr_b32 s3, s3, 25
	s_add_i32 s1, s1, s3
	v_rcp_iflag_f32_e32 v2, v2
	s_ashr_i32 s1, s1, 7
	v_mul_f32_e32 v2, 0x4f7ffffe, v2
	v_cvt_u32_f32_e32 v2, v2
	v_readfirstlane_b32 s2, v2
	s_mul_i32 s9, s9, s2
	s_mul_hi_u32 s3, s2, s9
	s_add_i32 s2, s2, s3
	s_mul_hi_u32 s2, s1, s2
	s_mul_i32 s3, s2, s0
	s_add_i32 s9, s2, 1
	s_sub_i32 s3, s1, s3
	s_sub_i32 s10, s3, s0
	s_cmp_ge_u32 s3, s0
	s_cselect_b32 s2, s9, s2
	s_cselect_b32 s3, s10, s3
	s_add_i32 s9, s2, 1
	s_cmp_ge_u32 s3, s0
	s_cselect_b32 s14, s9, s2
	s_mul_i32 s0, s14, s0
	s_sub_i32 s15, s1, s0
	s_cmp_lt_u32 s7, s15
	s_cselect_b32 s0, -1, 0
	s_cmp_lg_u32 s0, 0
	s_addc_u32 s21, s14, 0
	s_cmp_eq_u32 s21, 0
	s_cbranch_scc1 .LBB233_12
; %bb.2:
	s_load_dwordx4 s[0:3], s[4:5], 0x58
	s_mov_b32 s9, 0
	v_lshl_add_u32 v4, v1, 7, v0
	s_lshl_b64 s[12:13], s[8:9], 3
	v_and_b32_e32 v2, 63, v0
	v_lshrrev_b32_e32 v13, 3, v4
	v_lshlrev_b32_e32 v12, 2, v2
	v_and_b32_e32 v14, 0x7ff8, v13
	s_waitcnt lgkmcnt(0)
	s_add_u32 s0, s0, s12
	s_addc_u32 s1, s1, s13
	s_lshl_b32 s10, s6, 7
	s_load_dwordx2 s[0:1], s[0:1], 0x0
	s_ashr_i32 s11, s10, 31
	s_cmp_lt_i32 s21, 1
	s_cbranch_scc1 .LBB233_8
; %bb.3:
	v_cvt_f64_i32_e32 v[5:6], s7
	v_cvt_f64_u32_e32 v[7:8], s15
	s_mul_i32 s14, s14, s7
	s_clause 0x1
	s_load_dword s16, s[4:5], 0x28
	s_load_dwordx4 s[24:27], s[4:5], 0x18
	v_cvt_f64_u32_e32 v[9:10], s14
	s_load_dwordx4 s[28:31], s[4:5], 0x38
	v_mov_b32_e32 v3, 0
	v_lshrrev_b32_e32 v4, 1, v4
	v_mov_b32_e32 v39, v3
	v_and_b32_e32 v4, 0x1ffe0, v4
	v_mov_b32_e32 v38, v3
	s_waitcnt lgkmcnt(0)
	s_ashr_i32 s17, s16, 31
	v_min_f64 v[5:6], v[5:6], v[7:8]
	s_add_u32 s6, s24, s12
	s_addc_u32 s7, s25, s13
	s_load_dword s14, s[4:5], 0x48
	s_load_dwordx2 s[24:25], s[6:7], 0x0
	s_add_u32 s6, s28, s12
	s_addc_u32 s7, s29, s13
	s_lshl_b64 s[26:27], s[26:27], 2
	s_load_dwordx2 s[6:7], s[6:7], 0x0
	s_mul_hi_i32 s13, s16, s10
	s_mul_i32 s12, s16, s10
	s_waitcnt lgkmcnt(0)
	s_ashr_i32 s15, s14, 31
	v_add_f64 v[5:6], v[5:6], v[9:10]
	s_add_u32 s23, s24, s26
	s_addc_u32 s28, s25, s27
	s_lshl_b64 s[18:19], s[30:31], 2
	s_add_u32 s8, s6, s18
	s_addc_u32 s22, s7, s19
	s_lshl_b64 s[6:7], s[12:13], 2
	s_add_u32 s12, s23, s6
	s_addc_u32 s13, s28, s7
	v_cvt_i32_f64_e32 v7, v[5:6]
	v_mad_i64_i32 v[5:6], null, s16, v14, v[2:3]
	v_lshlrev_b64 v[5:6], 2, v[5:6]
	v_readfirstlane_b32 s18, v7
	s_lshl_b32 s6, s18, 7
	s_ashr_i32 s7, s6, 31
	s_lshl_b64 s[18:19], s[6:7], 2
	s_add_u32 s6, s12, s18
	s_addc_u32 s7, s13, s19
	v_add_co_u32 v5, vcc_lo, s6, v5
	v_add_co_ci_u32_e64 v6, null, s7, v6, vcc_lo
	s_lshl_b64 s[6:7], s[16:17], 2
	s_lshl_b64 s[28:29], s[10:11], 2
	v_add_co_u32 v7, vcc_lo, v5, s6
	v_add_co_ci_u32_e64 v8, null, s7, v6, vcc_lo
	v_add_co_u32 v33, s11, v4, s28
	v_add_co_u32 v9, vcc_lo, v7, s6
	v_add_co_ci_u32_e64 v10, null, s7, v8, vcc_lo
	v_add_co_ci_u32_e64 v34, null, 0, s29, s11
	v_add_co_u32 v15, vcc_lo, v9, s6
	v_add_co_ci_u32_e64 v16, null, s7, v10, vcc_lo
	s_add_i32 s23, s21, -1
	v_add_co_u32 v17, vcc_lo, v15, s6
	v_add_co_ci_u32_e64 v18, null, s7, v16, vcc_lo
	s_lshl_b64 s[12:13], s[14:15], 9
	v_add_co_u32 v19, vcc_lo, v17, s6
	v_add_co_ci_u32_e64 v20, null, s7, v18, vcc_lo
	s_add_u32 s11, s24, s18
	v_add_co_u32 v27, vcc_lo, v19, s6
	v_add_co_ci_u32_e64 v28, null, s7, v20, vcc_lo
	s_addc_u32 s25, s25, s19
	v_add_co_u32 v29, vcc_lo, v27, s6
	v_add_co_ci_u32_e64 v30, null, s7, v28, vcc_lo
	s_clause 0x6
	flat_load_dword v21, v[5:6]
	flat_load_dword v22, v[7:8]
	;; [unrolled: 1-line block ×8, first 2 shown]
	v_add_co_u32 v8, vcc_lo, v33, 4
	s_add_u32 s24, s11, s26
	v_add_co_ci_u32_e64 v9, null, 0, v34, vcc_lo
	s_addc_u32 s25, s25, s27
	v_mul_lo_u32 v10, v33, s17
	v_mad_u64_u32 v[4:5], null, v33, s16, s[24:25]
	v_mul_lo_u32 v11, v34, s16
	v_add_co_u32 v17, vcc_lo, v33, 8
	v_mad_u64_u32 v[6:7], null, v8, s16, s[24:25]
	v_mul_lo_u32 v15, v8, s17
	v_mul_lo_u32 v16, v9, s16
	v_add_co_ci_u32_e64 v18, null, 0, v34, vcc_lo
	v_mad_u64_u32 v[8:9], null, v17, s16, s[24:25]
	v_mul_lo_u32 v17, v17, s17
	v_mul_lo_u32 v18, v18, s16
	v_add3_u32 v5, v11, v5, v10
	v_add_co_u32 v11, vcc_lo, v33, 12
	v_add3_u32 v7, v16, v7, v15
	v_add_co_ci_u32_e64 v15, null, 0, v34, vcc_lo
	s_mul_i32 s11, s19, s14
	v_add3_u32 v18, v18, v9, v17
	v_mad_u64_u32 v[9:10], null, v11, s16, s[24:25]
	v_mul_lo_u32 v11, v11, s17
	v_mul_lo_u32 v19, v15, s16
	v_add_co_u32 v15, vcc_lo, 0x200, v6
	v_add_co_ci_u32_e64 v16, null, 0, v7, vcc_lo
	v_add_co_u32 v17, vcc_lo, 0x200, v8
	v_add_co_ci_u32_e64 v18, null, 0, v18, vcc_lo
	v_add_co_u32 v8, vcc_lo, v33, 16
	v_add3_u32 v20, v19, v10, v11
	v_add_co_ci_u32_e64 v10, null, 0, v34, vcc_lo
	v_mad_u64_u32 v[6:7], null, v8, s16, s[24:25]
	v_mul_lo_u32 v8, v8, s17
	v_mul_lo_u32 v30, v10, s16
	v_add_co_u32 v19, vcc_lo, v33, 20
	v_add_co_ci_u32_e64 v29, null, 0, v34, vcc_lo
	v_mad_u64_u32 v[10:11], null, v19, s16, s[24:25]
	v_mul_lo_u32 v31, v19, s17
	v_add_co_u32 v19, vcc_lo, 0x200, v9
	v_add_co_ci_u32_e64 v20, null, 0, v20, vcc_lo
	v_add3_u32 v9, v30, v7, v8
	v_add_co_u32 v30, vcc_lo, v33, 24
	v_mul_lo_u32 v29, v29, s16
	v_add_co_ci_u32_e64 v32, null, 0, v34, vcc_lo
	v_mad_u64_u32 v[7:8], null, v30, s16, s[24:25]
	v_mul_lo_u32 v35, v30, s17
	v_mul_lo_u32 v36, v32, s16
	v_add3_u32 v11, v29, v11, v31
	v_add_co_u32 v29, vcc_lo, 0x200, v6
	v_add_co_ci_u32_e64 v30, null, 0, v9, vcc_lo
	v_add_co_u32 v31, vcc_lo, 0x200, v10
	v_add_co_ci_u32_e64 v32, null, 0, v11, vcc_lo
	v_add3_u32 v6, v36, v8, v35
	v_add_co_u32 v8, vcc_lo, v33, 28
	v_add_co_ci_u32_e64 v9, null, 0, v34, vcc_lo
	v_or_b32_e32 v33, s18, v12
	v_mad_u64_u32 v[10:11], null, v8, s16, s[24:25]
	v_mul_lo_u32 v34, v8, s17
	v_mul_lo_u32 v35, v9, s16
	v_or_b32_e32 v8, 0x100, v33
	v_add_co_u32 v40, vcc_lo, 0x200, v7
	v_add_co_ci_u32_e64 v41, null, 0, v6, vcc_lo
	v_mul_lo_u32 v36, v8, s15
	v_mad_u64_u32 v[6:7], null, v8, s14, 0
	v_mul_lo_u32 v37, v33, s15
	v_mad_u64_u32 v[8:9], null, v33, s14, 0
	v_add3_u32 v11, v35, v11, v34
	v_add_co_u32 v42, vcc_lo, 0x200, v10
	v_add3_u32 v7, v7, v36, s11
	v_mov_b32_e32 v35, v3
	v_add_co_ci_u32_e64 v43, null, 0, v11, vcc_lo
	v_add3_u32 v9, v9, v37, s11
	v_mov_b32_e32 v37, v3
	v_mov_b32_e32 v36, v3
	v_mov_b32_e32 v34, v3
	v_mov_b32_e32 v33, v3
	s_waitcnt vmcnt(7) lgkmcnt(7)
	v_mov_b32_e32 v44, v21
	s_waitcnt vmcnt(6) lgkmcnt(6)
	v_mov_b32_e32 v45, v22
	;; [unrolled: 2-line block ×8, first 2 shown]
.LBB233_4:                              ; =>This Inner Loop Header: Depth=1
	v_add_co_u32 v10, vcc_lo, v4, v12
	v_add_co_ci_u32_e64 v11, null, 0, v5, vcc_lo
	s_cmp_lg_u32 s23, s9
	v_add_co_u32 v52, vcc_lo, 0x100, v10
	v_add_co_ci_u32_e64 v54, null, 0, v11, vcc_lo
	v_add_co_u32 v53, vcc_lo, v52, s6
	v_add_co_ci_u32_e64 v54, null, s7, v54, vcc_lo
	;; [unrolled: 2-line block ×9, first 2 shown]
	s_clause 0x7
	flat_load_dword v52, v[10:11] offset:256
	flat_load_dword v53, v[53:54]
	flat_load_dword v54, v[55:56]
	;; [unrolled: 1-line block ×8, first 2 shown]
	s_cbranch_scc0 .LBB233_6
; %bb.5:                                ;   in Loop: Header=BB233_4 Depth=1
	v_add_co_u32 v45, vcc_lo, v15, v12
	v_add_co_ci_u32_e64 v46, null, 0, v16, vcc_lo
	v_add_co_u32 v47, vcc_lo, v17, v12
	v_add_co_ci_u32_e64 v48, null, 0, v18, vcc_lo
	flat_load_dword v44, v[10:11] offset:512
	flat_load_dword v45, v[45:46]
	flat_load_dword v46, v[47:48]
	v_add_co_u32 v10, vcc_lo, v19, v12
	v_add_co_ci_u32_e64 v11, null, 0, v20, vcc_lo
	v_add_co_u32 v48, vcc_lo, v29, v12
	v_add_co_ci_u32_e64 v49, null, 0, v30, vcc_lo
	;; [unrolled: 2-line block ×5, first 2 shown]
	flat_load_dword v47, v[10:11]
	flat_load_dword v48, v[48:49]
	;; [unrolled: 1-line block ×5, first 2 shown]
.LBB233_6:                              ;   in Loop: Header=BB233_4 Depth=1
	v_add_co_u32 v10, vcc_lo, s8, v6
	v_add_co_ci_u32_e64 v11, null, s22, v7, vcc_lo
	v_add_co_u32 v4, vcc_lo, 0x200, v4
	v_add_co_ci_u32_e64 v5, null, 0, v5, vcc_lo
	flat_load_dword v10, v[10:11]
	v_add_co_u32 v15, vcc_lo, 0x200, v15
	v_add_co_ci_u32_e64 v16, null, 0, v16, vcc_lo
	v_add_co_u32 v17, vcc_lo, 0x200, v17
	v_add_co_ci_u32_e64 v18, null, 0, v18, vcc_lo
	;; [unrolled: 2-line block ×4, first 2 shown]
	v_add_co_u32 v31, vcc_lo, 0x200, v31
	s_waitcnt vmcnt(1) lgkmcnt(1)
	v_fmac_f32_e32 v3, v21, v60
	v_fmac_f32_e32 v39, v22, v60
	;; [unrolled: 1-line block ×8, first 2 shown]
	v_add_co_ci_u32_e64 v32, null, 0, v32, vcc_lo
	v_add_co_u32 v40, vcc_lo, 0x200, v40
	v_add_co_ci_u32_e64 v41, null, 0, v41, vcc_lo
	v_add_co_u32 v42, vcc_lo, 0x200, v42
	s_add_i32 s9, s9, 1
	v_add_co_ci_u32_e64 v43, null, 0, v43, vcc_lo
	s_add_u32 s8, s8, s12
	s_addc_u32 s22, s22, s13
	s_cmp_ge_i32 s9, s21
	s_waitcnt vmcnt(0) lgkmcnt(0)
	v_fmac_f32_e32 v3, v52, v10
	v_fmac_f32_e32 v39, v53, v10
	;; [unrolled: 1-line block ×8, first 2 shown]
	s_cbranch_scc1 .LBB233_9
; %bb.7:                                ;   in Loop: Header=BB233_4 Depth=1
	v_mov_b32_e32 v21, v44
	v_mov_b32_e32 v22, v45
	;; [unrolled: 1-line block ×8, first 2 shown]
	s_branch .LBB233_4
.LBB233_8:
	v_mov_b32_e32 v33, 0
	v_mov_b32_e32 v34, 0
	;; [unrolled: 1-line block ×8, first 2 shown]
.LBB233_9:
	v_lshlrev_b32_e32 v4, 8, v13
	v_lshl_or_b32 v5, v14, 8, v12
	v_cmp_eq_u32_e32 vcc_lo, 0, v1
	s_mov_b32 s6, 0
	v_or3_b32 v1, v4, v12, 0x700
	ds_write2st64_b32 v5, v3, v39 offset1:1
	ds_write2st64_b32 v5, v37, v38 offset0:2 offset1:3
	ds_write2st64_b32 v5, v35, v36 offset0:4 offset1:5
	ds_write_b32 v5, v34 offset:1536
	ds_write_b32 v1, v33
	s_waitcnt lgkmcnt(0)
	s_barrier
	buffer_gl0_inv
	s_and_saveexec_b32 s7, vcc_lo
	s_cbranch_execz .LBB233_12
; %bb.10:
	v_lshlrev_b32_e32 v5, 8, v0
	v_add_nc_u32_e32 v1, 1, v0
	v_add_nc_u32_e32 v3, 2, v0
	;; [unrolled: 1-line block ×4, first 2 shown]
	v_lshl_or_b32 v6, v2, 2, v5
	v_and_b32_e32 v1, 63, v1
	v_and_b32_e32 v3, 63, v3
	v_add_nc_u32_e32 v8, 5, v0
	v_add_nc_u32_e32 v9, 6, v0
	ds_read_b32 v6, v6
	v_lshl_or_b32 v1, v1, 2, v5
	v_lshl_or_b32 v3, v3, 2, v5
	v_add_nc_u32_e32 v10, 7, v0
	v_and_b32_e32 v4, 63, v4
	ds_read_b32 v1, v1
	ds_read_b32 v3, v3
	v_and_b32_e32 v7, 63, v7
	v_and_b32_e32 v8, 63, v8
	;; [unrolled: 1-line block ×4, first 2 shown]
	v_lshl_or_b32 v4, v4, 2, v5
	v_lshl_or_b32 v7, v7, 2, v5
	;; [unrolled: 1-line block ×5, first 2 shown]
	ds_read_b32 v4, v4
	ds_read_b32 v7, v7
	;; [unrolled: 1-line block ×5, first 2 shown]
	v_add_nc_u32_e32 v11, 8, v0
	v_add_nc_u32_e32 v12, 9, v0
	;; [unrolled: 1-line block ×3, first 2 shown]
	s_waitcnt lgkmcnt(7)
	v_add_f32_e32 v6, 0, v6
	v_add_nc_u32_e32 v14, 12, v0
	v_add_nc_u32_e32 v15, 13, v0
	v_and_b32_e32 v12, 63, v12
	v_and_b32_e32 v13, 63, v13
	s_waitcnt lgkmcnt(6)
	v_add_f32_e32 v1, v6, v1
	v_add_nc_u32_e32 v6, 11, v0
	v_add_nc_u32_e32 v16, 14, v0
	v_lshl_or_b32 v12, v12, 2, v5
	v_lshl_or_b32 v13, v13, 2, v5
	s_waitcnt lgkmcnt(5)
	v_add_f32_e32 v1, v1, v3
	v_and_b32_e32 v3, 63, v11
	v_add_nc_u32_e32 v11, 15, v0
	s_load_dword s4, s[4:5], 0x68
	s_lshl_b64 s[2:3], s[2:3], 2
	s_waitcnt lgkmcnt(0)
	v_add_f32_e32 v1, v1, v4
	v_lshl_or_b32 v3, v3, 2, v5
	v_and_b32_e32 v4, 63, v6
	v_and_b32_e32 v6, 63, v14
	v_and_b32_e32 v14, 63, v16
	v_add_f32_e32 v1, v1, v7
	ds_read_b32 v3, v3
	v_and_b32_e32 v7, 63, v15
	v_and_b32_e32 v11, 63, v11
	v_lshl_or_b32 v4, v4, 2, v5
	v_add_f32_e32 v1, v1, v8
	ds_read_b32 v8, v12
	v_lshl_or_b32 v6, v6, 2, v5
	v_lshl_or_b32 v7, v7, 2, v5
	;; [unrolled: 1-line block ×3, first 2 shown]
	v_add_f32_e32 v1, v1, v9
	ds_read_b32 v9, v13
	v_lshl_or_b32 v12, v14, 2, v5
	v_add_nc_u32_e32 v13, 19, v0
	v_add_nc_u32_e32 v14, 20, v0
	v_add_f32_e32 v1, v1, v10
	ds_read_b32 v4, v4
	ds_read_b32 v6, v6
	;; [unrolled: 1-line block ×5, first 2 shown]
	v_add_nc_u32_e32 v12, 17, v0
	v_add_nc_u32_e32 v15, 21, v0
	v_add_nc_u32_e32 v16, 23, v0
	s_mul_hi_i32 s5, s4, s10
	s_waitcnt lgkmcnt(7)
	v_add_f32_e32 v1, v1, v3
	v_add_nc_u32_e32 v3, 16, v0
	v_and_b32_e32 v12, 63, v12
	s_add_u32 s2, s0, s2
	s_addc_u32 s3, s1, s3
	s_waitcnt lgkmcnt(6)
	v_add_f32_e32 v1, v1, v8
	v_and_b32_e32 v3, 63, v3
	v_add_nc_u32_e32 v8, 18, v0
	v_xor_b32_e32 v2, 32, v2
	s_waitcnt lgkmcnt(5)
	v_add_f32_e32 v1, v1, v9
	v_lshl_or_b32 v3, v3, 2, v5
	v_add_nc_u32_e32 v9, 22, v0
	v_lshl_or_b32 v2, v2, 2, v5
	s_waitcnt lgkmcnt(4)
	v_add_f32_e32 v1, v1, v4
	ds_read_b32 v3, v3
	v_and_b32_e32 v4, 63, v8
	v_and_b32_e32 v8, 63, v13
	;; [unrolled: 1-line block ×3, first 2 shown]
	s_waitcnt lgkmcnt(4)
	v_add_f32_e32 v1, v1, v6
	v_lshl_or_b32 v6, v12, 2, v5
	v_lshl_or_b32 v4, v4, 2, v5
	v_and_b32_e32 v12, 63, v15
	v_and_b32_e32 v9, 63, v9
	s_waitcnt lgkmcnt(3)
	v_add_f32_e32 v1, v1, v7
	ds_read_b32 v6, v6
	v_and_b32_e32 v7, 63, v16
	v_lshl_or_b32 v8, v8, 2, v5
	v_lshl_or_b32 v9, v9, 2, v5
	s_waitcnt lgkmcnt(3)
	v_add_f32_e32 v1, v1, v10
	v_lshl_or_b32 v10, v13, 2, v5
	ds_read_b32 v13, v4
	v_lshl_or_b32 v4, v12, 2, v5
	v_lshl_or_b32 v7, v7, 2, v5
	s_waitcnt lgkmcnt(3)
	v_add_f32_e32 v1, v1, v11
	ds_read_b32 v8, v8
	ds_read_b32 v10, v10
	ds_read_b32 v11, v4
	ds_read_b32 v9, v9
	ds_read_b32 v7, v7
	v_add_nc_u32_e32 v12, 26, v0
	v_add_nc_u32_e32 v14, 31, v0
	s_waitcnt lgkmcnt(7)
	v_add_f32_e32 v1, v1, v3
	v_mad_i64_i32 v[3:4], null, s4, v0, 0
	s_mul_i32 s4, s4, s10
	v_and_b32_e32 v14, 63, v14
	s_lshl_b64 s[0:1], s[4:5], 2
	s_waitcnt lgkmcnt(6)
	v_add_f32_e32 v1, v1, v6
	s_add_u32 s0, s2, s0
	s_addc_u32 s1, s3, s1
	v_lshlrev_b64 v[3:4], 2, v[3:4]
	v_lshl_or_b32 v14, v14, 2, v5
	s_waitcnt lgkmcnt(5)
	v_add_f32_e32 v1, v1, v13
	v_add_nc_u32_e32 v13, 30, v0
	v_add_co_u32 v3, vcc_lo, s0, v3
	s_waitcnt lgkmcnt(4)
	v_add_f32_e32 v1, v1, v8
	v_add_co_ci_u32_e64 v4, null, s1, v4, vcc_lo
	v_add_nc_u32_e32 v8, 24, v0
	v_and_b32_e32 v13, 63, v13
	s_waitcnt lgkmcnt(3)
	v_add_f32_e32 v6, v1, v10
	flat_load_dword v1, v[3:4]
	v_add_nc_u32_e32 v10, 25, v0
	v_and_b32_e32 v8, 63, v8
	v_lshl_or_b32 v13, v13, 2, v5
	s_waitcnt lgkmcnt(3)
	v_add_f32_e32 v6, v6, v11
	v_and_b32_e32 v11, 63, v12
	v_and_b32_e32 v10, 63, v10
	v_lshl_or_b32 v8, v8, 2, v5
	v_add_nc_u32_e32 v12, 29, v0
	s_waitcnt lgkmcnt(2)
	v_add_f32_e32 v6, v6, v9
	v_lshl_or_b32 v9, v10, 2, v5
	v_lshl_or_b32 v10, v11, 2, v5
	v_add_nc_u32_e32 v11, 28, v0
	s_waitcnt lgkmcnt(1)
	v_add_f32_e32 v6, v6, v7
	ds_read_b32 v7, v8
	ds_read_b32 v8, v9
	;; [unrolled: 1-line block ×3, first 2 shown]
	v_add_nc_u32_e32 v10, 27, v0
	v_and_b32_e32 v12, 63, v12
	v_and_b32_e32 v11, 63, v11
	;; [unrolled: 1-line block ×3, first 2 shown]
	v_lshl_or_b32 v12, v12, 2, v5
	v_lshl_or_b32 v11, v11, 2, v5
	;; [unrolled: 1-line block ×3, first 2 shown]
	ds_read_b32 v10, v10
	ds_read_b32 v11, v11
	;; [unrolled: 1-line block ×5, first 2 shown]
	s_waitcnt lgkmcnt(7)
	v_add_f32_e32 v6, v6, v7
	v_add_nc_u32_e32 v7, 33, v0
	s_waitcnt lgkmcnt(6)
	v_add_f32_e32 v6, v6, v8
	v_add_nc_u32_e32 v8, 34, v0
	v_and_b32_e32 v7, 63, v7
	s_waitcnt lgkmcnt(5)
	v_add_f32_e32 v6, v6, v9
	v_and_b32_e32 v8, 63, v8
	v_lshl_or_b32 v7, v7, 2, v5
	v_add_nc_u32_e32 v9, 35, v0
	s_waitcnt lgkmcnt(4)
	v_add_f32_e32 v6, v6, v10
	v_lshl_or_b32 v8, v8, 2, v5
	ds_read_b32 v2, v2
	ds_read_b32 v7, v7
	;; [unrolled: 1-line block ×3, first 2 shown]
	s_waitcnt lgkmcnt(6)
	v_add_f32_e32 v6, v6, v11
	v_add_nc_u32_e32 v10, 36, v0
	v_add_nc_u32_e32 v11, 37, v0
	v_and_b32_e32 v9, 63, v9
	s_waitcnt lgkmcnt(5)
	v_add_f32_e32 v6, v6, v12
	v_add_nc_u32_e32 v12, 38, v0
	v_and_b32_e32 v10, 63, v10
	v_and_b32_e32 v11, 63, v11
	v_lshl_or_b32 v9, v9, 2, v5
	s_waitcnt lgkmcnt(4)
	v_add_f32_e32 v6, v6, v13
	v_add_nc_u32_e32 v13, 39, v0
	v_and_b32_e32 v12, 63, v12
	v_lshl_or_b32 v10, v10, 2, v5
	v_lshl_or_b32 v11, v11, 2, v5
	s_waitcnt lgkmcnt(3)
	v_add_f32_e32 v6, v6, v14
	v_and_b32_e32 v13, 63, v13
	v_lshl_or_b32 v12, v12, 2, v5
	s_waitcnt lgkmcnt(2)
	v_add_f32_e32 v2, v6, v2
	v_lshl_or_b32 v13, v13, 2, v5
	ds_read_b32 v9, v9
	ds_read_b32 v10, v10
	;; [unrolled: 1-line block ×5, first 2 shown]
	v_add_nc_u32_e32 v6, 40, v0
	s_waitcnt lgkmcnt(6)
	v_add_f32_e32 v2, v2, v7
	v_add_nc_u32_e32 v7, 41, v0
	v_and_b32_e32 v6, 63, v6
	s_waitcnt lgkmcnt(5)
	v_add_f32_e32 v2, v2, v8
	v_add_nc_u32_e32 v8, 42, v0
	v_and_b32_e32 v7, 63, v7
	v_lshl_or_b32 v6, v6, 2, v5
	v_and_b32_e32 v8, 63, v8
	v_lshl_or_b32 v7, v7, 2, v5
	s_waitcnt lgkmcnt(4)
	v_add_f32_e32 v2, v2, v9
	v_add_nc_u32_e32 v9, 43, v0
	v_lshl_or_b32 v8, v8, 2, v5
	ds_read_b32 v6, v6
	ds_read_b32 v7, v7
	;; [unrolled: 1-line block ×3, first 2 shown]
	s_waitcnt lgkmcnt(6)
	v_add_f32_e32 v2, v2, v10
	v_add_nc_u32_e32 v10, 44, v0
	v_and_b32_e32 v9, 63, v9
	s_waitcnt lgkmcnt(5)
	v_add_f32_e32 v2, v2, v11
	v_add_nc_u32_e32 v11, 45, v0
	v_and_b32_e32 v10, 63, v10
	v_lshl_or_b32 v9, v9, 2, v5
	s_waitcnt lgkmcnt(4)
	v_add_f32_e32 v2, v2, v12
	v_add_nc_u32_e32 v12, 46, v0
	v_and_b32_e32 v11, 63, v11
	v_lshl_or_b32 v10, v10, 2, v5
	;; [unrolled: 5-line block ×3, first 2 shown]
	s_waitcnt lgkmcnt(2)
	v_add_f32_e32 v2, v2, v6
	v_and_b32_e32 v13, 63, v13
	v_lshl_or_b32 v12, v12, 2, v5
	v_add_nc_u32_e32 v6, 48, v0
	s_waitcnt lgkmcnt(1)
	v_add_f32_e32 v2, v2, v7
	v_lshl_or_b32 v13, v13, 2, v5
	ds_read_b32 v9, v9
	ds_read_b32 v10, v10
	;; [unrolled: 1-line block ×5, first 2 shown]
	v_add_nc_u32_e32 v7, 49, v0
	v_and_b32_e32 v6, 63, v6
	s_waitcnt lgkmcnt(5)
	v_add_f32_e32 v2, v2, v8
	v_add_nc_u32_e32 v8, 50, v0
	v_and_b32_e32 v7, 63, v7
	v_lshl_or_b32 v6, v6, 2, v5
	v_and_b32_e32 v8, 63, v8
	v_lshl_or_b32 v7, v7, 2, v5
	v_lshl_or_b32 v8, v8, 2, v5
	ds_read_b32 v6, v6
	ds_read_b32 v7, v7
	;; [unrolled: 1-line block ×3, first 2 shown]
	s_waitcnt lgkmcnt(7)
	v_add_f32_e32 v2, v2, v9
	v_add_nc_u32_e32 v9, 51, v0
	s_waitcnt lgkmcnt(6)
	v_add_f32_e32 v2, v2, v10
	v_add_nc_u32_e32 v10, 52, v0
	v_and_b32_e32 v9, 63, v9
	s_waitcnt lgkmcnt(5)
	v_add_f32_e32 v2, v2, v11
	v_add_nc_u32_e32 v11, 53, v0
	v_and_b32_e32 v10, 63, v10
	v_lshl_or_b32 v9, v9, 2, v5
	s_waitcnt lgkmcnt(4)
	v_add_f32_e32 v2, v2, v12
	v_add_nc_u32_e32 v12, 54, v0
	v_and_b32_e32 v11, 63, v11
	v_lshl_or_b32 v10, v10, 2, v5
	s_waitcnt lgkmcnt(3)
	v_add_f32_e32 v2, v2, v13
	v_add_nc_u32_e32 v13, 55, v0
	v_and_b32_e32 v12, 63, v12
	v_lshl_or_b32 v11, v11, 2, v5
	s_waitcnt lgkmcnt(2)
	v_add_f32_e32 v2, v2, v6
	v_and_b32_e32 v13, 63, v13
	v_lshl_or_b32 v12, v12, 2, v5
	v_add_nc_u32_e32 v6, 56, v0
	s_waitcnt lgkmcnt(1)
	v_add_f32_e32 v2, v2, v7
	v_lshl_or_b32 v13, v13, 2, v5
	ds_read_b32 v9, v9
	ds_read_b32 v10, v10
	;; [unrolled: 1-line block ×5, first 2 shown]
	v_add_nc_u32_e32 v7, 57, v0
	v_and_b32_e32 v6, 63, v6
	s_waitcnt lgkmcnt(5)
	v_add_f32_e32 v2, v2, v8
	v_add_nc_u32_e32 v8, 58, v0
	v_and_b32_e32 v7, 63, v7
	v_lshl_or_b32 v6, v6, 2, v5
	v_and_b32_e32 v8, 63, v8
	v_lshl_or_b32 v7, v7, 2, v5
	v_lshl_or_b32 v8, v8, 2, v5
	ds_read_b32 v6, v6
	ds_read_b32 v7, v7
	;; [unrolled: 1-line block ×3, first 2 shown]
	s_waitcnt lgkmcnt(7)
	v_add_f32_e32 v2, v2, v9
	v_add_nc_u32_e32 v9, 59, v0
	s_waitcnt lgkmcnt(6)
	v_add_f32_e32 v2, v2, v10
	v_add_nc_u32_e32 v10, 60, v0
	v_and_b32_e32 v9, 63, v9
	s_waitcnt lgkmcnt(5)
	v_add_f32_e32 v2, v2, v11
	v_add_nc_u32_e32 v11, 61, v0
	v_and_b32_e32 v10, 63, v10
	v_lshl_or_b32 v9, v9, 2, v5
	s_waitcnt lgkmcnt(4)
	v_add_f32_e32 v2, v2, v12
	v_add_nc_u32_e32 v12, 62, v0
	v_add_nc_u32_e32 v0, -1, v0
	v_and_b32_e32 v11, 63, v11
	v_lshl_or_b32 v10, v10, 2, v5
	s_waitcnt lgkmcnt(3)
	v_add_f32_e32 v2, v2, v13
	v_and_b32_e32 v12, 63, v12
	v_and_b32_e32 v0, 63, v0
	v_lshl_or_b32 v11, v11, 2, v5
	s_waitcnt lgkmcnt(2)
	v_add_f32_e32 v2, v2, v6
	v_lshl_or_b32 v12, v12, 2, v5
	v_lshl_or_b32 v0, v0, 2, v5
	ds_read_b32 v5, v9
	ds_read_b32 v9, v10
	;; [unrolled: 1-line block ×5, first 2 shown]
	s_waitcnt lgkmcnt(6)
	v_add_f32_e32 v2, v2, v7
	s_waitcnt lgkmcnt(5)
	v_add_f32_e32 v2, v2, v8
	;; [unrolled: 2-line block ×7, first 2 shown]
	v_mul_f32_e32 v2, s20, v0
.LBB233_11:                             ; =>This Inner Loop Header: Depth=1
	s_waitcnt vmcnt(0)
	v_add_f32_e32 v0, v1, v2
	flat_atomic_cmpswap v0, v[3:4], v[0:1] glc
	s_waitcnt vmcnt(0) lgkmcnt(0)
	v_cmp_eq_u32_e32 vcc_lo, v0, v1
	v_mov_b32_e32 v1, v0
	s_or_b32 s6, vcc_lo, s6
	s_andn2_b32 exec_lo, exec_lo, s6
	s_cbranch_execnz .LBB233_11
.LBB233_12:
	s_endpgm
	.section	.rodata,"a",@progbits
	.p2align	6, 0x0
	.amdhsa_kernel _ZL36rocblas_gemvt_double_buffered_kernelILb1ELi128ELi8ELi8EPKffKPfEviiT4_lPKT3_lilS7_lilPT5_lili
		.amdhsa_group_segment_fixed_size 32768
		.amdhsa_private_segment_fixed_size 0
		.amdhsa_kernarg_size 384
		.amdhsa_user_sgpr_count 6
		.amdhsa_user_sgpr_private_segment_buffer 1
		.amdhsa_user_sgpr_dispatch_ptr 0
		.amdhsa_user_sgpr_queue_ptr 0
		.amdhsa_user_sgpr_kernarg_segment_ptr 1
		.amdhsa_user_sgpr_dispatch_id 0
		.amdhsa_user_sgpr_flat_scratch_init 0
		.amdhsa_user_sgpr_private_segment_size 0
		.amdhsa_wavefront_size32 1
		.amdhsa_uses_dynamic_stack 0
		.amdhsa_system_sgpr_private_segment_wavefront_offset 0
		.amdhsa_system_sgpr_workgroup_id_x 1
		.amdhsa_system_sgpr_workgroup_id_y 1
		.amdhsa_system_sgpr_workgroup_id_z 1
		.amdhsa_system_sgpr_workgroup_info 0
		.amdhsa_system_vgpr_workitem_id 1
		.amdhsa_next_free_vgpr 69
		.amdhsa_next_free_sgpr 32
		.amdhsa_reserve_vcc 1
		.amdhsa_reserve_flat_scratch 1
		.amdhsa_float_round_mode_32 0
		.amdhsa_float_round_mode_16_64 0
		.amdhsa_float_denorm_mode_32 3
		.amdhsa_float_denorm_mode_16_64 3
		.amdhsa_dx10_clamp 1
		.amdhsa_ieee_mode 1
		.amdhsa_fp16_overflow 0
		.amdhsa_workgroup_processor_mode 1
		.amdhsa_memory_ordered 1
		.amdhsa_forward_progress 1
		.amdhsa_shared_vgpr_count 0
		.amdhsa_exception_fp_ieee_invalid_op 0
		.amdhsa_exception_fp_denorm_src 0
		.amdhsa_exception_fp_ieee_div_zero 0
		.amdhsa_exception_fp_ieee_overflow 0
		.amdhsa_exception_fp_ieee_underflow 0
		.amdhsa_exception_fp_ieee_inexact 0
		.amdhsa_exception_int_div_zero 0
	.end_amdhsa_kernel
	.section	.text._ZL36rocblas_gemvt_double_buffered_kernelILb1ELi128ELi8ELi8EPKffKPfEviiT4_lPKT3_lilS7_lilPT5_lili,"axG",@progbits,_ZL36rocblas_gemvt_double_buffered_kernelILb1ELi128ELi8ELi8EPKffKPfEviiT4_lPKT3_lilS7_lilPT5_lili,comdat
.Lfunc_end233:
	.size	_ZL36rocblas_gemvt_double_buffered_kernelILb1ELi128ELi8ELi8EPKffKPfEviiT4_lPKT3_lilS7_lilPT5_lili, .Lfunc_end233-_ZL36rocblas_gemvt_double_buffered_kernelILb1ELi128ELi8ELi8EPKffKPfEviiT4_lPKT3_lilS7_lilPT5_lili
                                        ; -- End function
	.set _ZL36rocblas_gemvt_double_buffered_kernelILb1ELi128ELi8ELi8EPKffKPfEviiT4_lPKT3_lilS7_lilPT5_lili.num_vgpr, 69
	.set _ZL36rocblas_gemvt_double_buffered_kernelILb1ELi128ELi8ELi8EPKffKPfEviiT4_lPKT3_lilS7_lilPT5_lili.num_agpr, 0
	.set _ZL36rocblas_gemvt_double_buffered_kernelILb1ELi128ELi8ELi8EPKffKPfEviiT4_lPKT3_lilS7_lilPT5_lili.numbered_sgpr, 32
	.set _ZL36rocblas_gemvt_double_buffered_kernelILb1ELi128ELi8ELi8EPKffKPfEviiT4_lPKT3_lilS7_lilPT5_lili.num_named_barrier, 0
	.set _ZL36rocblas_gemvt_double_buffered_kernelILb1ELi128ELi8ELi8EPKffKPfEviiT4_lPKT3_lilS7_lilPT5_lili.private_seg_size, 0
	.set _ZL36rocblas_gemvt_double_buffered_kernelILb1ELi128ELi8ELi8EPKffKPfEviiT4_lPKT3_lilS7_lilPT5_lili.uses_vcc, 1
	.set _ZL36rocblas_gemvt_double_buffered_kernelILb1ELi128ELi8ELi8EPKffKPfEviiT4_lPKT3_lilS7_lilPT5_lili.uses_flat_scratch, 1
	.set _ZL36rocblas_gemvt_double_buffered_kernelILb1ELi128ELi8ELi8EPKffKPfEviiT4_lPKT3_lilS7_lilPT5_lili.has_dyn_sized_stack, 0
	.set _ZL36rocblas_gemvt_double_buffered_kernelILb1ELi128ELi8ELi8EPKffKPfEviiT4_lPKT3_lilS7_lilPT5_lili.has_recursion, 0
	.set _ZL36rocblas_gemvt_double_buffered_kernelILb1ELi128ELi8ELi8EPKffKPfEviiT4_lPKT3_lilS7_lilPT5_lili.has_indirect_call, 0
	.section	.AMDGPU.csdata,"",@progbits
; Kernel info:
; codeLenInByte = 4408
; TotalNumSgprs: 34
; NumVgprs: 69
; ScratchSize: 0
; MemoryBound: 0
; FloatMode: 240
; IeeeMode: 1
; LDSByteSize: 32768 bytes/workgroup (compile time only)
; SGPRBlocks: 0
; VGPRBlocks: 8
; NumSGPRsForWavesPerEU: 34
; NumVGPRsForWavesPerEU: 69
; Occupancy: 12
; WaveLimiterHint : 1
; COMPUTE_PGM_RSRC2:SCRATCH_EN: 0
; COMPUTE_PGM_RSRC2:USER_SGPR: 6
; COMPUTE_PGM_RSRC2:TRAP_HANDLER: 0
; COMPUTE_PGM_RSRC2:TGID_X_EN: 1
; COMPUTE_PGM_RSRC2:TGID_Y_EN: 1
; COMPUTE_PGM_RSRC2:TGID_Z_EN: 1
; COMPUTE_PGM_RSRC2:TIDIG_COMP_CNT: 1
	.section	.text._ZL20rocblas_gemvt_kernelILb1ELi256EPKfS1_KPfEviiT2_lPKT1_lilS7_lilS4_lPT3_lili,"axG",@progbits,_ZL20rocblas_gemvt_kernelILb1ELi256EPKfS1_KPfEviiT2_lPKT1_lilS7_lilS4_lPT3_lili,comdat
	.globl	_ZL20rocblas_gemvt_kernelILb1ELi256EPKfS1_KPfEviiT2_lPKT1_lilS7_lilS4_lPT3_lili ; -- Begin function _ZL20rocblas_gemvt_kernelILb1ELi256EPKfS1_KPfEviiT2_lPKT1_lilS7_lilS4_lPT3_lili
	.p2align	8
	.type	_ZL20rocblas_gemvt_kernelILb1ELi256EPKfS1_KPfEviiT2_lPKT1_lilS7_lilS4_lPT3_lili,@function
_ZL20rocblas_gemvt_kernelILb1ELi256EPKfS1_KPfEviiT2_lPKT1_lilS7_lilS4_lPT3_lili: ; @_ZL20rocblas_gemvt_kernelILb1ELi256EPKfS1_KPfEviiT2_lPKT1_lilS7_lilS4_lPT3_lili
; %bb.0:
	s_clause 0x1
	s_load_dwordx8 s[16:23], s[4:5], 0x8
	s_load_dwordx8 s[8:15], s[4:5], 0x58
	s_mov_b32 s0, s7
	s_waitcnt lgkmcnt(0)
	s_mul_i32 s1, s19, s7
	s_mul_hi_u32 s3, s18, s7
	s_mul_i32 s2, s18, s7
	s_add_i32 s3, s3, s1
	s_mul_i32 s1, s11, s7
	s_lshl_b64 s[2:3], s[2:3], 2
	s_mul_hi_u32 s7, s10, s7
	s_add_u32 s2, s16, s2
	s_addc_u32 s3, s17, s3
	s_add_i32 s11, s7, s1
	s_mul_i32 s10, s10, s0
	s_lshl_b64 s[10:11], s[10:11], 2
	s_add_u32 s8, s8, s10
	s_addc_u32 s9, s9, s11
	s_load_dword s16, s[2:3], 0x0
	s_load_dword s7, s[8:9], 0x0
	s_waitcnt lgkmcnt(0)
	v_cmp_eq_f32_e64 s10, s16, 0
	v_cmp_eq_f32_e64 s1, s7, 1.0
	s_and_b32 s1, s10, s1
	s_and_b32 vcc_lo, exec_lo, s1
	s_mov_b32 s1, 0
	s_cbranch_vccnz .LBB234_40
; %bb.1:
	v_cmp_neq_f32_e64 s11, s16, 0
	s_mov_b64 s[2:3], 0
	s_and_b32 vcc_lo, exec_lo, s10
	s_mov_b64 s[8:9], 0
	s_cbranch_vccnz .LBB234_3
; %bb.2:
	s_lshl_b64 s[8:9], s[0:1], 3
	s_add_u32 s8, s20, s8
	s_addc_u32 s9, s21, s9
	s_lshl_b64 s[18:19], s[22:23], 2
	s_load_dwordx2 s[8:9], s[8:9], 0x0
	s_waitcnt lgkmcnt(0)
	s_add_u32 s8, s8, s18
	s_addc_u32 s9, s9, s19
.LBB234_3:
	s_andn2_b32 vcc_lo, exec_lo, s11
	s_cbranch_vccnz .LBB234_5
; %bb.4:
	s_load_dwordx4 s[20:23], s[4:5], 0x38
	s_lshl_b64 s[2:3], s[0:1], 3
	s_waitcnt lgkmcnt(0)
	s_add_u32 s2, s20, s2
	s_addc_u32 s3, s21, s3
	s_lshl_b64 s[18:19], s[22:23], 2
	s_load_dwordx2 s[2:3], s[2:3], 0x0
	s_waitcnt lgkmcnt(0)
	s_add_u32 s2, s2, s18
	s_addc_u32 s3, s3, s19
.LBB234_5:
	s_lshl_b64 s[0:1], s[0:1], 3
	s_add_u32 s0, s12, s0
	s_addc_u32 s1, s13, s1
	s_lshl_b64 s[14:15], s[14:15], 2
	s_load_dwordx2 s[12:13], s[0:1], 0x0
	s_load_dword s17, s[4:5], 0x78
	v_cmp_eq_u32_e64 s0, 0, v0
	s_waitcnt lgkmcnt(0)
	s_add_u32 s12, s12, s14
	s_addc_u32 s13, s13, s15
	s_andn2_b32 vcc_lo, exec_lo, s10
	s_cbranch_vccnz .LBB234_10
; %bb.6:
	s_mov_b32 s1, 0
	s_mov_b32 s14, 0
                                        ; implicit-def: $vgpr1
                                        ; implicit-def: $sgpr10_sgpr11
	s_and_saveexec_b32 s15, s0
	s_cbranch_execz .LBB234_11
; %bb.7:
	v_cmp_eq_f32_e64 s0, s7, 0
	v_mov_b32_e32 v1, 0
	s_mul_hi_i32 s11, s17, s6
	s_mul_i32 s10, s17, s6
	s_and_b32 vcc_lo, exec_lo, s0
	s_cbranch_vccnz .LBB234_9
; %bb.8:
	s_lshl_b64 s[18:19], s[10:11], 2
	s_add_u32 s18, s12, s18
	s_addc_u32 s19, s13, s19
	v_mov_b32_e32 v1, s18
	v_mov_b32_e32 v2, s19
	flat_load_dword v1, v[1:2]
	s_waitcnt vmcnt(0) lgkmcnt(0)
	v_mul_f32_e32 v1, s7, v1
.LBB234_9:
	s_mov_b32 s14, exec_lo
	s_or_b32 exec_lo, exec_lo, s15
	s_and_b32 vcc_lo, exec_lo, s1
	s_cbranch_vccnz .LBB234_12
	s_branch .LBB234_38
.LBB234_10:
	s_mov_b32 s14, 0
                                        ; implicit-def: $vgpr1
                                        ; implicit-def: $sgpr10_sgpr11
	s_cbranch_execnz .LBB234_12
	s_branch .LBB234_38
.LBB234_11:
	s_or_b32 exec_lo, exec_lo, s15
	s_and_b32 vcc_lo, exec_lo, s1
	s_cbranch_vccz .LBB234_38
.LBB234_12:
	s_clause 0x2
	s_load_dword s10, s[4:5], 0x0
	s_load_dword s1, s[4:5], 0x28
	;; [unrolled: 1-line block ×3, first 2 shown]
	v_mov_b32_e32 v7, 0
	s_waitcnt lgkmcnt(0)
	v_cmp_gt_i32_e32 vcc_lo, s10, v0
	s_mul_hi_i32 s5, s1, s6
	s_mul_i32 s4, s1, s6
	s_ashr_i32 s1, s10, 31
	s_lshl_b64 s[4:5], s[4:5], 2
	v_cndmask_b32_e32 v1, 0, v0, vcc_lo
	s_lshr_b32 s1, s1, 24
	s_add_i32 s1, s10, s1
	v_lshlrev_b32_e32 v1, 2, v1
	v_add_co_u32 v1, s8, s8, v1
	v_add_co_ci_u32_e64 v2, null, s9, 0, s8
	v_add_co_u32 v1, vcc_lo, v1, s4
	v_add_co_ci_u32_e64 v2, null, s5, v2, vcc_lo
	s_and_b32 s4, s1, 0xffffff00
	s_cmpk_lt_i32 s10, 0x100
	s_mov_b32 s5, 0
	s_cbranch_scc1 .LBB234_15
; %bb.13:
	v_mad_i64_i32 v[3:4], null, s0, v0, 0
	v_mov_b32_e32 v6, v2
	v_mov_b32_e32 v7, 0
	;; [unrolled: 1-line block ×3, first 2 shown]
	s_ashr_i32 s1, s0, 31
	s_lshl_b64 s[8:9], s[0:1], 10
	v_lshlrev_b64 v[3:4], 2, v[3:4]
	v_add_co_u32 v3, vcc_lo, s2, v3
	v_add_co_ci_u32_e64 v4, null, s3, v4, vcc_lo
	.p2align	6
.LBB234_14:                             ; =>This Inner Loop Header: Depth=1
	flat_load_dword v8, v[5:6]
	flat_load_dword v9, v[3:4]
	v_add_co_u32 v3, vcc_lo, v3, s8
	v_add_co_ci_u32_e64 v4, null, s9, v4, vcc_lo
	v_add_co_u32 v5, vcc_lo, 0x400, v5
	v_add_co_ci_u32_e64 v6, null, 0, v6, vcc_lo
	s_addk_i32 s5, 0x100
	s_cmp_ge_i32 s5, s4
	s_waitcnt vmcnt(0) lgkmcnt(0)
	v_fmac_f32_e32 v7, v8, v9
	s_cbranch_scc0 .LBB234_14
.LBB234_15:
	v_add_nc_u32_e32 v3, s4, v0
	s_mov_b32 s1, exec_lo
	v_cmpx_gt_i32_e64 s10, v3
	s_cbranch_execz .LBB234_17
; %bb.16:
	v_mad_i64_i32 v[3:4], null, s0, v3, 0
	s_ashr_i32 s5, s4, 31
	s_lshl_b64 s[4:5], s[4:5], 2
	v_add_co_u32 v1, vcc_lo, v1, s4
	v_lshlrev_b64 v[3:4], 2, v[3:4]
	v_add_co_ci_u32_e64 v2, null, s5, v2, vcc_lo
	v_add_co_u32 v3, vcc_lo, s2, v3
	v_add_co_ci_u32_e64 v4, null, s3, v4, vcc_lo
	flat_load_dword v1, v[1:2]
	flat_load_dword v2, v[3:4]
	s_waitcnt vmcnt(0) lgkmcnt(0)
	v_fmac_f32_e32 v7, v1, v2
.LBB234_17:
	s_or_b32 exec_lo, exec_lo, s1
	v_lshlrev_b32_e32 v1, 2, v0
	s_mov_b32 s0, exec_lo
	ds_write_b32 v1, v7
	s_waitcnt lgkmcnt(0)
	s_barrier
	buffer_gl0_inv
	v_cmpx_gt_u32_e32 0x80, v0
	s_cbranch_execz .LBB234_19
; %bb.18:
	ds_read2st64_b32 v[2:3], v1 offset1:2
	s_waitcnt lgkmcnt(0)
	v_add_f32_e32 v2, v3, v2
	ds_write_b32 v1, v2
.LBB234_19:
	s_or_b32 exec_lo, exec_lo, s0
	s_mov_b32 s0, exec_lo
	s_waitcnt lgkmcnt(0)
	s_barrier
	buffer_gl0_inv
	v_cmpx_gt_u32_e32 64, v0
	s_cbranch_execz .LBB234_21
; %bb.20:
	ds_read2st64_b32 v[2:3], v1 offset1:1
	s_waitcnt lgkmcnt(0)
	v_add_f32_e32 v2, v3, v2
	ds_write_b32 v1, v2
.LBB234_21:
	s_or_b32 exec_lo, exec_lo, s0
	s_mov_b32 s0, exec_lo
	s_waitcnt lgkmcnt(0)
	s_barrier
	buffer_gl0_inv
	v_cmpx_gt_u32_e32 32, v0
	s_cbranch_execz .LBB234_23
; %bb.22:
	ds_read2_b32 v[2:3], v1 offset1:32
	s_waitcnt lgkmcnt(0)
	v_add_f32_e32 v2, v3, v2
	ds_write_b32 v1, v2
.LBB234_23:
	s_or_b32 exec_lo, exec_lo, s0
	s_mov_b32 s0, exec_lo
	s_waitcnt lgkmcnt(0)
	s_barrier
	buffer_gl0_inv
	v_cmpx_gt_u32_e32 16, v0
	s_cbranch_execz .LBB234_25
; %bb.24:
	ds_read2_b32 v[2:3], v1 offset1:16
	s_waitcnt lgkmcnt(0)
	v_add_f32_e32 v2, v3, v2
	ds_write_b32 v1, v2
.LBB234_25:
	;; [unrolled: 13-line block ×5, first 2 shown]
	s_or_b32 exec_lo, exec_lo, s0
	v_cmp_eq_u32_e32 vcc_lo, 0, v0
	s_waitcnt lgkmcnt(0)
	s_barrier
	buffer_gl0_inv
	s_and_saveexec_b32 s0, vcc_lo
	s_cbranch_execz .LBB234_33
; %bb.32:
	v_mov_b32_e32 v2, 0
	ds_read_b64 v[0:1], v2
	s_waitcnt lgkmcnt(0)
	v_add_f32_e32 v0, v1, v0
	ds_write_b32 v2, v0
.LBB234_33:
	s_or_b32 exec_lo, exec_lo, s0
	s_waitcnt lgkmcnt(0)
	s_barrier
	buffer_gl0_inv
                                        ; implicit-def: $vgpr1
                                        ; implicit-def: $sgpr10_sgpr11
	s_and_saveexec_b32 s0, vcc_lo
	s_cbranch_execz .LBB234_37
; %bb.34:
	v_mov_b32_e32 v0, 0
	v_cmp_eq_f32_e64 s1, s7, 0
	s_mul_hi_i32 s11, s17, s6
	s_mul_i32 s10, s17, s6
	ds_read_b32 v0, v0
	s_and_b32 vcc_lo, exec_lo, s1
	s_waitcnt lgkmcnt(0)
	v_mul_f32_e32 v1, s16, v0
	s_cbranch_vccnz .LBB234_36
; %bb.35:
	s_lshl_b64 s[2:3], s[10:11], 2
	s_add_u32 s2, s12, s2
	s_addc_u32 s3, s13, s3
	v_mov_b32_e32 v2, s2
	v_mov_b32_e32 v3, s3
	flat_load_dword v0, v[2:3]
	s_waitcnt vmcnt(0) lgkmcnt(0)
	v_fmac_f32_e32 v1, s7, v0
.LBB234_36:
	s_or_b32 s14, s14, exec_lo
.LBB234_37:
	s_or_b32 exec_lo, exec_lo, s0
.LBB234_38:
	s_and_saveexec_b32 s0, s14
	s_cbranch_execz .LBB234_40
; %bb.39:
	s_lshl_b64 s[0:1], s[10:11], 2
	s_add_u32 s0, s12, s0
	s_addc_u32 s1, s13, s1
	v_mov_b32_e32 v3, s1
	v_mov_b32_e32 v2, s0
	flat_store_dword v[2:3], v1
.LBB234_40:
	s_endpgm
	.section	.rodata,"a",@progbits
	.p2align	6, 0x0
	.amdhsa_kernel _ZL20rocblas_gemvt_kernelILb1ELi256EPKfS1_KPfEviiT2_lPKT1_lilS7_lilS4_lPT3_lili
		.amdhsa_group_segment_fixed_size 1024
		.amdhsa_private_segment_fixed_size 0
		.amdhsa_kernarg_size 140
		.amdhsa_user_sgpr_count 6
		.amdhsa_user_sgpr_private_segment_buffer 1
		.amdhsa_user_sgpr_dispatch_ptr 0
		.amdhsa_user_sgpr_queue_ptr 0
		.amdhsa_user_sgpr_kernarg_segment_ptr 1
		.amdhsa_user_sgpr_dispatch_id 0
		.amdhsa_user_sgpr_flat_scratch_init 0
		.amdhsa_user_sgpr_private_segment_size 0
		.amdhsa_wavefront_size32 1
		.amdhsa_uses_dynamic_stack 0
		.amdhsa_system_sgpr_private_segment_wavefront_offset 0
		.amdhsa_system_sgpr_workgroup_id_x 1
		.amdhsa_system_sgpr_workgroup_id_y 0
		.amdhsa_system_sgpr_workgroup_id_z 1
		.amdhsa_system_sgpr_workgroup_info 0
		.amdhsa_system_vgpr_workitem_id 0
		.amdhsa_next_free_vgpr 10
		.amdhsa_next_free_sgpr 24
		.amdhsa_reserve_vcc 1
		.amdhsa_reserve_flat_scratch 0
		.amdhsa_float_round_mode_32 0
		.amdhsa_float_round_mode_16_64 0
		.amdhsa_float_denorm_mode_32 3
		.amdhsa_float_denorm_mode_16_64 3
		.amdhsa_dx10_clamp 1
		.amdhsa_ieee_mode 1
		.amdhsa_fp16_overflow 0
		.amdhsa_workgroup_processor_mode 1
		.amdhsa_memory_ordered 1
		.amdhsa_forward_progress 1
		.amdhsa_shared_vgpr_count 0
		.amdhsa_exception_fp_ieee_invalid_op 0
		.amdhsa_exception_fp_denorm_src 0
		.amdhsa_exception_fp_ieee_div_zero 0
		.amdhsa_exception_fp_ieee_overflow 0
		.amdhsa_exception_fp_ieee_underflow 0
		.amdhsa_exception_fp_ieee_inexact 0
		.amdhsa_exception_int_div_zero 0
	.end_amdhsa_kernel
	.section	.text._ZL20rocblas_gemvt_kernelILb1ELi256EPKfS1_KPfEviiT2_lPKT1_lilS7_lilS4_lPT3_lili,"axG",@progbits,_ZL20rocblas_gemvt_kernelILb1ELi256EPKfS1_KPfEviiT2_lPKT1_lilS7_lilS4_lPT3_lili,comdat
.Lfunc_end234:
	.size	_ZL20rocblas_gemvt_kernelILb1ELi256EPKfS1_KPfEviiT2_lPKT1_lilS7_lilS4_lPT3_lili, .Lfunc_end234-_ZL20rocblas_gemvt_kernelILb1ELi256EPKfS1_KPfEviiT2_lPKT1_lilS7_lilS4_lPT3_lili
                                        ; -- End function
	.set _ZL20rocblas_gemvt_kernelILb1ELi256EPKfS1_KPfEviiT2_lPKT1_lilS7_lilS4_lPT3_lili.num_vgpr, 10
	.set _ZL20rocblas_gemvt_kernelILb1ELi256EPKfS1_KPfEviiT2_lPKT1_lilS7_lilS4_lPT3_lili.num_agpr, 0
	.set _ZL20rocblas_gemvt_kernelILb1ELi256EPKfS1_KPfEviiT2_lPKT1_lilS7_lilS4_lPT3_lili.numbered_sgpr, 24
	.set _ZL20rocblas_gemvt_kernelILb1ELi256EPKfS1_KPfEviiT2_lPKT1_lilS7_lilS4_lPT3_lili.num_named_barrier, 0
	.set _ZL20rocblas_gemvt_kernelILb1ELi256EPKfS1_KPfEviiT2_lPKT1_lilS7_lilS4_lPT3_lili.private_seg_size, 0
	.set _ZL20rocblas_gemvt_kernelILb1ELi256EPKfS1_KPfEviiT2_lPKT1_lilS7_lilS4_lPT3_lili.uses_vcc, 1
	.set _ZL20rocblas_gemvt_kernelILb1ELi256EPKfS1_KPfEviiT2_lPKT1_lilS7_lilS4_lPT3_lili.uses_flat_scratch, 0
	.set _ZL20rocblas_gemvt_kernelILb1ELi256EPKfS1_KPfEviiT2_lPKT1_lilS7_lilS4_lPT3_lili.has_dyn_sized_stack, 0
	.set _ZL20rocblas_gemvt_kernelILb1ELi256EPKfS1_KPfEviiT2_lPKT1_lilS7_lilS4_lPT3_lili.has_recursion, 0
	.set _ZL20rocblas_gemvt_kernelILb1ELi256EPKfS1_KPfEviiT2_lPKT1_lilS7_lilS4_lPT3_lili.has_indirect_call, 0
	.section	.AMDGPU.csdata,"",@progbits
; Kernel info:
; codeLenInByte = 1436
; TotalNumSgprs: 26
; NumVgprs: 10
; ScratchSize: 0
; MemoryBound: 0
; FloatMode: 240
; IeeeMode: 1
; LDSByteSize: 1024 bytes/workgroup (compile time only)
; SGPRBlocks: 0
; VGPRBlocks: 1
; NumSGPRsForWavesPerEU: 26
; NumVGPRsForWavesPerEU: 10
; Occupancy: 16
; WaveLimiterHint : 1
; COMPUTE_PGM_RSRC2:SCRATCH_EN: 0
; COMPUTE_PGM_RSRC2:USER_SGPR: 6
; COMPUTE_PGM_RSRC2:TRAP_HANDLER: 0
; COMPUTE_PGM_RSRC2:TGID_X_EN: 1
; COMPUTE_PGM_RSRC2:TGID_Y_EN: 0
; COMPUTE_PGM_RSRC2:TGID_Z_EN: 1
; COMPUTE_PGM_RSRC2:TIDIG_COMP_CNT: 0
	.section	.text._ZL20rocblas_gemvt_kernelILb1ELi256EPKffKPfEviiT2_lPKT1_lilS7_lilS4_lPT3_lili,"axG",@progbits,_ZL20rocblas_gemvt_kernelILb1ELi256EPKffKPfEviiT2_lPKT1_lilS7_lilS4_lPT3_lili,comdat
	.globl	_ZL20rocblas_gemvt_kernelILb1ELi256EPKffKPfEviiT2_lPKT1_lilS7_lilS4_lPT3_lili ; -- Begin function _ZL20rocblas_gemvt_kernelILb1ELi256EPKffKPfEviiT2_lPKT1_lilS7_lilS4_lPT3_lili
	.p2align	8
	.type	_ZL20rocblas_gemvt_kernelILb1ELi256EPKffKPfEviiT2_lPKT1_lilS7_lilS4_lPT3_lili,@function
_ZL20rocblas_gemvt_kernelILb1ELi256EPKffKPfEviiT2_lPKT1_lilS7_lilS4_lPT3_lili: ; @_ZL20rocblas_gemvt_kernelILb1ELi256EPKffKPfEviiT2_lPKT1_lilS7_lilS4_lPT3_lili
; %bb.0:
	s_mov_b32 s10, s7
	s_clause 0x1
	s_load_dword s12, s[4:5], 0x8
	s_load_dword s7, s[4:5], 0x58
	s_mov_b32 s11, 0
	s_waitcnt lgkmcnt(0)
	v_cmp_eq_f32_e64 s16, s12, 0
	v_cmp_eq_f32_e64 s0, s7, 1.0
	s_and_b32 s0, s16, s0
	s_and_b32 vcc_lo, exec_lo, s0
	s_cbranch_vccnz .LBB235_42
; %bb.1:
	v_cmp_neq_f32_e64 s13, s12, 0
	s_and_b32 vcc_lo, exec_lo, s13
	s_cbranch_vccnz .LBB235_3
; %bb.2:
	s_mov_b32 s1, 0
	s_mov_b32 s0, s10
	s_mov_b32 s8, s1
	s_mov_b64 s[2:3], 0
	s_andn2_b32 vcc_lo, exec_lo, s8
	s_mov_b64 s[8:9], 0
	s_cbranch_vccz .LBB235_4
	s_branch .LBB235_5
.LBB235_3:
	s_mov_b64 s[0:1], s[10:11]
	s_mov_b64 s[2:3], 0
	;; [unrolled: 1-line block ×3, first 2 shown]
.LBB235_4:
	s_load_dwordx4 s[20:23], s[4:5], 0x18
	s_lshl_b64 s[8:9], s[10:11], 3
	s_waitcnt lgkmcnt(0)
	s_add_u32 s8, s20, s8
	s_addc_u32 s9, s21, s9
	s_lshl_b64 s[10:11], s[22:23], 2
	s_load_dwordx2 s[8:9], s[8:9], 0x0
	s_waitcnt lgkmcnt(0)
	s_add_u32 s8, s8, s10
	s_addc_u32 s9, s9, s11
.LBB235_5:
	s_andn2_b32 vcc_lo, exec_lo, s13
	s_cbranch_vccnz .LBB235_7
; %bb.6:
	s_load_dwordx4 s[20:23], s[4:5], 0x38
	s_lshl_b64 s[2:3], s[0:1], 3
	s_waitcnt lgkmcnt(0)
	s_add_u32 s2, s20, s2
	s_addc_u32 s3, s21, s3
	s_lshl_b64 s[10:11], s[22:23], 2
	s_load_dwordx2 s[2:3], s[2:3], 0x0
	s_waitcnt lgkmcnt(0)
	s_add_u32 s2, s2, s10
	s_addc_u32 s3, s3, s11
.LBB235_7:
	s_clause 0x1
	s_load_dwordx4 s[20:23], s[4:5], 0x68
	s_load_dword s15, s[4:5], 0x78
	s_lshl_b64 s[0:1], s[0:1], 3
	s_waitcnt lgkmcnt(0)
	s_add_u32 s0, s20, s0
	s_addc_u32 s1, s21, s1
	s_lshl_b64 s[18:19], s[22:23], 2
	s_load_dwordx2 s[10:11], s[0:1], 0x0
	v_cmp_eq_u32_e64 s0, 0, v0
	s_waitcnt lgkmcnt(0)
	s_add_u32 s13, s10, s18
	s_addc_u32 s14, s11, s19
	s_andn2_b32 vcc_lo, exec_lo, s16
	s_cbranch_vccnz .LBB235_12
; %bb.8:
	s_mov_b32 s1, 0
	s_mov_b32 s16, 0
                                        ; implicit-def: $vgpr1
                                        ; implicit-def: $sgpr10_sgpr11
	s_and_saveexec_b32 s17, s0
	s_cbranch_execz .LBB235_13
; %bb.9:
	v_cmp_eq_f32_e64 s0, s7, 0
	v_mov_b32_e32 v1, 0
	s_mul_hi_i32 s11, s15, s6
	s_mul_i32 s10, s15, s6
	s_and_b32 vcc_lo, exec_lo, s0
	s_cbranch_vccnz .LBB235_11
; %bb.10:
	s_lshl_b64 s[18:19], s[10:11], 2
	s_add_u32 s18, s13, s18
	s_addc_u32 s19, s14, s19
	v_mov_b32_e32 v1, s18
	v_mov_b32_e32 v2, s19
	flat_load_dword v1, v[1:2]
	s_waitcnt vmcnt(0) lgkmcnt(0)
	v_mul_f32_e32 v1, s7, v1
.LBB235_11:
	s_mov_b32 s16, exec_lo
	s_or_b32 exec_lo, exec_lo, s17
	s_and_b32 vcc_lo, exec_lo, s1
	s_cbranch_vccnz .LBB235_14
	s_branch .LBB235_40
.LBB235_12:
	s_mov_b32 s16, 0
                                        ; implicit-def: $vgpr1
                                        ; implicit-def: $sgpr10_sgpr11
	s_cbranch_execnz .LBB235_14
	s_branch .LBB235_40
.LBB235_13:
	s_or_b32 exec_lo, exec_lo, s17
	s_and_b32 vcc_lo, exec_lo, s1
	s_cbranch_vccz .LBB235_40
.LBB235_14:
	s_clause 0x2
	s_load_dword s10, s[4:5], 0x0
	s_load_dword s1, s[4:5], 0x28
	;; [unrolled: 1-line block ×3, first 2 shown]
	v_mov_b32_e32 v7, 0
	s_waitcnt lgkmcnt(0)
	v_cmp_gt_i32_e32 vcc_lo, s10, v0
	s_mul_hi_i32 s5, s1, s6
	s_mul_i32 s4, s1, s6
	s_ashr_i32 s1, s10, 31
	s_lshl_b64 s[4:5], s[4:5], 2
	v_cndmask_b32_e32 v1, 0, v0, vcc_lo
	s_lshr_b32 s1, s1, 24
	s_add_i32 s1, s10, s1
	v_lshlrev_b32_e32 v1, 2, v1
	v_add_co_u32 v1, s8, s8, v1
	v_add_co_ci_u32_e64 v2, null, s9, 0, s8
	v_add_co_u32 v1, vcc_lo, v1, s4
	v_add_co_ci_u32_e64 v2, null, s5, v2, vcc_lo
	s_and_b32 s4, s1, 0xffffff00
	s_cmpk_lt_i32 s10, 0x100
	s_mov_b32 s5, 0
	s_cbranch_scc1 .LBB235_17
; %bb.15:
	v_mad_i64_i32 v[3:4], null, s0, v0, 0
	v_mov_b32_e32 v6, v2
	v_mov_b32_e32 v7, 0
	;; [unrolled: 1-line block ×3, first 2 shown]
	s_ashr_i32 s1, s0, 31
	s_lshl_b64 s[8:9], s[0:1], 10
	v_lshlrev_b64 v[3:4], 2, v[3:4]
	v_add_co_u32 v3, vcc_lo, s2, v3
	v_add_co_ci_u32_e64 v4, null, s3, v4, vcc_lo
	.p2align	6
.LBB235_16:                             ; =>This Inner Loop Header: Depth=1
	flat_load_dword v8, v[5:6]
	flat_load_dword v9, v[3:4]
	v_add_co_u32 v3, vcc_lo, v3, s8
	v_add_co_ci_u32_e64 v4, null, s9, v4, vcc_lo
	v_add_co_u32 v5, vcc_lo, 0x400, v5
	v_add_co_ci_u32_e64 v6, null, 0, v6, vcc_lo
	s_addk_i32 s5, 0x100
	s_cmp_ge_i32 s5, s4
	s_waitcnt vmcnt(0) lgkmcnt(0)
	v_fmac_f32_e32 v7, v8, v9
	s_cbranch_scc0 .LBB235_16
.LBB235_17:
	v_add_nc_u32_e32 v3, s4, v0
	s_mov_b32 s1, exec_lo
	v_cmpx_gt_i32_e64 s10, v3
	s_cbranch_execz .LBB235_19
; %bb.18:
	v_mad_i64_i32 v[3:4], null, s0, v3, 0
	s_ashr_i32 s5, s4, 31
	s_lshl_b64 s[4:5], s[4:5], 2
	v_add_co_u32 v1, vcc_lo, v1, s4
	v_lshlrev_b64 v[3:4], 2, v[3:4]
	v_add_co_ci_u32_e64 v2, null, s5, v2, vcc_lo
	v_add_co_u32 v3, vcc_lo, s2, v3
	v_add_co_ci_u32_e64 v4, null, s3, v4, vcc_lo
	flat_load_dword v1, v[1:2]
	flat_load_dword v2, v[3:4]
	s_waitcnt vmcnt(0) lgkmcnt(0)
	v_fmac_f32_e32 v7, v1, v2
.LBB235_19:
	s_or_b32 exec_lo, exec_lo, s1
	v_lshlrev_b32_e32 v1, 2, v0
	s_mov_b32 s0, exec_lo
	ds_write_b32 v1, v7
	s_waitcnt lgkmcnt(0)
	s_barrier
	buffer_gl0_inv
	v_cmpx_gt_u32_e32 0x80, v0
	s_cbranch_execz .LBB235_21
; %bb.20:
	ds_read2st64_b32 v[2:3], v1 offset1:2
	s_waitcnt lgkmcnt(0)
	v_add_f32_e32 v2, v3, v2
	ds_write_b32 v1, v2
.LBB235_21:
	s_or_b32 exec_lo, exec_lo, s0
	s_mov_b32 s0, exec_lo
	s_waitcnt lgkmcnt(0)
	s_barrier
	buffer_gl0_inv
	v_cmpx_gt_u32_e32 64, v0
	s_cbranch_execz .LBB235_23
; %bb.22:
	ds_read2st64_b32 v[2:3], v1 offset1:1
	s_waitcnt lgkmcnt(0)
	v_add_f32_e32 v2, v3, v2
	ds_write_b32 v1, v2
.LBB235_23:
	s_or_b32 exec_lo, exec_lo, s0
	s_mov_b32 s0, exec_lo
	s_waitcnt lgkmcnt(0)
	s_barrier
	buffer_gl0_inv
	v_cmpx_gt_u32_e32 32, v0
	s_cbranch_execz .LBB235_25
; %bb.24:
	ds_read2_b32 v[2:3], v1 offset1:32
	s_waitcnt lgkmcnt(0)
	v_add_f32_e32 v2, v3, v2
	ds_write_b32 v1, v2
.LBB235_25:
	s_or_b32 exec_lo, exec_lo, s0
	s_mov_b32 s0, exec_lo
	s_waitcnt lgkmcnt(0)
	s_barrier
	buffer_gl0_inv
	v_cmpx_gt_u32_e32 16, v0
	s_cbranch_execz .LBB235_27
; %bb.26:
	ds_read2_b32 v[2:3], v1 offset1:16
	s_waitcnt lgkmcnt(0)
	v_add_f32_e32 v2, v3, v2
	ds_write_b32 v1, v2
.LBB235_27:
	s_or_b32 exec_lo, exec_lo, s0
	s_mov_b32 s0, exec_lo
	s_waitcnt lgkmcnt(0)
	s_barrier
	buffer_gl0_inv
	v_cmpx_gt_u32_e32 8, v0
	s_cbranch_execz .LBB235_29
; %bb.28:
	ds_read2_b32 v[2:3], v1 offset1:8
	s_waitcnt lgkmcnt(0)
	v_add_f32_e32 v2, v3, v2
	ds_write_b32 v1, v2
.LBB235_29:
	s_or_b32 exec_lo, exec_lo, s0
	s_mov_b32 s0, exec_lo
	s_waitcnt lgkmcnt(0)
	s_barrier
	buffer_gl0_inv
	v_cmpx_gt_u32_e32 4, v0
	s_cbranch_execz .LBB235_31
; %bb.30:
	ds_read2_b32 v[2:3], v1 offset1:4
	s_waitcnt lgkmcnt(0)
	v_add_f32_e32 v2, v3, v2
	ds_write_b32 v1, v2
.LBB235_31:
	s_or_b32 exec_lo, exec_lo, s0
	s_mov_b32 s0, exec_lo
	s_waitcnt lgkmcnt(0)
	s_barrier
	buffer_gl0_inv
	v_cmpx_gt_u32_e32 2, v0
	s_cbranch_execz .LBB235_33
; %bb.32:
	ds_read2_b32 v[2:3], v1 offset1:2
	s_waitcnt lgkmcnt(0)
	v_add_f32_e32 v2, v3, v2
	ds_write_b32 v1, v2
.LBB235_33:
	s_or_b32 exec_lo, exec_lo, s0
	v_cmp_eq_u32_e32 vcc_lo, 0, v0
	s_waitcnt lgkmcnt(0)
	s_barrier
	buffer_gl0_inv
	s_and_saveexec_b32 s0, vcc_lo
	s_cbranch_execz .LBB235_35
; %bb.34:
	v_mov_b32_e32 v2, 0
	ds_read_b64 v[0:1], v2
	s_waitcnt lgkmcnt(0)
	v_add_f32_e32 v0, v1, v0
	ds_write_b32 v2, v0
.LBB235_35:
	s_or_b32 exec_lo, exec_lo, s0
	s_waitcnt lgkmcnt(0)
	s_barrier
	buffer_gl0_inv
                                        ; implicit-def: $vgpr1
                                        ; implicit-def: $sgpr10_sgpr11
	s_and_saveexec_b32 s0, vcc_lo
	s_cbranch_execz .LBB235_39
; %bb.36:
	v_mov_b32_e32 v0, 0
	v_cmp_eq_f32_e64 s1, s7, 0
	s_mul_hi_i32 s11, s15, s6
	s_mul_i32 s10, s15, s6
	ds_read_b32 v0, v0
	s_and_b32 vcc_lo, exec_lo, s1
	s_waitcnt lgkmcnt(0)
	v_mul_f32_e32 v1, s12, v0
	s_cbranch_vccnz .LBB235_38
; %bb.37:
	s_lshl_b64 s[2:3], s[10:11], 2
	s_add_u32 s2, s13, s2
	s_addc_u32 s3, s14, s3
	v_mov_b32_e32 v2, s2
	v_mov_b32_e32 v3, s3
	flat_load_dword v0, v[2:3]
	s_waitcnt vmcnt(0) lgkmcnt(0)
	v_fmac_f32_e32 v1, s7, v0
.LBB235_38:
	s_or_b32 s16, s16, exec_lo
.LBB235_39:
	s_or_b32 exec_lo, exec_lo, s0
.LBB235_40:
	s_and_saveexec_b32 s0, s16
	s_cbranch_execz .LBB235_42
; %bb.41:
	s_lshl_b64 s[0:1], s[10:11], 2
	s_add_u32 s0, s13, s0
	s_addc_u32 s1, s14, s1
	v_mov_b32_e32 v3, s1
	v_mov_b32_e32 v2, s0
	flat_store_dword v[2:3], v1
.LBB235_42:
	s_endpgm
	.section	.rodata,"a",@progbits
	.p2align	6, 0x0
	.amdhsa_kernel _ZL20rocblas_gemvt_kernelILb1ELi256EPKffKPfEviiT2_lPKT1_lilS7_lilS4_lPT3_lili
		.amdhsa_group_segment_fixed_size 1024
		.amdhsa_private_segment_fixed_size 0
		.amdhsa_kernarg_size 140
		.amdhsa_user_sgpr_count 6
		.amdhsa_user_sgpr_private_segment_buffer 1
		.amdhsa_user_sgpr_dispatch_ptr 0
		.amdhsa_user_sgpr_queue_ptr 0
		.amdhsa_user_sgpr_kernarg_segment_ptr 1
		.amdhsa_user_sgpr_dispatch_id 0
		.amdhsa_user_sgpr_flat_scratch_init 0
		.amdhsa_user_sgpr_private_segment_size 0
		.amdhsa_wavefront_size32 1
		.amdhsa_uses_dynamic_stack 0
		.amdhsa_system_sgpr_private_segment_wavefront_offset 0
		.amdhsa_system_sgpr_workgroup_id_x 1
		.amdhsa_system_sgpr_workgroup_id_y 0
		.amdhsa_system_sgpr_workgroup_id_z 1
		.amdhsa_system_sgpr_workgroup_info 0
		.amdhsa_system_vgpr_workitem_id 0
		.amdhsa_next_free_vgpr 10
		.amdhsa_next_free_sgpr 24
		.amdhsa_reserve_vcc 1
		.amdhsa_reserve_flat_scratch 0
		.amdhsa_float_round_mode_32 0
		.amdhsa_float_round_mode_16_64 0
		.amdhsa_float_denorm_mode_32 3
		.amdhsa_float_denorm_mode_16_64 3
		.amdhsa_dx10_clamp 1
		.amdhsa_ieee_mode 1
		.amdhsa_fp16_overflow 0
		.amdhsa_workgroup_processor_mode 1
		.amdhsa_memory_ordered 1
		.amdhsa_forward_progress 1
		.amdhsa_shared_vgpr_count 0
		.amdhsa_exception_fp_ieee_invalid_op 0
		.amdhsa_exception_fp_denorm_src 0
		.amdhsa_exception_fp_ieee_div_zero 0
		.amdhsa_exception_fp_ieee_overflow 0
		.amdhsa_exception_fp_ieee_underflow 0
		.amdhsa_exception_fp_ieee_inexact 0
		.amdhsa_exception_int_div_zero 0
	.end_amdhsa_kernel
	.section	.text._ZL20rocblas_gemvt_kernelILb1ELi256EPKffKPfEviiT2_lPKT1_lilS7_lilS4_lPT3_lili,"axG",@progbits,_ZL20rocblas_gemvt_kernelILb1ELi256EPKffKPfEviiT2_lPKT1_lilS7_lilS4_lPT3_lili,comdat
.Lfunc_end235:
	.size	_ZL20rocblas_gemvt_kernelILb1ELi256EPKffKPfEviiT2_lPKT1_lilS7_lilS4_lPT3_lili, .Lfunc_end235-_ZL20rocblas_gemvt_kernelILb1ELi256EPKffKPfEviiT2_lPKT1_lilS7_lilS4_lPT3_lili
                                        ; -- End function
	.set _ZL20rocblas_gemvt_kernelILb1ELi256EPKffKPfEviiT2_lPKT1_lilS7_lilS4_lPT3_lili.num_vgpr, 10
	.set _ZL20rocblas_gemvt_kernelILb1ELi256EPKffKPfEviiT2_lPKT1_lilS7_lilS4_lPT3_lili.num_agpr, 0
	.set _ZL20rocblas_gemvt_kernelILb1ELi256EPKffKPfEviiT2_lPKT1_lilS7_lilS4_lPT3_lili.numbered_sgpr, 24
	.set _ZL20rocblas_gemvt_kernelILb1ELi256EPKffKPfEviiT2_lPKT1_lilS7_lilS4_lPT3_lili.num_named_barrier, 0
	.set _ZL20rocblas_gemvt_kernelILb1ELi256EPKffKPfEviiT2_lPKT1_lilS7_lilS4_lPT3_lili.private_seg_size, 0
	.set _ZL20rocblas_gemvt_kernelILb1ELi256EPKffKPfEviiT2_lPKT1_lilS7_lilS4_lPT3_lili.uses_vcc, 1
	.set _ZL20rocblas_gemvt_kernelILb1ELi256EPKffKPfEviiT2_lPKT1_lilS7_lilS4_lPT3_lili.uses_flat_scratch, 0
	.set _ZL20rocblas_gemvt_kernelILb1ELi256EPKffKPfEviiT2_lPKT1_lilS7_lilS4_lPT3_lili.has_dyn_sized_stack, 0
	.set _ZL20rocblas_gemvt_kernelILb1ELi256EPKffKPfEviiT2_lPKT1_lilS7_lilS4_lPT3_lili.has_recursion, 0
	.set _ZL20rocblas_gemvt_kernelILb1ELi256EPKffKPfEviiT2_lPKT1_lilS7_lilS4_lPT3_lili.has_indirect_call, 0
	.section	.AMDGPU.csdata,"",@progbits
; Kernel info:
; codeLenInByte = 1436
; TotalNumSgprs: 26
; NumVgprs: 10
; ScratchSize: 0
; MemoryBound: 0
; FloatMode: 240
; IeeeMode: 1
; LDSByteSize: 1024 bytes/workgroup (compile time only)
; SGPRBlocks: 0
; VGPRBlocks: 1
; NumSGPRsForWavesPerEU: 26
; NumVGPRsForWavesPerEU: 10
; Occupancy: 16
; WaveLimiterHint : 1
; COMPUTE_PGM_RSRC2:SCRATCH_EN: 0
; COMPUTE_PGM_RSRC2:USER_SGPR: 6
; COMPUTE_PGM_RSRC2:TRAP_HANDLER: 0
; COMPUTE_PGM_RSRC2:TGID_X_EN: 1
; COMPUTE_PGM_RSRC2:TGID_Y_EN: 0
; COMPUTE_PGM_RSRC2:TGID_Z_EN: 1
; COMPUTE_PGM_RSRC2:TIDIG_COMP_CNT: 0
	.section	.text._ZL32rocblas_gemvt_warp_reduce_kernelILb1ELi1024EiPKfS1_KPfEviiT3_lPKT2_lT1_lS7_lS8_lS4_lPT4_lS8_li,"axG",@progbits,_ZL32rocblas_gemvt_warp_reduce_kernelILb1ELi1024EiPKfS1_KPfEviiT3_lPKT2_lT1_lS7_lS8_lS4_lPT4_lS8_li,comdat
	.globl	_ZL32rocblas_gemvt_warp_reduce_kernelILb1ELi1024EiPKfS1_KPfEviiT3_lPKT2_lT1_lS7_lS8_lS4_lPT4_lS8_li ; -- Begin function _ZL32rocblas_gemvt_warp_reduce_kernelILb1ELi1024EiPKfS1_KPfEviiT3_lPKT2_lT1_lS7_lS8_lS4_lPT4_lS8_li
	.p2align	8
	.type	_ZL32rocblas_gemvt_warp_reduce_kernelILb1ELi1024EiPKfS1_KPfEviiT3_lPKT2_lT1_lS7_lS8_lS4_lPT4_lS8_li,@function
_ZL32rocblas_gemvt_warp_reduce_kernelILb1ELi1024EiPKfS1_KPfEviiT3_lPKT2_lT1_lS7_lS8_lS4_lPT4_lS8_li: ; @_ZL32rocblas_gemvt_warp_reduce_kernelILb1ELi1024EiPKfS1_KPfEviiT3_lPKT2_lT1_lS7_lS8_lS4_lPT4_lS8_li
; %bb.0:
	s_clause 0x1
	s_load_dwordx8 s[16:23], s[4:5], 0x8
	s_load_dwordx8 s[8:15], s[4:5], 0x58
	s_mov_b32 s0, s7
	s_waitcnt lgkmcnt(0)
	s_mul_i32 s1, s19, s7
	s_mul_hi_u32 s3, s18, s7
	s_mul_i32 s2, s18, s7
	s_add_i32 s3, s3, s1
	s_mul_i32 s1, s11, s7
	s_lshl_b64 s[2:3], s[2:3], 2
	s_mul_hi_u32 s7, s10, s7
	s_add_u32 s2, s16, s2
	s_addc_u32 s3, s17, s3
	s_add_i32 s11, s7, s1
	s_mul_i32 s10, s10, s0
	s_lshl_b64 s[10:11], s[10:11], 2
	s_add_u32 s8, s8, s10
	s_addc_u32 s9, s9, s11
	s_load_dword s16, s[2:3], 0x0
	s_load_dword s7, s[8:9], 0x0
	s_waitcnt lgkmcnt(0)
	v_cmp_eq_f32_e64 s10, s16, 0
	v_cmp_eq_f32_e64 s1, s7, 1.0
	s_and_b32 s1, s10, s1
	s_and_b32 vcc_lo, exec_lo, s1
	s_mov_b32 s1, 0
	s_cbranch_vccnz .LBB236_33
; %bb.1:
	v_cmp_neq_f32_e64 s11, s16, 0
	s_mov_b64 s[2:3], 0
	s_and_b32 vcc_lo, exec_lo, s10
	s_mov_b64 s[8:9], 0
	s_cbranch_vccnz .LBB236_3
; %bb.2:
	s_lshl_b64 s[8:9], s[0:1], 3
	s_add_u32 s8, s20, s8
	s_addc_u32 s9, s21, s9
	s_lshl_b64 s[18:19], s[22:23], 2
	s_load_dwordx2 s[8:9], s[8:9], 0x0
	s_waitcnt lgkmcnt(0)
	s_add_u32 s8, s8, s18
	s_addc_u32 s9, s9, s19
.LBB236_3:
	s_andn2_b32 vcc_lo, exec_lo, s11
	s_cbranch_vccnz .LBB236_5
; %bb.4:
	s_load_dwordx4 s[20:23], s[4:5], 0x38
	s_lshl_b64 s[2:3], s[0:1], 3
	s_waitcnt lgkmcnt(0)
	s_add_u32 s2, s20, s2
	s_addc_u32 s3, s21, s3
	s_lshl_b64 s[18:19], s[22:23], 2
	s_load_dwordx2 s[2:3], s[2:3], 0x0
	s_waitcnt lgkmcnt(0)
	s_add_u32 s2, s2, s18
	s_addc_u32 s3, s3, s19
.LBB236_5:
	s_lshl_b64 s[0:1], s[0:1], 3
	s_add_u32 s0, s12, s0
	s_addc_u32 s1, s13, s1
	s_lshl_b64 s[14:15], s[14:15], 2
	s_load_dwordx2 s[12:13], s[0:1], 0x0
	s_load_dword s17, s[4:5], 0x78
	v_cmp_eq_u32_e64 s0, 0, v0
	s_waitcnt lgkmcnt(0)
	s_add_u32 s1, s12, s14
	s_addc_u32 s12, s13, s15
	s_andn2_b32 vcc_lo, exec_lo, s10
	s_cbranch_vccnz .LBB236_10
; %bb.6:
	s_mov_b32 s14, 0
	s_mov_b32 s13, 0
                                        ; implicit-def: $vgpr1
                                        ; implicit-def: $sgpr10_sgpr11
	s_and_saveexec_b32 s15, s0
	s_cbranch_execz .LBB236_11
; %bb.7:
	v_cmp_eq_f32_e64 s0, s7, 0
	v_mov_b32_e32 v1, 0
	s_mul_i32 s10, s17, s6
	s_ashr_i32 s11, s10, 31
	s_and_b32 vcc_lo, exec_lo, s0
	s_cbranch_vccnz .LBB236_9
; %bb.8:
	s_lshl_b64 s[18:19], s[10:11], 2
	s_add_u32 s18, s1, s18
	s_addc_u32 s19, s12, s19
	v_mov_b32_e32 v1, s18
	v_mov_b32_e32 v2, s19
	flat_load_dword v1, v[1:2]
	s_waitcnt vmcnt(0) lgkmcnt(0)
	v_mul_f32_e32 v1, s7, v1
.LBB236_9:
	s_mov_b32 s13, exec_lo
	s_or_b32 exec_lo, exec_lo, s15
	s_and_b32 vcc_lo, exec_lo, s14
	s_cbranch_vccnz .LBB236_12
	s_branch .LBB236_31
.LBB236_10:
	s_mov_b32 s13, 0
                                        ; implicit-def: $vgpr1
                                        ; implicit-def: $sgpr10_sgpr11
	s_cbranch_execnz .LBB236_12
	s_branch .LBB236_31
.LBB236_11:
	s_or_b32 exec_lo, exec_lo, s15
	s_and_b32 vcc_lo, exec_lo, s14
	s_cbranch_vccz .LBB236_31
.LBB236_12:
	s_clause 0x2
	s_load_dword s10, s[4:5], 0x0
	s_load_dword s0, s[4:5], 0x28
	;; [unrolled: 1-line block ×3, first 2 shown]
	v_mov_b32_e32 v7, 0
	s_waitcnt lgkmcnt(0)
	v_cmp_gt_i32_e32 vcc_lo, s10, v0
	s_mul_i32 s14, s0, s6
	s_ashr_i32 s0, s10, 31
	s_ashr_i32 s15, s14, 31
	s_lshr_b32 s0, s0, 22
	v_cndmask_b32_e32 v1, 0, v0, vcc_lo
	s_lshl_b64 s[14:15], s[14:15], 2
	s_add_i32 s0, s10, s0
	v_lshlrev_b32_e32 v1, 2, v1
	v_add_co_u32 v1, s4, s8, v1
	v_add_co_ci_u32_e64 v2, null, s9, 0, s4
	s_and_b32 s4, s0, 0xfffffc00
	v_add_co_u32 v1, vcc_lo, v1, s14
	v_add_co_ci_u32_e64 v2, null, s15, v2, vcc_lo
	s_mov_b32 s9, 0
	s_mov_b32 s8, exec_lo
	v_cmpx_gt_i32_e64 s4, v0
	s_cbranch_execz .LBB236_16
; %bb.13:
	v_mul_lo_u32 v3, v0, s5
	v_mov_b32_e32 v6, v2
	v_mov_b32_e32 v7, 0
	;; [unrolled: 1-line block ×4, first 2 shown]
	s_lshl_b32 s11, s5, 10
	.p2align	6
.LBB236_14:                             ; =>This Inner Loop Header: Depth=1
	v_ashrrev_i32_e32 v4, 31, v3
	v_add_nc_u32_e32 v8, 0x400, v8
	v_lshlrev_b64 v[9:10], 2, v[3:4]
	v_cmp_le_i32_e64 s0, s4, v8
	v_add_nc_u32_e32 v3, s11, v3
	s_or_b32 s9, s0, s9
	v_add_co_u32 v9, vcc_lo, s2, v9
	v_add_co_ci_u32_e64 v10, null, s3, v10, vcc_lo
	flat_load_dword v4, v[5:6]
	flat_load_dword v9, v[9:10]
	v_add_co_u32 v5, vcc_lo, 0x1000, v5
	v_add_co_ci_u32_e64 v6, null, 0, v6, vcc_lo
	s_waitcnt vmcnt(0) lgkmcnt(0)
	v_fmac_f32_e32 v7, v4, v9
	s_andn2_b32 exec_lo, exec_lo, s9
	s_cbranch_execnz .LBB236_14
; %bb.15:
	s_or_b32 exec_lo, exec_lo, s9
.LBB236_16:
	s_or_b32 exec_lo, exec_lo, s8
	v_or_b32_e32 v3, s4, v0
	s_mov_b32 s0, exec_lo
	v_cmpx_gt_i32_e64 s10, v3
	s_cbranch_execz .LBB236_18
; %bb.17:
	v_mul_lo_u32 v3, s5, v3
	s_ashr_i32 s5, s4, 31
	s_lshl_b64 s[4:5], s[4:5], 2
	v_add_co_u32 v1, vcc_lo, v1, s4
	v_add_co_ci_u32_e64 v2, null, s5, v2, vcc_lo
	v_ashrrev_i32_e32 v4, 31, v3
	v_lshlrev_b64 v[3:4], 2, v[3:4]
	v_add_co_u32 v3, vcc_lo, s2, v3
	v_add_co_ci_u32_e64 v4, null, s3, v4, vcc_lo
	flat_load_dword v1, v[1:2]
	flat_load_dword v2, v[3:4]
	s_waitcnt vmcnt(0) lgkmcnt(0)
	v_fmac_f32_e32 v7, v1, v2
.LBB236_18:
	s_or_b32 exec_lo, exec_lo, s0
	v_and_b32_e32 v8, 31, v0
	v_cmp_gt_u32_e32 vcc_lo, 32, v0
	v_lshlrev_b32_e32 v1, 2, v8
	s_and_saveexec_b32 s0, vcc_lo
; %bb.19:
	v_mov_b32_e32 v2, 0
	ds_write_b32 v1, v2
; %bb.20:
	s_or_b32 exec_lo, exec_lo, s0
	v_mbcnt_lo_u32_b32 v6, -1, 0
	s_mov_b32 s2, exec_lo
	s_waitcnt lgkmcnt(0)
	s_barrier
	buffer_gl0_inv
	v_lshl_or_b32 v2, v6, 2, 64
	v_cmp_gt_u32_e64 s0, 24, v6
	ds_bpermute_b32 v4, v2, v7
	v_cndmask_b32_e64 v3, 0, 8, s0
	v_cmp_gt_u32_e64 s0, 28, v6
	v_add_lshl_u32 v3, v3, v6, 2
	s_waitcnt lgkmcnt(0)
	v_add_f32_e32 v5, v7, v4
	v_cndmask_b32_e64 v4, 0, 4, s0
	v_cmp_gt_u32_e64 s0, 30, v6
	ds_bpermute_b32 v7, v3, v5
	v_add_lshl_u32 v4, v4, v6, 2
	s_waitcnt lgkmcnt(0)
	v_add_f32_e32 v7, v5, v7
	v_cndmask_b32_e64 v5, 0, 2, s0
	v_cmp_ne_u32_e64 s0, 31, v6
	ds_bpermute_b32 v9, v4, v7
	v_add_lshl_u32 v5, v5, v6, 2
	v_add_co_ci_u32_e64 v6, null, 0, v6, s0
	v_lshlrev_b32_e32 v6, 2, v6
	s_waitcnt lgkmcnt(0)
	v_add_f32_e32 v7, v7, v9
	ds_bpermute_b32 v9, v5, v7
	s_waitcnt lgkmcnt(0)
	v_add_f32_e32 v7, v7, v9
	ds_bpermute_b32 v9, v6, v7
	v_cmpx_eq_u32_e32 0, v8
	s_cbranch_execz .LBB236_22
; %bb.21:
	v_lshrrev_b32_e32 v8, 3, v0
	s_waitcnt lgkmcnt(0)
	v_add_f32_e32 v7, v7, v9
	v_and_b32_e32 v8, 0x7c, v8
	ds_write_b32 v8, v7
.LBB236_22:
	s_or_b32 exec_lo, exec_lo, s2
	v_mov_b32_e32 v7, 0
	s_waitcnt lgkmcnt(0)
	s_barrier
	buffer_gl0_inv
	s_and_saveexec_b32 s0, vcc_lo
; %bb.23:
	ds_read_b32 v7, v1
; %bb.24:
	s_or_b32 exec_lo, exec_lo, s0
	s_and_saveexec_b32 s0, vcc_lo
	s_cbranch_execz .LBB236_26
; %bb.25:
	s_waitcnt lgkmcnt(0)
	ds_bpermute_b32 v1, v2, v7
	s_waitcnt lgkmcnt(0)
	v_add_f32_e32 v1, v7, v1
	ds_bpermute_b32 v2, v3, v1
	s_waitcnt lgkmcnt(0)
	v_add_f32_e32 v1, v1, v2
	;; [unrolled: 3-line block ×5, first 2 shown]
.LBB236_26:
	s_or_b32 exec_lo, exec_lo, s0
	s_mov_b32 s0, exec_lo
                                        ; implicit-def: $vgpr1
                                        ; implicit-def: $sgpr10_sgpr11
	v_cmpx_eq_u32_e32 0, v0
	s_cbranch_execz .LBB236_30
; %bb.27:
	v_cmp_eq_f32_e64 s2, s7, 0
	s_waitcnt lgkmcnt(0)
	v_mul_f32_e32 v1, s16, v7
	s_mul_i32 s10, s17, s6
	s_ashr_i32 s11, s10, 31
	s_and_b32 vcc_lo, exec_lo, s2
	s_cbranch_vccnz .LBB236_29
; %bb.28:
	s_lshl_b64 s[2:3], s[10:11], 2
	s_add_u32 s2, s1, s2
	s_addc_u32 s3, s12, s3
	v_mov_b32_e32 v2, s2
	v_mov_b32_e32 v3, s3
	flat_load_dword v0, v[2:3]
	s_waitcnt vmcnt(0) lgkmcnt(0)
	v_fmac_f32_e32 v1, s7, v0
.LBB236_29:
	s_or_b32 s13, s13, exec_lo
.LBB236_30:
	s_or_b32 exec_lo, exec_lo, s0
.LBB236_31:
	s_and_saveexec_b32 s0, s13
	s_cbranch_execz .LBB236_33
; %bb.32:
	s_lshl_b64 s[2:3], s[10:11], 2
	s_add_u32 s0, s1, s2
	s_addc_u32 s1, s12, s3
	v_mov_b32_e32 v3, s1
	v_mov_b32_e32 v2, s0
	flat_store_dword v[2:3], v1
.LBB236_33:
	s_endpgm
	.section	.rodata,"a",@progbits
	.p2align	6, 0x0
	.amdhsa_kernel _ZL32rocblas_gemvt_warp_reduce_kernelILb1ELi1024EiPKfS1_KPfEviiT3_lPKT2_lT1_lS7_lS8_lS4_lPT4_lS8_li
		.amdhsa_group_segment_fixed_size 128
		.amdhsa_private_segment_fixed_size 0
		.amdhsa_kernarg_size 140
		.amdhsa_user_sgpr_count 6
		.amdhsa_user_sgpr_private_segment_buffer 1
		.amdhsa_user_sgpr_dispatch_ptr 0
		.amdhsa_user_sgpr_queue_ptr 0
		.amdhsa_user_sgpr_kernarg_segment_ptr 1
		.amdhsa_user_sgpr_dispatch_id 0
		.amdhsa_user_sgpr_flat_scratch_init 0
		.amdhsa_user_sgpr_private_segment_size 0
		.amdhsa_wavefront_size32 1
		.amdhsa_uses_dynamic_stack 0
		.amdhsa_system_sgpr_private_segment_wavefront_offset 0
		.amdhsa_system_sgpr_workgroup_id_x 1
		.amdhsa_system_sgpr_workgroup_id_y 0
		.amdhsa_system_sgpr_workgroup_id_z 1
		.amdhsa_system_sgpr_workgroup_info 0
		.amdhsa_system_vgpr_workitem_id 0
		.amdhsa_next_free_vgpr 11
		.amdhsa_next_free_sgpr 24
		.amdhsa_reserve_vcc 1
		.amdhsa_reserve_flat_scratch 0
		.amdhsa_float_round_mode_32 0
		.amdhsa_float_round_mode_16_64 0
		.amdhsa_float_denorm_mode_32 3
		.amdhsa_float_denorm_mode_16_64 3
		.amdhsa_dx10_clamp 1
		.amdhsa_ieee_mode 1
		.amdhsa_fp16_overflow 0
		.amdhsa_workgroup_processor_mode 1
		.amdhsa_memory_ordered 1
		.amdhsa_forward_progress 1
		.amdhsa_shared_vgpr_count 0
		.amdhsa_exception_fp_ieee_invalid_op 0
		.amdhsa_exception_fp_denorm_src 0
		.amdhsa_exception_fp_ieee_div_zero 0
		.amdhsa_exception_fp_ieee_overflow 0
		.amdhsa_exception_fp_ieee_underflow 0
		.amdhsa_exception_fp_ieee_inexact 0
		.amdhsa_exception_int_div_zero 0
	.end_amdhsa_kernel
	.section	.text._ZL32rocblas_gemvt_warp_reduce_kernelILb1ELi1024EiPKfS1_KPfEviiT3_lPKT2_lT1_lS7_lS8_lS4_lPT4_lS8_li,"axG",@progbits,_ZL32rocblas_gemvt_warp_reduce_kernelILb1ELi1024EiPKfS1_KPfEviiT3_lPKT2_lT1_lS7_lS8_lS4_lPT4_lS8_li,comdat
.Lfunc_end236:
	.size	_ZL32rocblas_gemvt_warp_reduce_kernelILb1ELi1024EiPKfS1_KPfEviiT3_lPKT2_lT1_lS7_lS8_lS4_lPT4_lS8_li, .Lfunc_end236-_ZL32rocblas_gemvt_warp_reduce_kernelILb1ELi1024EiPKfS1_KPfEviiT3_lPKT2_lT1_lS7_lS8_lS4_lPT4_lS8_li
                                        ; -- End function
	.set _ZL32rocblas_gemvt_warp_reduce_kernelILb1ELi1024EiPKfS1_KPfEviiT3_lPKT2_lT1_lS7_lS8_lS4_lPT4_lS8_li.num_vgpr, 11
	.set _ZL32rocblas_gemvt_warp_reduce_kernelILb1ELi1024EiPKfS1_KPfEviiT3_lPKT2_lT1_lS7_lS8_lS4_lPT4_lS8_li.num_agpr, 0
	.set _ZL32rocblas_gemvt_warp_reduce_kernelILb1ELi1024EiPKfS1_KPfEviiT3_lPKT2_lT1_lS7_lS8_lS4_lPT4_lS8_li.numbered_sgpr, 24
	.set _ZL32rocblas_gemvt_warp_reduce_kernelILb1ELi1024EiPKfS1_KPfEviiT3_lPKT2_lT1_lS7_lS8_lS4_lPT4_lS8_li.num_named_barrier, 0
	.set _ZL32rocblas_gemvt_warp_reduce_kernelILb1ELi1024EiPKfS1_KPfEviiT3_lPKT2_lT1_lS7_lS8_lS4_lPT4_lS8_li.private_seg_size, 0
	.set _ZL32rocblas_gemvt_warp_reduce_kernelILb1ELi1024EiPKfS1_KPfEviiT3_lPKT2_lT1_lS7_lS8_lS4_lPT4_lS8_li.uses_vcc, 1
	.set _ZL32rocblas_gemvt_warp_reduce_kernelILb1ELi1024EiPKfS1_KPfEviiT3_lPKT2_lT1_lS7_lS8_lS4_lPT4_lS8_li.uses_flat_scratch, 0
	.set _ZL32rocblas_gemvt_warp_reduce_kernelILb1ELi1024EiPKfS1_KPfEviiT3_lPKT2_lT1_lS7_lS8_lS4_lPT4_lS8_li.has_dyn_sized_stack, 0
	.set _ZL32rocblas_gemvt_warp_reduce_kernelILb1ELi1024EiPKfS1_KPfEviiT3_lPKT2_lT1_lS7_lS8_lS4_lPT4_lS8_li.has_recursion, 0
	.set _ZL32rocblas_gemvt_warp_reduce_kernelILb1ELi1024EiPKfS1_KPfEviiT3_lPKT2_lT1_lS7_lS8_lS4_lPT4_lS8_li.has_indirect_call, 0
	.section	.AMDGPU.csdata,"",@progbits
; Kernel info:
; codeLenInByte = 1392
; TotalNumSgprs: 26
; NumVgprs: 11
; ScratchSize: 0
; MemoryBound: 0
; FloatMode: 240
; IeeeMode: 1
; LDSByteSize: 128 bytes/workgroup (compile time only)
; SGPRBlocks: 0
; VGPRBlocks: 1
; NumSGPRsForWavesPerEU: 26
; NumVGPRsForWavesPerEU: 11
; Occupancy: 16
; WaveLimiterHint : 1
; COMPUTE_PGM_RSRC2:SCRATCH_EN: 0
; COMPUTE_PGM_RSRC2:USER_SGPR: 6
; COMPUTE_PGM_RSRC2:TRAP_HANDLER: 0
; COMPUTE_PGM_RSRC2:TGID_X_EN: 1
; COMPUTE_PGM_RSRC2:TGID_Y_EN: 0
; COMPUTE_PGM_RSRC2:TGID_Z_EN: 1
; COMPUTE_PGM_RSRC2:TIDIG_COMP_CNT: 0
	.section	.text._ZL32rocblas_gemvt_warp_reduce_kernelILb1ELi1024ElPKfS1_KPfEviiT3_lPKT2_lT1_lS7_lS8_lS4_lPT4_lS8_li,"axG",@progbits,_ZL32rocblas_gemvt_warp_reduce_kernelILb1ELi1024ElPKfS1_KPfEviiT3_lPKT2_lT1_lS7_lS8_lS4_lPT4_lS8_li,comdat
	.globl	_ZL32rocblas_gemvt_warp_reduce_kernelILb1ELi1024ElPKfS1_KPfEviiT3_lPKT2_lT1_lS7_lS8_lS4_lPT4_lS8_li ; -- Begin function _ZL32rocblas_gemvt_warp_reduce_kernelILb1ELi1024ElPKfS1_KPfEviiT3_lPKT2_lT1_lS7_lS8_lS4_lPT4_lS8_li
	.p2align	8
	.type	_ZL32rocblas_gemvt_warp_reduce_kernelILb1ELi1024ElPKfS1_KPfEviiT3_lPKT2_lT1_lS7_lS8_lS4_lPT4_lS8_li,@function
_ZL32rocblas_gemvt_warp_reduce_kernelILb1ELi1024ElPKfS1_KPfEviiT3_lPKT2_lT1_lS7_lS8_lS4_lPT4_lS8_li: ; @_ZL32rocblas_gemvt_warp_reduce_kernelILb1ELi1024ElPKfS1_KPfEviiT3_lPKT2_lT1_lS7_lS8_lS4_lPT4_lS8_li
; %bb.0:
	s_clause 0x1
	s_load_dwordx8 s[16:23], s[4:5], 0x8
	s_load_dwordx8 s[8:15], s[4:5], 0x58
	s_mov_b32 s26, s7
	s_mov_b32 s27, 0
	s_waitcnt lgkmcnt(0)
	s_mul_i32 s1, s19, s7
	s_mul_hi_u32 s2, s18, s7
	s_mul_i32 s0, s18, s7
	s_add_i32 s1, s2, s1
	s_mul_i32 s2, s11, s7
	s_lshl_b64 s[0:1], s[0:1], 2
	s_mul_hi_u32 s3, s10, s7
	s_add_u32 s0, s16, s0
	s_addc_u32 s1, s17, s1
	s_add_i32 s3, s3, s2
	s_mul_i32 s2, s10, s7
	s_lshl_b64 s[2:3], s[2:3], 2
	s_add_u32 s2, s8, s2
	s_addc_u32 s3, s9, s3
	s_load_dword s28, s[0:1], 0x0
	s_load_dword s7, s[2:3], 0x0
	s_waitcnt lgkmcnt(0)
	v_cmp_eq_f32_e64 s29, s28, 0
	v_cmp_eq_f32_e64 s0, s7, 1.0
	s_and_b32 s0, s29, s0
	s_and_b32 vcc_lo, exec_lo, s0
	s_cbranch_vccnz .LBB237_33
; %bb.1:
	s_clause 0x1
	s_load_dwordx2 s[18:19], s[4:5], 0x28
	s_load_dwordx2 s[8:9], s[4:5], 0x78
	v_cmp_neq_f32_e64 s30, s28, 0
	s_mov_b64 s[10:11], 0
	s_and_b32 vcc_lo, exec_lo, s29
	s_mov_b64 s[24:25], 0
	s_cbranch_vccnz .LBB237_3
; %bb.2:
	s_lshl_b64 s[0:1], s[26:27], 3
	s_add_u32 s0, s20, s0
	s_addc_u32 s1, s21, s1
	s_lshl_b64 s[2:3], s[22:23], 2
	s_load_dwordx2 s[0:1], s[0:1], 0x0
	s_waitcnt lgkmcnt(0)
	s_add_u32 s24, s0, s2
	s_addc_u32 s25, s1, s3
.LBB237_3:
	s_clause 0x1
	s_load_dwordx4 s[0:3], s[4:5], 0x38
	s_load_dwordx2 s[16:17], s[4:5], 0x48
	s_andn2_b32 vcc_lo, exec_lo, s30
	s_cbranch_vccnz .LBB237_5
; %bb.4:
	s_lshl_b64 s[10:11], s[26:27], 3
	s_waitcnt lgkmcnt(0)
	s_add_u32 s0, s0, s10
	s_addc_u32 s1, s1, s11
	s_lshl_b64 s[2:3], s[2:3], 2
	s_load_dwordx2 s[0:1], s[0:1], 0x0
	s_waitcnt lgkmcnt(0)
	s_add_u32 s10, s0, s2
	s_addc_u32 s11, s1, s3
.LBB237_5:
	s_waitcnt lgkmcnt(0)
	s_lshl_b64 s[0:1], s[26:27], 3
	s_add_u32 s0, s12, s0
	s_addc_u32 s1, s13, s1
	s_lshl_b64 s[12:13], s[14:15], 2
	s_load_dwordx2 s[2:3], s[0:1], 0x0
	v_cmp_eq_u32_e64 s0, 0, v0
	s_waitcnt lgkmcnt(0)
	s_add_u32 s1, s2, s12
	s_addc_u32 s12, s3, s13
	s_andn2_b32 vcc_lo, exec_lo, s29
	s_cbranch_vccnz .LBB237_10
; %bb.6:
	s_mov_b32 s14, 0
	s_mov_b32 s13, 0
                                        ; implicit-def: $vgpr1
                                        ; implicit-def: $sgpr2_sgpr3
	s_and_saveexec_b32 s15, s0
	s_cbranch_execz .LBB237_11
; %bb.7:
	s_ashr_i32 s0, s6, 31
	v_cmp_eq_f32_e64 s13, s7, 0
	s_mul_hi_u32 s2, s8, s6
	s_mul_i32 s0, s8, s0
	v_mov_b32_e32 v1, 0
	s_add_i32 s0, s2, s0
	s_mul_i32 s2, s9, s6
	s_and_b32 vcc_lo, exec_lo, s13
	s_add_i32 s3, s0, s2
	s_mul_i32 s2, s8, s6
	s_cbranch_vccnz .LBB237_9
; %bb.8:
	s_lshl_b64 s[20:21], s[2:3], 2
	s_add_u32 s20, s1, s20
	s_addc_u32 s21, s12, s21
	v_mov_b32_e32 v1, s20
	v_mov_b32_e32 v2, s21
	flat_load_dword v1, v[1:2]
	s_waitcnt vmcnt(0) lgkmcnt(0)
	v_mul_f32_e32 v1, s7, v1
.LBB237_9:
	s_mov_b32 s13, exec_lo
	s_or_b32 exec_lo, exec_lo, s15
	s_and_b32 vcc_lo, exec_lo, s14
	s_cbranch_vccnz .LBB237_12
	s_branch .LBB237_31
.LBB237_10:
	s_mov_b32 s13, 0
                                        ; implicit-def: $vgpr1
                                        ; implicit-def: $sgpr2_sgpr3
	s_cbranch_execnz .LBB237_12
	s_branch .LBB237_31
.LBB237_11:
	s_or_b32 exec_lo, exec_lo, s15
	s_and_b32 vcc_lo, exec_lo, s14
	s_cbranch_vccz .LBB237_31
.LBB237_12:
	s_load_dword s3, s[4:5], 0x0
	s_ashr_i32 s14, s6, 31
	s_mul_hi_u32 s0, s18, s6
	s_mul_i32 s4, s18, s14
	s_mul_i32 s2, s19, s6
	s_add_i32 s0, s0, s4
	s_mul_i32 s4, s18, s6
	s_add_i32 s5, s0, s2
	v_mov_b32_e32 v7, 0
	s_lshl_b64 s[4:5], s[4:5], 2
	s_mov_b32 s18, 0
	s_mov_b32 s15, exec_lo
	s_waitcnt lgkmcnt(0)
	v_cmp_gt_i32_e32 vcc_lo, s3, v0
	s_ashr_i32 s0, s3, 31
	s_lshr_b32 s0, s0, 22
	s_add_i32 s0, s3, s0
	v_cndmask_b32_e32 v1, 0, v0, vcc_lo
	v_lshlrev_b32_e32 v1, 2, v1
	v_add_co_u32 v1, s2, s24, v1
	v_add_co_ci_u32_e64 v2, null, s25, 0, s2
	s_and_b32 s2, s0, 0xfffffc00
	v_add_co_u32 v1, vcc_lo, v1, s4
	v_add_co_ci_u32_e64 v2, null, s5, v2, vcc_lo
	v_cmpx_gt_i32_e64 s2, v0
	s_cbranch_execz .LBB237_16
; %bb.13:
	v_mad_u64_u32 v[3:4], null, s16, v0, 0
	v_mov_b32_e32 v7, 0
	v_mov_b32_e32 v8, v0
	s_lshl_b64 s[4:5], s[16:17], 12
	v_mad_u64_u32 v[4:5], null, s17, v0, v[4:5]
	v_lshlrev_b64 v[5:6], 2, v[3:4]
	v_mov_b32_e32 v4, v2
	v_mov_b32_e32 v3, v1
	v_add_co_u32 v5, vcc_lo, s10, v5
	v_add_co_ci_u32_e64 v6, null, s11, v6, vcc_lo
	.p2align	6
.LBB237_14:                             ; =>This Inner Loop Header: Depth=1
	flat_load_dword v9, v[3:4]
	flat_load_dword v10, v[5:6]
	v_add_nc_u32_e32 v8, 0x400, v8
	v_add_co_u32 v3, vcc_lo, 0x1000, v3
	v_add_co_ci_u32_e64 v4, null, 0, v4, vcc_lo
	v_add_co_u32 v5, vcc_lo, v5, s4
	v_cmp_le_i32_e64 s0, s2, v8
	v_add_co_ci_u32_e64 v6, null, s5, v6, vcc_lo
	s_or_b32 s18, s0, s18
	s_waitcnt vmcnt(0) lgkmcnt(0)
	v_fmac_f32_e32 v7, v9, v10
	s_andn2_b32 exec_lo, exec_lo, s18
	s_cbranch_execnz .LBB237_14
; %bb.15:
	s_or_b32 exec_lo, exec_lo, s18
.LBB237_16:
	s_or_b32 exec_lo, exec_lo, s15
	v_or_b32_e32 v3, s2, v0
	s_mov_b32 s0, exec_lo
	v_cmpx_gt_i32_e64 s3, v3
	s_cbranch_execz .LBB237_18
; %bb.17:
	v_ashrrev_i32_e32 v5, 31, v3
	v_mul_lo_u32 v6, s17, v3
	v_mad_u64_u32 v[3:4], null, s16, v3, 0
	s_ashr_i32 s3, s2, 31
	v_mul_lo_u32 v5, s16, v5
	s_lshl_b64 s[2:3], s[2:3], 2
	v_add_co_u32 v1, vcc_lo, v1, s2
	v_add_co_ci_u32_e64 v2, null, s3, v2, vcc_lo
	v_add3_u32 v4, v4, v5, v6
	v_lshlrev_b64 v[3:4], 2, v[3:4]
	v_add_co_u32 v3, vcc_lo, s10, v3
	v_add_co_ci_u32_e64 v4, null, s11, v4, vcc_lo
	flat_load_dword v1, v[1:2]
	flat_load_dword v2, v[3:4]
	s_waitcnt vmcnt(0) lgkmcnt(0)
	v_fmac_f32_e32 v7, v1, v2
.LBB237_18:
	s_or_b32 exec_lo, exec_lo, s0
	v_and_b32_e32 v8, 31, v0
	v_cmp_gt_u32_e32 vcc_lo, 32, v0
	v_lshlrev_b32_e32 v1, 2, v8
	s_and_saveexec_b32 s0, vcc_lo
; %bb.19:
	v_mov_b32_e32 v2, 0
	ds_write_b32 v1, v2
; %bb.20:
	s_or_b32 exec_lo, exec_lo, s0
	v_mbcnt_lo_u32_b32 v6, -1, 0
	s_mov_b32 s2, exec_lo
	s_waitcnt lgkmcnt(0)
	s_barrier
	buffer_gl0_inv
	v_lshl_or_b32 v2, v6, 2, 64
	v_cmp_gt_u32_e64 s0, 24, v6
	ds_bpermute_b32 v4, v2, v7
	v_cndmask_b32_e64 v3, 0, 8, s0
	v_cmp_gt_u32_e64 s0, 28, v6
	v_add_lshl_u32 v3, v3, v6, 2
	s_waitcnt lgkmcnt(0)
	v_add_f32_e32 v5, v7, v4
	v_cndmask_b32_e64 v4, 0, 4, s0
	v_cmp_gt_u32_e64 s0, 30, v6
	ds_bpermute_b32 v7, v3, v5
	v_add_lshl_u32 v4, v4, v6, 2
	s_waitcnt lgkmcnt(0)
	v_add_f32_e32 v7, v5, v7
	v_cndmask_b32_e64 v5, 0, 2, s0
	v_cmp_ne_u32_e64 s0, 31, v6
	ds_bpermute_b32 v9, v4, v7
	v_add_lshl_u32 v5, v5, v6, 2
	v_add_co_ci_u32_e64 v6, null, 0, v6, s0
	v_lshlrev_b32_e32 v6, 2, v6
	s_waitcnt lgkmcnt(0)
	v_add_f32_e32 v7, v7, v9
	ds_bpermute_b32 v9, v5, v7
	s_waitcnt lgkmcnt(0)
	v_add_f32_e32 v7, v7, v9
	ds_bpermute_b32 v9, v6, v7
	v_cmpx_eq_u32_e32 0, v8
	s_cbranch_execz .LBB237_22
; %bb.21:
	v_lshrrev_b32_e32 v8, 3, v0
	s_waitcnt lgkmcnt(0)
	v_add_f32_e32 v7, v7, v9
	v_and_b32_e32 v8, 0x7c, v8
	ds_write_b32 v8, v7
.LBB237_22:
	s_or_b32 exec_lo, exec_lo, s2
	v_mov_b32_e32 v7, 0
	s_waitcnt lgkmcnt(0)
	s_barrier
	buffer_gl0_inv
	s_and_saveexec_b32 s0, vcc_lo
; %bb.23:
	ds_read_b32 v7, v1
; %bb.24:
	s_or_b32 exec_lo, exec_lo, s0
	s_and_saveexec_b32 s0, vcc_lo
	s_cbranch_execz .LBB237_26
; %bb.25:
	s_waitcnt lgkmcnt(0)
	ds_bpermute_b32 v1, v2, v7
	s_waitcnt lgkmcnt(0)
	v_add_f32_e32 v1, v7, v1
	ds_bpermute_b32 v2, v3, v1
	s_waitcnt lgkmcnt(0)
	v_add_f32_e32 v1, v1, v2
	;; [unrolled: 3-line block ×5, first 2 shown]
.LBB237_26:
	s_or_b32 exec_lo, exec_lo, s0
	s_mov_b32 s0, exec_lo
                                        ; implicit-def: $vgpr1
                                        ; implicit-def: $sgpr2_sgpr3
	v_cmpx_eq_u32_e32 0, v0
	s_cbranch_execz .LBB237_30
; %bb.27:
	v_cmp_eq_f32_e64 s4, s7, 0
	s_mul_i32 s2, s8, s14
	s_mul_hi_u32 s3, s8, s6
	s_waitcnt lgkmcnt(0)
	v_mul_f32_e32 v1, s28, v7
	s_add_i32 s2, s3, s2
	s_mul_i32 s3, s9, s6
	s_and_b32 vcc_lo, exec_lo, s4
	s_add_i32 s3, s2, s3
	s_mul_i32 s2, s8, s6
	s_cbranch_vccnz .LBB237_29
; %bb.28:
	s_lshl_b64 s[4:5], s[2:3], 2
	s_add_u32 s4, s1, s4
	s_addc_u32 s5, s12, s5
	v_mov_b32_e32 v2, s4
	v_mov_b32_e32 v3, s5
	flat_load_dword v0, v[2:3]
	s_waitcnt vmcnt(0) lgkmcnt(0)
	v_fmac_f32_e32 v1, s7, v0
.LBB237_29:
	s_or_b32 s13, s13, exec_lo
.LBB237_30:
	s_or_b32 exec_lo, exec_lo, s0
.LBB237_31:
	s_and_saveexec_b32 s0, s13
	s_cbranch_execz .LBB237_33
; %bb.32:
	s_lshl_b64 s[2:3], s[2:3], 2
	s_add_u32 s0, s1, s2
	s_addc_u32 s1, s12, s3
	v_mov_b32_e32 v3, s1
	v_mov_b32_e32 v2, s0
	flat_store_dword v[2:3], v1
.LBB237_33:
	s_endpgm
	.section	.rodata,"a",@progbits
	.p2align	6, 0x0
	.amdhsa_kernel _ZL32rocblas_gemvt_warp_reduce_kernelILb1ELi1024ElPKfS1_KPfEviiT3_lPKT2_lT1_lS7_lS8_lS4_lPT4_lS8_li
		.amdhsa_group_segment_fixed_size 128
		.amdhsa_private_segment_fixed_size 0
		.amdhsa_kernarg_size 140
		.amdhsa_user_sgpr_count 6
		.amdhsa_user_sgpr_private_segment_buffer 1
		.amdhsa_user_sgpr_dispatch_ptr 0
		.amdhsa_user_sgpr_queue_ptr 0
		.amdhsa_user_sgpr_kernarg_segment_ptr 1
		.amdhsa_user_sgpr_dispatch_id 0
		.amdhsa_user_sgpr_flat_scratch_init 0
		.amdhsa_user_sgpr_private_segment_size 0
		.amdhsa_wavefront_size32 1
		.amdhsa_uses_dynamic_stack 0
		.amdhsa_system_sgpr_private_segment_wavefront_offset 0
		.amdhsa_system_sgpr_workgroup_id_x 1
		.amdhsa_system_sgpr_workgroup_id_y 0
		.amdhsa_system_sgpr_workgroup_id_z 1
		.amdhsa_system_sgpr_workgroup_info 0
		.amdhsa_system_vgpr_workitem_id 0
		.amdhsa_next_free_vgpr 11
		.amdhsa_next_free_sgpr 31
		.amdhsa_reserve_vcc 1
		.amdhsa_reserve_flat_scratch 0
		.amdhsa_float_round_mode_32 0
		.amdhsa_float_round_mode_16_64 0
		.amdhsa_float_denorm_mode_32 3
		.amdhsa_float_denorm_mode_16_64 3
		.amdhsa_dx10_clamp 1
		.amdhsa_ieee_mode 1
		.amdhsa_fp16_overflow 0
		.amdhsa_workgroup_processor_mode 1
		.amdhsa_memory_ordered 1
		.amdhsa_forward_progress 1
		.amdhsa_shared_vgpr_count 0
		.amdhsa_exception_fp_ieee_invalid_op 0
		.amdhsa_exception_fp_denorm_src 0
		.amdhsa_exception_fp_ieee_div_zero 0
		.amdhsa_exception_fp_ieee_overflow 0
		.amdhsa_exception_fp_ieee_underflow 0
		.amdhsa_exception_fp_ieee_inexact 0
		.amdhsa_exception_int_div_zero 0
	.end_amdhsa_kernel
	.section	.text._ZL32rocblas_gemvt_warp_reduce_kernelILb1ELi1024ElPKfS1_KPfEviiT3_lPKT2_lT1_lS7_lS8_lS4_lPT4_lS8_li,"axG",@progbits,_ZL32rocblas_gemvt_warp_reduce_kernelILb1ELi1024ElPKfS1_KPfEviiT3_lPKT2_lT1_lS7_lS8_lS4_lPT4_lS8_li,comdat
.Lfunc_end237:
	.size	_ZL32rocblas_gemvt_warp_reduce_kernelILb1ELi1024ElPKfS1_KPfEviiT3_lPKT2_lT1_lS7_lS8_lS4_lPT4_lS8_li, .Lfunc_end237-_ZL32rocblas_gemvt_warp_reduce_kernelILb1ELi1024ElPKfS1_KPfEviiT3_lPKT2_lT1_lS7_lS8_lS4_lPT4_lS8_li
                                        ; -- End function
	.set _ZL32rocblas_gemvt_warp_reduce_kernelILb1ELi1024ElPKfS1_KPfEviiT3_lPKT2_lT1_lS7_lS8_lS4_lPT4_lS8_li.num_vgpr, 11
	.set _ZL32rocblas_gemvt_warp_reduce_kernelILb1ELi1024ElPKfS1_KPfEviiT3_lPKT2_lT1_lS7_lS8_lS4_lPT4_lS8_li.num_agpr, 0
	.set _ZL32rocblas_gemvt_warp_reduce_kernelILb1ELi1024ElPKfS1_KPfEviiT3_lPKT2_lT1_lS7_lS8_lS4_lPT4_lS8_li.numbered_sgpr, 31
	.set _ZL32rocblas_gemvt_warp_reduce_kernelILb1ELi1024ElPKfS1_KPfEviiT3_lPKT2_lT1_lS7_lS8_lS4_lPT4_lS8_li.num_named_barrier, 0
	.set _ZL32rocblas_gemvt_warp_reduce_kernelILb1ELi1024ElPKfS1_KPfEviiT3_lPKT2_lT1_lS7_lS8_lS4_lPT4_lS8_li.private_seg_size, 0
	.set _ZL32rocblas_gemvt_warp_reduce_kernelILb1ELi1024ElPKfS1_KPfEviiT3_lPKT2_lT1_lS7_lS8_lS4_lPT4_lS8_li.uses_vcc, 1
	.set _ZL32rocblas_gemvt_warp_reduce_kernelILb1ELi1024ElPKfS1_KPfEviiT3_lPKT2_lT1_lS7_lS8_lS4_lPT4_lS8_li.uses_flat_scratch, 0
	.set _ZL32rocblas_gemvt_warp_reduce_kernelILb1ELi1024ElPKfS1_KPfEviiT3_lPKT2_lT1_lS7_lS8_lS4_lPT4_lS8_li.has_dyn_sized_stack, 0
	.set _ZL32rocblas_gemvt_warp_reduce_kernelILb1ELi1024ElPKfS1_KPfEviiT3_lPKT2_lT1_lS7_lS8_lS4_lPT4_lS8_li.has_recursion, 0
	.set _ZL32rocblas_gemvt_warp_reduce_kernelILb1ELi1024ElPKfS1_KPfEviiT3_lPKT2_lT1_lS7_lS8_lS4_lPT4_lS8_li.has_indirect_call, 0
	.section	.AMDGPU.csdata,"",@progbits
; Kernel info:
; codeLenInByte = 1480
; TotalNumSgprs: 33
; NumVgprs: 11
; ScratchSize: 0
; MemoryBound: 0
; FloatMode: 240
; IeeeMode: 1
; LDSByteSize: 128 bytes/workgroup (compile time only)
; SGPRBlocks: 0
; VGPRBlocks: 1
; NumSGPRsForWavesPerEU: 33
; NumVGPRsForWavesPerEU: 11
; Occupancy: 16
; WaveLimiterHint : 1
; COMPUTE_PGM_RSRC2:SCRATCH_EN: 0
; COMPUTE_PGM_RSRC2:USER_SGPR: 6
; COMPUTE_PGM_RSRC2:TRAP_HANDLER: 0
; COMPUTE_PGM_RSRC2:TGID_X_EN: 1
; COMPUTE_PGM_RSRC2:TGID_Y_EN: 0
; COMPUTE_PGM_RSRC2:TGID_Z_EN: 1
; COMPUTE_PGM_RSRC2:TIDIG_COMP_CNT: 0
	.section	.text._ZL32rocblas_gemvt_warp_reduce_kernelILb1ELi1024EiPKffKPfEviiT3_lPKT2_lT1_lS7_lS8_lS4_lPT4_lS8_li,"axG",@progbits,_ZL32rocblas_gemvt_warp_reduce_kernelILb1ELi1024EiPKffKPfEviiT3_lPKT2_lT1_lS7_lS8_lS4_lPT4_lS8_li,comdat
	.globl	_ZL32rocblas_gemvt_warp_reduce_kernelILb1ELi1024EiPKffKPfEviiT3_lPKT2_lT1_lS7_lS8_lS4_lPT4_lS8_li ; -- Begin function _ZL32rocblas_gemvt_warp_reduce_kernelILb1ELi1024EiPKffKPfEviiT3_lPKT2_lT1_lS7_lS8_lS4_lPT4_lS8_li
	.p2align	8
	.type	_ZL32rocblas_gemvt_warp_reduce_kernelILb1ELi1024EiPKffKPfEviiT3_lPKT2_lT1_lS7_lS8_lS4_lPT4_lS8_li,@function
_ZL32rocblas_gemvt_warp_reduce_kernelILb1ELi1024EiPKffKPfEviiT3_lPKT2_lT1_lS7_lS8_lS4_lPT4_lS8_li: ; @_ZL32rocblas_gemvt_warp_reduce_kernelILb1ELi1024EiPKffKPfEviiT3_lPKT2_lT1_lS7_lS8_lS4_lPT4_lS8_li
; %bb.0:
	s_mov_b32 s10, s7
	s_clause 0x1
	s_load_dword s12, s[4:5], 0x8
	s_load_dword s7, s[4:5], 0x58
	s_mov_b32 s11, 0
	s_waitcnt lgkmcnt(0)
	v_cmp_eq_f32_e64 s15, s12, 0
	v_cmp_eq_f32_e64 s0, s7, 1.0
	s_and_b32 s0, s15, s0
	s_and_b32 vcc_lo, exec_lo, s0
	s_cbranch_vccnz .LBB238_35
; %bb.1:
	v_cmp_neq_f32_e64 s13, s12, 0
	s_and_b32 vcc_lo, exec_lo, s13
	s_cbranch_vccnz .LBB238_3
; %bb.2:
	s_mov_b32 s1, 0
	s_mov_b32 s0, s10
	;; [unrolled: 1-line block ×3, first 2 shown]
	s_mov_b64 s[2:3], 0
	s_andn2_b32 vcc_lo, exec_lo, s8
	s_mov_b64 s[8:9], 0
	s_cbranch_vccz .LBB238_4
	s_branch .LBB238_5
.LBB238_3:
	s_mov_b64 s[0:1], s[10:11]
	s_mov_b64 s[2:3], 0
	;; [unrolled: 1-line block ×3, first 2 shown]
.LBB238_4:
	s_load_dwordx4 s[16:19], s[4:5], 0x18
	s_lshl_b64 s[8:9], s[10:11], 3
	s_waitcnt lgkmcnt(0)
	s_add_u32 s8, s16, s8
	s_addc_u32 s9, s17, s9
	s_lshl_b64 s[10:11], s[18:19], 2
	s_load_dwordx2 s[8:9], s[8:9], 0x0
	s_waitcnt lgkmcnt(0)
	s_add_u32 s8, s8, s10
	s_addc_u32 s9, s9, s11
.LBB238_5:
	s_andn2_b32 vcc_lo, exec_lo, s13
	s_cbranch_vccnz .LBB238_7
; %bb.6:
	s_load_dwordx4 s[16:19], s[4:5], 0x38
	s_lshl_b64 s[2:3], s[0:1], 3
	s_waitcnt lgkmcnt(0)
	s_add_u32 s2, s16, s2
	s_addc_u32 s3, s17, s3
	s_lshl_b64 s[10:11], s[18:19], 2
	s_load_dwordx2 s[2:3], s[2:3], 0x0
	s_waitcnt lgkmcnt(0)
	s_add_u32 s2, s2, s10
	s_addc_u32 s3, s3, s11
.LBB238_7:
	s_clause 0x1
	s_load_dwordx4 s[16:19], s[4:5], 0x68
	s_load_dword s14, s[4:5], 0x78
	s_lshl_b64 s[0:1], s[0:1], 3
	s_waitcnt lgkmcnt(0)
	s_add_u32 s0, s16, s0
	s_addc_u32 s1, s17, s1
	s_lshl_b64 s[16:17], s[18:19], 2
	s_load_dwordx2 s[10:11], s[0:1], 0x0
	v_cmp_eq_u32_e64 s0, 0, v0
	s_waitcnt lgkmcnt(0)
	s_add_u32 s1, s10, s16
	s_addc_u32 s13, s11, s17
	s_andn2_b32 vcc_lo, exec_lo, s15
	s_cbranch_vccnz .LBB238_12
; %bb.8:
	s_mov_b32 s16, 0
	s_mov_b32 s15, 0
                                        ; implicit-def: $vgpr1
                                        ; implicit-def: $sgpr10_sgpr11
	s_and_saveexec_b32 s17, s0
	s_cbranch_execz .LBB238_13
; %bb.9:
	v_cmp_eq_f32_e64 s0, s7, 0
	v_mov_b32_e32 v1, 0
	s_mul_i32 s10, s14, s6
	s_ashr_i32 s11, s10, 31
	s_and_b32 vcc_lo, exec_lo, s0
	s_cbranch_vccnz .LBB238_11
; %bb.10:
	s_lshl_b64 s[18:19], s[10:11], 2
	s_add_u32 s18, s1, s18
	s_addc_u32 s19, s13, s19
	v_mov_b32_e32 v1, s18
	v_mov_b32_e32 v2, s19
	flat_load_dword v1, v[1:2]
	s_waitcnt vmcnt(0) lgkmcnt(0)
	v_mul_f32_e32 v1, s7, v1
.LBB238_11:
	s_mov_b32 s15, exec_lo
	s_or_b32 exec_lo, exec_lo, s17
	s_and_b32 vcc_lo, exec_lo, s16
	s_cbranch_vccnz .LBB238_14
	s_branch .LBB238_33
.LBB238_12:
	s_mov_b32 s15, 0
                                        ; implicit-def: $vgpr1
                                        ; implicit-def: $sgpr10_sgpr11
	s_cbranch_execnz .LBB238_14
	s_branch .LBB238_33
.LBB238_13:
	s_or_b32 exec_lo, exec_lo, s17
	s_and_b32 vcc_lo, exec_lo, s16
	s_cbranch_vccz .LBB238_33
.LBB238_14:
	s_clause 0x2
	s_load_dword s10, s[4:5], 0x0
	s_load_dword s0, s[4:5], 0x28
	;; [unrolled: 1-line block ×3, first 2 shown]
	v_mov_b32_e32 v7, 0
	s_waitcnt lgkmcnt(0)
	v_cmp_gt_i32_e32 vcc_lo, s10, v0
	s_mul_i32 s16, s0, s6
	s_ashr_i32 s0, s10, 31
	s_ashr_i32 s17, s16, 31
	s_lshr_b32 s0, s0, 22
	v_cndmask_b32_e32 v1, 0, v0, vcc_lo
	s_lshl_b64 s[16:17], s[16:17], 2
	s_add_i32 s0, s10, s0
	v_lshlrev_b32_e32 v1, 2, v1
	v_add_co_u32 v1, s4, s8, v1
	v_add_co_ci_u32_e64 v2, null, s9, 0, s4
	s_and_b32 s4, s0, 0xfffffc00
	v_add_co_u32 v1, vcc_lo, v1, s16
	v_add_co_ci_u32_e64 v2, null, s17, v2, vcc_lo
	s_mov_b32 s9, 0
	s_mov_b32 s8, exec_lo
	v_cmpx_gt_i32_e64 s4, v0
	s_cbranch_execz .LBB238_18
; %bb.15:
	v_mul_lo_u32 v3, v0, s5
	v_mov_b32_e32 v6, v2
	v_mov_b32_e32 v7, 0
	;; [unrolled: 1-line block ×4, first 2 shown]
	s_lshl_b32 s11, s5, 10
	.p2align	6
.LBB238_16:                             ; =>This Inner Loop Header: Depth=1
	v_ashrrev_i32_e32 v4, 31, v3
	v_add_nc_u32_e32 v8, 0x400, v8
	v_lshlrev_b64 v[9:10], 2, v[3:4]
	v_cmp_le_i32_e64 s0, s4, v8
	v_add_nc_u32_e32 v3, s11, v3
	s_or_b32 s9, s0, s9
	v_add_co_u32 v9, vcc_lo, s2, v9
	v_add_co_ci_u32_e64 v10, null, s3, v10, vcc_lo
	flat_load_dword v4, v[5:6]
	flat_load_dword v9, v[9:10]
	v_add_co_u32 v5, vcc_lo, 0x1000, v5
	v_add_co_ci_u32_e64 v6, null, 0, v6, vcc_lo
	s_waitcnt vmcnt(0) lgkmcnt(0)
	v_fmac_f32_e32 v7, v4, v9
	s_andn2_b32 exec_lo, exec_lo, s9
	s_cbranch_execnz .LBB238_16
; %bb.17:
	s_or_b32 exec_lo, exec_lo, s9
.LBB238_18:
	s_or_b32 exec_lo, exec_lo, s8
	v_or_b32_e32 v3, s4, v0
	s_mov_b32 s0, exec_lo
	v_cmpx_gt_i32_e64 s10, v3
	s_cbranch_execz .LBB238_20
; %bb.19:
	v_mul_lo_u32 v3, s5, v3
	s_ashr_i32 s5, s4, 31
	s_lshl_b64 s[4:5], s[4:5], 2
	v_add_co_u32 v1, vcc_lo, v1, s4
	v_add_co_ci_u32_e64 v2, null, s5, v2, vcc_lo
	v_ashrrev_i32_e32 v4, 31, v3
	v_lshlrev_b64 v[3:4], 2, v[3:4]
	v_add_co_u32 v3, vcc_lo, s2, v3
	v_add_co_ci_u32_e64 v4, null, s3, v4, vcc_lo
	flat_load_dword v1, v[1:2]
	flat_load_dword v2, v[3:4]
	s_waitcnt vmcnt(0) lgkmcnt(0)
	v_fmac_f32_e32 v7, v1, v2
.LBB238_20:
	s_or_b32 exec_lo, exec_lo, s0
	v_and_b32_e32 v8, 31, v0
	v_cmp_gt_u32_e32 vcc_lo, 32, v0
	v_lshlrev_b32_e32 v1, 2, v8
	s_and_saveexec_b32 s0, vcc_lo
; %bb.21:
	v_mov_b32_e32 v2, 0
	ds_write_b32 v1, v2
; %bb.22:
	s_or_b32 exec_lo, exec_lo, s0
	v_mbcnt_lo_u32_b32 v6, -1, 0
	s_mov_b32 s2, exec_lo
	s_waitcnt lgkmcnt(0)
	s_barrier
	buffer_gl0_inv
	v_lshl_or_b32 v2, v6, 2, 64
	v_cmp_gt_u32_e64 s0, 24, v6
	ds_bpermute_b32 v4, v2, v7
	v_cndmask_b32_e64 v3, 0, 8, s0
	v_cmp_gt_u32_e64 s0, 28, v6
	v_add_lshl_u32 v3, v3, v6, 2
	s_waitcnt lgkmcnt(0)
	v_add_f32_e32 v5, v7, v4
	v_cndmask_b32_e64 v4, 0, 4, s0
	v_cmp_gt_u32_e64 s0, 30, v6
	ds_bpermute_b32 v7, v3, v5
	v_add_lshl_u32 v4, v4, v6, 2
	s_waitcnt lgkmcnt(0)
	v_add_f32_e32 v7, v5, v7
	v_cndmask_b32_e64 v5, 0, 2, s0
	v_cmp_ne_u32_e64 s0, 31, v6
	ds_bpermute_b32 v9, v4, v7
	v_add_lshl_u32 v5, v5, v6, 2
	v_add_co_ci_u32_e64 v6, null, 0, v6, s0
	v_lshlrev_b32_e32 v6, 2, v6
	s_waitcnt lgkmcnt(0)
	v_add_f32_e32 v7, v7, v9
	ds_bpermute_b32 v9, v5, v7
	s_waitcnt lgkmcnt(0)
	v_add_f32_e32 v7, v7, v9
	ds_bpermute_b32 v9, v6, v7
	v_cmpx_eq_u32_e32 0, v8
	s_cbranch_execz .LBB238_24
; %bb.23:
	v_lshrrev_b32_e32 v8, 3, v0
	s_waitcnt lgkmcnt(0)
	v_add_f32_e32 v7, v7, v9
	v_and_b32_e32 v8, 0x7c, v8
	ds_write_b32 v8, v7
.LBB238_24:
	s_or_b32 exec_lo, exec_lo, s2
	v_mov_b32_e32 v7, 0
	s_waitcnt lgkmcnt(0)
	s_barrier
	buffer_gl0_inv
	s_and_saveexec_b32 s0, vcc_lo
; %bb.25:
	ds_read_b32 v7, v1
; %bb.26:
	s_or_b32 exec_lo, exec_lo, s0
	s_and_saveexec_b32 s0, vcc_lo
	s_cbranch_execz .LBB238_28
; %bb.27:
	s_waitcnt lgkmcnt(0)
	ds_bpermute_b32 v1, v2, v7
	s_waitcnt lgkmcnt(0)
	v_add_f32_e32 v1, v7, v1
	ds_bpermute_b32 v2, v3, v1
	s_waitcnt lgkmcnt(0)
	v_add_f32_e32 v1, v1, v2
	;; [unrolled: 3-line block ×5, first 2 shown]
.LBB238_28:
	s_or_b32 exec_lo, exec_lo, s0
	s_mov_b32 s0, exec_lo
                                        ; implicit-def: $vgpr1
                                        ; implicit-def: $sgpr10_sgpr11
	v_cmpx_eq_u32_e32 0, v0
	s_cbranch_execz .LBB238_32
; %bb.29:
	v_cmp_eq_f32_e64 s2, s7, 0
	s_waitcnt lgkmcnt(0)
	v_mul_f32_e32 v1, s12, v7
	s_mul_i32 s10, s14, s6
	s_ashr_i32 s11, s10, 31
	s_and_b32 vcc_lo, exec_lo, s2
	s_cbranch_vccnz .LBB238_31
; %bb.30:
	s_lshl_b64 s[2:3], s[10:11], 2
	s_add_u32 s2, s1, s2
	s_addc_u32 s3, s13, s3
	v_mov_b32_e32 v2, s2
	v_mov_b32_e32 v3, s3
	flat_load_dword v0, v[2:3]
	s_waitcnt vmcnt(0) lgkmcnt(0)
	v_fmac_f32_e32 v1, s7, v0
.LBB238_31:
	s_or_b32 s15, s15, exec_lo
.LBB238_32:
	s_or_b32 exec_lo, exec_lo, s0
.LBB238_33:
	s_and_saveexec_b32 s0, s15
	s_cbranch_execz .LBB238_35
; %bb.34:
	s_lshl_b64 s[2:3], s[10:11], 2
	s_add_u32 s0, s1, s2
	s_addc_u32 s1, s13, s3
	v_mov_b32_e32 v3, s1
	v_mov_b32_e32 v2, s0
	flat_store_dword v[2:3], v1
.LBB238_35:
	s_endpgm
	.section	.rodata,"a",@progbits
	.p2align	6, 0x0
	.amdhsa_kernel _ZL32rocblas_gemvt_warp_reduce_kernelILb1ELi1024EiPKffKPfEviiT3_lPKT2_lT1_lS7_lS8_lS4_lPT4_lS8_li
		.amdhsa_group_segment_fixed_size 128
		.amdhsa_private_segment_fixed_size 0
		.amdhsa_kernarg_size 140
		.amdhsa_user_sgpr_count 6
		.amdhsa_user_sgpr_private_segment_buffer 1
		.amdhsa_user_sgpr_dispatch_ptr 0
		.amdhsa_user_sgpr_queue_ptr 0
		.amdhsa_user_sgpr_kernarg_segment_ptr 1
		.amdhsa_user_sgpr_dispatch_id 0
		.amdhsa_user_sgpr_flat_scratch_init 0
		.amdhsa_user_sgpr_private_segment_size 0
		.amdhsa_wavefront_size32 1
		.amdhsa_uses_dynamic_stack 0
		.amdhsa_system_sgpr_private_segment_wavefront_offset 0
		.amdhsa_system_sgpr_workgroup_id_x 1
		.amdhsa_system_sgpr_workgroup_id_y 0
		.amdhsa_system_sgpr_workgroup_id_z 1
		.amdhsa_system_sgpr_workgroup_info 0
		.amdhsa_system_vgpr_workitem_id 0
		.amdhsa_next_free_vgpr 11
		.amdhsa_next_free_sgpr 20
		.amdhsa_reserve_vcc 1
		.amdhsa_reserve_flat_scratch 0
		.amdhsa_float_round_mode_32 0
		.amdhsa_float_round_mode_16_64 0
		.amdhsa_float_denorm_mode_32 3
		.amdhsa_float_denorm_mode_16_64 3
		.amdhsa_dx10_clamp 1
		.amdhsa_ieee_mode 1
		.amdhsa_fp16_overflow 0
		.amdhsa_workgroup_processor_mode 1
		.amdhsa_memory_ordered 1
		.amdhsa_forward_progress 1
		.amdhsa_shared_vgpr_count 0
		.amdhsa_exception_fp_ieee_invalid_op 0
		.amdhsa_exception_fp_denorm_src 0
		.amdhsa_exception_fp_ieee_div_zero 0
		.amdhsa_exception_fp_ieee_overflow 0
		.amdhsa_exception_fp_ieee_underflow 0
		.amdhsa_exception_fp_ieee_inexact 0
		.amdhsa_exception_int_div_zero 0
	.end_amdhsa_kernel
	.section	.text._ZL32rocblas_gemvt_warp_reduce_kernelILb1ELi1024EiPKffKPfEviiT3_lPKT2_lT1_lS7_lS8_lS4_lPT4_lS8_li,"axG",@progbits,_ZL32rocblas_gemvt_warp_reduce_kernelILb1ELi1024EiPKffKPfEviiT3_lPKT2_lT1_lS7_lS8_lS4_lPT4_lS8_li,comdat
.Lfunc_end238:
	.size	_ZL32rocblas_gemvt_warp_reduce_kernelILb1ELi1024EiPKffKPfEviiT3_lPKT2_lT1_lS7_lS8_lS4_lPT4_lS8_li, .Lfunc_end238-_ZL32rocblas_gemvt_warp_reduce_kernelILb1ELi1024EiPKffKPfEviiT3_lPKT2_lT1_lS7_lS8_lS4_lPT4_lS8_li
                                        ; -- End function
	.set _ZL32rocblas_gemvt_warp_reduce_kernelILb1ELi1024EiPKffKPfEviiT3_lPKT2_lT1_lS7_lS8_lS4_lPT4_lS8_li.num_vgpr, 11
	.set _ZL32rocblas_gemvt_warp_reduce_kernelILb1ELi1024EiPKffKPfEviiT3_lPKT2_lT1_lS7_lS8_lS4_lPT4_lS8_li.num_agpr, 0
	.set _ZL32rocblas_gemvt_warp_reduce_kernelILb1ELi1024EiPKffKPfEviiT3_lPKT2_lT1_lS7_lS8_lS4_lPT4_lS8_li.numbered_sgpr, 20
	.set _ZL32rocblas_gemvt_warp_reduce_kernelILb1ELi1024EiPKffKPfEviiT3_lPKT2_lT1_lS7_lS8_lS4_lPT4_lS8_li.num_named_barrier, 0
	.set _ZL32rocblas_gemvt_warp_reduce_kernelILb1ELi1024EiPKffKPfEviiT3_lPKT2_lT1_lS7_lS8_lS4_lPT4_lS8_li.private_seg_size, 0
	.set _ZL32rocblas_gemvt_warp_reduce_kernelILb1ELi1024EiPKffKPfEviiT3_lPKT2_lT1_lS7_lS8_lS4_lPT4_lS8_li.uses_vcc, 1
	.set _ZL32rocblas_gemvt_warp_reduce_kernelILb1ELi1024EiPKffKPfEviiT3_lPKT2_lT1_lS7_lS8_lS4_lPT4_lS8_li.uses_flat_scratch, 0
	.set _ZL32rocblas_gemvt_warp_reduce_kernelILb1ELi1024EiPKffKPfEviiT3_lPKT2_lT1_lS7_lS8_lS4_lPT4_lS8_li.has_dyn_sized_stack, 0
	.set _ZL32rocblas_gemvt_warp_reduce_kernelILb1ELi1024EiPKffKPfEviiT3_lPKT2_lT1_lS7_lS8_lS4_lPT4_lS8_li.has_recursion, 0
	.set _ZL32rocblas_gemvt_warp_reduce_kernelILb1ELi1024EiPKffKPfEviiT3_lPKT2_lT1_lS7_lS8_lS4_lPT4_lS8_li.has_indirect_call, 0
	.section	.AMDGPU.csdata,"",@progbits
; Kernel info:
; codeLenInByte = 1392
; TotalNumSgprs: 22
; NumVgprs: 11
; ScratchSize: 0
; MemoryBound: 0
; FloatMode: 240
; IeeeMode: 1
; LDSByteSize: 128 bytes/workgroup (compile time only)
; SGPRBlocks: 0
; VGPRBlocks: 1
; NumSGPRsForWavesPerEU: 22
; NumVGPRsForWavesPerEU: 11
; Occupancy: 16
; WaveLimiterHint : 1
; COMPUTE_PGM_RSRC2:SCRATCH_EN: 0
; COMPUTE_PGM_RSRC2:USER_SGPR: 6
; COMPUTE_PGM_RSRC2:TRAP_HANDLER: 0
; COMPUTE_PGM_RSRC2:TGID_X_EN: 1
; COMPUTE_PGM_RSRC2:TGID_Y_EN: 0
; COMPUTE_PGM_RSRC2:TGID_Z_EN: 1
; COMPUTE_PGM_RSRC2:TIDIG_COMP_CNT: 0
	.section	.text._ZL32rocblas_gemvt_warp_reduce_kernelILb1ELi1024ElPKffKPfEviiT3_lPKT2_lT1_lS7_lS8_lS4_lPT4_lS8_li,"axG",@progbits,_ZL32rocblas_gemvt_warp_reduce_kernelILb1ELi1024ElPKffKPfEviiT3_lPKT2_lT1_lS7_lS8_lS4_lPT4_lS8_li,comdat
	.globl	_ZL32rocblas_gemvt_warp_reduce_kernelILb1ELi1024ElPKffKPfEviiT3_lPKT2_lT1_lS7_lS8_lS4_lPT4_lS8_li ; -- Begin function _ZL32rocblas_gemvt_warp_reduce_kernelILb1ELi1024ElPKffKPfEviiT3_lPKT2_lT1_lS7_lS8_lS4_lPT4_lS8_li
	.p2align	8
	.type	_ZL32rocblas_gemvt_warp_reduce_kernelILb1ELi1024ElPKffKPfEviiT3_lPKT2_lT1_lS7_lS8_lS4_lPT4_lS8_li,@function
_ZL32rocblas_gemvt_warp_reduce_kernelILb1ELi1024ElPKffKPfEviiT3_lPKT2_lT1_lS7_lS8_lS4_lPT4_lS8_li: ; @_ZL32rocblas_gemvt_warp_reduce_kernelILb1ELi1024ElPKffKPfEviiT3_lPKT2_lT1_lS7_lS8_lS4_lPT4_lS8_li
; %bb.0:
	s_mov_b32 s10, s7
	s_clause 0x1
	s_load_dword s18, s[4:5], 0x8
	s_load_dword s7, s[4:5], 0x58
	s_mov_b32 s11, 0
	s_waitcnt lgkmcnt(0)
	v_cmp_eq_f32_e64 s20, s18, 0
	v_cmp_eq_f32_e64 s0, s7, 1.0
	s_and_b32 s0, s20, s0
	s_and_b32 vcc_lo, exec_lo, s0
	s_cbranch_vccnz .LBB239_35
; %bb.1:
	s_clause 0x1
	s_load_dwordx4 s[0:3], s[4:5], 0x18
	s_load_dwordx2 s[12:13], s[4:5], 0x28
	v_cmp_neq_f32_e64 s19, s18, 0
	s_and_b32 vcc_lo, exec_lo, s19
	s_cbranch_vccnz .LBB239_3
; %bb.2:
	s_mov_b32 s17, 0
	s_mov_b32 s16, s10
	;; [unrolled: 1-line block ×3, first 2 shown]
	s_mov_b64 s[8:9], 0
	s_andn2_b32 vcc_lo, exec_lo, s14
	s_mov_b64 s[14:15], 0
	s_cbranch_vccz .LBB239_4
	s_branch .LBB239_5
.LBB239_3:
	s_mov_b64 s[16:17], s[10:11]
	s_mov_b64 s[8:9], 0
	;; [unrolled: 1-line block ×3, first 2 shown]
.LBB239_4:
	s_lshl_b64 s[10:11], s[10:11], 3
	s_waitcnt lgkmcnt(0)
	s_add_u32 s0, s0, s10
	s_addc_u32 s1, s1, s11
	s_lshl_b64 s[2:3], s[2:3], 2
	s_load_dwordx2 s[0:1], s[0:1], 0x0
	s_waitcnt lgkmcnt(0)
	s_add_u32 s14, s0, s2
	s_addc_u32 s15, s1, s3
.LBB239_5:
	s_waitcnt lgkmcnt(0)
	s_clause 0x1
	s_load_dwordx4 s[0:3], s[4:5], 0x38
	s_load_dwordx2 s[10:11], s[4:5], 0x48
	s_andn2_b32 vcc_lo, exec_lo, s19
	s_cbranch_vccnz .LBB239_7
; %bb.6:
	s_lshl_b64 s[8:9], s[16:17], 3
	s_waitcnt lgkmcnt(0)
	s_add_u32 s0, s0, s8
	s_addc_u32 s1, s1, s9
	s_lshl_b64 s[2:3], s[2:3], 2
	s_load_dwordx2 s[0:1], s[0:1], 0x0
	s_waitcnt lgkmcnt(0)
	s_add_u32 s8, s0, s2
	s_addc_u32 s9, s1, s3
.LBB239_7:
	s_load_dwordx4 s[24:27], s[4:5], 0x68
	s_waitcnt lgkmcnt(0)
	s_load_dwordx2 s[2:3], s[4:5], 0x78
	s_lshl_b64 s[0:1], s[16:17], 3
	s_add_u32 s0, s24, s0
	s_addc_u32 s1, s25, s1
	s_lshl_b64 s[22:23], s[26:27], 2
	s_load_dwordx2 s[16:17], s[0:1], 0x0
	v_cmp_eq_u32_e64 s0, 0, v0
	s_waitcnt lgkmcnt(0)
	s_add_u32 s1, s16, s22
	s_addc_u32 s19, s17, s23
	s_andn2_b32 vcc_lo, exec_lo, s20
	s_cbranch_vccnz .LBB239_12
; %bb.8:
	s_mov_b32 s21, 0
	s_mov_b32 s20, 0
                                        ; implicit-def: $vgpr1
                                        ; implicit-def: $sgpr16_sgpr17
	s_and_saveexec_b32 s22, s0
	s_cbranch_execz .LBB239_13
; %bb.9:
	s_ashr_i32 s0, s6, 31
	v_cmp_eq_f32_e64 s20, s7, 0
	s_mul_hi_u32 s16, s2, s6
	s_mul_i32 s0, s2, s0
	v_mov_b32_e32 v1, 0
	s_add_i32 s0, s16, s0
	s_mul_i32 s16, s3, s6
	s_and_b32 vcc_lo, exec_lo, s20
	s_add_i32 s17, s0, s16
	s_mul_i32 s16, s2, s6
	s_cbranch_vccnz .LBB239_11
; %bb.10:
	s_lshl_b64 s[24:25], s[16:17], 2
	s_add_u32 s24, s1, s24
	s_addc_u32 s25, s19, s25
	v_mov_b32_e32 v1, s24
	v_mov_b32_e32 v2, s25
	flat_load_dword v1, v[1:2]
	s_waitcnt vmcnt(0) lgkmcnt(0)
	v_mul_f32_e32 v1, s7, v1
.LBB239_11:
	s_mov_b32 s20, exec_lo
	s_or_b32 exec_lo, exec_lo, s22
	s_and_b32 vcc_lo, exec_lo, s21
	s_cbranch_vccnz .LBB239_14
	s_branch .LBB239_33
.LBB239_12:
	s_mov_b32 s20, 0
                                        ; implicit-def: $vgpr1
                                        ; implicit-def: $sgpr16_sgpr17
	s_cbranch_execnz .LBB239_14
	s_branch .LBB239_33
.LBB239_13:
	s_or_b32 exec_lo, exec_lo, s22
	s_and_b32 vcc_lo, exec_lo, s21
	s_cbranch_vccz .LBB239_33
.LBB239_14:
	s_load_dword s5, s[4:5], 0x0
	s_ashr_i32 s21, s6, 31
	s_mul_hi_u32 s0, s12, s6
	s_mul_i32 s4, s13, s6
	s_mul_i32 s13, s12, s21
	;; [unrolled: 1-line block ×3, first 2 shown]
	s_add_i32 s0, s0, s13
	v_mov_b32_e32 v7, 0
	s_add_i32 s13, s0, s4
	s_lshl_b64 s[12:13], s[12:13], 2
	s_waitcnt lgkmcnt(0)
	v_cmp_gt_i32_e32 vcc_lo, s5, v0
	s_ashr_i32 s0, s5, 31
	s_lshr_b32 s0, s0, 22
	s_add_i32 s0, s5, s0
	v_cndmask_b32_e32 v1, 0, v0, vcc_lo
	v_lshlrev_b32_e32 v1, 2, v1
	v_add_co_u32 v1, s4, s14, v1
	v_add_co_ci_u32_e64 v2, null, s15, 0, s4
	s_and_b32 s4, s0, 0xfffffc00
	v_add_co_u32 v1, vcc_lo, v1, s12
	v_add_co_ci_u32_e64 v2, null, s13, v2, vcc_lo
	s_mov_b32 s15, 0
	s_mov_b32 s14, exec_lo
	v_cmpx_gt_i32_e64 s4, v0
	s_cbranch_execz .LBB239_18
; %bb.15:
	v_mad_u64_u32 v[3:4], null, s10, v0, 0
	v_mov_b32_e32 v7, 0
	v_mov_b32_e32 v8, v0
	s_lshl_b64 s[12:13], s[10:11], 12
	v_mad_u64_u32 v[4:5], null, s11, v0, v[4:5]
	v_lshlrev_b64 v[5:6], 2, v[3:4]
	v_mov_b32_e32 v4, v2
	v_mov_b32_e32 v3, v1
	v_add_co_u32 v5, vcc_lo, s8, v5
	v_add_co_ci_u32_e64 v6, null, s9, v6, vcc_lo
	.p2align	6
.LBB239_16:                             ; =>This Inner Loop Header: Depth=1
	flat_load_dword v9, v[3:4]
	flat_load_dword v10, v[5:6]
	v_add_nc_u32_e32 v8, 0x400, v8
	v_add_co_u32 v3, vcc_lo, 0x1000, v3
	v_add_co_ci_u32_e64 v4, null, 0, v4, vcc_lo
	v_add_co_u32 v5, vcc_lo, v5, s12
	v_cmp_le_i32_e64 s0, s4, v8
	v_add_co_ci_u32_e64 v6, null, s13, v6, vcc_lo
	s_or_b32 s15, s0, s15
	s_waitcnt vmcnt(0) lgkmcnt(0)
	v_fmac_f32_e32 v7, v9, v10
	s_andn2_b32 exec_lo, exec_lo, s15
	s_cbranch_execnz .LBB239_16
; %bb.17:
	s_or_b32 exec_lo, exec_lo, s15
.LBB239_18:
	s_or_b32 exec_lo, exec_lo, s14
	v_or_b32_e32 v3, s4, v0
	s_mov_b32 s0, exec_lo
	v_cmpx_gt_i32_e64 s5, v3
	s_cbranch_execz .LBB239_20
; %bb.19:
	v_ashrrev_i32_e32 v5, 31, v3
	v_mul_lo_u32 v6, s11, v3
	v_mad_u64_u32 v[3:4], null, s10, v3, 0
	s_ashr_i32 s5, s4, 31
	v_mul_lo_u32 v5, s10, v5
	s_lshl_b64 s[4:5], s[4:5], 2
	v_add_co_u32 v1, vcc_lo, v1, s4
	v_add_co_ci_u32_e64 v2, null, s5, v2, vcc_lo
	v_add3_u32 v4, v4, v5, v6
	v_lshlrev_b64 v[3:4], 2, v[3:4]
	v_add_co_u32 v3, vcc_lo, s8, v3
	v_add_co_ci_u32_e64 v4, null, s9, v4, vcc_lo
	flat_load_dword v1, v[1:2]
	flat_load_dword v2, v[3:4]
	s_waitcnt vmcnt(0) lgkmcnt(0)
	v_fmac_f32_e32 v7, v1, v2
.LBB239_20:
	s_or_b32 exec_lo, exec_lo, s0
	v_and_b32_e32 v8, 31, v0
	v_cmp_gt_u32_e32 vcc_lo, 32, v0
	v_lshlrev_b32_e32 v1, 2, v8
	s_and_saveexec_b32 s0, vcc_lo
; %bb.21:
	v_mov_b32_e32 v2, 0
	ds_write_b32 v1, v2
; %bb.22:
	s_or_b32 exec_lo, exec_lo, s0
	v_mbcnt_lo_u32_b32 v6, -1, 0
	s_mov_b32 s4, exec_lo
	s_waitcnt lgkmcnt(0)
	s_barrier
	buffer_gl0_inv
	v_lshl_or_b32 v2, v6, 2, 64
	v_cmp_gt_u32_e64 s0, 24, v6
	ds_bpermute_b32 v4, v2, v7
	v_cndmask_b32_e64 v3, 0, 8, s0
	v_cmp_gt_u32_e64 s0, 28, v6
	v_add_lshl_u32 v3, v3, v6, 2
	s_waitcnt lgkmcnt(0)
	v_add_f32_e32 v5, v7, v4
	v_cndmask_b32_e64 v4, 0, 4, s0
	v_cmp_gt_u32_e64 s0, 30, v6
	ds_bpermute_b32 v7, v3, v5
	v_add_lshl_u32 v4, v4, v6, 2
	s_waitcnt lgkmcnt(0)
	v_add_f32_e32 v7, v5, v7
	v_cndmask_b32_e64 v5, 0, 2, s0
	v_cmp_ne_u32_e64 s0, 31, v6
	ds_bpermute_b32 v9, v4, v7
	v_add_lshl_u32 v5, v5, v6, 2
	v_add_co_ci_u32_e64 v6, null, 0, v6, s0
	v_lshlrev_b32_e32 v6, 2, v6
	s_waitcnt lgkmcnt(0)
	v_add_f32_e32 v7, v7, v9
	ds_bpermute_b32 v9, v5, v7
	s_waitcnt lgkmcnt(0)
	v_add_f32_e32 v7, v7, v9
	ds_bpermute_b32 v9, v6, v7
	v_cmpx_eq_u32_e32 0, v8
	s_cbranch_execz .LBB239_24
; %bb.23:
	v_lshrrev_b32_e32 v8, 3, v0
	s_waitcnt lgkmcnt(0)
	v_add_f32_e32 v7, v7, v9
	v_and_b32_e32 v8, 0x7c, v8
	ds_write_b32 v8, v7
.LBB239_24:
	s_or_b32 exec_lo, exec_lo, s4
	v_mov_b32_e32 v7, 0
	s_waitcnt lgkmcnt(0)
	s_barrier
	buffer_gl0_inv
	s_and_saveexec_b32 s0, vcc_lo
; %bb.25:
	ds_read_b32 v7, v1
; %bb.26:
	s_or_b32 exec_lo, exec_lo, s0
	s_and_saveexec_b32 s0, vcc_lo
	s_cbranch_execz .LBB239_28
; %bb.27:
	s_waitcnt lgkmcnt(0)
	ds_bpermute_b32 v1, v2, v7
	s_waitcnt lgkmcnt(0)
	v_add_f32_e32 v1, v7, v1
	ds_bpermute_b32 v2, v3, v1
	s_waitcnt lgkmcnt(0)
	v_add_f32_e32 v1, v1, v2
	;; [unrolled: 3-line block ×5, first 2 shown]
.LBB239_28:
	s_or_b32 exec_lo, exec_lo, s0
	s_mov_b32 s0, exec_lo
                                        ; implicit-def: $vgpr1
                                        ; implicit-def: $sgpr16_sgpr17
	v_cmpx_eq_u32_e32 0, v0
	s_cbranch_execz .LBB239_32
; %bb.29:
	v_cmp_eq_f32_e64 s8, s7, 0
	s_mul_i32 s4, s2, s21
	s_mul_hi_u32 s5, s2, s6
	s_waitcnt lgkmcnt(0)
	v_mul_f32_e32 v1, s18, v7
	s_add_i32 s4, s5, s4
	s_mul_i32 s3, s3, s6
	s_and_b32 vcc_lo, exec_lo, s8
	s_add_i32 s17, s4, s3
	s_mul_i32 s16, s2, s6
	s_cbranch_vccnz .LBB239_31
; %bb.30:
	s_lshl_b64 s[2:3], s[16:17], 2
	s_add_u32 s2, s1, s2
	s_addc_u32 s3, s19, s3
	v_mov_b32_e32 v2, s2
	v_mov_b32_e32 v3, s3
	flat_load_dword v0, v[2:3]
	s_waitcnt vmcnt(0) lgkmcnt(0)
	v_fmac_f32_e32 v1, s7, v0
.LBB239_31:
	s_or_b32 s20, s20, exec_lo
.LBB239_32:
	s_or_b32 exec_lo, exec_lo, s0
.LBB239_33:
	s_and_saveexec_b32 s0, s20
	s_cbranch_execz .LBB239_35
; %bb.34:
	s_lshl_b64 s[2:3], s[16:17], 2
	s_add_u32 s0, s1, s2
	s_addc_u32 s1, s19, s3
	v_mov_b32_e32 v3, s1
	v_mov_b32_e32 v2, s0
	flat_store_dword v[2:3], v1
.LBB239_35:
	s_endpgm
	.section	.rodata,"a",@progbits
	.p2align	6, 0x0
	.amdhsa_kernel _ZL32rocblas_gemvt_warp_reduce_kernelILb1ELi1024ElPKffKPfEviiT3_lPKT2_lT1_lS7_lS8_lS4_lPT4_lS8_li
		.amdhsa_group_segment_fixed_size 128
		.amdhsa_private_segment_fixed_size 0
		.amdhsa_kernarg_size 140
		.amdhsa_user_sgpr_count 6
		.amdhsa_user_sgpr_private_segment_buffer 1
		.amdhsa_user_sgpr_dispatch_ptr 0
		.amdhsa_user_sgpr_queue_ptr 0
		.amdhsa_user_sgpr_kernarg_segment_ptr 1
		.amdhsa_user_sgpr_dispatch_id 0
		.amdhsa_user_sgpr_flat_scratch_init 0
		.amdhsa_user_sgpr_private_segment_size 0
		.amdhsa_wavefront_size32 1
		.amdhsa_uses_dynamic_stack 0
		.amdhsa_system_sgpr_private_segment_wavefront_offset 0
		.amdhsa_system_sgpr_workgroup_id_x 1
		.amdhsa_system_sgpr_workgroup_id_y 0
		.amdhsa_system_sgpr_workgroup_id_z 1
		.amdhsa_system_sgpr_workgroup_info 0
		.amdhsa_system_vgpr_workitem_id 0
		.amdhsa_next_free_vgpr 11
		.amdhsa_next_free_sgpr 28
		.amdhsa_reserve_vcc 1
		.amdhsa_reserve_flat_scratch 0
		.amdhsa_float_round_mode_32 0
		.amdhsa_float_round_mode_16_64 0
		.amdhsa_float_denorm_mode_32 3
		.amdhsa_float_denorm_mode_16_64 3
		.amdhsa_dx10_clamp 1
		.amdhsa_ieee_mode 1
		.amdhsa_fp16_overflow 0
		.amdhsa_workgroup_processor_mode 1
		.amdhsa_memory_ordered 1
		.amdhsa_forward_progress 1
		.amdhsa_shared_vgpr_count 0
		.amdhsa_exception_fp_ieee_invalid_op 0
		.amdhsa_exception_fp_denorm_src 0
		.amdhsa_exception_fp_ieee_div_zero 0
		.amdhsa_exception_fp_ieee_overflow 0
		.amdhsa_exception_fp_ieee_underflow 0
		.amdhsa_exception_fp_ieee_inexact 0
		.amdhsa_exception_int_div_zero 0
	.end_amdhsa_kernel
	.section	.text._ZL32rocblas_gemvt_warp_reduce_kernelILb1ELi1024ElPKffKPfEviiT3_lPKT2_lT1_lS7_lS8_lS4_lPT4_lS8_li,"axG",@progbits,_ZL32rocblas_gemvt_warp_reduce_kernelILb1ELi1024ElPKffKPfEviiT3_lPKT2_lT1_lS7_lS8_lS4_lPT4_lS8_li,comdat
.Lfunc_end239:
	.size	_ZL32rocblas_gemvt_warp_reduce_kernelILb1ELi1024ElPKffKPfEviiT3_lPKT2_lT1_lS7_lS8_lS4_lPT4_lS8_li, .Lfunc_end239-_ZL32rocblas_gemvt_warp_reduce_kernelILb1ELi1024ElPKffKPfEviiT3_lPKT2_lT1_lS7_lS8_lS4_lPT4_lS8_li
                                        ; -- End function
	.set _ZL32rocblas_gemvt_warp_reduce_kernelILb1ELi1024ElPKffKPfEviiT3_lPKT2_lT1_lS7_lS8_lS4_lPT4_lS8_li.num_vgpr, 11
	.set _ZL32rocblas_gemvt_warp_reduce_kernelILb1ELi1024ElPKffKPfEviiT3_lPKT2_lT1_lS7_lS8_lS4_lPT4_lS8_li.num_agpr, 0
	.set _ZL32rocblas_gemvt_warp_reduce_kernelILb1ELi1024ElPKffKPfEviiT3_lPKT2_lT1_lS7_lS8_lS4_lPT4_lS8_li.numbered_sgpr, 28
	.set _ZL32rocblas_gemvt_warp_reduce_kernelILb1ELi1024ElPKffKPfEviiT3_lPKT2_lT1_lS7_lS8_lS4_lPT4_lS8_li.num_named_barrier, 0
	.set _ZL32rocblas_gemvt_warp_reduce_kernelILb1ELi1024ElPKffKPfEviiT3_lPKT2_lT1_lS7_lS8_lS4_lPT4_lS8_li.private_seg_size, 0
	.set _ZL32rocblas_gemvt_warp_reduce_kernelILb1ELi1024ElPKffKPfEviiT3_lPKT2_lT1_lS7_lS8_lS4_lPT4_lS8_li.uses_vcc, 1
	.set _ZL32rocblas_gemvt_warp_reduce_kernelILb1ELi1024ElPKffKPfEviiT3_lPKT2_lT1_lS7_lS8_lS4_lPT4_lS8_li.uses_flat_scratch, 0
	.set _ZL32rocblas_gemvt_warp_reduce_kernelILb1ELi1024ElPKffKPfEviiT3_lPKT2_lT1_lS7_lS8_lS4_lPT4_lS8_li.has_dyn_sized_stack, 0
	.set _ZL32rocblas_gemvt_warp_reduce_kernelILb1ELi1024ElPKffKPfEviiT3_lPKT2_lT1_lS7_lS8_lS4_lPT4_lS8_li.has_recursion, 0
	.set _ZL32rocblas_gemvt_warp_reduce_kernelILb1ELi1024ElPKffKPfEviiT3_lPKT2_lT1_lS7_lS8_lS4_lPT4_lS8_li.has_indirect_call, 0
	.section	.AMDGPU.csdata,"",@progbits
; Kernel info:
; codeLenInByte = 1480
; TotalNumSgprs: 30
; NumVgprs: 11
; ScratchSize: 0
; MemoryBound: 0
; FloatMode: 240
; IeeeMode: 1
; LDSByteSize: 128 bytes/workgroup (compile time only)
; SGPRBlocks: 0
; VGPRBlocks: 1
; NumSGPRsForWavesPerEU: 30
; NumVGPRsForWavesPerEU: 11
; Occupancy: 16
; WaveLimiterHint : 1
; COMPUTE_PGM_RSRC2:SCRATCH_EN: 0
; COMPUTE_PGM_RSRC2:USER_SGPR: 6
; COMPUTE_PGM_RSRC2:TRAP_HANDLER: 0
; COMPUTE_PGM_RSRC2:TGID_X_EN: 1
; COMPUTE_PGM_RSRC2:TGID_Y_EN: 0
; COMPUTE_PGM_RSRC2:TGID_Z_EN: 1
; COMPUTE_PGM_RSRC2:TIDIG_COMP_CNT: 0
	.section	.text._ZL34rocblas_gemvn_sm_mn_batched_kernelILi32ELi24EPKdS1_KPdEviiT2_lPKT1_lilS7_lilS4_lPT3_lili,"axG",@progbits,_ZL34rocblas_gemvn_sm_mn_batched_kernelILi32ELi24EPKdS1_KPdEviiT2_lPKT1_lilS7_lilS4_lPT3_lili,comdat
	.globl	_ZL34rocblas_gemvn_sm_mn_batched_kernelILi32ELi24EPKdS1_KPdEviiT2_lPKT1_lilS7_lilS4_lPT3_lili ; -- Begin function _ZL34rocblas_gemvn_sm_mn_batched_kernelILi32ELi24EPKdS1_KPdEviiT2_lPKT1_lilS7_lilS4_lPT3_lili
	.p2align	8
	.type	_ZL34rocblas_gemvn_sm_mn_batched_kernelILi32ELi24EPKdS1_KPdEviiT2_lPKT1_lilS7_lilS4_lPT3_lili,@function
_ZL34rocblas_gemvn_sm_mn_batched_kernelILi32ELi24EPKdS1_KPdEviiT2_lPKT1_lilS7_lilS4_lPT3_lili: ; @_ZL34rocblas_gemvn_sm_mn_batched_kernelILi32ELi24EPKdS1_KPdEviiT2_lPKT1_lilS7_lilS4_lPT3_lili
; %bb.0:
	s_endpgm
	.section	.rodata,"a",@progbits
	.p2align	6, 0x0
	.amdhsa_kernel _ZL34rocblas_gemvn_sm_mn_batched_kernelILi32ELi24EPKdS1_KPdEviiT2_lPKT1_lilS7_lilS4_lPT3_lili
		.amdhsa_group_segment_fixed_size 0
		.amdhsa_private_segment_fixed_size 0
		.amdhsa_kernarg_size 140
		.amdhsa_user_sgpr_count 6
		.amdhsa_user_sgpr_private_segment_buffer 1
		.amdhsa_user_sgpr_dispatch_ptr 0
		.amdhsa_user_sgpr_queue_ptr 0
		.amdhsa_user_sgpr_kernarg_segment_ptr 1
		.amdhsa_user_sgpr_dispatch_id 0
		.amdhsa_user_sgpr_flat_scratch_init 0
		.amdhsa_user_sgpr_private_segment_size 0
		.amdhsa_wavefront_size32 1
		.amdhsa_uses_dynamic_stack 0
		.amdhsa_system_sgpr_private_segment_wavefront_offset 0
		.amdhsa_system_sgpr_workgroup_id_x 1
		.amdhsa_system_sgpr_workgroup_id_y 0
		.amdhsa_system_sgpr_workgroup_id_z 0
		.amdhsa_system_sgpr_workgroup_info 0
		.amdhsa_system_vgpr_workitem_id 0
		.amdhsa_next_free_vgpr 1
		.amdhsa_next_free_sgpr 1
		.amdhsa_reserve_vcc 0
		.amdhsa_reserve_flat_scratch 0
		.amdhsa_float_round_mode_32 0
		.amdhsa_float_round_mode_16_64 0
		.amdhsa_float_denorm_mode_32 3
		.amdhsa_float_denorm_mode_16_64 3
		.amdhsa_dx10_clamp 1
		.amdhsa_ieee_mode 1
		.amdhsa_fp16_overflow 0
		.amdhsa_workgroup_processor_mode 1
		.amdhsa_memory_ordered 1
		.amdhsa_forward_progress 1
		.amdhsa_shared_vgpr_count 0
		.amdhsa_exception_fp_ieee_invalid_op 0
		.amdhsa_exception_fp_denorm_src 0
		.amdhsa_exception_fp_ieee_div_zero 0
		.amdhsa_exception_fp_ieee_overflow 0
		.amdhsa_exception_fp_ieee_underflow 0
		.amdhsa_exception_fp_ieee_inexact 0
		.amdhsa_exception_int_div_zero 0
	.end_amdhsa_kernel
	.section	.text._ZL34rocblas_gemvn_sm_mn_batched_kernelILi32ELi24EPKdS1_KPdEviiT2_lPKT1_lilS7_lilS4_lPT3_lili,"axG",@progbits,_ZL34rocblas_gemvn_sm_mn_batched_kernelILi32ELi24EPKdS1_KPdEviiT2_lPKT1_lilS7_lilS4_lPT3_lili,comdat
.Lfunc_end240:
	.size	_ZL34rocblas_gemvn_sm_mn_batched_kernelILi32ELi24EPKdS1_KPdEviiT2_lPKT1_lilS7_lilS4_lPT3_lili, .Lfunc_end240-_ZL34rocblas_gemvn_sm_mn_batched_kernelILi32ELi24EPKdS1_KPdEviiT2_lPKT1_lilS7_lilS4_lPT3_lili
                                        ; -- End function
	.set _ZL34rocblas_gemvn_sm_mn_batched_kernelILi32ELi24EPKdS1_KPdEviiT2_lPKT1_lilS7_lilS4_lPT3_lili.num_vgpr, 0
	.set _ZL34rocblas_gemvn_sm_mn_batched_kernelILi32ELi24EPKdS1_KPdEviiT2_lPKT1_lilS7_lilS4_lPT3_lili.num_agpr, 0
	.set _ZL34rocblas_gemvn_sm_mn_batched_kernelILi32ELi24EPKdS1_KPdEviiT2_lPKT1_lilS7_lilS4_lPT3_lili.numbered_sgpr, 0
	.set _ZL34rocblas_gemvn_sm_mn_batched_kernelILi32ELi24EPKdS1_KPdEviiT2_lPKT1_lilS7_lilS4_lPT3_lili.num_named_barrier, 0
	.set _ZL34rocblas_gemvn_sm_mn_batched_kernelILi32ELi24EPKdS1_KPdEviiT2_lPKT1_lilS7_lilS4_lPT3_lili.private_seg_size, 0
	.set _ZL34rocblas_gemvn_sm_mn_batched_kernelILi32ELi24EPKdS1_KPdEviiT2_lPKT1_lilS7_lilS4_lPT3_lili.uses_vcc, 0
	.set _ZL34rocblas_gemvn_sm_mn_batched_kernelILi32ELi24EPKdS1_KPdEviiT2_lPKT1_lilS7_lilS4_lPT3_lili.uses_flat_scratch, 0
	.set _ZL34rocblas_gemvn_sm_mn_batched_kernelILi32ELi24EPKdS1_KPdEviiT2_lPKT1_lilS7_lilS4_lPT3_lili.has_dyn_sized_stack, 0
	.set _ZL34rocblas_gemvn_sm_mn_batched_kernelILi32ELi24EPKdS1_KPdEviiT2_lPKT1_lilS7_lilS4_lPT3_lili.has_recursion, 0
	.set _ZL34rocblas_gemvn_sm_mn_batched_kernelILi32ELi24EPKdS1_KPdEviiT2_lPKT1_lilS7_lilS4_lPT3_lili.has_indirect_call, 0
	.section	.AMDGPU.csdata,"",@progbits
; Kernel info:
; codeLenInByte = 4
; TotalNumSgprs: 0
; NumVgprs: 0
; ScratchSize: 0
; MemoryBound: 0
; FloatMode: 240
; IeeeMode: 1
; LDSByteSize: 0 bytes/workgroup (compile time only)
; SGPRBlocks: 0
; VGPRBlocks: 0
; NumSGPRsForWavesPerEU: 1
; NumVGPRsForWavesPerEU: 1
; Occupancy: 16
; WaveLimiterHint : 0
; COMPUTE_PGM_RSRC2:SCRATCH_EN: 0
; COMPUTE_PGM_RSRC2:USER_SGPR: 6
; COMPUTE_PGM_RSRC2:TRAP_HANDLER: 0
; COMPUTE_PGM_RSRC2:TGID_X_EN: 1
; COMPUTE_PGM_RSRC2:TGID_Y_EN: 0
; COMPUTE_PGM_RSRC2:TGID_Z_EN: 0
; COMPUTE_PGM_RSRC2:TIDIG_COMP_CNT: 0
	.section	.text._ZL34rocblas_gemvn_sm_mn_batched_kernelILi32ELi24EPKddKPdEviiT2_lPKT1_lilS7_lilS4_lPT3_lili,"axG",@progbits,_ZL34rocblas_gemvn_sm_mn_batched_kernelILi32ELi24EPKddKPdEviiT2_lPKT1_lilS7_lilS4_lPT3_lili,comdat
	.globl	_ZL34rocblas_gemvn_sm_mn_batched_kernelILi32ELi24EPKddKPdEviiT2_lPKT1_lilS7_lilS4_lPT3_lili ; -- Begin function _ZL34rocblas_gemvn_sm_mn_batched_kernelILi32ELi24EPKddKPdEviiT2_lPKT1_lilS7_lilS4_lPT3_lili
	.p2align	8
	.type	_ZL34rocblas_gemvn_sm_mn_batched_kernelILi32ELi24EPKddKPdEviiT2_lPKT1_lilS7_lilS4_lPT3_lili,@function
_ZL34rocblas_gemvn_sm_mn_batched_kernelILi32ELi24EPKddKPdEviiT2_lPKT1_lilS7_lilS4_lPT3_lili: ; @_ZL34rocblas_gemvn_sm_mn_batched_kernelILi32ELi24EPKddKPdEviiT2_lPKT1_lilS7_lilS4_lPT3_lili
; %bb.0:
	s_endpgm
	.section	.rodata,"a",@progbits
	.p2align	6, 0x0
	.amdhsa_kernel _ZL34rocblas_gemvn_sm_mn_batched_kernelILi32ELi24EPKddKPdEviiT2_lPKT1_lilS7_lilS4_lPT3_lili
		.amdhsa_group_segment_fixed_size 0
		.amdhsa_private_segment_fixed_size 0
		.amdhsa_kernarg_size 140
		.amdhsa_user_sgpr_count 6
		.amdhsa_user_sgpr_private_segment_buffer 1
		.amdhsa_user_sgpr_dispatch_ptr 0
		.amdhsa_user_sgpr_queue_ptr 0
		.amdhsa_user_sgpr_kernarg_segment_ptr 1
		.amdhsa_user_sgpr_dispatch_id 0
		.amdhsa_user_sgpr_flat_scratch_init 0
		.amdhsa_user_sgpr_private_segment_size 0
		.amdhsa_wavefront_size32 1
		.amdhsa_uses_dynamic_stack 0
		.amdhsa_system_sgpr_private_segment_wavefront_offset 0
		.amdhsa_system_sgpr_workgroup_id_x 1
		.amdhsa_system_sgpr_workgroup_id_y 0
		.amdhsa_system_sgpr_workgroup_id_z 0
		.amdhsa_system_sgpr_workgroup_info 0
		.amdhsa_system_vgpr_workitem_id 0
		.amdhsa_next_free_vgpr 1
		.amdhsa_next_free_sgpr 1
		.amdhsa_reserve_vcc 0
		.amdhsa_reserve_flat_scratch 0
		.amdhsa_float_round_mode_32 0
		.amdhsa_float_round_mode_16_64 0
		.amdhsa_float_denorm_mode_32 3
		.amdhsa_float_denorm_mode_16_64 3
		.amdhsa_dx10_clamp 1
		.amdhsa_ieee_mode 1
		.amdhsa_fp16_overflow 0
		.amdhsa_workgroup_processor_mode 1
		.amdhsa_memory_ordered 1
		.amdhsa_forward_progress 1
		.amdhsa_shared_vgpr_count 0
		.amdhsa_exception_fp_ieee_invalid_op 0
		.amdhsa_exception_fp_denorm_src 0
		.amdhsa_exception_fp_ieee_div_zero 0
		.amdhsa_exception_fp_ieee_overflow 0
		.amdhsa_exception_fp_ieee_underflow 0
		.amdhsa_exception_fp_ieee_inexact 0
		.amdhsa_exception_int_div_zero 0
	.end_amdhsa_kernel
	.section	.text._ZL34rocblas_gemvn_sm_mn_batched_kernelILi32ELi24EPKddKPdEviiT2_lPKT1_lilS7_lilS4_lPT3_lili,"axG",@progbits,_ZL34rocblas_gemvn_sm_mn_batched_kernelILi32ELi24EPKddKPdEviiT2_lPKT1_lilS7_lilS4_lPT3_lili,comdat
.Lfunc_end241:
	.size	_ZL34rocblas_gemvn_sm_mn_batched_kernelILi32ELi24EPKddKPdEviiT2_lPKT1_lilS7_lilS4_lPT3_lili, .Lfunc_end241-_ZL34rocblas_gemvn_sm_mn_batched_kernelILi32ELi24EPKddKPdEviiT2_lPKT1_lilS7_lilS4_lPT3_lili
                                        ; -- End function
	.set _ZL34rocblas_gemvn_sm_mn_batched_kernelILi32ELi24EPKddKPdEviiT2_lPKT1_lilS7_lilS4_lPT3_lili.num_vgpr, 0
	.set _ZL34rocblas_gemvn_sm_mn_batched_kernelILi32ELi24EPKddKPdEviiT2_lPKT1_lilS7_lilS4_lPT3_lili.num_agpr, 0
	.set _ZL34rocblas_gemvn_sm_mn_batched_kernelILi32ELi24EPKddKPdEviiT2_lPKT1_lilS7_lilS4_lPT3_lili.numbered_sgpr, 0
	.set _ZL34rocblas_gemvn_sm_mn_batched_kernelILi32ELi24EPKddKPdEviiT2_lPKT1_lilS7_lilS4_lPT3_lili.num_named_barrier, 0
	.set _ZL34rocblas_gemvn_sm_mn_batched_kernelILi32ELi24EPKddKPdEviiT2_lPKT1_lilS7_lilS4_lPT3_lili.private_seg_size, 0
	.set _ZL34rocblas_gemvn_sm_mn_batched_kernelILi32ELi24EPKddKPdEviiT2_lPKT1_lilS7_lilS4_lPT3_lili.uses_vcc, 0
	.set _ZL34rocblas_gemvn_sm_mn_batched_kernelILi32ELi24EPKddKPdEviiT2_lPKT1_lilS7_lilS4_lPT3_lili.uses_flat_scratch, 0
	.set _ZL34rocblas_gemvn_sm_mn_batched_kernelILi32ELi24EPKddKPdEviiT2_lPKT1_lilS7_lilS4_lPT3_lili.has_dyn_sized_stack, 0
	.set _ZL34rocblas_gemvn_sm_mn_batched_kernelILi32ELi24EPKddKPdEviiT2_lPKT1_lilS7_lilS4_lPT3_lili.has_recursion, 0
	.set _ZL34rocblas_gemvn_sm_mn_batched_kernelILi32ELi24EPKddKPdEviiT2_lPKT1_lilS7_lilS4_lPT3_lili.has_indirect_call, 0
	.section	.AMDGPU.csdata,"",@progbits
; Kernel info:
; codeLenInByte = 4
; TotalNumSgprs: 0
; NumVgprs: 0
; ScratchSize: 0
; MemoryBound: 0
; FloatMode: 240
; IeeeMode: 1
; LDSByteSize: 0 bytes/workgroup (compile time only)
; SGPRBlocks: 0
; VGPRBlocks: 0
; NumSGPRsForWavesPerEU: 1
; NumVGPRsForWavesPerEU: 1
; Occupancy: 16
; WaveLimiterHint : 0
; COMPUTE_PGM_RSRC2:SCRATCH_EN: 0
; COMPUTE_PGM_RSRC2:USER_SGPR: 6
; COMPUTE_PGM_RSRC2:TRAP_HANDLER: 0
; COMPUTE_PGM_RSRC2:TGID_X_EN: 1
; COMPUTE_PGM_RSRC2:TGID_Y_EN: 0
; COMPUTE_PGM_RSRC2:TGID_Z_EN: 0
; COMPUTE_PGM_RSRC2:TIDIG_COMP_CNT: 0
	.section	.text._ZL20rocblas_gemvn_kernelILi64ELi4EiPKdS1_KPdEviiT3_lPKT2_lT1_lS7_lS8_lS4_lPT4_lS8_li,"axG",@progbits,_ZL20rocblas_gemvn_kernelILi64ELi4EiPKdS1_KPdEviiT3_lPKT2_lT1_lS7_lS8_lS4_lPT4_lS8_li,comdat
	.globl	_ZL20rocblas_gemvn_kernelILi64ELi4EiPKdS1_KPdEviiT3_lPKT2_lT1_lS7_lS8_lS4_lPT4_lS8_li ; -- Begin function _ZL20rocblas_gemvn_kernelILi64ELi4EiPKdS1_KPdEviiT3_lPKT2_lT1_lS7_lS8_lS4_lPT4_lS8_li
	.p2align	8
	.type	_ZL20rocblas_gemvn_kernelILi64ELi4EiPKdS1_KPdEviiT3_lPKT2_lT1_lS7_lS8_lS4_lPT4_lS8_li,@function
_ZL20rocblas_gemvn_kernelILi64ELi4EiPKdS1_KPdEviiT3_lPKT2_lT1_lS7_lS8_lS4_lPT4_lS8_li: ; @_ZL20rocblas_gemvn_kernelILi64ELi4EiPKdS1_KPdEviiT3_lPKT2_lT1_lS7_lS8_lS4_lPT4_lS8_li
; %bb.0:
	s_load_dwordx2 s[2:3], s[4:5], 0x9c
	s_waitcnt lgkmcnt(0)
	s_lshr_b32 s1, s2, 16
	s_and_b32 s2, s2, 0xffff
	s_and_b32 s3, s3, 0xffff
	s_mul_i32 s1, s1, s2
	s_mul_i32 s1, s1, s3
	s_cmpk_lg_i32 s1, 0x100
	s_cbranch_scc1 .LBB242_55
; %bb.1:
	s_clause 0x1
	s_load_dwordx8 s[16:23], s[4:5], 0x8
	s_load_dwordx8 s[8:15], s[4:5], 0x58
	s_mov_b32 s0, s7
	s_waitcnt lgkmcnt(0)
	s_mul_i32 s1, s19, s7
	s_mul_hi_u32 s3, s18, s7
	s_mul_i32 s2, s18, s7
	s_add_i32 s3, s3, s1
	s_mul_i32 s1, s11, s7
	s_lshl_b64 s[2:3], s[2:3], 3
	s_mul_hi_u32 s7, s10, s7
	s_add_u32 s2, s16, s2
	s_addc_u32 s3, s17, s3
	s_add_i32 s11, s7, s1
	s_mul_i32 s10, s10, s0
	s_mov_b64 s[16:17], 0
	s_lshl_b64 s[10:11], s[10:11], 3
	s_add_u32 s8, s8, s10
	s_addc_u32 s9, s9, s11
	s_load_dwordx2 s[10:11], s[2:3], 0x0
	s_load_dwordx2 s[8:9], s[8:9], 0x0
	s_waitcnt lgkmcnt(0)
	v_cmp_eq_f64_e64 s2, s[10:11], 0
	v_cmp_eq_f64_e64 s1, s[8:9], 1.0
	s_and_b32 s1, s2, s1
	s_and_b32 vcc_lo, exec_lo, s1
	s_cbranch_vccnz .LBB242_55
; %bb.2:
	v_cmp_neq_f64_e64 s3, s[10:11], 0
	s_and_b32 vcc_lo, exec_lo, s2
	s_mov_b32 s1, 0
	s_cbranch_vccnz .LBB242_4
; %bb.3:
	s_lshl_b64 s[16:17], s[0:1], 3
	s_add_u32 s16, s20, s16
	s_addc_u32 s17, s21, s17
	s_lshl_b64 s[18:19], s[22:23], 3
	s_load_dwordx2 s[16:17], s[16:17], 0x0
	s_waitcnt lgkmcnt(0)
	s_add_u32 s16, s16, s18
	s_addc_u32 s17, s17, s19
.LBB242_4:
	s_andn2_b32 vcc_lo, exec_lo, s3
	s_cbranch_vccnz .LBB242_6
; %bb.5:
	s_load_dwordx4 s[20:23], s[4:5], 0x38
	s_lshl_b64 s[18:19], s[0:1], 3
	s_waitcnt lgkmcnt(0)
	s_add_u32 s18, s20, s18
	s_addc_u32 s19, s21, s19
	s_lshl_b64 s[20:21], s[22:23], 3
	s_load_dwordx2 s[18:19], s[18:19], 0x0
	s_waitcnt lgkmcnt(0)
	s_add_u32 s18, s18, s20
	s_addc_u32 s19, s19, s21
	s_branch .LBB242_7
.LBB242_6:
	s_mov_b64 s[18:19], 0
.LBB242_7:
	s_lshl_b64 s[0:1], s[0:1], 3
	v_lshlrev_b32_e32 v54, 6, v1
	s_add_u32 s0, s12, s0
	s_addc_u32 s1, s13, s1
	s_lshl_b64 s[14:15], s[14:15], 3
	s_load_dwordx2 s[22:23], s[0:1], 0x0
	s_clause 0x1
	s_load_dwordx2 s[12:13], s[4:5], 0x0
	s_load_dword s20, s[4:5], 0x78
	v_add_nc_u32_e32 v53, v54, v0
	v_cmp_gt_u32_e64 s0, 0x100, v53
	s_waitcnt lgkmcnt(0)
	s_add_u32 s7, s22, s14
	s_addc_u32 s14, s23, s15
	s_andn2_b32 vcc_lo, exec_lo, s2
	s_cbranch_vccnz .LBB242_14
; %bb.8:
	s_mov_b32 s1, 0
	s_mov_b32 s15, 0
                                        ; implicit-def: $vgpr4_vgpr5
                                        ; implicit-def: $vgpr2_vgpr3
	s_and_saveexec_b32 s2, s0
	s_cbranch_execz .LBB242_15
; %bb.9:
	v_lshl_or_b32 v6, s6, 8, v53
	v_mov_b32_e32 v7, 0
	s_ashr_i32 s23, s12, 31
	s_mov_b32 s22, s12
	s_mov_b32 s3, 0
	s_mov_b32 s0, exec_lo
                                        ; implicit-def: $vgpr4_vgpr5
                                        ; implicit-def: $vgpr2_vgpr3
	v_cmpx_gt_i64_e64 s[22:23], v[6:7]
	s_cbranch_execz .LBB242_13
; %bb.10:
	v_cmp_eq_f64_e64 s3, s[8:9], 0
	v_mad_u64_u32 v[2:3], null, s20, v6, 0
	s_ashr_i32 s15, s20, 31
	v_mad_u64_u32 v[3:4], null, s15, v6, v[3:4]
	v_mov_b32_e32 v4, 0
	v_mov_b32_e32 v5, 0
	s_and_b32 vcc_lo, exec_lo, s3
	s_cbranch_vccnz .LBB242_12
; %bb.11:
	v_lshlrev_b64 v[4:5], 3, v[2:3]
	v_add_co_u32 v4, vcc_lo, s7, v4
	v_add_co_ci_u32_e64 v5, null, s14, v5, vcc_lo
	flat_load_dwordx2 v[4:5], v[4:5]
	s_waitcnt vmcnt(0) lgkmcnt(0)
	v_mul_f64 v[4:5], s[8:9], v[4:5]
.LBB242_12:
	s_mov_b32 s3, exec_lo
.LBB242_13:
	s_or_b32 exec_lo, exec_lo, s0
	s_and_b32 s15, s3, exec_lo
	s_or_b32 exec_lo, exec_lo, s2
	s_and_b32 vcc_lo, exec_lo, s1
	s_cbranch_vccnz .LBB242_16
	s_branch .LBB242_53
.LBB242_14:
	s_mov_b32 s15, 0
                                        ; implicit-def: $vgpr4_vgpr5
                                        ; implicit-def: $vgpr2_vgpr3
	s_cbranch_execnz .LBB242_16
	s_branch .LBB242_53
.LBB242_15:
	s_or_b32 exec_lo, exec_lo, s2
	s_and_b32 vcc_lo, exec_lo, s1
	s_cbranch_vccz .LBB242_53
.LBB242_16:
	s_clause 0x1
	s_load_dword s21, s[4:5], 0x28
	s_load_dword s4, s[4:5], 0x48
	s_ashr_i32 s0, s13, 31
	s_lshl_b32 s5, s6, 8
	s_lshr_b32 s0, s0, 28
	v_mov_b32_e32 v8, 0
	v_mov_b32_e32 v6, 0
	;; [unrolled: 1-line block ×4, first 2 shown]
	v_or_b32_e32 v55, s5, v0
	v_lshlrev_b32_e32 v56, 2, v1
	v_mov_b32_e32 v9, 0
	v_mov_b32_e32 v7, 0
	;; [unrolled: 1-line block ×4, first 2 shown]
	s_add_i32 s0, s13, s0
	s_mov_b32 s22, exec_lo
	s_and_b32 s6, s0, -16
	v_cmpx_gt_i32_e64 s6, v56
	s_cbranch_execz .LBB242_28
; %bb.17:
	v_add_nc_u32_e32 v2, 64, v55
	v_add_nc_u32_e32 v3, 0x80, v55
	v_add_nc_u32_e32 v4, 0xc0, v55
	s_waitcnt lgkmcnt(0)
	v_mul_lo_u32 v5, s21, v56
	v_mul_lo_u32 v14, v1, s4
	v_cmp_gt_i32_e64 s0, s12, v2
	v_add_nc_u32_e32 v2, 2, v56
	v_cmp_gt_i32_e64 s1, s12, v3
	v_cmp_gt_i32_e64 s2, s12, v4
	v_mul_lo_u32 v3, v1, s21
	v_add_nc_u32_e32 v4, 3, v56
	v_mad_u64_u32 v[10:11], null, s21, v2, v[0:1]
	v_mul_lo_u32 v59, s4, v2
	v_add3_u32 v57, v5, s21, v0
	v_mad_u64_u32 v[11:12], null, s21, v4, v[0:1]
	v_mad_u64_u32 v[12:13], null, s4, v56, s[4:5]
	v_mul_lo_u32 v60, s4, v4
	v_lshl_add_u32 v58, v3, 2, v0
	v_mov_b32_e32 v8, 0
	v_mov_b32_e32 v6, 0
	;; [unrolled: 1-line block ×8, first 2 shown]
	v_lshlrev_b32_e32 v61, 2, v14
	s_lshl_b32 s23, s21, 4
	s_lshl_b32 s25, s4, 4
	s_mov_b32 s24, 0
	s_mov_b32 s26, 0
	v_cmp_gt_i32_e32 vcc_lo, s12, v55
	s_branch .LBB242_22
.LBB242_18:                             ;   in Loop: Header=BB242_22 Depth=1
	s_or_b32 exec_lo, exec_lo, s29
	s_waitcnt vmcnt(3) lgkmcnt(3)
	v_fma_f64 v[4:5], v[13:14], v[45:46], v[4:5]
	s_waitcnt vmcnt(2) lgkmcnt(2)
	v_fma_f64 v[4:5], v[15:16], v[47:48], v[4:5]
	;; [unrolled: 2-line block ×4, first 2 shown]
.LBB242_19:                             ;   in Loop: Header=BB242_22 Depth=1
	s_or_b32 exec_lo, exec_lo, s28
	s_waitcnt vmcnt(3) lgkmcnt(3)
	v_fma_f64 v[6:7], v[13:14], v[37:38], v[6:7]
	s_waitcnt vmcnt(2) lgkmcnt(2)
	v_fma_f64 v[6:7], v[15:16], v[39:40], v[6:7]
	;; [unrolled: 2-line block ×4, first 2 shown]
.LBB242_20:                             ;   in Loop: Header=BB242_22 Depth=1
	s_or_b32 exec_lo, exec_lo, s3
	s_waitcnt vmcnt(3) lgkmcnt(3)
	v_fma_f64 v[8:9], v[13:14], v[21:22], v[8:9]
	s_waitcnt vmcnt(2) lgkmcnt(2)
	v_fma_f64 v[8:9], v[15:16], v[23:24], v[8:9]
	;; [unrolled: 2-line block ×4, first 2 shown]
.LBB242_21:                             ;   in Loop: Header=BB242_22 Depth=1
	s_or_b32 exec_lo, exec_lo, s27
	v_add_nc_u32_e32 v56, 16, v56
	v_add_nc_u32_e32 v57, s23, v57
	;; [unrolled: 1-line block ×5, first 2 shown]
	v_cmp_le_i32_e64 s3, s6, v56
	s_add_i32 s26, s26, s25
	s_or_b32 s24, s3, s24
	s_andn2_b32 exec_lo, exec_lo, s24
	s_cbranch_execz .LBB242_27
.LBB242_22:                             ; =>This Inner Loop Header: Depth=1
	s_and_saveexec_b32 s27, vcc_lo
	s_cbranch_execz .LBB242_21
; %bb.23:                               ;   in Loop: Header=BB242_22 Depth=1
	v_add_nc_u32_e32 v13, s26, v61
	v_add_nc_u32_e32 v15, s26, v12
	v_add_nc_u32_e32 v17, s26, v59
	v_add_nc_u32_e32 v19, s26, v60
	v_add_nc_u32_e32 v21, s5, v58
	v_ashrrev_i32_e32 v14, 31, v13
	v_ashrrev_i32_e32 v16, 31, v15
	;; [unrolled: 1-line block ×3, first 2 shown]
	v_add_nc_u32_e32 v23, s5, v57
	v_ashrrev_i32_e32 v20, 31, v19
	v_lshlrev_b64 v[13:14], 3, v[13:14]
	v_lshlrev_b64 v[15:16], 3, v[15:16]
	v_ashrrev_i32_e32 v22, 31, v21
	v_lshlrev_b64 v[17:18], 3, v[17:18]
	v_ashrrev_i32_e32 v24, 31, v23
	v_lshlrev_b64 v[19:20], 3, v[19:20]
	v_add_co_u32 v13, s3, s18, v13
	v_add_nc_u32_e32 v25, s5, v10
	v_add_co_ci_u32_e64 v14, null, s19, v14, s3
	v_add_co_u32 v15, s3, s18, v15
	v_lshlrev_b64 v[21:22], 3, v[21:22]
	v_add_nc_u32_e32 v27, s5, v11
	v_add_co_ci_u32_e64 v16, null, s19, v16, s3
	v_add_co_u32 v17, s3, s18, v17
	v_lshlrev_b64 v[23:24], 3, v[23:24]
	v_ashrrev_i32_e32 v26, 31, v25
	v_add_co_ci_u32_e64 v18, null, s19, v18, s3
	v_add_co_u32 v19, s3, s18, v19
	v_ashrrev_i32_e32 v28, 31, v27
	v_add_co_ci_u32_e64 v20, null, s19, v20, s3
	v_add_co_u32 v29, s3, s16, v21
	v_add_co_ci_u32_e64 v30, null, s17, v22, s3
	v_lshlrev_b64 v[21:22], 3, v[25:26]
	v_add_co_u32 v31, s3, s16, v23
	v_add_co_ci_u32_e64 v32, null, s17, v24, s3
	v_lshlrev_b64 v[23:24], 3, v[27:28]
	v_add_co_u32 v33, s3, s16, v21
	v_add_co_ci_u32_e64 v34, null, s17, v22, s3
	v_add_co_u32 v35, s3, s16, v23
	v_add_co_ci_u32_e64 v36, null, s17, v24, s3
	s_clause 0x3
	flat_load_dwordx2 v[13:14], v[13:14]
	flat_load_dwordx2 v[15:16], v[15:16]
	flat_load_dwordx2 v[17:18], v[17:18]
	flat_load_dwordx2 v[19:20], v[19:20]
	s_clause 0x3
	flat_load_dwordx2 v[21:22], v[29:30]
	flat_load_dwordx2 v[23:24], v[31:32]
	;; [unrolled: 1-line block ×4, first 2 shown]
	s_and_saveexec_b32 s3, s0
	s_cbranch_execz .LBB242_20
; %bb.24:                               ;   in Loop: Header=BB242_22 Depth=1
	s_clause 0x3
	flat_load_dwordx2 v[37:38], v[29:30] offset:512
	flat_load_dwordx2 v[39:40], v[31:32] offset:512
	flat_load_dwordx2 v[41:42], v[33:34] offset:512
	flat_load_dwordx2 v[43:44], v[35:36] offset:512
	s_and_saveexec_b32 s28, s1
	s_cbranch_execz .LBB242_19
; %bb.25:                               ;   in Loop: Header=BB242_22 Depth=1
	s_clause 0x3
	flat_load_dwordx2 v[45:46], v[29:30] offset:1024
	flat_load_dwordx2 v[47:48], v[31:32] offset:1024
	flat_load_dwordx2 v[49:50], v[33:34] offset:1024
	flat_load_dwordx2 v[51:52], v[35:36] offset:1024
	;; [unrolled: 8-line block ×3, first 2 shown]
	s_waitcnt vmcnt(3) lgkmcnt(3)
	v_fma_f64 v[2:3], v[13:14], v[29:30], v[2:3]
	s_waitcnt vmcnt(2) lgkmcnt(2)
	v_fma_f64 v[2:3], v[15:16], v[31:32], v[2:3]
	;; [unrolled: 2-line block ×4, first 2 shown]
	s_branch .LBB242_18
.LBB242_27:
	s_or_b32 exec_lo, exec_lo, s24
.LBB242_28:
	s_or_b32 exec_lo, exec_lo, s22
	s_sub_i32 s0, s13, s6
	s_cmp_lt_i32 s0, 1
	s_cbranch_scc1 .LBB242_46
; %bb.29:
	v_mov_b32_e32 v14, 0
	v_mov_b32_e32 v16, 0
	;; [unrolled: 1-line block ×4, first 2 shown]
	v_cmp_gt_i32_e32 vcc_lo, s13, v56
	v_mov_b32_e32 v15, 0
	v_mov_b32_e32 v17, 0
	;; [unrolled: 1-line block ×4, first 2 shown]
	v_or_b32_e32 v18, 1, v56
	s_and_saveexec_b32 s1, vcc_lo
	s_cbranch_execz .LBB242_37
; %bb.30:
	s_waitcnt lgkmcnt(0)
	v_mul_lo_u32 v10, v56, s4
	v_mov_b32_e32 v12, 0
	v_mov_b32_e32 v16, 0
	;; [unrolled: 1-line block ×6, first 2 shown]
	s_mov_b32 s2, exec_lo
	v_ashrrev_i32_e32 v11, 31, v10
	v_lshlrev_b64 v[10:11], 3, v[10:11]
	v_add_co_u32 v10, s0, s18, v10
	v_add_co_ci_u32_e64 v11, null, s19, v11, s0
	flat_load_dwordx2 v[10:11], v[10:11]
	v_cmpx_gt_i32_e64 s13, v18
	s_cbranch_execz .LBB242_36
; %bb.31:
	v_mul_lo_u32 v12, v18, s4
	v_mov_b32_e32 v16, 0
	v_mov_b32_e32 v14, 0
	v_or_b32_e32 v19, 2, v56
	v_mov_b32_e32 v17, 0
	v_mov_b32_e32 v15, 0
	s_mov_b32 s3, exec_lo
	v_ashrrev_i32_e32 v13, 31, v12
	v_lshlrev_b64 v[12:13], 3, v[12:13]
	v_add_co_u32 v12, s0, s18, v12
	v_add_co_ci_u32_e64 v13, null, s19, v13, s0
	flat_load_dwordx2 v[12:13], v[12:13]
	v_cmpx_gt_i32_e64 s13, v19
	s_cbranch_execz .LBB242_35
; %bb.32:
	v_mul_lo_u32 v14, v19, s4
	v_or_b32_e32 v19, 3, v56
	s_mov_b32 s6, exec_lo
	v_ashrrev_i32_e32 v15, 31, v14
	v_lshlrev_b64 v[14:15], 3, v[14:15]
	v_add_co_u32 v14, s0, s18, v14
	v_add_co_ci_u32_e64 v15, null, s19, v15, s0
	flat_load_dwordx2 v[16:17], v[14:15]
	v_mov_b32_e32 v14, 0
	v_mov_b32_e32 v15, 0
	v_cmpx_gt_i32_e64 s13, v19
	s_cbranch_execz .LBB242_34
; %bb.33:
	v_mul_lo_u32 v14, v19, s4
	v_ashrrev_i32_e32 v15, 31, v14
	v_lshlrev_b64 v[14:15], 3, v[14:15]
	v_add_co_u32 v14, s0, s18, v14
	v_add_co_ci_u32_e64 v15, null, s19, v15, s0
	flat_load_dwordx2 v[14:15], v[14:15]
.LBB242_34:
	s_or_b32 exec_lo, exec_lo, s6
.LBB242_35:
	s_or_b32 exec_lo, exec_lo, s3
.LBB242_36:
	s_or_b32 exec_lo, exec_lo, s2
.LBB242_37:
	s_or_b32 exec_lo, exec_lo, s1
	s_mov_b32 s1, exec_lo
	v_cmpx_gt_i32_e64 s12, v55
	s_cbranch_execz .LBB242_45
; %bb.38:
	s_waitcnt lgkmcnt(0)
	v_mul_lo_u32 v19, v56, s21
	v_mul_lo_u32 v21, v18, s21
	v_or_b32_e32 v22, 2, v56
	v_or_b32_e32 v24, 3, v56
	s_mov_b32 s0, exec_lo
	v_mul_lo_u32 v23, v22, s21
	v_cndmask_b32_e32 v19, 0, v19, vcc_lo
	v_cmp_gt_i32_e32 vcc_lo, s13, v18
	v_mul_lo_u32 v25, v24, s21
	v_add_nc_u32_e32 v19, v19, v55
	v_cndmask_b32_e32 v21, 0, v21, vcc_lo
	v_ashrrev_i32_e32 v20, 31, v19
	v_lshlrev_b64 v[19:20], 3, v[19:20]
	v_add_co_u32 v18, vcc_lo, s16, v19
	v_add_co_ci_u32_e64 v19, null, s17, v20, vcc_lo
	v_add_nc_u32_e32 v20, v21, v55
	flat_load_dwordx2 v[28:29], v[18:19]
	v_ashrrev_i32_e32 v21, 31, v20
	v_lshlrev_b64 v[20:21], 3, v[20:21]
	v_add_co_u32 v20, vcc_lo, s16, v20
	v_add_co_ci_u32_e64 v21, null, s17, v21, vcc_lo
	v_cmp_gt_i32_e32 vcc_lo, s13, v22
	flat_load_dwordx2 v[30:31], v[20:21]
	v_cndmask_b32_e32 v22, 0, v23, vcc_lo
	v_cmp_gt_i32_e32 vcc_lo, s13, v24
	v_add_nc_u32_e32 v22, v22, v55
	v_cndmask_b32_e32 v26, 0, v25, vcc_lo
	v_ashrrev_i32_e32 v23, 31, v22
	v_lshlrev_b64 v[22:23], 3, v[22:23]
	v_add_co_u32 v24, vcc_lo, s16, v22
	v_add_co_ci_u32_e64 v25, null, s17, v23, vcc_lo
	v_add_nc_u32_e32 v22, v26, v55
	flat_load_dwordx2 v[32:33], v[24:25]
	v_ashrrev_i32_e32 v23, 31, v22
	v_lshlrev_b64 v[22:23], 3, v[22:23]
	v_add_co_u32 v26, vcc_lo, s16, v22
	v_add_co_ci_u32_e64 v27, null, s17, v23, vcc_lo
	flat_load_dwordx2 v[22:23], v[26:27]
	s_waitcnt vmcnt(3) lgkmcnt(3)
	v_fma_f64 v[8:9], v[10:11], v[28:29], v[8:9]
	v_add_nc_u32_e32 v28, 64, v55
	s_waitcnt vmcnt(2) lgkmcnt(2)
	v_fma_f64 v[8:9], v[12:13], v[30:31], v[8:9]
	s_waitcnt vmcnt(1) lgkmcnt(1)
	v_fma_f64 v[8:9], v[16:17], v[32:33], v[8:9]
	v_cmpx_gt_i32_e64 s12, v28
	s_cbranch_execz .LBB242_44
; %bb.39:
	s_clause 0x3
	flat_load_dwordx2 v[30:31], v[18:19] offset:512
	flat_load_dwordx2 v[32:33], v[20:21] offset:512
	;; [unrolled: 1-line block ×4, first 2 shown]
	s_mov_b32 s2, exec_lo
	s_waitcnt vmcnt(3) lgkmcnt(3)
	v_fma_f64 v[6:7], v[10:11], v[30:31], v[6:7]
	v_add_nc_u32_e32 v30, 0x80, v55
	s_waitcnt vmcnt(2) lgkmcnt(2)
	v_fma_f64 v[6:7], v[12:13], v[32:33], v[6:7]
	s_waitcnt vmcnt(1) lgkmcnt(1)
	v_fma_f64 v[6:7], v[16:17], v[34:35], v[6:7]
	v_cmpx_gt_i32_e64 s12, v30
	s_cbranch_execz .LBB242_43
; %bb.40:
	s_clause 0x3
	flat_load_dwordx2 v[32:33], v[18:19] offset:1024
	flat_load_dwordx2 v[34:35], v[20:21] offset:1024
	;; [unrolled: 1-line block ×4, first 2 shown]
	s_mov_b32 s3, exec_lo
	s_waitcnt vmcnt(3) lgkmcnt(3)
	v_fma_f64 v[4:5], v[10:11], v[32:33], v[4:5]
	v_add_nc_u32_e32 v32, 0xc0, v55
	s_waitcnt vmcnt(2) lgkmcnt(2)
	v_fma_f64 v[4:5], v[12:13], v[34:35], v[4:5]
	s_waitcnt vmcnt(1) lgkmcnt(1)
	v_fma_f64 v[4:5], v[16:17], v[36:37], v[4:5]
	v_cmpx_gt_i32_e64 s12, v32
	s_cbranch_execz .LBB242_42
; %bb.41:
	s_clause 0x3
	flat_load_dwordx2 v[18:19], v[18:19] offset:1536
	flat_load_dwordx2 v[20:21], v[20:21] offset:1536
	;; [unrolled: 1-line block ×4, first 2 shown]
	s_waitcnt vmcnt(3) lgkmcnt(3)
	v_fma_f64 v[2:3], v[10:11], v[18:19], v[2:3]
	s_waitcnt vmcnt(2) lgkmcnt(2)
	v_fma_f64 v[2:3], v[12:13], v[20:21], v[2:3]
	s_waitcnt vmcnt(1) lgkmcnt(1)
	v_fma_f64 v[2:3], v[16:17], v[24:25], v[2:3]
	s_waitcnt vmcnt(0) lgkmcnt(0)
	v_fma_f64 v[2:3], v[14:15], v[26:27], v[2:3]
.LBB242_42:
	s_or_b32 exec_lo, exec_lo, s3
	s_waitcnt vmcnt(0) lgkmcnt(0)
	v_fma_f64 v[4:5], v[14:15], v[30:31], v[4:5]
.LBB242_43:
	s_or_b32 exec_lo, exec_lo, s2
	s_waitcnt vmcnt(0) lgkmcnt(0)
	v_fma_f64 v[6:7], v[14:15], v[28:29], v[6:7]
.LBB242_44:
	s_or_b32 exec_lo, exec_lo, s0
	s_waitcnt vmcnt(0) lgkmcnt(0)
	v_fma_f64 v[8:9], v[14:15], v[22:23], v[8:9]
.LBB242_45:
	s_or_b32 exec_lo, exec_lo, s1
.LBB242_46:
	v_lshlrev_b32_e32 v0, 3, v0
	s_mov_b32 s0, exec_lo
	v_lshl_or_b32 v1, v1, 11, v0
	ds_write2st64_b64 v1, v[8:9], v[6:7] offset1:1
	ds_write2st64_b64 v1, v[4:5], v[2:3] offset0:2 offset1:3
	s_waitcnt vmcnt(0) lgkmcnt(0)
	s_barrier
	buffer_gl0_inv
                                        ; implicit-def: $vgpr4_vgpr5
                                        ; implicit-def: $vgpr2_vgpr3
	v_cmpx_gt_u32_e32 0x100, v53
	s_cbranch_execz .LBB242_52
; %bb.47:
	v_lshl_add_u32 v7, v54, 3, v0
	v_or_b32_e32 v6, s5, v53
	s_mov_b32 s2, s15
	s_mov_b32 s1, exec_lo
	ds_read2st64_b64 v[0:3], v7 offset1:4
	s_waitcnt lgkmcnt(0)
	v_add_f64 v[4:5], v[0:1], v[2:3]
	ds_read2st64_b64 v[0:3], v7 offset0:8 offset1:12
	s_waitcnt lgkmcnt(0)
	v_add_f64 v[0:1], v[0:1], v[4:5]
                                        ; implicit-def: $vgpr4_vgpr5
	v_add_f64 v[0:1], v[2:3], v[0:1]
                                        ; implicit-def: $vgpr2_vgpr3
	ds_write_b64 v7, v[0:1]
	v_cmpx_gt_i32_e64 s12, v6
	s_cbranch_execz .LBB242_51
; %bb.48:
	v_cmp_eq_f64_e64 s2, s[8:9], 0
	v_mul_f64 v[4:5], s[10:11], v[0:1]
	v_mul_lo_u32 v2, s20, v6
	v_ashrrev_i32_e32 v3, 31, v2
	s_and_b32 vcc_lo, exec_lo, s2
	s_cbranch_vccnz .LBB242_50
; %bb.49:
	v_lshlrev_b64 v[0:1], 3, v[2:3]
	v_add_co_u32 v0, vcc_lo, s7, v0
	v_add_co_ci_u32_e64 v1, null, s14, v1, vcc_lo
	flat_load_dwordx2 v[0:1], v[0:1]
	s_waitcnt vmcnt(0) lgkmcnt(0)
	v_fma_f64 v[4:5], s[8:9], v[0:1], v[4:5]
.LBB242_50:
	s_or_b32 s2, s15, exec_lo
.LBB242_51:
	s_or_b32 exec_lo, exec_lo, s1
	s_andn2_b32 s1, s15, exec_lo
	s_and_b32 s2, s2, exec_lo
	s_or_b32 s15, s1, s2
.LBB242_52:
	s_or_b32 exec_lo, exec_lo, s0
.LBB242_53:
	s_and_saveexec_b32 s0, s15
	s_cbranch_execz .LBB242_55
; %bb.54:
	v_lshlrev_b64 v[0:1], 3, v[2:3]
	v_add_co_u32 v0, vcc_lo, s7, v0
	v_add_co_ci_u32_e64 v1, null, s14, v1, vcc_lo
	flat_store_dwordx2 v[0:1], v[4:5]
.LBB242_55:
	s_endpgm
	.section	.rodata,"a",@progbits
	.p2align	6, 0x0
	.amdhsa_kernel _ZL20rocblas_gemvn_kernelILi64ELi4EiPKdS1_KPdEviiT3_lPKT2_lT1_lS7_lS8_lS4_lPT4_lS8_li
		.amdhsa_group_segment_fixed_size 8192
		.amdhsa_private_segment_fixed_size 0
		.amdhsa_kernarg_size 400
		.amdhsa_user_sgpr_count 6
		.amdhsa_user_sgpr_private_segment_buffer 1
		.amdhsa_user_sgpr_dispatch_ptr 0
		.amdhsa_user_sgpr_queue_ptr 0
		.amdhsa_user_sgpr_kernarg_segment_ptr 1
		.amdhsa_user_sgpr_dispatch_id 0
		.amdhsa_user_sgpr_flat_scratch_init 0
		.amdhsa_user_sgpr_private_segment_size 0
		.amdhsa_wavefront_size32 1
		.amdhsa_uses_dynamic_stack 0
		.amdhsa_system_sgpr_private_segment_wavefront_offset 0
		.amdhsa_system_sgpr_workgroup_id_x 1
		.amdhsa_system_sgpr_workgroup_id_y 0
		.amdhsa_system_sgpr_workgroup_id_z 1
		.amdhsa_system_sgpr_workgroup_info 0
		.amdhsa_system_vgpr_workitem_id 1
		.amdhsa_next_free_vgpr 62
		.amdhsa_next_free_sgpr 30
		.amdhsa_reserve_vcc 1
		.amdhsa_reserve_flat_scratch 1
		.amdhsa_float_round_mode_32 0
		.amdhsa_float_round_mode_16_64 0
		.amdhsa_float_denorm_mode_32 3
		.amdhsa_float_denorm_mode_16_64 3
		.amdhsa_dx10_clamp 1
		.amdhsa_ieee_mode 1
		.amdhsa_fp16_overflow 0
		.amdhsa_workgroup_processor_mode 1
		.amdhsa_memory_ordered 1
		.amdhsa_forward_progress 1
		.amdhsa_shared_vgpr_count 0
		.amdhsa_exception_fp_ieee_invalid_op 0
		.amdhsa_exception_fp_denorm_src 0
		.amdhsa_exception_fp_ieee_div_zero 0
		.amdhsa_exception_fp_ieee_overflow 0
		.amdhsa_exception_fp_ieee_underflow 0
		.amdhsa_exception_fp_ieee_inexact 0
		.amdhsa_exception_int_div_zero 0
	.end_amdhsa_kernel
	.section	.text._ZL20rocblas_gemvn_kernelILi64ELi4EiPKdS1_KPdEviiT3_lPKT2_lT1_lS7_lS8_lS4_lPT4_lS8_li,"axG",@progbits,_ZL20rocblas_gemvn_kernelILi64ELi4EiPKdS1_KPdEviiT3_lPKT2_lT1_lS7_lS8_lS4_lPT4_lS8_li,comdat
.Lfunc_end242:
	.size	_ZL20rocblas_gemvn_kernelILi64ELi4EiPKdS1_KPdEviiT3_lPKT2_lT1_lS7_lS8_lS4_lPT4_lS8_li, .Lfunc_end242-_ZL20rocblas_gemvn_kernelILi64ELi4EiPKdS1_KPdEviiT3_lPKT2_lT1_lS7_lS8_lS4_lPT4_lS8_li
                                        ; -- End function
	.set _ZL20rocblas_gemvn_kernelILi64ELi4EiPKdS1_KPdEviiT3_lPKT2_lT1_lS7_lS8_lS4_lPT4_lS8_li.num_vgpr, 62
	.set _ZL20rocblas_gemvn_kernelILi64ELi4EiPKdS1_KPdEviiT3_lPKT2_lT1_lS7_lS8_lS4_lPT4_lS8_li.num_agpr, 0
	.set _ZL20rocblas_gemvn_kernelILi64ELi4EiPKdS1_KPdEviiT3_lPKT2_lT1_lS7_lS8_lS4_lPT4_lS8_li.numbered_sgpr, 30
	.set _ZL20rocblas_gemvn_kernelILi64ELi4EiPKdS1_KPdEviiT3_lPKT2_lT1_lS7_lS8_lS4_lPT4_lS8_li.num_named_barrier, 0
	.set _ZL20rocblas_gemvn_kernelILi64ELi4EiPKdS1_KPdEviiT3_lPKT2_lT1_lS7_lS8_lS4_lPT4_lS8_li.private_seg_size, 0
	.set _ZL20rocblas_gemvn_kernelILi64ELi4EiPKdS1_KPdEviiT3_lPKT2_lT1_lS7_lS8_lS4_lPT4_lS8_li.uses_vcc, 1
	.set _ZL20rocblas_gemvn_kernelILi64ELi4EiPKdS1_KPdEviiT3_lPKT2_lT1_lS7_lS8_lS4_lPT4_lS8_li.uses_flat_scratch, 1
	.set _ZL20rocblas_gemvn_kernelILi64ELi4EiPKdS1_KPdEviiT3_lPKT2_lT1_lS7_lS8_lS4_lPT4_lS8_li.has_dyn_sized_stack, 0
	.set _ZL20rocblas_gemvn_kernelILi64ELi4EiPKdS1_KPdEviiT3_lPKT2_lT1_lS7_lS8_lS4_lPT4_lS8_li.has_recursion, 0
	.set _ZL20rocblas_gemvn_kernelILi64ELi4EiPKdS1_KPdEviiT3_lPKT2_lT1_lS7_lS8_lS4_lPT4_lS8_li.has_indirect_call, 0
	.section	.AMDGPU.csdata,"",@progbits
; Kernel info:
; codeLenInByte = 2896
; TotalNumSgprs: 32
; NumVgprs: 62
; ScratchSize: 0
; MemoryBound: 0
; FloatMode: 240
; IeeeMode: 1
; LDSByteSize: 8192 bytes/workgroup (compile time only)
; SGPRBlocks: 0
; VGPRBlocks: 7
; NumSGPRsForWavesPerEU: 32
; NumVGPRsForWavesPerEU: 62
; Occupancy: 16
; WaveLimiterHint : 1
; COMPUTE_PGM_RSRC2:SCRATCH_EN: 0
; COMPUTE_PGM_RSRC2:USER_SGPR: 6
; COMPUTE_PGM_RSRC2:TRAP_HANDLER: 0
; COMPUTE_PGM_RSRC2:TGID_X_EN: 1
; COMPUTE_PGM_RSRC2:TGID_Y_EN: 0
; COMPUTE_PGM_RSRC2:TGID_Z_EN: 1
; COMPUTE_PGM_RSRC2:TIDIG_COMP_CNT: 1
	.section	.text._ZL20rocblas_gemvn_kernelILi64ELi4ElPKdS1_KPdEviiT3_lPKT2_lT1_lS7_lS8_lS4_lPT4_lS8_li,"axG",@progbits,_ZL20rocblas_gemvn_kernelILi64ELi4ElPKdS1_KPdEviiT3_lPKT2_lT1_lS7_lS8_lS4_lPT4_lS8_li,comdat
	.globl	_ZL20rocblas_gemvn_kernelILi64ELi4ElPKdS1_KPdEviiT3_lPKT2_lT1_lS7_lS8_lS4_lPT4_lS8_li ; -- Begin function _ZL20rocblas_gemvn_kernelILi64ELi4ElPKdS1_KPdEviiT3_lPKT2_lT1_lS7_lS8_lS4_lPT4_lS8_li
	.p2align	8
	.type	_ZL20rocblas_gemvn_kernelILi64ELi4ElPKdS1_KPdEviiT3_lPKT2_lT1_lS7_lS8_lS4_lPT4_lS8_li,@function
_ZL20rocblas_gemvn_kernelILi64ELi4ElPKdS1_KPdEviiT3_lPKT2_lT1_lS7_lS8_lS4_lPT4_lS8_li: ; @_ZL20rocblas_gemvn_kernelILi64ELi4ElPKdS1_KPdEviiT3_lPKT2_lT1_lS7_lS8_lS4_lPT4_lS8_li
; %bb.0:
	s_load_dwordx2 s[0:1], s[4:5], 0x9c
	s_waitcnt lgkmcnt(0)
	s_lshr_b32 s2, s0, 16
	s_and_b32 s0, s0, 0xffff
	s_and_b32 s1, s1, 0xffff
	s_mul_i32 s0, s2, s0
	s_mul_i32 s0, s0, s1
	s_cmpk_lg_i32 s0, 0x100
	s_cbranch_scc1 .LBB243_55
; %bb.1:
	s_clause 0x1
	s_load_dwordx8 s[16:23], s[4:5], 0x8
	s_load_dwordx8 s[8:15], s[4:5], 0x58
	s_mov_b32 s26, s7
	s_waitcnt lgkmcnt(0)
	s_mul_i32 s1, s19, s7
	s_mul_hi_u32 s2, s18, s7
	s_mul_i32 s0, s18, s7
	s_add_i32 s1, s2, s1
	s_mul_i32 s2, s11, s7
	s_lshl_b64 s[0:1], s[0:1], 3
	s_mul_hi_u32 s3, s10, s7
	s_add_u32 s0, s16, s0
	s_addc_u32 s1, s17, s1
	s_add_i32 s3, s3, s2
	s_mul_i32 s2, s10, s7
	s_mov_b64 s[18:19], 0
	s_lshl_b64 s[2:3], s[2:3], 3
	s_add_u32 s2, s8, s2
	s_addc_u32 s3, s9, s3
	s_load_dwordx2 s[10:11], s[0:1], 0x0
	s_load_dwordx2 s[8:9], s[2:3], 0x0
	s_waitcnt lgkmcnt(0)
	v_cmp_eq_f64_e64 s7, s[10:11], 0
	v_cmp_eq_f64_e64 s0, s[8:9], 1.0
	s_and_b32 s0, s7, s0
	s_and_b32 vcc_lo, exec_lo, s0
	s_cbranch_vccnz .LBB243_55
; %bb.2:
	v_cmp_neq_f64_e64 s28, s[10:11], 0
	s_clause 0x1
	s_load_dwordx2 s[24:25], s[4:5], 0x28
	s_load_dwordx2 s[16:17], s[4:5], 0x78
	s_and_b32 vcc_lo, exec_lo, s7
	s_mov_b32 s27, 0
	s_cbranch_vccnz .LBB243_4
; %bb.3:
	s_lshl_b64 s[0:1], s[26:27], 3
	s_add_u32 s0, s20, s0
	s_addc_u32 s1, s21, s1
	s_lshl_b64 s[2:3], s[22:23], 3
	s_load_dwordx2 s[0:1], s[0:1], 0x0
	s_waitcnt lgkmcnt(0)
	s_add_u32 s18, s0, s2
	s_addc_u32 s19, s1, s3
.LBB243_4:
	s_clause 0x1
	s_load_dwordx4 s[0:3], s[4:5], 0x38
	s_load_dwordx2 s[20:21], s[4:5], 0x48
	s_andn2_b32 vcc_lo, exec_lo, s28
	s_cbranch_vccnz .LBB243_6
; %bb.5:
	s_lshl_b64 s[22:23], s[26:27], 3
	s_waitcnt lgkmcnt(0)
	s_add_u32 s0, s0, s22
	s_addc_u32 s1, s1, s23
	s_lshl_b64 s[2:3], s[2:3], 3
	s_load_dwordx2 s[0:1], s[0:1], 0x0
	s_waitcnt lgkmcnt(0)
	s_add_u32 s22, s0, s2
	s_addc_u32 s23, s1, s3
	s_branch .LBB243_7
.LBB243_6:
	s_mov_b64 s[22:23], 0
.LBB243_7:
	s_waitcnt lgkmcnt(0)
	s_lshl_b64 s[0:1], s[26:27], 3
	v_lshlrev_b32_e32 v63, 6, v1
	s_add_u32 s0, s12, s0
	s_addc_u32 s1, s13, s1
	s_lshl_b64 s[14:15], s[14:15], 3
	s_load_dwordx2 s[2:3], s[0:1], 0x0
	s_load_dwordx2 s[12:13], s[4:5], 0x0
	v_add_nc_u32_e32 v62, v63, v0
	v_cmp_gt_u32_e64 s0, 0x100, v62
	s_waitcnt lgkmcnt(0)
	s_add_u32 s5, s2, s14
	s_addc_u32 s28, s3, s15
	s_andn2_b32 vcc_lo, exec_lo, s7
	s_cbranch_vccnz .LBB243_14
; %bb.8:
	s_mov_b32 s1, 0
	s_mov_b32 s29, 0
                                        ; implicit-def: $vgpr2_vgpr3
                                        ; implicit-def: $vgpr4_vgpr5
	s_and_saveexec_b32 s2, s0
	s_cbranch_execz .LBB243_15
; %bb.9:
	v_lshl_or_b32 v6, s6, 8, v62
	v_mov_b32_e32 v7, 0
	s_ashr_i32 s15, s12, 31
	s_mov_b32 s14, s12
	s_mov_b32 s3, 0
	s_mov_b32 s0, exec_lo
                                        ; implicit-def: $vgpr2_vgpr3
                                        ; implicit-def: $vgpr4_vgpr5
	v_cmpx_gt_i64_e64 s[14:15], v[6:7]
	s_cbranch_execz .LBB243_13
; %bb.10:
	v_cmp_eq_f64_e64 s3, s[8:9], 0
	v_mad_u64_u32 v[4:5], null, s16, v6, 0
	v_mov_b32_e32 v2, v5
	v_mad_u64_u32 v[5:6], null, s17, v6, v[2:3]
	v_mov_b32_e32 v2, 0
	v_mov_b32_e32 v3, 0
	s_and_b32 vcc_lo, exec_lo, s3
	s_cbranch_vccnz .LBB243_12
; %bb.11:
	v_lshlrev_b64 v[2:3], 3, v[4:5]
	v_add_co_u32 v2, vcc_lo, s5, v2
	v_add_co_ci_u32_e64 v3, null, s28, v3, vcc_lo
	flat_load_dwordx2 v[2:3], v[2:3]
	s_waitcnt vmcnt(0) lgkmcnt(0)
	v_mul_f64 v[2:3], s[8:9], v[2:3]
.LBB243_12:
	s_mov_b32 s3, exec_lo
.LBB243_13:
	s_or_b32 exec_lo, exec_lo, s0
	s_and_b32 s29, s3, exec_lo
	s_or_b32 exec_lo, exec_lo, s2
	s_and_b32 vcc_lo, exec_lo, s1
	s_cbranch_vccnz .LBB243_16
	s_branch .LBB243_53
.LBB243_14:
	s_mov_b32 s29, 0
                                        ; implicit-def: $vgpr2_vgpr3
                                        ; implicit-def: $vgpr4_vgpr5
	s_cbranch_execnz .LBB243_16
	s_branch .LBB243_53
.LBB243_15:
	s_or_b32 exec_lo, exec_lo, s2
	s_and_b32 vcc_lo, exec_lo, s1
	s_cbranch_vccz .LBB243_53
.LBB243_16:
	s_ashr_i32 s0, s13, 31
	s_lshl_b32 s30, s6, 8
	s_lshr_b32 s0, s0, 28
	v_mov_b32_e32 v10, 0
	v_mov_b32_e32 v8, 0
	;; [unrolled: 1-line block ×4, first 2 shown]
	v_lshlrev_b32_e32 v64, 2, v1
	v_or_b32_e32 v2, s30, v0
	v_mov_b32_e32 v11, 0
	v_mov_b32_e32 v9, 0
	;; [unrolled: 1-line block ×4, first 2 shown]
	s_add_i32 s0, s13, s0
	s_mov_b32 s33, exec_lo
	s_and_b32 s31, s0, -16
	v_cmpx_gt_i32_e64 s31, v64
	s_cbranch_execz .LBB243_28
; %bb.17:
	v_lshlrev_b32_e32 v26, 2, v1
	v_mad_u64_u32 v[6:7], null, s20, v1, 0
	v_add_nc_u32_e32 v12, 0xc0, v2
	v_mad_u64_u32 v[8:9], null, s24, v1, 0
	v_or_b32_e32 v20, 3, v26
	v_add_nc_u32_e32 v10, 64, v2
	v_cmp_gt_i32_e64 s2, s12, v12
	v_add_nc_u32_e32 v11, 0x80, v2
	v_ashrrev_i32_e32 v3, 31, v2
	v_mad_u64_u32 v[4:5], null, s24, v20, 0
	v_cmp_gt_i32_e64 s0, s12, v10
	v_cmp_gt_i32_e64 s1, s12, v11
	v_mad_u64_u32 v[10:11], null, s20, v26, s[20:21]
	v_mad_u64_u32 v[18:19], null, s20, v20, 0
	;; [unrolled: 1-line block ×3, first 2 shown]
	v_mov_b32_e32 v5, v7
	v_mov_b32_e32 v7, v9
	v_or_b32_e32 v27, 2, v26
	s_lshl_b64 s[6:7], s[24:25], 7
	s_lshl_b64 s[14:15], s[20:21], 7
	v_mad_u64_u32 v[14:15], null, s21, v1, v[5:6]
	v_mov_b32_e32 v5, v12
	v_lshlrev_b64 v[12:13], 3, v[2:3]
	v_mad_u64_u32 v[15:16], null, s25, v1, v[7:8]
	v_mad_u64_u32 v[16:17], null, s24, v27, 0
	v_lshlrev_b64 v[3:4], 3, v[4:5]
	v_mov_b32_e32 v5, v11
	v_mov_b32_e32 v11, v19
	;; [unrolled: 1-line block ×4, first 2 shown]
	v_mad_u64_u32 v[22:23], null, s20, v27, 0
	v_add_co_u32 v3, s3, s18, v3
	v_mad_u64_u32 v[19:20], null, s21, v20, v[11:12]
	v_add_co_ci_u32_e64 v65, null, s19, v4, s3
	v_mad_u64_u32 v[4:5], null, s21, v26, v[5:6]
	v_mad_u64_u32 v[20:21], null, s24, v26, s[24:25]
	v_mov_b32_e32 v5, v17
	v_lshlrev_b64 v[14:15], 5, v[6:7]
	v_mov_b32_e32 v7, v23
	v_lshlrev_b64 v[18:19], 3, v[18:19]
	v_mov_b32_e32 v11, v4
	v_mad_u64_u32 v[24:25], null, s25, v27, v[5:6]
	v_lshlrev_b64 v[5:6], 5, v[8:9]
	v_mov_b32_e32 v4, v21
	s_mov_b32 s34, 0
	s_mov_b64 s[26:27], s[22:23]
	v_cmp_gt_i32_e32 vcc_lo, s12, v2
	v_mad_u64_u32 v[8:9], null, s25, v26, v[4:5]
	v_mov_b32_e32 v17, v24
	v_add_co_u32 v66, s3, s18, v5
	v_add_co_ci_u32_e64 v67, null, s19, v6, s3
	v_lshlrev_b64 v[4:5], 3, v[16:17]
	v_mov_b32_e32 v21, v8
	v_mad_u64_u32 v[23:24], null, s21, v27, v[7:8]
	v_lshlrev_b64 v[16:17], 3, v[10:11]
	v_mov_b32_e32 v10, 0
	v_lshlrev_b64 v[24:25], 3, v[20:21]
	v_add_co_u32 v68, s3, s18, v4
	v_add_co_ci_u32_e64 v69, null, s19, v5, s3
	v_lshlrev_b64 v[20:21], 3, v[22:23]
	v_add_co_u32 v70, s3, s18, v24
	v_mov_b32_e32 v8, 0
	v_mov_b32_e32 v6, 0
	;; [unrolled: 1-line block ×7, first 2 shown]
	v_add_co_ci_u32_e64 v71, null, s19, v25, s3
	s_branch .LBB243_22
.LBB243_18:                             ;   in Loop: Header=BB243_22 Depth=1
	s_or_b32 exec_lo, exec_lo, s36
	s_waitcnt vmcnt(3) lgkmcnt(3)
	v_fma_f64 v[6:7], v[22:23], v[54:55], v[6:7]
	s_waitcnt vmcnt(2) lgkmcnt(2)
	v_fma_f64 v[6:7], v[24:25], v[56:57], v[6:7]
	;; [unrolled: 2-line block ×4, first 2 shown]
.LBB243_19:                             ;   in Loop: Header=BB243_22 Depth=1
	s_or_b32 exec_lo, exec_lo, s35
	s_waitcnt vmcnt(3) lgkmcnt(3)
	v_fma_f64 v[8:9], v[22:23], v[46:47], v[8:9]
	s_waitcnt vmcnt(2) lgkmcnt(2)
	v_fma_f64 v[8:9], v[24:25], v[48:49], v[8:9]
	;; [unrolled: 2-line block ×4, first 2 shown]
.LBB243_20:                             ;   in Loop: Header=BB243_22 Depth=1
	s_or_b32 exec_lo, exec_lo, s3
	s_waitcnt vmcnt(3) lgkmcnt(3)
	v_fma_f64 v[10:11], v[22:23], v[30:31], v[10:11]
	s_waitcnt vmcnt(2) lgkmcnt(2)
	v_fma_f64 v[10:11], v[24:25], v[32:33], v[10:11]
	;; [unrolled: 2-line block ×4, first 2 shown]
.LBB243_21:                             ;   in Loop: Header=BB243_22 Depth=1
	s_or_b32 exec_lo, exec_lo, s4
	v_add_co_u32 v3, s3, v3, s6
	v_add_nc_u32_e32 v64, 16, v64
	v_add_co_ci_u32_e64 v65, null, s7, v65, s3
	v_add_co_u32 v66, s3, v66, s6
	v_add_co_ci_u32_e64 v67, null, s7, v67, s3
	v_add_co_u32 v68, s3, v68, s6
	v_add_co_ci_u32_e64 v69, null, s7, v69, s3
	v_cmp_le_i32_e64 s3, s31, v64
	v_add_co_u32 v70, s4, v70, s6
	v_add_co_ci_u32_e64 v71, null, s7, v71, s4
	s_add_u32 s26, s26, s14
	s_addc_u32 s27, s27, s15
	s_or_b32 s34, s3, s34
	s_andn2_b32 exec_lo, exec_lo, s34
	s_cbranch_execz .LBB243_27
.LBB243_22:                             ; =>This Inner Loop Header: Depth=1
	s_and_saveexec_b32 s4, vcc_lo
	s_cbranch_execz .LBB243_21
; %bb.23:                               ;   in Loop: Header=BB243_22 Depth=1
	v_add_co_u32 v22, s3, s26, v14
	v_add_co_ci_u32_e64 v23, null, s27, v15, s3
	v_add_co_u32 v24, s3, s26, v16
	v_add_co_ci_u32_e64 v25, null, s27, v17, s3
	;; [unrolled: 2-line block ×8, first 2 shown]
	s_clause 0x3
	flat_load_dwordx2 v[22:23], v[22:23]
	flat_load_dwordx2 v[24:25], v[24:25]
	;; [unrolled: 1-line block ×8, first 2 shown]
	s_and_saveexec_b32 s3, s0
	s_cbranch_execz .LBB243_20
; %bb.24:                               ;   in Loop: Header=BB243_22 Depth=1
	flat_load_dwordx2 v[46:47], v[38:39] offset:512
	flat_load_dwordx2 v[48:49], v[40:41] offset:512
	flat_load_dwordx2 v[50:51], v[42:43] offset:512
	flat_load_dwordx2 v[52:53], v[44:45] offset:512
	s_and_saveexec_b32 s35, s1
	s_cbranch_execz .LBB243_19
; %bb.25:                               ;   in Loop: Header=BB243_22 Depth=1
	flat_load_dwordx2 v[54:55], v[38:39] offset:1024
	flat_load_dwordx2 v[56:57], v[40:41] offset:1024
	flat_load_dwordx2 v[58:59], v[42:43] offset:1024
	flat_load_dwordx2 v[60:61], v[44:45] offset:1024
	;; [unrolled: 7-line block ×3, first 2 shown]
	s_waitcnt vmcnt(3) lgkmcnt(3)
	v_fma_f64 v[4:5], v[22:23], v[38:39], v[4:5]
	s_waitcnt vmcnt(2) lgkmcnt(2)
	v_fma_f64 v[4:5], v[24:25], v[40:41], v[4:5]
	s_waitcnt vmcnt(1) lgkmcnt(1)
	v_fma_f64 v[4:5], v[26:27], v[42:43], v[4:5]
	s_waitcnt vmcnt(0) lgkmcnt(0)
	v_fma_f64 v[4:5], v[28:29], v[44:45], v[4:5]
	s_branch .LBB243_18
.LBB243_27:
	s_or_b32 exec_lo, exec_lo, s34
.LBB243_28:
	s_or_b32 exec_lo, exec_lo, s33
	s_sub_i32 s0, s13, s31
	s_cmp_lt_i32 s0, 1
	s_cbranch_scc1 .LBB243_46
; %bb.29:
	v_mov_b32_e32 v16, 0
	v_mov_b32_e32 v18, 0
	;; [unrolled: 1-line block ×4, first 2 shown]
	v_cmp_gt_i32_e32 vcc_lo, s13, v64
	v_mov_b32_e32 v17, 0
	v_mov_b32_e32 v19, 0
	;; [unrolled: 1-line block ×4, first 2 shown]
	v_or_b32_e32 v20, 1, v64
	s_and_saveexec_b32 s1, vcc_lo
	s_cbranch_execz .LBB243_37
; %bb.30:
	v_mad_u64_u32 v[12:13], null, s20, v64, 0
	v_mov_b32_e32 v18, 0
	v_mov_b32_e32 v16, 0
	;; [unrolled: 1-line block ×4, first 2 shown]
	s_mov_b32 s2, exec_lo
	v_mov_b32_e32 v3, v13
	v_mad_u64_u32 v[13:14], null, s21, v64, v[3:4]
	v_mov_b32_e32 v14, 0
	v_mov_b32_e32 v15, 0
	v_lshlrev_b64 v[12:13], 3, v[12:13]
	v_add_co_u32 v12, s0, s22, v12
	v_add_co_ci_u32_e64 v13, null, s23, v13, s0
	flat_load_dwordx2 v[12:13], v[12:13]
	v_cmpx_gt_i32_e64 s13, v20
	s_cbranch_execz .LBB243_36
; %bb.31:
	v_mad_u64_u32 v[14:15], null, s20, v20, 0
	v_mov_b32_e32 v18, 0
	v_mov_b32_e32 v19, 0
	s_mov_b32 s3, exec_lo
	v_mov_b32_e32 v3, v15
	v_mad_u64_u32 v[15:16], null, s21, v20, v[3:4]
	v_mov_b32_e32 v16, 0
	v_or_b32_e32 v3, 2, v64
	v_mov_b32_e32 v17, 0
	v_lshlrev_b64 v[14:15], 3, v[14:15]
	v_add_co_u32 v14, s0, s22, v14
	v_add_co_ci_u32_e64 v15, null, s23, v15, s0
	flat_load_dwordx2 v[14:15], v[14:15]
	v_cmpx_gt_i32_e64 s13, v3
	s_cbranch_execz .LBB243_35
; %bb.32:
	v_mad_u64_u32 v[16:17], null, s20, v3, 0
	s_mov_b32 s4, exec_lo
	v_mad_u64_u32 v[17:18], null, s21, v3, v[17:18]
	v_or_b32_e32 v3, 3, v64
	v_lshlrev_b64 v[16:17], 3, v[16:17]
	v_add_co_u32 v16, s0, s22, v16
	v_add_co_ci_u32_e64 v17, null, s23, v17, s0
	flat_load_dwordx2 v[18:19], v[16:17]
	v_mov_b32_e32 v16, 0
	v_mov_b32_e32 v17, 0
	v_cmpx_gt_i32_e64 s13, v3
	s_cbranch_execz .LBB243_34
; %bb.33:
	v_mad_u64_u32 v[16:17], null, s20, v3, 0
	s_waitcnt vmcnt(0) lgkmcnt(0)
	v_mad_u64_u32 v[21:22], null, s21, v3, v[17:18]
	v_mov_b32_e32 v17, v21
	v_lshlrev_b64 v[16:17], 3, v[16:17]
	v_add_co_u32 v16, s0, s22, v16
	v_add_co_ci_u32_e64 v17, null, s23, v17, s0
	flat_load_dwordx2 v[16:17], v[16:17]
.LBB243_34:
	s_or_b32 exec_lo, exec_lo, s4
.LBB243_35:
	s_or_b32 exec_lo, exec_lo, s3
.LBB243_36:
	s_or_b32 exec_lo, exec_lo, s2
.LBB243_37:
	s_or_b32 exec_lo, exec_lo, s1
	s_mov_b32 s1, exec_lo
	v_cmpx_gt_i32_e64 s12, v2
	s_cbranch_execz .LBB243_45
; %bb.38:
	v_mad_u64_u32 v[21:22], null, s24, v64, 0
	v_or_b32_e32 v32, 2, v64
	v_or_b32_e32 v36, 3, v64
	v_mad_u64_u32 v[26:27], null, s24, v32, 0
	v_mov_b32_e32 v3, v22
	v_cndmask_b32_e32 v21, 0, v21, vcc_lo
	v_mad_u64_u32 v[22:23], null, s25, v64, v[3:4]
	v_mad_u64_u32 v[23:24], null, s24, v20, 0
	v_ashrrev_i32_e32 v3, 31, v2
	v_cndmask_b32_e32 v22, 0, v22, vcc_lo
	v_lshlrev_b64 v[28:29], 3, v[2:3]
	v_mad_u64_u32 v[24:25], null, s25, v20, v[24:25]
	v_cmp_gt_i32_e32 vcc_lo, s13, v20
	v_lshlrev_b64 v[21:22], 3, v[21:22]
	v_cndmask_b32_e32 v23, 0, v23, vcc_lo
	v_cndmask_b32_e32 v24, 0, v24, vcc_lo
	v_add_co_u32 v3, s0, s18, v21
	v_add_co_ci_u32_e64 v21, null, s19, v22, s0
	v_lshlrev_b64 v[22:23], 3, v[23:24]
	v_add_co_u32 v20, vcc_lo, v3, v28
	v_add_co_ci_u32_e64 v21, null, v21, v29, vcc_lo
	v_mov_b32_e32 v3, v27
	v_add_co_u32 v24, vcc_lo, s18, v22
	flat_load_dwordx2 v[30:31], v[20:21]
	v_add_co_ci_u32_e64 v25, null, s19, v23, vcc_lo
	v_mad_u64_u32 v[22:23], null, s25, v32, v[3:4]
	v_add_co_u32 v24, s0, v24, v28
	v_cmp_gt_i32_e32 vcc_lo, s13, v32
	v_add_co_ci_u32_e64 v25, null, v25, v29, s0
	v_cndmask_b32_e32 v26, 0, v26, vcc_lo
	v_cndmask_b32_e32 v27, 0, v22, vcc_lo
	v_mad_u64_u32 v[22:23], null, s24, v36, 0
	flat_load_dwordx2 v[32:33], v[24:25]
	v_lshlrev_b64 v[26:27], 3, v[26:27]
	v_mov_b32_e32 v3, v23
	v_add_co_u32 v23, vcc_lo, s18, v26
	v_add_co_ci_u32_e64 v27, null, s19, v27, vcc_lo
	v_mad_u64_u32 v[34:35], null, s25, v36, v[3:4]
	v_add_co_u32 v26, s0, v23, v28
	v_cmp_gt_i32_e32 vcc_lo, s13, v36
	v_add_co_ci_u32_e64 v27, null, v27, v29, s0
	s_mov_b32 s0, exec_lo
	v_cndmask_b32_e32 v22, 0, v22, vcc_lo
	v_cndmask_b32_e32 v23, 0, v34, vcc_lo
	flat_load_dwordx2 v[34:35], v[26:27]
	v_lshlrev_b64 v[22:23], 3, v[22:23]
	v_add_co_u32 v3, vcc_lo, s18, v22
	v_add_co_ci_u32_e64 v22, null, s19, v23, vcc_lo
	v_add_co_u32 v28, vcc_lo, v3, v28
	v_add_co_ci_u32_e64 v29, null, v22, v29, vcc_lo
	v_add_nc_u32_e32 v3, 64, v2
	flat_load_dwordx2 v[22:23], v[28:29]
	s_waitcnt vmcnt(3) lgkmcnt(3)
	v_fma_f64 v[10:11], v[12:13], v[30:31], v[10:11]
	s_waitcnt vmcnt(2) lgkmcnt(2)
	v_fma_f64 v[10:11], v[14:15], v[32:33], v[10:11]
	;; [unrolled: 2-line block ×3, first 2 shown]
	v_cmpx_gt_i32_e64 s12, v3
	s_cbranch_execz .LBB243_44
; %bb.39:
	s_clause 0x3
	flat_load_dwordx2 v[32:33], v[20:21] offset:512
	flat_load_dwordx2 v[34:35], v[24:25] offset:512
	;; [unrolled: 1-line block ×4, first 2 shown]
	v_add_nc_u32_e32 v3, 0x80, v2
	s_mov_b32 s2, exec_lo
	s_waitcnt vmcnt(3) lgkmcnt(3)
	v_fma_f64 v[8:9], v[12:13], v[32:33], v[8:9]
	s_waitcnt vmcnt(2) lgkmcnt(2)
	v_fma_f64 v[8:9], v[14:15], v[34:35], v[8:9]
	;; [unrolled: 2-line block ×3, first 2 shown]
	v_cmpx_gt_i32_e64 s12, v3
	s_cbranch_execz .LBB243_43
; %bb.40:
	s_clause 0x3
	flat_load_dwordx2 v[34:35], v[20:21] offset:1024
	flat_load_dwordx2 v[36:37], v[24:25] offset:1024
	;; [unrolled: 1-line block ×4, first 2 shown]
	v_add_nc_u32_e32 v2, 0xc0, v2
	s_mov_b32 s3, exec_lo
	s_waitcnt vmcnt(3) lgkmcnt(3)
	v_fma_f64 v[6:7], v[12:13], v[34:35], v[6:7]
	s_waitcnt vmcnt(2) lgkmcnt(2)
	v_fma_f64 v[6:7], v[14:15], v[36:37], v[6:7]
	;; [unrolled: 2-line block ×3, first 2 shown]
	v_cmpx_gt_i32_e64 s12, v2
	s_cbranch_execz .LBB243_42
; %bb.41:
	s_clause 0x3
	flat_load_dwordx2 v[2:3], v[20:21] offset:1536
	flat_load_dwordx2 v[20:21], v[24:25] offset:1536
	;; [unrolled: 1-line block ×4, first 2 shown]
	s_waitcnt vmcnt(3) lgkmcnt(3)
	v_fma_f64 v[2:3], v[12:13], v[2:3], v[4:5]
	s_waitcnt vmcnt(2) lgkmcnt(2)
	v_fma_f64 v[2:3], v[14:15], v[20:21], v[2:3]
	;; [unrolled: 2-line block ×4, first 2 shown]
.LBB243_42:
	s_or_b32 exec_lo, exec_lo, s3
	s_waitcnt vmcnt(0) lgkmcnt(0)
	v_fma_f64 v[6:7], v[16:17], v[32:33], v[6:7]
.LBB243_43:
	s_or_b32 exec_lo, exec_lo, s2
	s_waitcnt vmcnt(0) lgkmcnt(0)
	v_fma_f64 v[8:9], v[16:17], v[30:31], v[8:9]
.LBB243_44:
	s_or_b32 exec_lo, exec_lo, s0
	s_waitcnt vmcnt(0) lgkmcnt(0)
	v_fma_f64 v[10:11], v[16:17], v[22:23], v[10:11]
.LBB243_45:
	s_or_b32 exec_lo, exec_lo, s1
.LBB243_46:
	v_lshlrev_b32_e32 v0, 3, v0
	s_mov_b32 s0, exec_lo
                                        ; implicit-def: $vgpr2_vgpr3
	v_lshl_or_b32 v1, v1, 11, v0
	ds_write2st64_b64 v1, v[10:11], v[8:9] offset1:1
	ds_write2st64_b64 v1, v[6:7], v[4:5] offset0:2 offset1:3
	s_waitcnt vmcnt(0) lgkmcnt(0)
	s_barrier
	buffer_gl0_inv
                                        ; implicit-def: $vgpr4_vgpr5
	v_cmpx_gt_u32_e32 0x100, v62
	s_cbranch_execz .LBB243_52
; %bb.47:
	v_lshl_add_u32 v7, v63, 3, v0
	v_or_b32_e32 v6, s30, v62
	s_mov_b32 s2, s29
	s_mov_b32 s1, exec_lo
	ds_read2st64_b64 v[0:3], v7 offset1:4
	s_waitcnt lgkmcnt(0)
	v_add_f64 v[4:5], v[0:1], v[2:3]
	ds_read2st64_b64 v[0:3], v7 offset0:8 offset1:12
	s_waitcnt lgkmcnt(0)
	v_add_f64 v[0:1], v[0:1], v[4:5]
                                        ; implicit-def: $vgpr4_vgpr5
	v_add_f64 v[0:1], v[2:3], v[0:1]
                                        ; implicit-def: $vgpr2_vgpr3
	ds_write_b64 v7, v[0:1]
	v_cmpx_gt_i32_e64 s12, v6
	s_cbranch_execz .LBB243_51
; %bb.48:
	v_cmp_eq_f64_e64 s2, s[8:9], 0
	v_mul_f64 v[2:3], s[10:11], v[0:1]
	v_ashrrev_i32_e32 v0, 31, v6
	v_mul_lo_u32 v1, s17, v6
	v_mad_u64_u32 v[4:5], null, s16, v6, 0
	v_mul_lo_u32 v0, s16, v0
	v_add3_u32 v5, v5, v0, v1
	s_and_b32 vcc_lo, exec_lo, s2
	s_cbranch_vccnz .LBB243_50
; %bb.49:
	v_lshlrev_b64 v[0:1], 3, v[4:5]
	v_add_co_u32 v0, vcc_lo, s5, v0
	v_add_co_ci_u32_e64 v1, null, s28, v1, vcc_lo
	flat_load_dwordx2 v[0:1], v[0:1]
	s_waitcnt vmcnt(0) lgkmcnt(0)
	v_fma_f64 v[2:3], s[8:9], v[0:1], v[2:3]
.LBB243_50:
	s_or_b32 s2, s29, exec_lo
.LBB243_51:
	s_or_b32 exec_lo, exec_lo, s1
	s_andn2_b32 s1, s29, exec_lo
	s_and_b32 s2, s2, exec_lo
	s_or_b32 s29, s1, s2
.LBB243_52:
	s_or_b32 exec_lo, exec_lo, s0
.LBB243_53:
	s_and_saveexec_b32 s0, s29
	s_cbranch_execz .LBB243_55
; %bb.54:
	v_lshlrev_b64 v[0:1], 3, v[4:5]
	v_add_co_u32 v0, vcc_lo, s5, v0
	v_add_co_ci_u32_e64 v1, null, s28, v1, vcc_lo
	flat_store_dwordx2 v[0:1], v[2:3]
.LBB243_55:
	s_endpgm
	.section	.rodata,"a",@progbits
	.p2align	6, 0x0
	.amdhsa_kernel _ZL20rocblas_gemvn_kernelILi64ELi4ElPKdS1_KPdEviiT3_lPKT2_lT1_lS7_lS8_lS4_lPT4_lS8_li
		.amdhsa_group_segment_fixed_size 8192
		.amdhsa_private_segment_fixed_size 0
		.amdhsa_kernarg_size 400
		.amdhsa_user_sgpr_count 6
		.amdhsa_user_sgpr_private_segment_buffer 1
		.amdhsa_user_sgpr_dispatch_ptr 0
		.amdhsa_user_sgpr_queue_ptr 0
		.amdhsa_user_sgpr_kernarg_segment_ptr 1
		.amdhsa_user_sgpr_dispatch_id 0
		.amdhsa_user_sgpr_flat_scratch_init 0
		.amdhsa_user_sgpr_private_segment_size 0
		.amdhsa_wavefront_size32 1
		.amdhsa_uses_dynamic_stack 0
		.amdhsa_system_sgpr_private_segment_wavefront_offset 0
		.amdhsa_system_sgpr_workgroup_id_x 1
		.amdhsa_system_sgpr_workgroup_id_y 0
		.amdhsa_system_sgpr_workgroup_id_z 1
		.amdhsa_system_sgpr_workgroup_info 0
		.amdhsa_system_vgpr_workitem_id 1
		.amdhsa_next_free_vgpr 72
		.amdhsa_next_free_sgpr 37
		.amdhsa_reserve_vcc 1
		.amdhsa_reserve_flat_scratch 1
		.amdhsa_float_round_mode_32 0
		.amdhsa_float_round_mode_16_64 0
		.amdhsa_float_denorm_mode_32 3
		.amdhsa_float_denorm_mode_16_64 3
		.amdhsa_dx10_clamp 1
		.amdhsa_ieee_mode 1
		.amdhsa_fp16_overflow 0
		.amdhsa_workgroup_processor_mode 1
		.amdhsa_memory_ordered 1
		.amdhsa_forward_progress 1
		.amdhsa_shared_vgpr_count 0
		.amdhsa_exception_fp_ieee_invalid_op 0
		.amdhsa_exception_fp_denorm_src 0
		.amdhsa_exception_fp_ieee_div_zero 0
		.amdhsa_exception_fp_ieee_overflow 0
		.amdhsa_exception_fp_ieee_underflow 0
		.amdhsa_exception_fp_ieee_inexact 0
		.amdhsa_exception_int_div_zero 0
	.end_amdhsa_kernel
	.section	.text._ZL20rocblas_gemvn_kernelILi64ELi4ElPKdS1_KPdEviiT3_lPKT2_lT1_lS7_lS8_lS4_lPT4_lS8_li,"axG",@progbits,_ZL20rocblas_gemvn_kernelILi64ELi4ElPKdS1_KPdEviiT3_lPKT2_lT1_lS7_lS8_lS4_lPT4_lS8_li,comdat
.Lfunc_end243:
	.size	_ZL20rocblas_gemvn_kernelILi64ELi4ElPKdS1_KPdEviiT3_lPKT2_lT1_lS7_lS8_lS4_lPT4_lS8_li, .Lfunc_end243-_ZL20rocblas_gemvn_kernelILi64ELi4ElPKdS1_KPdEviiT3_lPKT2_lT1_lS7_lS8_lS4_lPT4_lS8_li
                                        ; -- End function
	.set _ZL20rocblas_gemvn_kernelILi64ELi4ElPKdS1_KPdEviiT3_lPKT2_lT1_lS7_lS8_lS4_lPT4_lS8_li.num_vgpr, 72
	.set _ZL20rocblas_gemvn_kernelILi64ELi4ElPKdS1_KPdEviiT3_lPKT2_lT1_lS7_lS8_lS4_lPT4_lS8_li.num_agpr, 0
	.set _ZL20rocblas_gemvn_kernelILi64ELi4ElPKdS1_KPdEviiT3_lPKT2_lT1_lS7_lS8_lS4_lPT4_lS8_li.numbered_sgpr, 37
	.set _ZL20rocblas_gemvn_kernelILi64ELi4ElPKdS1_KPdEviiT3_lPKT2_lT1_lS7_lS8_lS4_lPT4_lS8_li.num_named_barrier, 0
	.set _ZL20rocblas_gemvn_kernelILi64ELi4ElPKdS1_KPdEviiT3_lPKT2_lT1_lS7_lS8_lS4_lPT4_lS8_li.private_seg_size, 0
	.set _ZL20rocblas_gemvn_kernelILi64ELi4ElPKdS1_KPdEviiT3_lPKT2_lT1_lS7_lS8_lS4_lPT4_lS8_li.uses_vcc, 1
	.set _ZL20rocblas_gemvn_kernelILi64ELi4ElPKdS1_KPdEviiT3_lPKT2_lT1_lS7_lS8_lS4_lPT4_lS8_li.uses_flat_scratch, 1
	.set _ZL20rocblas_gemvn_kernelILi64ELi4ElPKdS1_KPdEviiT3_lPKT2_lT1_lS7_lS8_lS4_lPT4_lS8_li.has_dyn_sized_stack, 0
	.set _ZL20rocblas_gemvn_kernelILi64ELi4ElPKdS1_KPdEviiT3_lPKT2_lT1_lS7_lS8_lS4_lPT4_lS8_li.has_recursion, 0
	.set _ZL20rocblas_gemvn_kernelILi64ELi4ElPKdS1_KPdEviiT3_lPKT2_lT1_lS7_lS8_lS4_lPT4_lS8_li.has_indirect_call, 0
	.section	.AMDGPU.csdata,"",@progbits
; Kernel info:
; codeLenInByte = 3196
; TotalNumSgprs: 39
; NumVgprs: 72
; ScratchSize: 0
; MemoryBound: 1
; FloatMode: 240
; IeeeMode: 1
; LDSByteSize: 8192 bytes/workgroup (compile time only)
; SGPRBlocks: 0
; VGPRBlocks: 8
; NumSGPRsForWavesPerEU: 39
; NumVGPRsForWavesPerEU: 72
; Occupancy: 12
; WaveLimiterHint : 1
; COMPUTE_PGM_RSRC2:SCRATCH_EN: 0
; COMPUTE_PGM_RSRC2:USER_SGPR: 6
; COMPUTE_PGM_RSRC2:TRAP_HANDLER: 0
; COMPUTE_PGM_RSRC2:TGID_X_EN: 1
; COMPUTE_PGM_RSRC2:TGID_Y_EN: 0
; COMPUTE_PGM_RSRC2:TGID_Z_EN: 1
; COMPUTE_PGM_RSRC2:TIDIG_COMP_CNT: 1
	.section	.text._ZL20rocblas_gemvn_kernelILi64ELi4EiPKddKPdEviiT3_lPKT2_lT1_lS7_lS8_lS4_lPT4_lS8_li,"axG",@progbits,_ZL20rocblas_gemvn_kernelILi64ELi4EiPKddKPdEviiT3_lPKT2_lT1_lS7_lS8_lS4_lPT4_lS8_li,comdat
	.globl	_ZL20rocblas_gemvn_kernelILi64ELi4EiPKddKPdEviiT3_lPKT2_lT1_lS7_lS8_lS4_lPT4_lS8_li ; -- Begin function _ZL20rocblas_gemvn_kernelILi64ELi4EiPKddKPdEviiT3_lPKT2_lT1_lS7_lS8_lS4_lPT4_lS8_li
	.p2align	8
	.type	_ZL20rocblas_gemvn_kernelILi64ELi4EiPKddKPdEviiT3_lPKT2_lT1_lS7_lS8_lS4_lPT4_lS8_li,@function
_ZL20rocblas_gemvn_kernelILi64ELi4EiPKddKPdEviiT3_lPKT2_lT1_lS7_lS8_lS4_lPT4_lS8_li: ; @_ZL20rocblas_gemvn_kernelILi64ELi4EiPKddKPdEviiT3_lPKT2_lT1_lS7_lS8_lS4_lPT4_lS8_li
; %bb.0:
	s_load_dwordx2 s[2:3], s[4:5], 0x9c
	s_waitcnt lgkmcnt(0)
	s_lshr_b32 s1, s2, 16
	s_and_b32 s2, s2, 0xffff
	s_and_b32 s3, s3, 0xffff
	s_mul_i32 s1, s1, s2
	s_mul_i32 s1, s1, s3
	s_cmpk_lg_i32 s1, 0x100
	s_cbranch_scc1 .LBB244_56
; %bb.1:
	s_clause 0x1
	s_load_dwordx2 s[10:11], s[4:5], 0x8
	s_load_dwordx2 s[8:9], s[4:5], 0x58
	s_waitcnt lgkmcnt(0)
	v_cmp_eq_f64_e64 s2, s[10:11], 0
	v_cmp_eq_f64_e64 s1, s[8:9], 1.0
	s_and_b32 s1, s2, s1
	s_and_b32 vcc_lo, exec_lo, s1
	s_cbranch_vccnz .LBB244_56
; %bb.2:
	v_cmp_neq_f64_e64 s3, s[10:11], 0
	s_mov_b32 s0, s7
	s_mov_b32 s1, 0
	s_and_b32 vcc_lo, exec_lo, s3
	s_cbranch_vccnz .LBB244_4
; %bb.3:
	s_mov_b32 s7, s1
	s_mov_b64 s[16:17], 0
	s_andn2_b32 vcc_lo, exec_lo, s7
	s_mov_b64 s[14:15], 0
	s_cbranch_vccz .LBB244_5
	s_branch .LBB244_6
.LBB244_4:
	s_mov_b64 s[16:17], 0
	s_mov_b64 s[14:15], 0
.LBB244_5:
	s_load_dwordx4 s[12:15], s[4:5], 0x18
	s_lshl_b64 s[18:19], s[0:1], 3
	s_waitcnt lgkmcnt(0)
	s_add_u32 s12, s12, s18
	s_addc_u32 s13, s13, s19
	s_lshl_b64 s[14:15], s[14:15], 3
	s_load_dwordx2 s[12:13], s[12:13], 0x0
	s_waitcnt lgkmcnt(0)
	s_add_u32 s14, s12, s14
	s_addc_u32 s15, s13, s15
.LBB244_6:
	s_andn2_b32 vcc_lo, exec_lo, s3
	s_cbranch_vccnz .LBB244_8
; %bb.7:
	s_load_dwordx4 s[16:19], s[4:5], 0x38
	s_lshl_b64 s[12:13], s[0:1], 3
	s_waitcnt lgkmcnt(0)
	s_add_u32 s12, s16, s12
	s_addc_u32 s13, s17, s13
	s_lshl_b64 s[16:17], s[18:19], 3
	s_load_dwordx2 s[12:13], s[12:13], 0x0
	s_waitcnt lgkmcnt(0)
	s_add_u32 s16, s12, s16
	s_addc_u32 s17, s13, s17
.LBB244_8:
	s_load_dwordx4 s[20:23], s[4:5], 0x68
	s_lshl_b64 s[0:1], s[0:1], 3
	v_lshlrev_b32_e32 v54, 6, v1
	v_add_nc_u32_e32 v53, v54, v0
	s_waitcnt lgkmcnt(0)
	s_add_u32 s0, s20, s0
	s_addc_u32 s1, s21, s1
	s_lshl_b64 s[22:23], s[22:23], 3
	s_load_dwordx2 s[20:21], s[0:1], 0x0
	s_clause 0x1
	s_load_dwordx2 s[12:13], s[4:5], 0x0
	s_load_dword s19, s[4:5], 0x78
	v_cmp_gt_u32_e64 s0, 0x100, v53
	s_waitcnt lgkmcnt(0)
	s_add_u32 s7, s20, s22
	s_addc_u32 s18, s21, s23
	s_andn2_b32 vcc_lo, exec_lo, s2
	s_cbranch_vccnz .LBB244_15
; %bb.9:
	s_mov_b32 s1, 0
	s_mov_b32 s20, 0
                                        ; implicit-def: $vgpr4_vgpr5
                                        ; implicit-def: $vgpr2_vgpr3
	s_and_saveexec_b32 s2, s0
	s_cbranch_execz .LBB244_16
; %bb.10:
	v_lshl_or_b32 v6, s6, 8, v53
	v_mov_b32_e32 v7, 0
	s_ashr_i32 s21, s12, 31
	s_mov_b32 s20, s12
	s_mov_b32 s3, 0
	s_mov_b32 s0, exec_lo
                                        ; implicit-def: $vgpr4_vgpr5
                                        ; implicit-def: $vgpr2_vgpr3
	v_cmpx_gt_i64_e64 s[20:21], v[6:7]
	s_cbranch_execz .LBB244_14
; %bb.11:
	v_cmp_eq_f64_e64 s3, s[8:9], 0
	v_mad_u64_u32 v[2:3], null, s19, v6, 0
	s_ashr_i32 s20, s19, 31
	v_mad_u64_u32 v[3:4], null, s20, v6, v[3:4]
	v_mov_b32_e32 v4, 0
	v_mov_b32_e32 v5, 0
	s_and_b32 vcc_lo, exec_lo, s3
	s_cbranch_vccnz .LBB244_13
; %bb.12:
	v_lshlrev_b64 v[4:5], 3, v[2:3]
	v_add_co_u32 v4, vcc_lo, s7, v4
	v_add_co_ci_u32_e64 v5, null, s18, v5, vcc_lo
	flat_load_dwordx2 v[4:5], v[4:5]
	s_waitcnt vmcnt(0) lgkmcnt(0)
	v_mul_f64 v[4:5], s[8:9], v[4:5]
.LBB244_13:
	s_mov_b32 s3, exec_lo
.LBB244_14:
	s_or_b32 exec_lo, exec_lo, s0
	s_and_b32 s20, s3, exec_lo
	s_or_b32 exec_lo, exec_lo, s2
	s_and_b32 vcc_lo, exec_lo, s1
	s_cbranch_vccnz .LBB244_17
	s_branch .LBB244_54
.LBB244_15:
	s_mov_b32 s20, 0
                                        ; implicit-def: $vgpr4_vgpr5
                                        ; implicit-def: $vgpr2_vgpr3
	s_cbranch_execnz .LBB244_17
	s_branch .LBB244_54
.LBB244_16:
	s_or_b32 exec_lo, exec_lo, s2
	s_and_b32 vcc_lo, exec_lo, s1
	s_cbranch_vccz .LBB244_54
.LBB244_17:
	s_clause 0x1
	s_load_dword s21, s[4:5], 0x28
	s_load_dword s4, s[4:5], 0x48
	s_ashr_i32 s0, s13, 31
	s_lshl_b32 s5, s6, 8
	s_lshr_b32 s0, s0, 28
	v_mov_b32_e32 v8, 0
	v_mov_b32_e32 v6, 0
	;; [unrolled: 1-line block ×4, first 2 shown]
	v_or_b32_e32 v55, s5, v0
	v_lshlrev_b32_e32 v56, 2, v1
	v_mov_b32_e32 v9, 0
	v_mov_b32_e32 v7, 0
	;; [unrolled: 1-line block ×4, first 2 shown]
	s_add_i32 s0, s13, s0
	s_mov_b32 s22, exec_lo
	s_and_b32 s6, s0, -16
	v_cmpx_gt_i32_e64 s6, v56
	s_cbranch_execz .LBB244_29
; %bb.18:
	v_add_nc_u32_e32 v2, 64, v55
	v_add_nc_u32_e32 v3, 0x80, v55
	;; [unrolled: 1-line block ×3, first 2 shown]
	s_waitcnt lgkmcnt(0)
	v_mul_lo_u32 v5, s21, v56
	v_mul_lo_u32 v14, v1, s4
	v_cmp_gt_i32_e64 s0, s12, v2
	v_add_nc_u32_e32 v2, 2, v56
	v_cmp_gt_i32_e64 s1, s12, v3
	v_cmp_gt_i32_e64 s2, s12, v4
	v_mul_lo_u32 v3, v1, s21
	v_add_nc_u32_e32 v4, 3, v56
	v_mad_u64_u32 v[10:11], null, s21, v2, v[0:1]
	v_mul_lo_u32 v59, s4, v2
	v_add3_u32 v57, v5, s21, v0
	v_mad_u64_u32 v[11:12], null, s21, v4, v[0:1]
	v_mad_u64_u32 v[12:13], null, s4, v56, s[4:5]
	v_mul_lo_u32 v60, s4, v4
	v_lshl_add_u32 v58, v3, 2, v0
	v_mov_b32_e32 v8, 0
	v_mov_b32_e32 v6, 0
	;; [unrolled: 1-line block ×8, first 2 shown]
	v_lshlrev_b32_e32 v61, 2, v14
	s_lshl_b32 s23, s21, 4
	s_lshl_b32 s25, s4, 4
	s_mov_b32 s24, 0
	s_mov_b32 s26, 0
	v_cmp_gt_i32_e32 vcc_lo, s12, v55
	s_branch .LBB244_23
.LBB244_19:                             ;   in Loop: Header=BB244_23 Depth=1
	s_or_b32 exec_lo, exec_lo, s29
	s_waitcnt vmcnt(3) lgkmcnt(3)
	v_fma_f64 v[4:5], v[13:14], v[45:46], v[4:5]
	s_waitcnt vmcnt(2) lgkmcnt(2)
	v_fma_f64 v[4:5], v[15:16], v[47:48], v[4:5]
	;; [unrolled: 2-line block ×4, first 2 shown]
.LBB244_20:                             ;   in Loop: Header=BB244_23 Depth=1
	s_or_b32 exec_lo, exec_lo, s28
	s_waitcnt vmcnt(3) lgkmcnt(3)
	v_fma_f64 v[6:7], v[13:14], v[37:38], v[6:7]
	s_waitcnt vmcnt(2) lgkmcnt(2)
	v_fma_f64 v[6:7], v[15:16], v[39:40], v[6:7]
	;; [unrolled: 2-line block ×4, first 2 shown]
.LBB244_21:                             ;   in Loop: Header=BB244_23 Depth=1
	s_or_b32 exec_lo, exec_lo, s3
	s_waitcnt vmcnt(3) lgkmcnt(3)
	v_fma_f64 v[8:9], v[13:14], v[21:22], v[8:9]
	s_waitcnt vmcnt(2) lgkmcnt(2)
	v_fma_f64 v[8:9], v[15:16], v[23:24], v[8:9]
	;; [unrolled: 2-line block ×4, first 2 shown]
.LBB244_22:                             ;   in Loop: Header=BB244_23 Depth=1
	s_or_b32 exec_lo, exec_lo, s27
	v_add_nc_u32_e32 v56, 16, v56
	v_add_nc_u32_e32 v57, s23, v57
	;; [unrolled: 1-line block ×5, first 2 shown]
	v_cmp_le_i32_e64 s3, s6, v56
	s_add_i32 s26, s26, s25
	s_or_b32 s24, s3, s24
	s_andn2_b32 exec_lo, exec_lo, s24
	s_cbranch_execz .LBB244_28
.LBB244_23:                             ; =>This Inner Loop Header: Depth=1
	s_and_saveexec_b32 s27, vcc_lo
	s_cbranch_execz .LBB244_22
; %bb.24:                               ;   in Loop: Header=BB244_23 Depth=1
	v_add_nc_u32_e32 v13, s26, v61
	v_add_nc_u32_e32 v15, s26, v12
	;; [unrolled: 1-line block ×5, first 2 shown]
	v_ashrrev_i32_e32 v14, 31, v13
	v_ashrrev_i32_e32 v16, 31, v15
	;; [unrolled: 1-line block ×3, first 2 shown]
	v_add_nc_u32_e32 v23, s5, v57
	v_ashrrev_i32_e32 v20, 31, v19
	v_lshlrev_b64 v[13:14], 3, v[13:14]
	v_lshlrev_b64 v[15:16], 3, v[15:16]
	v_ashrrev_i32_e32 v22, 31, v21
	v_lshlrev_b64 v[17:18], 3, v[17:18]
	v_ashrrev_i32_e32 v24, 31, v23
	v_lshlrev_b64 v[19:20], 3, v[19:20]
	v_add_co_u32 v13, s3, s16, v13
	v_add_nc_u32_e32 v25, s5, v10
	v_add_co_ci_u32_e64 v14, null, s17, v14, s3
	v_add_co_u32 v15, s3, s16, v15
	v_lshlrev_b64 v[21:22], 3, v[21:22]
	v_add_nc_u32_e32 v27, s5, v11
	v_add_co_ci_u32_e64 v16, null, s17, v16, s3
	v_add_co_u32 v17, s3, s16, v17
	v_lshlrev_b64 v[23:24], 3, v[23:24]
	v_ashrrev_i32_e32 v26, 31, v25
	v_add_co_ci_u32_e64 v18, null, s17, v18, s3
	v_add_co_u32 v19, s3, s16, v19
	v_ashrrev_i32_e32 v28, 31, v27
	v_add_co_ci_u32_e64 v20, null, s17, v20, s3
	v_add_co_u32 v29, s3, s14, v21
	v_add_co_ci_u32_e64 v30, null, s15, v22, s3
	v_lshlrev_b64 v[21:22], 3, v[25:26]
	v_add_co_u32 v31, s3, s14, v23
	v_add_co_ci_u32_e64 v32, null, s15, v24, s3
	v_lshlrev_b64 v[23:24], 3, v[27:28]
	v_add_co_u32 v33, s3, s14, v21
	v_add_co_ci_u32_e64 v34, null, s15, v22, s3
	v_add_co_u32 v35, s3, s14, v23
	v_add_co_ci_u32_e64 v36, null, s15, v24, s3
	s_clause 0x3
	flat_load_dwordx2 v[13:14], v[13:14]
	flat_load_dwordx2 v[15:16], v[15:16]
	;; [unrolled: 1-line block ×4, first 2 shown]
	s_clause 0x3
	flat_load_dwordx2 v[21:22], v[29:30]
	flat_load_dwordx2 v[23:24], v[31:32]
	;; [unrolled: 1-line block ×4, first 2 shown]
	s_and_saveexec_b32 s3, s0
	s_cbranch_execz .LBB244_21
; %bb.25:                               ;   in Loop: Header=BB244_23 Depth=1
	s_clause 0x3
	flat_load_dwordx2 v[37:38], v[29:30] offset:512
	flat_load_dwordx2 v[39:40], v[31:32] offset:512
	flat_load_dwordx2 v[41:42], v[33:34] offset:512
	flat_load_dwordx2 v[43:44], v[35:36] offset:512
	s_and_saveexec_b32 s28, s1
	s_cbranch_execz .LBB244_20
; %bb.26:                               ;   in Loop: Header=BB244_23 Depth=1
	s_clause 0x3
	flat_load_dwordx2 v[45:46], v[29:30] offset:1024
	flat_load_dwordx2 v[47:48], v[31:32] offset:1024
	flat_load_dwordx2 v[49:50], v[33:34] offset:1024
	flat_load_dwordx2 v[51:52], v[35:36] offset:1024
	;; [unrolled: 8-line block ×3, first 2 shown]
	s_waitcnt vmcnt(3) lgkmcnt(3)
	v_fma_f64 v[2:3], v[13:14], v[29:30], v[2:3]
	s_waitcnt vmcnt(2) lgkmcnt(2)
	v_fma_f64 v[2:3], v[15:16], v[31:32], v[2:3]
	s_waitcnt vmcnt(1) lgkmcnt(1)
	v_fma_f64 v[2:3], v[17:18], v[33:34], v[2:3]
	s_waitcnt vmcnt(0) lgkmcnt(0)
	v_fma_f64 v[2:3], v[19:20], v[35:36], v[2:3]
	s_branch .LBB244_19
.LBB244_28:
	s_or_b32 exec_lo, exec_lo, s24
.LBB244_29:
	s_or_b32 exec_lo, exec_lo, s22
	s_sub_i32 s0, s13, s6
	s_cmp_lt_i32 s0, 1
	s_cbranch_scc1 .LBB244_47
; %bb.30:
	v_mov_b32_e32 v14, 0
	v_mov_b32_e32 v16, 0
	;; [unrolled: 1-line block ×4, first 2 shown]
	v_cmp_gt_i32_e32 vcc_lo, s13, v56
	v_mov_b32_e32 v15, 0
	v_mov_b32_e32 v17, 0
	;; [unrolled: 1-line block ×4, first 2 shown]
	v_or_b32_e32 v18, 1, v56
	s_and_saveexec_b32 s1, vcc_lo
	s_cbranch_execz .LBB244_38
; %bb.31:
	s_waitcnt lgkmcnt(0)
	v_mul_lo_u32 v10, v56, s4
	v_mov_b32_e32 v12, 0
	v_mov_b32_e32 v16, 0
	;; [unrolled: 1-line block ×6, first 2 shown]
	s_mov_b32 s2, exec_lo
	v_ashrrev_i32_e32 v11, 31, v10
	v_lshlrev_b64 v[10:11], 3, v[10:11]
	v_add_co_u32 v10, s0, s16, v10
	v_add_co_ci_u32_e64 v11, null, s17, v11, s0
	flat_load_dwordx2 v[10:11], v[10:11]
	v_cmpx_gt_i32_e64 s13, v18
	s_cbranch_execz .LBB244_37
; %bb.32:
	v_mul_lo_u32 v12, v18, s4
	v_mov_b32_e32 v16, 0
	v_mov_b32_e32 v14, 0
	v_or_b32_e32 v19, 2, v56
	v_mov_b32_e32 v17, 0
	v_mov_b32_e32 v15, 0
	s_mov_b32 s3, exec_lo
	v_ashrrev_i32_e32 v13, 31, v12
	v_lshlrev_b64 v[12:13], 3, v[12:13]
	v_add_co_u32 v12, s0, s16, v12
	v_add_co_ci_u32_e64 v13, null, s17, v13, s0
	flat_load_dwordx2 v[12:13], v[12:13]
	v_cmpx_gt_i32_e64 s13, v19
	s_cbranch_execz .LBB244_36
; %bb.33:
	v_mul_lo_u32 v14, v19, s4
	v_or_b32_e32 v19, 3, v56
	s_mov_b32 s6, exec_lo
	v_ashrrev_i32_e32 v15, 31, v14
	v_lshlrev_b64 v[14:15], 3, v[14:15]
	v_add_co_u32 v14, s0, s16, v14
	v_add_co_ci_u32_e64 v15, null, s17, v15, s0
	flat_load_dwordx2 v[16:17], v[14:15]
	v_mov_b32_e32 v14, 0
	v_mov_b32_e32 v15, 0
	v_cmpx_gt_i32_e64 s13, v19
	s_cbranch_execz .LBB244_35
; %bb.34:
	v_mul_lo_u32 v14, v19, s4
	v_ashrrev_i32_e32 v15, 31, v14
	v_lshlrev_b64 v[14:15], 3, v[14:15]
	v_add_co_u32 v14, s0, s16, v14
	v_add_co_ci_u32_e64 v15, null, s17, v15, s0
	flat_load_dwordx2 v[14:15], v[14:15]
.LBB244_35:
	s_or_b32 exec_lo, exec_lo, s6
.LBB244_36:
	s_or_b32 exec_lo, exec_lo, s3
.LBB244_37:
	s_or_b32 exec_lo, exec_lo, s2
.LBB244_38:
	s_or_b32 exec_lo, exec_lo, s1
	s_mov_b32 s1, exec_lo
	v_cmpx_gt_i32_e64 s12, v55
	s_cbranch_execz .LBB244_46
; %bb.39:
	s_waitcnt lgkmcnt(0)
	v_mul_lo_u32 v19, v56, s21
	v_mul_lo_u32 v21, v18, s21
	v_or_b32_e32 v22, 2, v56
	v_or_b32_e32 v24, 3, v56
	s_mov_b32 s0, exec_lo
	v_mul_lo_u32 v23, v22, s21
	v_cndmask_b32_e32 v19, 0, v19, vcc_lo
	v_cmp_gt_i32_e32 vcc_lo, s13, v18
	v_mul_lo_u32 v25, v24, s21
	v_add_nc_u32_e32 v19, v19, v55
	v_cndmask_b32_e32 v21, 0, v21, vcc_lo
	v_ashrrev_i32_e32 v20, 31, v19
	v_lshlrev_b64 v[19:20], 3, v[19:20]
	v_add_co_u32 v18, vcc_lo, s14, v19
	v_add_co_ci_u32_e64 v19, null, s15, v20, vcc_lo
	v_add_nc_u32_e32 v20, v21, v55
	flat_load_dwordx2 v[28:29], v[18:19]
	v_ashrrev_i32_e32 v21, 31, v20
	v_lshlrev_b64 v[20:21], 3, v[20:21]
	v_add_co_u32 v20, vcc_lo, s14, v20
	v_add_co_ci_u32_e64 v21, null, s15, v21, vcc_lo
	v_cmp_gt_i32_e32 vcc_lo, s13, v22
	flat_load_dwordx2 v[30:31], v[20:21]
	v_cndmask_b32_e32 v22, 0, v23, vcc_lo
	v_cmp_gt_i32_e32 vcc_lo, s13, v24
	v_add_nc_u32_e32 v22, v22, v55
	v_cndmask_b32_e32 v26, 0, v25, vcc_lo
	v_ashrrev_i32_e32 v23, 31, v22
	v_lshlrev_b64 v[22:23], 3, v[22:23]
	v_add_co_u32 v24, vcc_lo, s14, v22
	v_add_co_ci_u32_e64 v25, null, s15, v23, vcc_lo
	v_add_nc_u32_e32 v22, v26, v55
	flat_load_dwordx2 v[32:33], v[24:25]
	v_ashrrev_i32_e32 v23, 31, v22
	v_lshlrev_b64 v[22:23], 3, v[22:23]
	v_add_co_u32 v26, vcc_lo, s14, v22
	v_add_co_ci_u32_e64 v27, null, s15, v23, vcc_lo
	flat_load_dwordx2 v[22:23], v[26:27]
	s_waitcnt vmcnt(3) lgkmcnt(3)
	v_fma_f64 v[8:9], v[10:11], v[28:29], v[8:9]
	v_add_nc_u32_e32 v28, 64, v55
	s_waitcnt vmcnt(2) lgkmcnt(2)
	v_fma_f64 v[8:9], v[12:13], v[30:31], v[8:9]
	s_waitcnt vmcnt(1) lgkmcnt(1)
	v_fma_f64 v[8:9], v[16:17], v[32:33], v[8:9]
	v_cmpx_gt_i32_e64 s12, v28
	s_cbranch_execz .LBB244_45
; %bb.40:
	s_clause 0x3
	flat_load_dwordx2 v[30:31], v[18:19] offset:512
	flat_load_dwordx2 v[32:33], v[20:21] offset:512
	;; [unrolled: 1-line block ×4, first 2 shown]
	s_mov_b32 s2, exec_lo
	s_waitcnt vmcnt(3) lgkmcnt(3)
	v_fma_f64 v[6:7], v[10:11], v[30:31], v[6:7]
	v_add_nc_u32_e32 v30, 0x80, v55
	s_waitcnt vmcnt(2) lgkmcnt(2)
	v_fma_f64 v[6:7], v[12:13], v[32:33], v[6:7]
	s_waitcnt vmcnt(1) lgkmcnt(1)
	v_fma_f64 v[6:7], v[16:17], v[34:35], v[6:7]
	v_cmpx_gt_i32_e64 s12, v30
	s_cbranch_execz .LBB244_44
; %bb.41:
	s_clause 0x3
	flat_load_dwordx2 v[32:33], v[18:19] offset:1024
	flat_load_dwordx2 v[34:35], v[20:21] offset:1024
	;; [unrolled: 1-line block ×4, first 2 shown]
	s_mov_b32 s3, exec_lo
	s_waitcnt vmcnt(3) lgkmcnt(3)
	v_fma_f64 v[4:5], v[10:11], v[32:33], v[4:5]
	v_add_nc_u32_e32 v32, 0xc0, v55
	s_waitcnt vmcnt(2) lgkmcnt(2)
	v_fma_f64 v[4:5], v[12:13], v[34:35], v[4:5]
	s_waitcnt vmcnt(1) lgkmcnt(1)
	v_fma_f64 v[4:5], v[16:17], v[36:37], v[4:5]
	v_cmpx_gt_i32_e64 s12, v32
	s_cbranch_execz .LBB244_43
; %bb.42:
	s_clause 0x3
	flat_load_dwordx2 v[18:19], v[18:19] offset:1536
	flat_load_dwordx2 v[20:21], v[20:21] offset:1536
	;; [unrolled: 1-line block ×4, first 2 shown]
	s_waitcnt vmcnt(3) lgkmcnt(3)
	v_fma_f64 v[2:3], v[10:11], v[18:19], v[2:3]
	s_waitcnt vmcnt(2) lgkmcnt(2)
	v_fma_f64 v[2:3], v[12:13], v[20:21], v[2:3]
	;; [unrolled: 2-line block ×4, first 2 shown]
.LBB244_43:
	s_or_b32 exec_lo, exec_lo, s3
	s_waitcnt vmcnt(0) lgkmcnt(0)
	v_fma_f64 v[4:5], v[14:15], v[30:31], v[4:5]
.LBB244_44:
	s_or_b32 exec_lo, exec_lo, s2
	s_waitcnt vmcnt(0) lgkmcnt(0)
	v_fma_f64 v[6:7], v[14:15], v[28:29], v[6:7]
.LBB244_45:
	s_or_b32 exec_lo, exec_lo, s0
	s_waitcnt vmcnt(0) lgkmcnt(0)
	v_fma_f64 v[8:9], v[14:15], v[22:23], v[8:9]
.LBB244_46:
	s_or_b32 exec_lo, exec_lo, s1
.LBB244_47:
	v_lshlrev_b32_e32 v0, 3, v0
	s_mov_b32 s0, exec_lo
	v_lshl_or_b32 v1, v1, 11, v0
	ds_write2st64_b64 v1, v[8:9], v[6:7] offset1:1
	ds_write2st64_b64 v1, v[4:5], v[2:3] offset0:2 offset1:3
	s_waitcnt vmcnt(0) lgkmcnt(0)
	s_barrier
	buffer_gl0_inv
                                        ; implicit-def: $vgpr4_vgpr5
                                        ; implicit-def: $vgpr2_vgpr3
	v_cmpx_gt_u32_e32 0x100, v53
	s_cbranch_execz .LBB244_53
; %bb.48:
	v_lshl_add_u32 v7, v54, 3, v0
	v_or_b32_e32 v6, s5, v53
	s_mov_b32 s2, s20
	s_mov_b32 s1, exec_lo
	ds_read2st64_b64 v[0:3], v7 offset1:4
	s_waitcnt lgkmcnt(0)
	v_add_f64 v[4:5], v[0:1], v[2:3]
	ds_read2st64_b64 v[0:3], v7 offset0:8 offset1:12
	s_waitcnt lgkmcnt(0)
	v_add_f64 v[0:1], v[0:1], v[4:5]
                                        ; implicit-def: $vgpr4_vgpr5
	v_add_f64 v[0:1], v[2:3], v[0:1]
                                        ; implicit-def: $vgpr2_vgpr3
	ds_write_b64 v7, v[0:1]
	v_cmpx_gt_i32_e64 s12, v6
	s_cbranch_execz .LBB244_52
; %bb.49:
	v_cmp_eq_f64_e64 s2, s[8:9], 0
	v_mul_f64 v[4:5], s[10:11], v[0:1]
	v_mul_lo_u32 v2, s19, v6
	v_ashrrev_i32_e32 v3, 31, v2
	s_and_b32 vcc_lo, exec_lo, s2
	s_cbranch_vccnz .LBB244_51
; %bb.50:
	v_lshlrev_b64 v[0:1], 3, v[2:3]
	v_add_co_u32 v0, vcc_lo, s7, v0
	v_add_co_ci_u32_e64 v1, null, s18, v1, vcc_lo
	flat_load_dwordx2 v[0:1], v[0:1]
	s_waitcnt vmcnt(0) lgkmcnt(0)
	v_fma_f64 v[4:5], s[8:9], v[0:1], v[4:5]
.LBB244_51:
	s_or_b32 s2, s20, exec_lo
.LBB244_52:
	s_or_b32 exec_lo, exec_lo, s1
	s_andn2_b32 s1, s20, exec_lo
	s_and_b32 s2, s2, exec_lo
	s_or_b32 s20, s1, s2
.LBB244_53:
	s_or_b32 exec_lo, exec_lo, s0
.LBB244_54:
	s_and_saveexec_b32 s0, s20
	s_cbranch_execz .LBB244_56
; %bb.55:
	v_lshlrev_b64 v[0:1], 3, v[2:3]
	v_add_co_u32 v0, vcc_lo, s7, v0
	v_add_co_ci_u32_e64 v1, null, s18, v1, vcc_lo
	flat_store_dwordx2 v[0:1], v[4:5]
.LBB244_56:
	s_endpgm
	.section	.rodata,"a",@progbits
	.p2align	6, 0x0
	.amdhsa_kernel _ZL20rocblas_gemvn_kernelILi64ELi4EiPKddKPdEviiT3_lPKT2_lT1_lS7_lS8_lS4_lPT4_lS8_li
		.amdhsa_group_segment_fixed_size 8192
		.amdhsa_private_segment_fixed_size 0
		.amdhsa_kernarg_size 400
		.amdhsa_user_sgpr_count 6
		.amdhsa_user_sgpr_private_segment_buffer 1
		.amdhsa_user_sgpr_dispatch_ptr 0
		.amdhsa_user_sgpr_queue_ptr 0
		.amdhsa_user_sgpr_kernarg_segment_ptr 1
		.amdhsa_user_sgpr_dispatch_id 0
		.amdhsa_user_sgpr_flat_scratch_init 0
		.amdhsa_user_sgpr_private_segment_size 0
		.amdhsa_wavefront_size32 1
		.amdhsa_uses_dynamic_stack 0
		.amdhsa_system_sgpr_private_segment_wavefront_offset 0
		.amdhsa_system_sgpr_workgroup_id_x 1
		.amdhsa_system_sgpr_workgroup_id_y 0
		.amdhsa_system_sgpr_workgroup_id_z 1
		.amdhsa_system_sgpr_workgroup_info 0
		.amdhsa_system_vgpr_workitem_id 1
		.amdhsa_next_free_vgpr 62
		.amdhsa_next_free_sgpr 30
		.amdhsa_reserve_vcc 1
		.amdhsa_reserve_flat_scratch 1
		.amdhsa_float_round_mode_32 0
		.amdhsa_float_round_mode_16_64 0
		.amdhsa_float_denorm_mode_32 3
		.amdhsa_float_denorm_mode_16_64 3
		.amdhsa_dx10_clamp 1
		.amdhsa_ieee_mode 1
		.amdhsa_fp16_overflow 0
		.amdhsa_workgroup_processor_mode 1
		.amdhsa_memory_ordered 1
		.amdhsa_forward_progress 1
		.amdhsa_shared_vgpr_count 0
		.amdhsa_exception_fp_ieee_invalid_op 0
		.amdhsa_exception_fp_denorm_src 0
		.amdhsa_exception_fp_ieee_div_zero 0
		.amdhsa_exception_fp_ieee_overflow 0
		.amdhsa_exception_fp_ieee_underflow 0
		.amdhsa_exception_fp_ieee_inexact 0
		.amdhsa_exception_int_div_zero 0
	.end_amdhsa_kernel
	.section	.text._ZL20rocblas_gemvn_kernelILi64ELi4EiPKddKPdEviiT3_lPKT2_lT1_lS7_lS8_lS4_lPT4_lS8_li,"axG",@progbits,_ZL20rocblas_gemvn_kernelILi64ELi4EiPKddKPdEviiT3_lPKT2_lT1_lS7_lS8_lS4_lPT4_lS8_li,comdat
.Lfunc_end244:
	.size	_ZL20rocblas_gemvn_kernelILi64ELi4EiPKddKPdEviiT3_lPKT2_lT1_lS7_lS8_lS4_lPT4_lS8_li, .Lfunc_end244-_ZL20rocblas_gemvn_kernelILi64ELi4EiPKddKPdEviiT3_lPKT2_lT1_lS7_lS8_lS4_lPT4_lS8_li
                                        ; -- End function
	.set _ZL20rocblas_gemvn_kernelILi64ELi4EiPKddKPdEviiT3_lPKT2_lT1_lS7_lS8_lS4_lPT4_lS8_li.num_vgpr, 62
	.set _ZL20rocblas_gemvn_kernelILi64ELi4EiPKddKPdEviiT3_lPKT2_lT1_lS7_lS8_lS4_lPT4_lS8_li.num_agpr, 0
	.set _ZL20rocblas_gemvn_kernelILi64ELi4EiPKddKPdEviiT3_lPKT2_lT1_lS7_lS8_lS4_lPT4_lS8_li.numbered_sgpr, 30
	.set _ZL20rocblas_gemvn_kernelILi64ELi4EiPKddKPdEviiT3_lPKT2_lT1_lS7_lS8_lS4_lPT4_lS8_li.num_named_barrier, 0
	.set _ZL20rocblas_gemvn_kernelILi64ELi4EiPKddKPdEviiT3_lPKT2_lT1_lS7_lS8_lS4_lPT4_lS8_li.private_seg_size, 0
	.set _ZL20rocblas_gemvn_kernelILi64ELi4EiPKddKPdEviiT3_lPKT2_lT1_lS7_lS8_lS4_lPT4_lS8_li.uses_vcc, 1
	.set _ZL20rocblas_gemvn_kernelILi64ELi4EiPKddKPdEviiT3_lPKT2_lT1_lS7_lS8_lS4_lPT4_lS8_li.uses_flat_scratch, 1
	.set _ZL20rocblas_gemvn_kernelILi64ELi4EiPKddKPdEviiT3_lPKT2_lT1_lS7_lS8_lS4_lPT4_lS8_li.has_dyn_sized_stack, 0
	.set _ZL20rocblas_gemvn_kernelILi64ELi4EiPKddKPdEviiT3_lPKT2_lT1_lS7_lS8_lS4_lPT4_lS8_li.has_recursion, 0
	.set _ZL20rocblas_gemvn_kernelILi64ELi4EiPKddKPdEviiT3_lPKT2_lT1_lS7_lS8_lS4_lPT4_lS8_li.has_indirect_call, 0
	.section	.AMDGPU.csdata,"",@progbits
; Kernel info:
; codeLenInByte = 2864
; TotalNumSgprs: 32
; NumVgprs: 62
; ScratchSize: 0
; MemoryBound: 0
; FloatMode: 240
; IeeeMode: 1
; LDSByteSize: 8192 bytes/workgroup (compile time only)
; SGPRBlocks: 0
; VGPRBlocks: 7
; NumSGPRsForWavesPerEU: 32
; NumVGPRsForWavesPerEU: 62
; Occupancy: 16
; WaveLimiterHint : 1
; COMPUTE_PGM_RSRC2:SCRATCH_EN: 0
; COMPUTE_PGM_RSRC2:USER_SGPR: 6
; COMPUTE_PGM_RSRC2:TRAP_HANDLER: 0
; COMPUTE_PGM_RSRC2:TGID_X_EN: 1
; COMPUTE_PGM_RSRC2:TGID_Y_EN: 0
; COMPUTE_PGM_RSRC2:TGID_Z_EN: 1
; COMPUTE_PGM_RSRC2:TIDIG_COMP_CNT: 1
	.section	.text._ZL20rocblas_gemvn_kernelILi64ELi4ElPKddKPdEviiT3_lPKT2_lT1_lS7_lS8_lS4_lPT4_lS8_li,"axG",@progbits,_ZL20rocblas_gemvn_kernelILi64ELi4ElPKddKPdEviiT3_lPKT2_lT1_lS7_lS8_lS4_lPT4_lS8_li,comdat
	.globl	_ZL20rocblas_gemvn_kernelILi64ELi4ElPKddKPdEviiT3_lPKT2_lT1_lS7_lS8_lS4_lPT4_lS8_li ; -- Begin function _ZL20rocblas_gemvn_kernelILi64ELi4ElPKddKPdEviiT3_lPKT2_lT1_lS7_lS8_lS4_lPT4_lS8_li
	.p2align	8
	.type	_ZL20rocblas_gemvn_kernelILi64ELi4ElPKddKPdEviiT3_lPKT2_lT1_lS7_lS8_lS4_lPT4_lS8_li,@function
_ZL20rocblas_gemvn_kernelILi64ELi4ElPKddKPdEviiT3_lPKT2_lT1_lS7_lS8_lS4_lPT4_lS8_li: ; @_ZL20rocblas_gemvn_kernelILi64ELi4ElPKddKPdEviiT3_lPKT2_lT1_lS7_lS8_lS4_lPT4_lS8_li
; %bb.0:
	s_load_dwordx2 s[0:1], s[4:5], 0x9c
	s_waitcnt lgkmcnt(0)
	s_lshr_b32 s2, s0, 16
	s_and_b32 s0, s0, 0xffff
	s_and_b32 s1, s1, 0xffff
	s_mul_i32 s0, s2, s0
	s_mul_i32 s0, s0, s1
	s_cmpk_lg_i32 s0, 0x100
	s_cbranch_scc1 .LBB245_56
; %bb.1:
	s_clause 0x1
	s_load_dwordx2 s[10:11], s[4:5], 0x8
	s_load_dwordx2 s[8:9], s[4:5], 0x58
	s_mov_b32 s12, s7
	s_waitcnt lgkmcnt(0)
	v_cmp_eq_f64_e64 s7, s[10:11], 0
	v_cmp_eq_f64_e64 s0, s[8:9], 1.0
	s_and_b32 s0, s7, s0
	s_and_b32 vcc_lo, exec_lo, s0
	s_cbranch_vccnz .LBB245_56
; %bb.2:
	v_cmp_neq_f64_e64 s14, s[10:11], 0
	s_clause 0x1
	s_load_dwordx4 s[0:3], s[4:5], 0x18
	s_load_dwordx2 s[16:17], s[4:5], 0x28
	s_mov_b32 s13, 0
	s_and_b32 vcc_lo, exec_lo, s14
	s_cbranch_vccnz .LBB245_4
; %bb.3:
	s_mov_b32 s15, s13
	s_mov_b64 s[20:21], 0
	s_andn2_b32 vcc_lo, exec_lo, s15
	s_mov_b64 s[18:19], 0
	s_cbranch_vccz .LBB245_5
	s_branch .LBB245_6
.LBB245_4:
	s_mov_b64 s[20:21], 0
	s_mov_b64 s[18:19], 0
.LBB245_5:
	s_lshl_b64 s[18:19], s[12:13], 3
	s_waitcnt lgkmcnt(0)
	s_add_u32 s0, s0, s18
	s_addc_u32 s1, s1, s19
	s_lshl_b64 s[2:3], s[2:3], 3
	s_load_dwordx2 s[0:1], s[0:1], 0x0
	s_waitcnt lgkmcnt(0)
	s_add_u32 s18, s0, s2
	s_addc_u32 s19, s1, s3
.LBB245_6:
	s_waitcnt lgkmcnt(0)
	s_clause 0x1
	s_load_dwordx4 s[0:3], s[4:5], 0x38
	s_load_dwordx2 s[22:23], s[4:5], 0x48
	s_andn2_b32 vcc_lo, exec_lo, s14
	s_cbranch_vccnz .LBB245_8
; %bb.7:
	s_lshl_b64 s[14:15], s[12:13], 3
	s_waitcnt lgkmcnt(0)
	s_add_u32 s0, s0, s14
	s_addc_u32 s1, s1, s15
	s_lshl_b64 s[2:3], s[2:3], 3
	s_load_dwordx2 s[0:1], s[0:1], 0x0
	s_waitcnt lgkmcnt(0)
	s_add_u32 s20, s0, s2
	s_addc_u32 s21, s1, s3
.LBB245_8:
	s_waitcnt lgkmcnt(0)
	s_load_dwordx4 s[0:3], s[4:5], 0x68
	s_lshl_b64 s[12:13], s[12:13], 3
	v_lshlrev_b32_e32 v63, 6, v1
	v_add_nc_u32_e32 v62, v63, v0
	s_waitcnt lgkmcnt(0)
	s_add_u32 s0, s0, s12
	s_addc_u32 s1, s1, s13
	s_lshl_b64 s[2:3], s[2:3], 3
	s_load_dwordx2 s[24:25], s[0:1], 0x0
	s_clause 0x1
	s_load_dwordx2 s[14:15], s[4:5], 0x0
	s_load_dwordx2 s[12:13], s[4:5], 0x78
	v_cmp_gt_u32_e64 s0, 0x100, v62
	s_waitcnt lgkmcnt(0)
	s_add_u32 s5, s24, s2
	s_addc_u32 s28, s25, s3
	s_andn2_b32 vcc_lo, exec_lo, s7
	s_cbranch_vccnz .LBB245_15
; %bb.9:
	s_mov_b32 s1, 0
	s_mov_b32 s29, 0
                                        ; implicit-def: $vgpr2_vgpr3
                                        ; implicit-def: $vgpr4_vgpr5
	s_and_saveexec_b32 s2, s0
	s_cbranch_execz .LBB245_16
; %bb.10:
	v_lshl_or_b32 v6, s6, 8, v62
	v_mov_b32_e32 v7, 0
	s_ashr_i32 s25, s14, 31
	s_mov_b32 s24, s14
	s_mov_b32 s3, 0
	s_mov_b32 s0, exec_lo
                                        ; implicit-def: $vgpr2_vgpr3
                                        ; implicit-def: $vgpr4_vgpr5
	v_cmpx_gt_i64_e64 s[24:25], v[6:7]
	s_cbranch_execz .LBB245_14
; %bb.11:
	v_cmp_eq_f64_e64 s3, s[8:9], 0
	v_mad_u64_u32 v[4:5], null, s12, v6, 0
	v_mov_b32_e32 v2, v5
	v_mad_u64_u32 v[5:6], null, s13, v6, v[2:3]
	v_mov_b32_e32 v2, 0
	v_mov_b32_e32 v3, 0
	s_and_b32 vcc_lo, exec_lo, s3
	s_cbranch_vccnz .LBB245_13
; %bb.12:
	v_lshlrev_b64 v[2:3], 3, v[4:5]
	v_add_co_u32 v2, vcc_lo, s5, v2
	v_add_co_ci_u32_e64 v3, null, s28, v3, vcc_lo
	flat_load_dwordx2 v[2:3], v[2:3]
	s_waitcnt vmcnt(0) lgkmcnt(0)
	v_mul_f64 v[2:3], s[8:9], v[2:3]
.LBB245_13:
	s_mov_b32 s3, exec_lo
.LBB245_14:
	s_or_b32 exec_lo, exec_lo, s0
	s_and_b32 s29, s3, exec_lo
	s_or_b32 exec_lo, exec_lo, s2
	s_and_b32 vcc_lo, exec_lo, s1
	s_cbranch_vccnz .LBB245_17
	s_branch .LBB245_54
.LBB245_15:
	s_mov_b32 s29, 0
                                        ; implicit-def: $vgpr2_vgpr3
                                        ; implicit-def: $vgpr4_vgpr5
	s_cbranch_execnz .LBB245_17
	s_branch .LBB245_54
.LBB245_16:
	s_or_b32 exec_lo, exec_lo, s2
	s_and_b32 vcc_lo, exec_lo, s1
	s_cbranch_vccz .LBB245_54
.LBB245_17:
	s_ashr_i32 s0, s15, 31
	s_lshl_b32 s30, s6, 8
	s_lshr_b32 s0, s0, 28
	v_mov_b32_e32 v10, 0
	v_mov_b32_e32 v8, 0
	;; [unrolled: 1-line block ×4, first 2 shown]
	v_lshlrev_b32_e32 v64, 2, v1
	v_or_b32_e32 v2, s30, v0
	v_mov_b32_e32 v11, 0
	v_mov_b32_e32 v9, 0
	;; [unrolled: 1-line block ×4, first 2 shown]
	s_add_i32 s0, s15, s0
	s_mov_b32 s33, exec_lo
	s_and_b32 s31, s0, -16
	v_cmpx_gt_i32_e64 s31, v64
	s_cbranch_execz .LBB245_29
; %bb.18:
	v_lshlrev_b32_e32 v26, 2, v1
	v_mad_u64_u32 v[6:7], null, s22, v1, 0
	v_add_nc_u32_e32 v12, 0xc0, v2
	v_mad_u64_u32 v[8:9], null, s16, v1, 0
	v_or_b32_e32 v20, 3, v26
	v_add_nc_u32_e32 v10, 64, v2
	v_cmp_gt_i32_e64 s2, s14, v12
	v_add_nc_u32_e32 v11, 0x80, v2
	v_ashrrev_i32_e32 v3, 31, v2
	v_mad_u64_u32 v[4:5], null, s16, v20, 0
	v_cmp_gt_i32_e64 s0, s14, v10
	v_cmp_gt_i32_e64 s1, s14, v11
	v_mad_u64_u32 v[10:11], null, s22, v26, s[22:23]
	v_mad_u64_u32 v[18:19], null, s22, v20, 0
	;; [unrolled: 1-line block ×3, first 2 shown]
	v_mov_b32_e32 v5, v7
	v_mov_b32_e32 v7, v9
	v_or_b32_e32 v27, 2, v26
	s_lshl_b64 s[6:7], s[16:17], 7
	s_lshl_b64 s[24:25], s[22:23], 7
	v_mad_u64_u32 v[14:15], null, s23, v1, v[5:6]
	v_mov_b32_e32 v5, v12
	v_lshlrev_b64 v[12:13], 3, v[2:3]
	v_mad_u64_u32 v[15:16], null, s17, v1, v[7:8]
	v_mad_u64_u32 v[16:17], null, s16, v27, 0
	v_lshlrev_b64 v[3:4], 3, v[4:5]
	v_mov_b32_e32 v5, v11
	v_mov_b32_e32 v11, v19
	;; [unrolled: 1-line block ×4, first 2 shown]
	v_mad_u64_u32 v[22:23], null, s22, v27, 0
	v_add_co_u32 v3, s3, s18, v3
	v_mad_u64_u32 v[19:20], null, s23, v20, v[11:12]
	v_add_co_ci_u32_e64 v65, null, s19, v4, s3
	v_mad_u64_u32 v[4:5], null, s23, v26, v[5:6]
	v_mad_u64_u32 v[20:21], null, s16, v26, s[16:17]
	v_mov_b32_e32 v5, v17
	v_lshlrev_b64 v[14:15], 5, v[6:7]
	v_mov_b32_e32 v7, v23
	v_lshlrev_b64 v[18:19], 3, v[18:19]
	v_mov_b32_e32 v11, v4
	v_mad_u64_u32 v[24:25], null, s17, v27, v[5:6]
	v_lshlrev_b64 v[5:6], 5, v[8:9]
	v_mov_b32_e32 v4, v21
	s_mov_b32 s34, 0
	s_mov_b64 s[26:27], s[20:21]
	v_cmp_gt_i32_e32 vcc_lo, s14, v2
	v_mad_u64_u32 v[8:9], null, s17, v26, v[4:5]
	v_mov_b32_e32 v17, v24
	v_add_co_u32 v66, s3, s18, v5
	v_add_co_ci_u32_e64 v67, null, s19, v6, s3
	v_lshlrev_b64 v[4:5], 3, v[16:17]
	v_mov_b32_e32 v21, v8
	v_mad_u64_u32 v[23:24], null, s23, v27, v[7:8]
	v_lshlrev_b64 v[16:17], 3, v[10:11]
	v_mov_b32_e32 v10, 0
	v_lshlrev_b64 v[24:25], 3, v[20:21]
	v_add_co_u32 v68, s3, s18, v4
	v_add_co_ci_u32_e64 v69, null, s19, v5, s3
	v_lshlrev_b64 v[20:21], 3, v[22:23]
	v_add_co_u32 v70, s3, s18, v24
	v_mov_b32_e32 v8, 0
	v_mov_b32_e32 v6, 0
	;; [unrolled: 1-line block ×7, first 2 shown]
	v_add_co_ci_u32_e64 v71, null, s19, v25, s3
	s_branch .LBB245_23
.LBB245_19:                             ;   in Loop: Header=BB245_23 Depth=1
	s_or_b32 exec_lo, exec_lo, s36
	s_waitcnt vmcnt(3) lgkmcnt(3)
	v_fma_f64 v[6:7], v[22:23], v[54:55], v[6:7]
	s_waitcnt vmcnt(2) lgkmcnt(2)
	v_fma_f64 v[6:7], v[24:25], v[56:57], v[6:7]
	;; [unrolled: 2-line block ×4, first 2 shown]
.LBB245_20:                             ;   in Loop: Header=BB245_23 Depth=1
	s_or_b32 exec_lo, exec_lo, s35
	s_waitcnt vmcnt(3) lgkmcnt(3)
	v_fma_f64 v[8:9], v[22:23], v[46:47], v[8:9]
	s_waitcnt vmcnt(2) lgkmcnt(2)
	v_fma_f64 v[8:9], v[24:25], v[48:49], v[8:9]
	;; [unrolled: 2-line block ×4, first 2 shown]
.LBB245_21:                             ;   in Loop: Header=BB245_23 Depth=1
	s_or_b32 exec_lo, exec_lo, s3
	s_waitcnt vmcnt(3) lgkmcnt(3)
	v_fma_f64 v[10:11], v[22:23], v[30:31], v[10:11]
	s_waitcnt vmcnt(2) lgkmcnt(2)
	v_fma_f64 v[10:11], v[24:25], v[32:33], v[10:11]
	;; [unrolled: 2-line block ×4, first 2 shown]
.LBB245_22:                             ;   in Loop: Header=BB245_23 Depth=1
	s_or_b32 exec_lo, exec_lo, s4
	v_add_co_u32 v3, s3, v3, s6
	v_add_nc_u32_e32 v64, 16, v64
	v_add_co_ci_u32_e64 v65, null, s7, v65, s3
	v_add_co_u32 v66, s3, v66, s6
	v_add_co_ci_u32_e64 v67, null, s7, v67, s3
	v_add_co_u32 v68, s3, v68, s6
	v_add_co_ci_u32_e64 v69, null, s7, v69, s3
	v_cmp_le_i32_e64 s3, s31, v64
	v_add_co_u32 v70, s4, v70, s6
	v_add_co_ci_u32_e64 v71, null, s7, v71, s4
	s_add_u32 s26, s26, s24
	s_addc_u32 s27, s27, s25
	s_or_b32 s34, s3, s34
	s_andn2_b32 exec_lo, exec_lo, s34
	s_cbranch_execz .LBB245_28
.LBB245_23:                             ; =>This Inner Loop Header: Depth=1
	s_and_saveexec_b32 s4, vcc_lo
	s_cbranch_execz .LBB245_22
; %bb.24:                               ;   in Loop: Header=BB245_23 Depth=1
	v_add_co_u32 v22, s3, s26, v14
	v_add_co_ci_u32_e64 v23, null, s27, v15, s3
	v_add_co_u32 v24, s3, s26, v16
	v_add_co_ci_u32_e64 v25, null, s27, v17, s3
	;; [unrolled: 2-line block ×8, first 2 shown]
	s_clause 0x3
	flat_load_dwordx2 v[22:23], v[22:23]
	flat_load_dwordx2 v[24:25], v[24:25]
	;; [unrolled: 1-line block ×8, first 2 shown]
	s_and_saveexec_b32 s3, s0
	s_cbranch_execz .LBB245_21
; %bb.25:                               ;   in Loop: Header=BB245_23 Depth=1
	flat_load_dwordx2 v[46:47], v[38:39] offset:512
	flat_load_dwordx2 v[48:49], v[40:41] offset:512
	flat_load_dwordx2 v[50:51], v[42:43] offset:512
	flat_load_dwordx2 v[52:53], v[44:45] offset:512
	s_and_saveexec_b32 s35, s1
	s_cbranch_execz .LBB245_20
; %bb.26:                               ;   in Loop: Header=BB245_23 Depth=1
	flat_load_dwordx2 v[54:55], v[38:39] offset:1024
	flat_load_dwordx2 v[56:57], v[40:41] offset:1024
	flat_load_dwordx2 v[58:59], v[42:43] offset:1024
	flat_load_dwordx2 v[60:61], v[44:45] offset:1024
	s_and_saveexec_b32 s36, s2
	s_cbranch_execz .LBB245_19
; %bb.27:                               ;   in Loop: Header=BB245_23 Depth=1
	flat_load_dwordx2 v[38:39], v[38:39] offset:1536
	flat_load_dwordx2 v[40:41], v[40:41] offset:1536
	flat_load_dwordx2 v[42:43], v[42:43] offset:1536
	flat_load_dwordx2 v[44:45], v[44:45] offset:1536
	s_waitcnt vmcnt(3) lgkmcnt(3)
	v_fma_f64 v[4:5], v[22:23], v[38:39], v[4:5]
	s_waitcnt vmcnt(2) lgkmcnt(2)
	v_fma_f64 v[4:5], v[24:25], v[40:41], v[4:5]
	;; [unrolled: 2-line block ×4, first 2 shown]
	s_branch .LBB245_19
.LBB245_28:
	s_or_b32 exec_lo, exec_lo, s34
.LBB245_29:
	s_or_b32 exec_lo, exec_lo, s33
	s_sub_i32 s0, s15, s31
	s_cmp_lt_i32 s0, 1
	s_cbranch_scc1 .LBB245_47
; %bb.30:
	v_mov_b32_e32 v16, 0
	v_mov_b32_e32 v18, 0
	;; [unrolled: 1-line block ×4, first 2 shown]
	v_cmp_gt_i32_e32 vcc_lo, s15, v64
	v_mov_b32_e32 v17, 0
	v_mov_b32_e32 v19, 0
	;; [unrolled: 1-line block ×4, first 2 shown]
	v_or_b32_e32 v20, 1, v64
	s_and_saveexec_b32 s1, vcc_lo
	s_cbranch_execz .LBB245_38
; %bb.31:
	v_mad_u64_u32 v[12:13], null, s22, v64, 0
	v_mov_b32_e32 v18, 0
	v_mov_b32_e32 v16, 0
	;; [unrolled: 1-line block ×4, first 2 shown]
	s_mov_b32 s2, exec_lo
	v_mov_b32_e32 v3, v13
	v_mad_u64_u32 v[13:14], null, s23, v64, v[3:4]
	v_mov_b32_e32 v14, 0
	v_mov_b32_e32 v15, 0
	v_lshlrev_b64 v[12:13], 3, v[12:13]
	v_add_co_u32 v12, s0, s20, v12
	v_add_co_ci_u32_e64 v13, null, s21, v13, s0
	flat_load_dwordx2 v[12:13], v[12:13]
	v_cmpx_gt_i32_e64 s15, v20
	s_cbranch_execz .LBB245_37
; %bb.32:
	v_mad_u64_u32 v[14:15], null, s22, v20, 0
	v_mov_b32_e32 v18, 0
	v_mov_b32_e32 v19, 0
	s_mov_b32 s3, exec_lo
	v_mov_b32_e32 v3, v15
	v_mad_u64_u32 v[15:16], null, s23, v20, v[3:4]
	v_mov_b32_e32 v16, 0
	v_or_b32_e32 v3, 2, v64
	v_mov_b32_e32 v17, 0
	v_lshlrev_b64 v[14:15], 3, v[14:15]
	v_add_co_u32 v14, s0, s20, v14
	v_add_co_ci_u32_e64 v15, null, s21, v15, s0
	flat_load_dwordx2 v[14:15], v[14:15]
	v_cmpx_gt_i32_e64 s15, v3
	s_cbranch_execz .LBB245_36
; %bb.33:
	v_mad_u64_u32 v[16:17], null, s22, v3, 0
	s_mov_b32 s4, exec_lo
	v_mad_u64_u32 v[17:18], null, s23, v3, v[17:18]
	v_or_b32_e32 v3, 3, v64
	v_lshlrev_b64 v[16:17], 3, v[16:17]
	v_add_co_u32 v16, s0, s20, v16
	v_add_co_ci_u32_e64 v17, null, s21, v17, s0
	flat_load_dwordx2 v[18:19], v[16:17]
	v_mov_b32_e32 v16, 0
	v_mov_b32_e32 v17, 0
	v_cmpx_gt_i32_e64 s15, v3
	s_cbranch_execz .LBB245_35
; %bb.34:
	v_mad_u64_u32 v[16:17], null, s22, v3, 0
	s_waitcnt vmcnt(0) lgkmcnt(0)
	v_mad_u64_u32 v[21:22], null, s23, v3, v[17:18]
	v_mov_b32_e32 v17, v21
	v_lshlrev_b64 v[16:17], 3, v[16:17]
	v_add_co_u32 v16, s0, s20, v16
	v_add_co_ci_u32_e64 v17, null, s21, v17, s0
	flat_load_dwordx2 v[16:17], v[16:17]
.LBB245_35:
	s_or_b32 exec_lo, exec_lo, s4
.LBB245_36:
	s_or_b32 exec_lo, exec_lo, s3
.LBB245_37:
	s_or_b32 exec_lo, exec_lo, s2
.LBB245_38:
	s_or_b32 exec_lo, exec_lo, s1
	s_mov_b32 s1, exec_lo
	v_cmpx_gt_i32_e64 s14, v2
	s_cbranch_execz .LBB245_46
; %bb.39:
	v_mad_u64_u32 v[21:22], null, s16, v64, 0
	v_or_b32_e32 v32, 2, v64
	v_or_b32_e32 v36, 3, v64
	v_mad_u64_u32 v[26:27], null, s16, v32, 0
	v_mov_b32_e32 v3, v22
	v_cndmask_b32_e32 v21, 0, v21, vcc_lo
	v_mad_u64_u32 v[22:23], null, s17, v64, v[3:4]
	v_mad_u64_u32 v[23:24], null, s16, v20, 0
	v_ashrrev_i32_e32 v3, 31, v2
	v_cndmask_b32_e32 v22, 0, v22, vcc_lo
	v_lshlrev_b64 v[28:29], 3, v[2:3]
	v_mad_u64_u32 v[24:25], null, s17, v20, v[24:25]
	v_cmp_gt_i32_e32 vcc_lo, s15, v20
	v_lshlrev_b64 v[21:22], 3, v[21:22]
	v_cndmask_b32_e32 v23, 0, v23, vcc_lo
	v_cndmask_b32_e32 v24, 0, v24, vcc_lo
	v_add_co_u32 v3, s0, s18, v21
	v_add_co_ci_u32_e64 v21, null, s19, v22, s0
	v_lshlrev_b64 v[22:23], 3, v[23:24]
	v_add_co_u32 v20, vcc_lo, v3, v28
	v_add_co_ci_u32_e64 v21, null, v21, v29, vcc_lo
	v_mov_b32_e32 v3, v27
	v_add_co_u32 v24, vcc_lo, s18, v22
	flat_load_dwordx2 v[30:31], v[20:21]
	v_add_co_ci_u32_e64 v25, null, s19, v23, vcc_lo
	v_mad_u64_u32 v[22:23], null, s17, v32, v[3:4]
	v_add_co_u32 v24, s0, v24, v28
	v_cmp_gt_i32_e32 vcc_lo, s15, v32
	v_add_co_ci_u32_e64 v25, null, v25, v29, s0
	v_cndmask_b32_e32 v26, 0, v26, vcc_lo
	v_cndmask_b32_e32 v27, 0, v22, vcc_lo
	v_mad_u64_u32 v[22:23], null, s16, v36, 0
	flat_load_dwordx2 v[32:33], v[24:25]
	v_lshlrev_b64 v[26:27], 3, v[26:27]
	v_mov_b32_e32 v3, v23
	v_add_co_u32 v23, vcc_lo, s18, v26
	v_add_co_ci_u32_e64 v27, null, s19, v27, vcc_lo
	v_mad_u64_u32 v[34:35], null, s17, v36, v[3:4]
	v_add_co_u32 v26, s0, v23, v28
	v_cmp_gt_i32_e32 vcc_lo, s15, v36
	v_add_co_ci_u32_e64 v27, null, v27, v29, s0
	s_mov_b32 s0, exec_lo
	v_cndmask_b32_e32 v22, 0, v22, vcc_lo
	v_cndmask_b32_e32 v23, 0, v34, vcc_lo
	flat_load_dwordx2 v[34:35], v[26:27]
	v_lshlrev_b64 v[22:23], 3, v[22:23]
	v_add_co_u32 v3, vcc_lo, s18, v22
	v_add_co_ci_u32_e64 v22, null, s19, v23, vcc_lo
	v_add_co_u32 v28, vcc_lo, v3, v28
	v_add_co_ci_u32_e64 v29, null, v22, v29, vcc_lo
	v_add_nc_u32_e32 v3, 64, v2
	flat_load_dwordx2 v[22:23], v[28:29]
	s_waitcnt vmcnt(3) lgkmcnt(3)
	v_fma_f64 v[10:11], v[12:13], v[30:31], v[10:11]
	s_waitcnt vmcnt(2) lgkmcnt(2)
	v_fma_f64 v[10:11], v[14:15], v[32:33], v[10:11]
	;; [unrolled: 2-line block ×3, first 2 shown]
	v_cmpx_gt_i32_e64 s14, v3
	s_cbranch_execz .LBB245_45
; %bb.40:
	s_clause 0x3
	flat_load_dwordx2 v[32:33], v[20:21] offset:512
	flat_load_dwordx2 v[34:35], v[24:25] offset:512
	;; [unrolled: 1-line block ×4, first 2 shown]
	v_add_nc_u32_e32 v3, 0x80, v2
	s_mov_b32 s2, exec_lo
	s_waitcnt vmcnt(3) lgkmcnt(3)
	v_fma_f64 v[8:9], v[12:13], v[32:33], v[8:9]
	s_waitcnt vmcnt(2) lgkmcnt(2)
	v_fma_f64 v[8:9], v[14:15], v[34:35], v[8:9]
	s_waitcnt vmcnt(1) lgkmcnt(1)
	v_fma_f64 v[8:9], v[18:19], v[36:37], v[8:9]
	v_cmpx_gt_i32_e64 s14, v3
	s_cbranch_execz .LBB245_44
; %bb.41:
	s_clause 0x3
	flat_load_dwordx2 v[34:35], v[20:21] offset:1024
	flat_load_dwordx2 v[36:37], v[24:25] offset:1024
	;; [unrolled: 1-line block ×4, first 2 shown]
	v_add_nc_u32_e32 v2, 0xc0, v2
	s_mov_b32 s3, exec_lo
	s_waitcnt vmcnt(3) lgkmcnt(3)
	v_fma_f64 v[6:7], v[12:13], v[34:35], v[6:7]
	s_waitcnt vmcnt(2) lgkmcnt(2)
	v_fma_f64 v[6:7], v[14:15], v[36:37], v[6:7]
	;; [unrolled: 2-line block ×3, first 2 shown]
	v_cmpx_gt_i32_e64 s14, v2
	s_cbranch_execz .LBB245_43
; %bb.42:
	s_clause 0x3
	flat_load_dwordx2 v[2:3], v[20:21] offset:1536
	flat_load_dwordx2 v[20:21], v[24:25] offset:1536
	;; [unrolled: 1-line block ×4, first 2 shown]
	s_waitcnt vmcnt(3) lgkmcnt(3)
	v_fma_f64 v[2:3], v[12:13], v[2:3], v[4:5]
	s_waitcnt vmcnt(2) lgkmcnt(2)
	v_fma_f64 v[2:3], v[14:15], v[20:21], v[2:3]
	;; [unrolled: 2-line block ×4, first 2 shown]
.LBB245_43:
	s_or_b32 exec_lo, exec_lo, s3
	s_waitcnt vmcnt(0) lgkmcnt(0)
	v_fma_f64 v[6:7], v[16:17], v[32:33], v[6:7]
.LBB245_44:
	s_or_b32 exec_lo, exec_lo, s2
	s_waitcnt vmcnt(0) lgkmcnt(0)
	v_fma_f64 v[8:9], v[16:17], v[30:31], v[8:9]
.LBB245_45:
	s_or_b32 exec_lo, exec_lo, s0
	s_waitcnt vmcnt(0) lgkmcnt(0)
	v_fma_f64 v[10:11], v[16:17], v[22:23], v[10:11]
.LBB245_46:
	s_or_b32 exec_lo, exec_lo, s1
.LBB245_47:
	v_lshlrev_b32_e32 v0, 3, v0
	s_mov_b32 s0, exec_lo
                                        ; implicit-def: $vgpr2_vgpr3
	v_lshl_or_b32 v1, v1, 11, v0
	ds_write2st64_b64 v1, v[10:11], v[8:9] offset1:1
	ds_write2st64_b64 v1, v[6:7], v[4:5] offset0:2 offset1:3
	s_waitcnt vmcnt(0) lgkmcnt(0)
	s_barrier
	buffer_gl0_inv
                                        ; implicit-def: $vgpr4_vgpr5
	v_cmpx_gt_u32_e32 0x100, v62
	s_cbranch_execz .LBB245_53
; %bb.48:
	v_lshl_add_u32 v7, v63, 3, v0
	v_or_b32_e32 v6, s30, v62
	s_mov_b32 s2, s29
	s_mov_b32 s1, exec_lo
	ds_read2st64_b64 v[0:3], v7 offset1:4
	s_waitcnt lgkmcnt(0)
	v_add_f64 v[4:5], v[0:1], v[2:3]
	ds_read2st64_b64 v[0:3], v7 offset0:8 offset1:12
	s_waitcnt lgkmcnt(0)
	v_add_f64 v[0:1], v[0:1], v[4:5]
                                        ; implicit-def: $vgpr4_vgpr5
	v_add_f64 v[0:1], v[2:3], v[0:1]
                                        ; implicit-def: $vgpr2_vgpr3
	ds_write_b64 v7, v[0:1]
	v_cmpx_gt_i32_e64 s14, v6
	s_cbranch_execz .LBB245_52
; %bb.49:
	v_cmp_eq_f64_e64 s2, s[8:9], 0
	v_mul_f64 v[2:3], s[10:11], v[0:1]
	v_ashrrev_i32_e32 v0, 31, v6
	v_mul_lo_u32 v1, s13, v6
	v_mad_u64_u32 v[4:5], null, s12, v6, 0
	v_mul_lo_u32 v0, s12, v0
	v_add3_u32 v5, v5, v0, v1
	s_and_b32 vcc_lo, exec_lo, s2
	s_cbranch_vccnz .LBB245_51
; %bb.50:
	v_lshlrev_b64 v[0:1], 3, v[4:5]
	v_add_co_u32 v0, vcc_lo, s5, v0
	v_add_co_ci_u32_e64 v1, null, s28, v1, vcc_lo
	flat_load_dwordx2 v[0:1], v[0:1]
	s_waitcnt vmcnt(0) lgkmcnt(0)
	v_fma_f64 v[2:3], s[8:9], v[0:1], v[2:3]
.LBB245_51:
	s_or_b32 s2, s29, exec_lo
.LBB245_52:
	s_or_b32 exec_lo, exec_lo, s1
	s_andn2_b32 s1, s29, exec_lo
	s_and_b32 s2, s2, exec_lo
	s_or_b32 s29, s1, s2
.LBB245_53:
	s_or_b32 exec_lo, exec_lo, s0
.LBB245_54:
	s_and_saveexec_b32 s0, s29
	s_cbranch_execz .LBB245_56
; %bb.55:
	v_lshlrev_b64 v[0:1], 3, v[4:5]
	v_add_co_u32 v0, vcc_lo, s5, v0
	v_add_co_ci_u32_e64 v1, null, s28, v1, vcc_lo
	flat_store_dwordx2 v[0:1], v[2:3]
.LBB245_56:
	s_endpgm
	.section	.rodata,"a",@progbits
	.p2align	6, 0x0
	.amdhsa_kernel _ZL20rocblas_gemvn_kernelILi64ELi4ElPKddKPdEviiT3_lPKT2_lT1_lS7_lS8_lS4_lPT4_lS8_li
		.amdhsa_group_segment_fixed_size 8192
		.amdhsa_private_segment_fixed_size 0
		.amdhsa_kernarg_size 400
		.amdhsa_user_sgpr_count 6
		.amdhsa_user_sgpr_private_segment_buffer 1
		.amdhsa_user_sgpr_dispatch_ptr 0
		.amdhsa_user_sgpr_queue_ptr 0
		.amdhsa_user_sgpr_kernarg_segment_ptr 1
		.amdhsa_user_sgpr_dispatch_id 0
		.amdhsa_user_sgpr_flat_scratch_init 0
		.amdhsa_user_sgpr_private_segment_size 0
		.amdhsa_wavefront_size32 1
		.amdhsa_uses_dynamic_stack 0
		.amdhsa_system_sgpr_private_segment_wavefront_offset 0
		.amdhsa_system_sgpr_workgroup_id_x 1
		.amdhsa_system_sgpr_workgroup_id_y 0
		.amdhsa_system_sgpr_workgroup_id_z 1
		.amdhsa_system_sgpr_workgroup_info 0
		.amdhsa_system_vgpr_workitem_id 1
		.amdhsa_next_free_vgpr 72
		.amdhsa_next_free_sgpr 37
		.amdhsa_reserve_vcc 1
		.amdhsa_reserve_flat_scratch 1
		.amdhsa_float_round_mode_32 0
		.amdhsa_float_round_mode_16_64 0
		.amdhsa_float_denorm_mode_32 3
		.amdhsa_float_denorm_mode_16_64 3
		.amdhsa_dx10_clamp 1
		.amdhsa_ieee_mode 1
		.amdhsa_fp16_overflow 0
		.amdhsa_workgroup_processor_mode 1
		.amdhsa_memory_ordered 1
		.amdhsa_forward_progress 1
		.amdhsa_shared_vgpr_count 0
		.amdhsa_exception_fp_ieee_invalid_op 0
		.amdhsa_exception_fp_denorm_src 0
		.amdhsa_exception_fp_ieee_div_zero 0
		.amdhsa_exception_fp_ieee_overflow 0
		.amdhsa_exception_fp_ieee_underflow 0
		.amdhsa_exception_fp_ieee_inexact 0
		.amdhsa_exception_int_div_zero 0
	.end_amdhsa_kernel
	.section	.text._ZL20rocblas_gemvn_kernelILi64ELi4ElPKddKPdEviiT3_lPKT2_lT1_lS7_lS8_lS4_lPT4_lS8_li,"axG",@progbits,_ZL20rocblas_gemvn_kernelILi64ELi4ElPKddKPdEviiT3_lPKT2_lT1_lS7_lS8_lS4_lPT4_lS8_li,comdat
.Lfunc_end245:
	.size	_ZL20rocblas_gemvn_kernelILi64ELi4ElPKddKPdEviiT3_lPKT2_lT1_lS7_lS8_lS4_lPT4_lS8_li, .Lfunc_end245-_ZL20rocblas_gemvn_kernelILi64ELi4ElPKddKPdEviiT3_lPKT2_lT1_lS7_lS8_lS4_lPT4_lS8_li
                                        ; -- End function
	.set _ZL20rocblas_gemvn_kernelILi64ELi4ElPKddKPdEviiT3_lPKT2_lT1_lS7_lS8_lS4_lPT4_lS8_li.num_vgpr, 72
	.set _ZL20rocblas_gemvn_kernelILi64ELi4ElPKddKPdEviiT3_lPKT2_lT1_lS7_lS8_lS4_lPT4_lS8_li.num_agpr, 0
	.set _ZL20rocblas_gemvn_kernelILi64ELi4ElPKddKPdEviiT3_lPKT2_lT1_lS7_lS8_lS4_lPT4_lS8_li.numbered_sgpr, 37
	.set _ZL20rocblas_gemvn_kernelILi64ELi4ElPKddKPdEviiT3_lPKT2_lT1_lS7_lS8_lS4_lPT4_lS8_li.num_named_barrier, 0
	.set _ZL20rocblas_gemvn_kernelILi64ELi4ElPKddKPdEviiT3_lPKT2_lT1_lS7_lS8_lS4_lPT4_lS8_li.private_seg_size, 0
	.set _ZL20rocblas_gemvn_kernelILi64ELi4ElPKddKPdEviiT3_lPKT2_lT1_lS7_lS8_lS4_lPT4_lS8_li.uses_vcc, 1
	.set _ZL20rocblas_gemvn_kernelILi64ELi4ElPKddKPdEviiT3_lPKT2_lT1_lS7_lS8_lS4_lPT4_lS8_li.uses_flat_scratch, 1
	.set _ZL20rocblas_gemvn_kernelILi64ELi4ElPKddKPdEviiT3_lPKT2_lT1_lS7_lS8_lS4_lPT4_lS8_li.has_dyn_sized_stack, 0
	.set _ZL20rocblas_gemvn_kernelILi64ELi4ElPKddKPdEviiT3_lPKT2_lT1_lS7_lS8_lS4_lPT4_lS8_li.has_recursion, 0
	.set _ZL20rocblas_gemvn_kernelILi64ELi4ElPKddKPdEviiT3_lPKT2_lT1_lS7_lS8_lS4_lPT4_lS8_li.has_indirect_call, 0
	.section	.AMDGPU.csdata,"",@progbits
; Kernel info:
; codeLenInByte = 3172
; TotalNumSgprs: 39
; NumVgprs: 72
; ScratchSize: 0
; MemoryBound: 1
; FloatMode: 240
; IeeeMode: 1
; LDSByteSize: 8192 bytes/workgroup (compile time only)
; SGPRBlocks: 0
; VGPRBlocks: 8
; NumSGPRsForWavesPerEU: 39
; NumVGPRsForWavesPerEU: 72
; Occupancy: 12
; WaveLimiterHint : 1
; COMPUTE_PGM_RSRC2:SCRATCH_EN: 0
; COMPUTE_PGM_RSRC2:USER_SGPR: 6
; COMPUTE_PGM_RSRC2:TRAP_HANDLER: 0
; COMPUTE_PGM_RSRC2:TGID_X_EN: 1
; COMPUTE_PGM_RSRC2:TGID_Y_EN: 0
; COMPUTE_PGM_RSRC2:TGID_Z_EN: 1
; COMPUTE_PGM_RSRC2:TIDIG_COMP_CNT: 1
	.section	.text._ZL24rocblas_gemv_scal_kernelILi256EPKdPKPdEviT0_lT1_lili,"axG",@progbits,_ZL24rocblas_gemv_scal_kernelILi256EPKdPKPdEviT0_lT1_lili,comdat
	.globl	_ZL24rocblas_gemv_scal_kernelILi256EPKdPKPdEviT0_lT1_lili ; -- Begin function _ZL24rocblas_gemv_scal_kernelILi256EPKdPKPdEviT0_lT1_lili
	.p2align	8
	.type	_ZL24rocblas_gemv_scal_kernelILi256EPKdPKPdEviT0_lT1_lili,@function
_ZL24rocblas_gemv_scal_kernelILi256EPKdPKPdEviT0_lT1_lili: ; @_ZL24rocblas_gemv_scal_kernelILi256EPKdPKPdEviT0_lT1_lili
; %bb.0:
	s_load_dwordx8 s[8:15], s[4:5], 0x8
	s_waitcnt lgkmcnt(0)
	s_mul_i32 s0, s11, s7
	s_mul_hi_u32 s1, s10, s7
	s_add_i32 s1, s1, s0
	s_mul_i32 s0, s10, s7
	s_lshl_b64 s[0:1], s[0:1], 3
	s_add_u32 s0, s8, s0
	s_addc_u32 s1, s9, s1
	s_load_dwordx2 s[0:1], s[0:1], 0x0
	s_waitcnt lgkmcnt(0)
	v_cmp_eq_f64_e64 s3, s[0:1], 1.0
	s_and_b32 vcc_lo, exec_lo, s3
	s_cbranch_vccnz .LBB246_5
; %bb.1:
	s_clause 0x1
	s_load_dword s3, s[4:5], 0x4c
	s_load_dword s8, s[4:5], 0x0
	s_waitcnt lgkmcnt(0)
	s_and_b32 s3, s3, 0xffff
	s_ashr_i32 s9, s8, 31
	v_mad_u64_u32 v[0:1], null, s6, s3, v[0:1]
	v_mov_b32_e32 v1, 0
	s_mov_b32 s3, exec_lo
	v_cmpx_gt_i64_e64 s[8:9], v[0:1]
	s_cbranch_execz .LBB246_5
; %bb.2:
	s_load_dword s4, s[4:5], 0x28
	s_mov_b32 s2, s7
	s_mov_b32 s3, 0
	v_cmp_eq_f64_e64 s6, s[0:1], 0
	s_lshl_b64 s[2:3], s[2:3], 3
	s_add_u32 s2, s12, s2
	s_addc_u32 s3, s13, s3
	s_load_dwordx2 s[2:3], s[2:3], 0x0
	s_waitcnt lgkmcnt(0)
	v_mad_u64_u32 v[1:2], null, v0, s4, 0
	s_ashr_i32 s4, s4, 31
	v_mad_u64_u32 v[2:3], null, v0, s4, v[2:3]
	s_lshl_b64 s[4:5], s[14:15], 3
	s_add_u32 s2, s2, s4
	s_addc_u32 s3, s3, s5
	v_lshlrev_b64 v[2:3], 3, v[1:2]
	v_mov_b32_e32 v0, 0
	v_mov_b32_e32 v1, 0
	v_add_co_u32 v2, vcc_lo, s2, v2
	v_add_co_ci_u32_e64 v3, null, s3, v3, vcc_lo
	s_and_b32 vcc_lo, exec_lo, s6
	s_cbranch_vccnz .LBB246_4
; %bb.3:
	flat_load_dwordx2 v[0:1], v[2:3]
	s_waitcnt vmcnt(0) lgkmcnt(0)
	v_mul_f64 v[0:1], s[0:1], v[0:1]
.LBB246_4:
	flat_store_dwordx2 v[2:3], v[0:1]
.LBB246_5:
	s_endpgm
	.section	.rodata,"a",@progbits
	.p2align	6, 0x0
	.amdhsa_kernel _ZL24rocblas_gemv_scal_kernelILi256EPKdPKPdEviT0_lT1_lili
		.amdhsa_group_segment_fixed_size 0
		.amdhsa_private_segment_fixed_size 0
		.amdhsa_kernarg_size 320
		.amdhsa_user_sgpr_count 6
		.amdhsa_user_sgpr_private_segment_buffer 1
		.amdhsa_user_sgpr_dispatch_ptr 0
		.amdhsa_user_sgpr_queue_ptr 0
		.amdhsa_user_sgpr_kernarg_segment_ptr 1
		.amdhsa_user_sgpr_dispatch_id 0
		.amdhsa_user_sgpr_flat_scratch_init 0
		.amdhsa_user_sgpr_private_segment_size 0
		.amdhsa_wavefront_size32 1
		.amdhsa_uses_dynamic_stack 0
		.amdhsa_system_sgpr_private_segment_wavefront_offset 0
		.amdhsa_system_sgpr_workgroup_id_x 1
		.amdhsa_system_sgpr_workgroup_id_y 0
		.amdhsa_system_sgpr_workgroup_id_z 1
		.amdhsa_system_sgpr_workgroup_info 0
		.amdhsa_system_vgpr_workitem_id 0
		.amdhsa_next_free_vgpr 4
		.amdhsa_next_free_sgpr 16
		.amdhsa_reserve_vcc 1
		.amdhsa_reserve_flat_scratch 0
		.amdhsa_float_round_mode_32 0
		.amdhsa_float_round_mode_16_64 0
		.amdhsa_float_denorm_mode_32 3
		.amdhsa_float_denorm_mode_16_64 3
		.amdhsa_dx10_clamp 1
		.amdhsa_ieee_mode 1
		.amdhsa_fp16_overflow 0
		.amdhsa_workgroup_processor_mode 1
		.amdhsa_memory_ordered 1
		.amdhsa_forward_progress 1
		.amdhsa_shared_vgpr_count 0
		.amdhsa_exception_fp_ieee_invalid_op 0
		.amdhsa_exception_fp_denorm_src 0
		.amdhsa_exception_fp_ieee_div_zero 0
		.amdhsa_exception_fp_ieee_overflow 0
		.amdhsa_exception_fp_ieee_underflow 0
		.amdhsa_exception_fp_ieee_inexact 0
		.amdhsa_exception_int_div_zero 0
	.end_amdhsa_kernel
	.section	.text._ZL24rocblas_gemv_scal_kernelILi256EPKdPKPdEviT0_lT1_lili,"axG",@progbits,_ZL24rocblas_gemv_scal_kernelILi256EPKdPKPdEviT0_lT1_lili,comdat
.Lfunc_end246:
	.size	_ZL24rocblas_gemv_scal_kernelILi256EPKdPKPdEviT0_lT1_lili, .Lfunc_end246-_ZL24rocblas_gemv_scal_kernelILi256EPKdPKPdEviT0_lT1_lili
                                        ; -- End function
	.set _ZL24rocblas_gemv_scal_kernelILi256EPKdPKPdEviT0_lT1_lili.num_vgpr, 4
	.set _ZL24rocblas_gemv_scal_kernelILi256EPKdPKPdEviT0_lT1_lili.num_agpr, 0
	.set _ZL24rocblas_gemv_scal_kernelILi256EPKdPKPdEviT0_lT1_lili.numbered_sgpr, 16
	.set _ZL24rocblas_gemv_scal_kernelILi256EPKdPKPdEviT0_lT1_lili.num_named_barrier, 0
	.set _ZL24rocblas_gemv_scal_kernelILi256EPKdPKPdEviT0_lT1_lili.private_seg_size, 0
	.set _ZL24rocblas_gemv_scal_kernelILi256EPKdPKPdEviT0_lT1_lili.uses_vcc, 1
	.set _ZL24rocblas_gemv_scal_kernelILi256EPKdPKPdEviT0_lT1_lili.uses_flat_scratch, 0
	.set _ZL24rocblas_gemv_scal_kernelILi256EPKdPKPdEviT0_lT1_lili.has_dyn_sized_stack, 0
	.set _ZL24rocblas_gemv_scal_kernelILi256EPKdPKPdEviT0_lT1_lili.has_recursion, 0
	.set _ZL24rocblas_gemv_scal_kernelILi256EPKdPKPdEviT0_lT1_lili.has_indirect_call, 0
	.section	.AMDGPU.csdata,"",@progbits
; Kernel info:
; codeLenInByte = 284
; TotalNumSgprs: 18
; NumVgprs: 4
; ScratchSize: 0
; MemoryBound: 1
; FloatMode: 240
; IeeeMode: 1
; LDSByteSize: 0 bytes/workgroup (compile time only)
; SGPRBlocks: 0
; VGPRBlocks: 0
; NumSGPRsForWavesPerEU: 18
; NumVGPRsForWavesPerEU: 4
; Occupancy: 16
; WaveLimiterHint : 1
; COMPUTE_PGM_RSRC2:SCRATCH_EN: 0
; COMPUTE_PGM_RSRC2:USER_SGPR: 6
; COMPUTE_PGM_RSRC2:TRAP_HANDLER: 0
; COMPUTE_PGM_RSRC2:TGID_X_EN: 1
; COMPUTE_PGM_RSRC2:TGID_Y_EN: 0
; COMPUTE_PGM_RSRC2:TGID_Z_EN: 1
; COMPUTE_PGM_RSRC2:TIDIG_COMP_CNT: 0
	.section	.text._ZL24rocblas_gemv_scal_kernelILi256EdPKPdEviT0_lT1_lili,"axG",@progbits,_ZL24rocblas_gemv_scal_kernelILi256EdPKPdEviT0_lT1_lili,comdat
	.globl	_ZL24rocblas_gemv_scal_kernelILi256EdPKPdEviT0_lT1_lili ; -- Begin function _ZL24rocblas_gemv_scal_kernelILi256EdPKPdEviT0_lT1_lili
	.p2align	8
	.type	_ZL24rocblas_gemv_scal_kernelILi256EdPKPdEviT0_lT1_lili,@function
_ZL24rocblas_gemv_scal_kernelILi256EdPKPdEviT0_lT1_lili: ; @_ZL24rocblas_gemv_scal_kernelILi256EdPKPdEviT0_lT1_lili
; %bb.0:
	s_load_dwordx2 s[0:1], s[4:5], 0x8
	s_waitcnt lgkmcnt(0)
	v_cmp_eq_f64_e64 s3, s[0:1], 1.0
	s_and_b32 vcc_lo, exec_lo, s3
	s_cbranch_vccnz .LBB247_5
; %bb.1:
	s_clause 0x1
	s_load_dword s3, s[4:5], 0x4c
	s_load_dword s8, s[4:5], 0x0
	s_waitcnt lgkmcnt(0)
	s_and_b32 s3, s3, 0xffff
	s_ashr_i32 s9, s8, 31
	v_mad_u64_u32 v[0:1], null, s6, s3, v[0:1]
	v_mov_b32_e32 v1, 0
	s_mov_b32 s3, exec_lo
	v_cmpx_gt_i64_e64 s[8:9], v[0:1]
	s_cbranch_execz .LBB247_5
; %bb.2:
	s_mov_b32 s2, s7
	s_clause 0x1
	s_load_dword s8, s[4:5], 0x28
	s_load_dwordx4 s[4:7], s[4:5], 0x18
	s_mov_b32 s3, 0
	v_cmp_eq_f64_e64 s9, s[0:1], 0
	s_lshl_b64 s[2:3], s[2:3], 3
	s_waitcnt lgkmcnt(0)
	v_mad_u64_u32 v[1:2], null, v0, s8, 0
	s_add_u32 s2, s4, s2
	s_addc_u32 s3, s5, s3
	s_ashr_i32 s4, s8, 31
	s_load_dwordx2 s[2:3], s[2:3], 0x0
	v_mad_u64_u32 v[2:3], null, v0, s4, v[2:3]
	s_lshl_b64 s[4:5], s[6:7], 3
	v_lshlrev_b64 v[2:3], 3, v[1:2]
	v_mov_b32_e32 v0, 0
	v_mov_b32_e32 v1, 0
	s_waitcnt lgkmcnt(0)
	s_add_u32 s2, s2, s4
	s_addc_u32 s3, s3, s5
	v_add_co_u32 v2, vcc_lo, s2, v2
	v_add_co_ci_u32_e64 v3, null, s3, v3, vcc_lo
	s_and_b32 vcc_lo, exec_lo, s9
	s_cbranch_vccnz .LBB247_4
; %bb.3:
	flat_load_dwordx2 v[0:1], v[2:3]
	s_waitcnt vmcnt(0) lgkmcnt(0)
	v_mul_f64 v[0:1], s[0:1], v[0:1]
.LBB247_4:
	flat_store_dwordx2 v[2:3], v[0:1]
.LBB247_5:
	s_endpgm
	.section	.rodata,"a",@progbits
	.p2align	6, 0x0
	.amdhsa_kernel _ZL24rocblas_gemv_scal_kernelILi256EdPKPdEviT0_lT1_lili
		.amdhsa_group_segment_fixed_size 0
		.amdhsa_private_segment_fixed_size 0
		.amdhsa_kernarg_size 320
		.amdhsa_user_sgpr_count 6
		.amdhsa_user_sgpr_private_segment_buffer 1
		.amdhsa_user_sgpr_dispatch_ptr 0
		.amdhsa_user_sgpr_queue_ptr 0
		.amdhsa_user_sgpr_kernarg_segment_ptr 1
		.amdhsa_user_sgpr_dispatch_id 0
		.amdhsa_user_sgpr_flat_scratch_init 0
		.amdhsa_user_sgpr_private_segment_size 0
		.amdhsa_wavefront_size32 1
		.amdhsa_uses_dynamic_stack 0
		.amdhsa_system_sgpr_private_segment_wavefront_offset 0
		.amdhsa_system_sgpr_workgroup_id_x 1
		.amdhsa_system_sgpr_workgroup_id_y 0
		.amdhsa_system_sgpr_workgroup_id_z 1
		.amdhsa_system_sgpr_workgroup_info 0
		.amdhsa_system_vgpr_workitem_id 0
		.amdhsa_next_free_vgpr 4
		.amdhsa_next_free_sgpr 10
		.amdhsa_reserve_vcc 1
		.amdhsa_reserve_flat_scratch 0
		.amdhsa_float_round_mode_32 0
		.amdhsa_float_round_mode_16_64 0
		.amdhsa_float_denorm_mode_32 3
		.amdhsa_float_denorm_mode_16_64 3
		.amdhsa_dx10_clamp 1
		.amdhsa_ieee_mode 1
		.amdhsa_fp16_overflow 0
		.amdhsa_workgroup_processor_mode 1
		.amdhsa_memory_ordered 1
		.amdhsa_forward_progress 1
		.amdhsa_shared_vgpr_count 0
		.amdhsa_exception_fp_ieee_invalid_op 0
		.amdhsa_exception_fp_denorm_src 0
		.amdhsa_exception_fp_ieee_div_zero 0
		.amdhsa_exception_fp_ieee_overflow 0
		.amdhsa_exception_fp_ieee_underflow 0
		.amdhsa_exception_fp_ieee_inexact 0
		.amdhsa_exception_int_div_zero 0
	.end_amdhsa_kernel
	.section	.text._ZL24rocblas_gemv_scal_kernelILi256EdPKPdEviT0_lT1_lili,"axG",@progbits,_ZL24rocblas_gemv_scal_kernelILi256EdPKPdEviT0_lT1_lili,comdat
.Lfunc_end247:
	.size	_ZL24rocblas_gemv_scal_kernelILi256EdPKPdEviT0_lT1_lili, .Lfunc_end247-_ZL24rocblas_gemv_scal_kernelILi256EdPKPdEviT0_lT1_lili
                                        ; -- End function
	.set _ZL24rocblas_gemv_scal_kernelILi256EdPKPdEviT0_lT1_lili.num_vgpr, 4
	.set _ZL24rocblas_gemv_scal_kernelILi256EdPKPdEviT0_lT1_lili.num_agpr, 0
	.set _ZL24rocblas_gemv_scal_kernelILi256EdPKPdEviT0_lT1_lili.numbered_sgpr, 10
	.set _ZL24rocblas_gemv_scal_kernelILi256EdPKPdEviT0_lT1_lili.num_named_barrier, 0
	.set _ZL24rocblas_gemv_scal_kernelILi256EdPKPdEviT0_lT1_lili.private_seg_size, 0
	.set _ZL24rocblas_gemv_scal_kernelILi256EdPKPdEviT0_lT1_lili.uses_vcc, 1
	.set _ZL24rocblas_gemv_scal_kernelILi256EdPKPdEviT0_lT1_lili.uses_flat_scratch, 0
	.set _ZL24rocblas_gemv_scal_kernelILi256EdPKPdEviT0_lT1_lili.has_dyn_sized_stack, 0
	.set _ZL24rocblas_gemv_scal_kernelILi256EdPKPdEviT0_lT1_lili.has_recursion, 0
	.set _ZL24rocblas_gemv_scal_kernelILi256EdPKPdEviT0_lT1_lili.has_indirect_call, 0
	.section	.AMDGPU.csdata,"",@progbits
; Kernel info:
; codeLenInByte = 260
; TotalNumSgprs: 12
; NumVgprs: 4
; ScratchSize: 0
; MemoryBound: 1
; FloatMode: 240
; IeeeMode: 1
; LDSByteSize: 0 bytes/workgroup (compile time only)
; SGPRBlocks: 0
; VGPRBlocks: 0
; NumSGPRsForWavesPerEU: 12
; NumVGPRsForWavesPerEU: 4
; Occupancy: 16
; WaveLimiterHint : 1
; COMPUTE_PGM_RSRC2:SCRATCH_EN: 0
; COMPUTE_PGM_RSRC2:USER_SGPR: 6
; COMPUTE_PGM_RSRC2:TRAP_HANDLER: 0
; COMPUTE_PGM_RSRC2:TGID_X_EN: 1
; COMPUTE_PGM_RSRC2:TGID_Y_EN: 0
; COMPUTE_PGM_RSRC2:TGID_Z_EN: 1
; COMPUTE_PGM_RSRC2:TIDIG_COMP_CNT: 0
	.section	.text._ZL36rocblas_gemvn_double_buffered_kernelILi128ELi4ELi16EPKdS1_KPdEviiT3_lPKT2_lilS7_lilPT4_lili,"axG",@progbits,_ZL36rocblas_gemvn_double_buffered_kernelILi128ELi4ELi16EPKdS1_KPdEviiT3_lPKT2_lilS7_lilPT4_lili,comdat
	.globl	_ZL36rocblas_gemvn_double_buffered_kernelILi128ELi4ELi16EPKdS1_KPdEviiT3_lPKT2_lilS7_lilPT4_lili ; -- Begin function _ZL36rocblas_gemvn_double_buffered_kernelILi128ELi4ELi16EPKdS1_KPdEviiT3_lPKT2_lilS7_lilPT4_lili
	.p2align	8
	.type	_ZL36rocblas_gemvn_double_buffered_kernelILi128ELi4ELi16EPKdS1_KPdEviiT3_lPKT2_lilS7_lilPT4_lili,@function
_ZL36rocblas_gemvn_double_buffered_kernelILi128ELi4ELi16EPKdS1_KPdEviiT3_lPKT2_lilS7_lilPT4_lili: ; @_ZL36rocblas_gemvn_double_buffered_kernelILi128ELi4ELi16EPKdS1_KPdEviiT3_lPKT2_lilS7_lilPT4_lili
; %bb.0:
	s_load_dwordx8 s[12:19], s[4:5], 0x8
	s_waitcnt lgkmcnt(0)
	s_mul_i32 s0, s15, s8
	s_mul_hi_u32 s1, s14, s8
	s_add_i32 s1, s1, s0
	s_mul_i32 s0, s14, s8
	s_lshl_b64 s[0:1], s[0:1], 3
	s_add_u32 s0, s12, s0
	s_addc_u32 s1, s13, s1
	s_load_dwordx2 s[12:13], s[0:1], 0x0
	s_waitcnt lgkmcnt(0)
	v_cmp_eq_f64_e64 s0, s[12:13], 0
	s_and_b32 vcc_lo, exec_lo, s0
	s_cbranch_vccnz .LBB248_12
; %bb.1:
	s_clause 0x1
	s_load_dword s0, s[4:5], 0x84
	s_load_dword s1, s[4:5], 0x4
	s_waitcnt lgkmcnt(0)
	v_cvt_f32_u32_e32 v2, s0
	s_ashr_i32 s3, s1, 31
	s_sub_i32 s9, 0, s0
	s_lshr_b32 s3, s3, 25
	s_add_i32 s1, s1, s3
	v_rcp_iflag_f32_e32 v2, v2
	s_ashr_i32 s1, s1, 7
	v_mul_f32_e32 v2, 0x4f7ffffe, v2
	v_cvt_u32_f32_e32 v2, v2
	v_readfirstlane_b32 s2, v2
	s_mul_i32 s9, s9, s2
	s_mul_hi_u32 s3, s2, s9
	s_add_i32 s2, s2, s3
	s_mul_hi_u32 s2, s1, s2
	s_mul_i32 s3, s2, s0
	s_add_i32 s9, s2, 1
	s_sub_i32 s3, s1, s3
	s_sub_i32 s10, s3, s0
	s_cmp_ge_u32 s3, s0
	s_cselect_b32 s2, s9, s2
	s_cselect_b32 s3, s10, s3
	s_add_i32 s9, s2, 1
	s_cmp_ge_u32 s3, s0
	s_cselect_b32 s10, s9, s2
	s_mov_b32 s9, 0
	s_mul_i32 s0, s10, s0
	s_sub_i32 s11, s1, s0
	s_cmp_lt_u32 s7, s11
	s_cselect_b32 s0, -1, 0
	s_cmp_lg_u32 s0, 0
	s_addc_u32 s28, s10, 0
	s_cmp_eq_u32 s28, 0
	s_cbranch_scc1 .LBB248_12
; %bb.2:
	s_load_dwordx4 s[0:3], s[4:5], 0x58
	s_lshl_b64 s[24:25], s[8:9], 3
	v_lshl_add_u32 v34, v1, 7, v0
	v_and_b32_e32 v2, 63, v0
	v_lshrrev_b32_e32 v168, 6, v34
	v_lshlrev_b32_e32 v169, 3, v2
	s_waitcnt lgkmcnt(0)
	s_add_u32 s0, s0, s24
	s_addc_u32 s1, s1, s25
	s_lshl_b32 s20, s6, 7
	s_load_dwordx2 s[14:15], s[0:1], 0x0
	s_ashr_i32 s21, s20, 31
	s_cmp_lt_i32 s28, 1
	s_cbranch_scc1 .LBB248_8
; %bb.3:
	v_cvt_f64_i32_e32 v[3:4], s7
	v_cvt_f64_u32_e32 v[5:6], s11
	s_mul_i32 s10, s10, s7
	s_load_dword s22, s[4:5], 0x28
	v_cvt_f64_u32_e32 v[7:8], s10
	s_clause 0x1
	s_load_dwordx4 s[8:11], s[4:5], 0x38
	s_load_dword s0, s[4:5], 0x48
	v_lshlrev_b32_e32 v34, 1, v34
	v_mov_b32_e32 v66, 0
	v_mov_b32_e32 v102, 0
	;; [unrolled: 1-line block ×4, first 2 shown]
	v_and_b32_e32 v34, 0x3ff80, v34
	s_waitcnt lgkmcnt(0)
	s_ashr_i32 s23, s22, 31
	v_min_f64 v[3:4], v[3:4], v[5:6]
	s_add_u32 s6, s16, s24
	s_addc_u32 s7, s17, s25
	v_lshlrev_b32_e32 v5, 4, v168
	s_load_dwordx2 s[16:17], s[6:7], 0x0
	s_add_u32 s8, s8, s24
	s_addc_u32 s9, s9, s25
	s_lshl_b64 s[18:19], s[18:19], 3
	s_ashr_i32 s1, s0, 31
	v_add_f64 v[3:4], v[3:4], v[7:8]
	s_waitcnt lgkmcnt(0)
	s_add_u32 s6, s16, s18
	s_addc_u32 s7, s17, s19
	s_lshl_b64 s[24:25], s[20:21], 3
	s_add_u32 s21, s6, s24
	s_addc_u32 s29, s7, s25
	v_cvt_i32_f64_e32 v4, v[3:4]
	v_mov_b32_e32 v3, 0
	v_mad_i64_i32 v[2:3], null, s22, v5, v[2:3]
	v_lshlrev_b64 v[2:3], 3, v[2:3]
	v_readfirstlane_b32 s26, v4
	s_lshl_b32 s26, s26, 7
	s_mul_hi_i32 s7, s26, s22
	s_mul_i32 s6, s26, s22
	s_ashr_i32 s27, s26, 31
	s_lshl_b64 s[6:7], s[6:7], 3
	s_add_u32 s6, s21, s6
	s_addc_u32 s7, s29, s7
	v_add_co_u32 v2, vcc_lo, s6, v2
	v_add_co_ci_u32_e64 v3, null, s7, v3, vcc_lo
	s_lshl_b64 s[6:7], s[22:23], 3
	s_lshl_b64 s[34:35], s[26:27], 3
	v_add_co_u32 v4, vcc_lo, v2, s6
	v_add_co_ci_u32_e64 v5, null, s7, v3, vcc_lo
	v_add_co_u32 v34, s27, v34, s34
	v_add_co_u32 v6, vcc_lo, v4, s6
	v_add_co_ci_u32_e64 v7, null, s7, v5, vcc_lo
	v_add_co_ci_u32_e64 v35, null, 0, s35, s27
	v_add_co_u32 v8, vcc_lo, v6, s6
	v_add_co_ci_u32_e64 v9, null, s7, v7, vcc_lo
	s_lshl_b32 s26, s0, 7
	v_add_co_u32 v10, vcc_lo, v8, s6
	v_add_co_ci_u32_e64 v11, null, s7, v9, vcc_lo
	s_clause 0x3
	flat_load_dwordx2 v[2:3], v[2:3]
	flat_load_dwordx2 v[4:5], v[4:5]
	;; [unrolled: 1-line block ×4, first 2 shown]
	v_add_co_u32 v12, vcc_lo, v10, s6
	v_add_co_ci_u32_e64 v13, null, s7, v11, vcc_lo
	s_add_i32 s21, s28, -1
	v_add_co_u32 v14, vcc_lo, v12, s6
	v_add_co_ci_u32_e64 v15, null, s7, v13, vcc_lo
	s_ashr_i32 s27, s26, 31
	v_add_co_u32 v16, vcc_lo, v14, s6
	v_add_co_ci_u32_e64 v17, null, s7, v15, vcc_lo
	s_clause 0x2
	flat_load_dwordx2 v[10:11], v[10:11]
	flat_load_dwordx2 v[12:13], v[12:13]
	flat_load_dwordx2 v[14:15], v[14:15]
	v_add_co_u32 v18, vcc_lo, v16, s6
	v_add_co_ci_u32_e64 v19, null, s7, v17, vcc_lo
	flat_load_dwordx2 v[16:17], v[16:17]
	v_add_co_u32 v20, vcc_lo, v18, s6
	v_add_co_ci_u32_e64 v21, null, s7, v19, vcc_lo
	flat_load_dwordx2 v[18:19], v[18:19]
	;; [unrolled: 3-line block ×4, first 2 shown]
	v_add_co_u32 v26, vcc_lo, v24, s6
	v_add_co_ci_u32_e64 v27, null, s7, v25, vcc_lo
	v_mul_lo_u32 v107, v35, s0
	v_add_co_u32 v28, vcc_lo, v26, s6
	v_add_co_ci_u32_e64 v29, null, s7, v27, vcc_lo
	v_mul_lo_u32 v108, v34, s23
	;; [unrolled: 3-line block ×3, first 2 shown]
	v_add_co_u32 v32, vcc_lo, v30, s6
	v_add_co_ci_u32_e64 v33, null, s7, v31, vcc_lo
	flat_load_dwordx2 v[24:25], v[24:25]
	flat_load_dwordx2 v[26:27], v[26:27]
	;; [unrolled: 1-line block ×5, first 2 shown]
	v_add_co_u32 v36, vcc_lo, 0x410, v34
	v_add_co_ci_u32_e64 v37, null, 0, v35, vcc_lo
	v_add_co_u32 v38, vcc_lo, 0x418, v34
	v_add_co_ci_u32_e64 v39, null, 0, v35, vcc_lo
	;; [unrolled: 2-line block ×6, first 2 shown]
	v_add_co_u32 v48, vcc_lo, 0x440, v34
	s_load_dwordx2 s[30:31], s[8:9], 0x0
	v_add_co_ci_u32_e64 v49, null, 0, v35, vcc_lo
	v_add_co_u32 v50, vcc_lo, 0x448, v34
	v_add_co_ci_u32_e64 v51, null, 0, v35, vcc_lo
	v_add_co_u32 v52, vcc_lo, 0x450, v34
	;; [unrolled: 2-line block ×7, first 2 shown]
	s_lshl_b64 s[8:9], s[22:23], 10
	s_add_u32 s16, s16, s24
	v_add_co_ci_u32_e64 v63, null, 0, v35, vcc_lo
	v_add_co_u32 v64, vcc_lo, 0x408, v34
	s_addc_u32 s17, s17, s25
	s_add_u32 s16, s16, s18
	v_add_co_ci_u32_e64 v65, null, 0, v35, vcc_lo
	v_add_co_u32 v100, vcc_lo, 0x400, v34
	s_addc_u32 s17, s17, s19
	s_lshl_b64 s[10:11], s[10:11], 3
	v_add_co_ci_u32_e64 v101, null, 0, v35, vcc_lo
	v_mul_lo_u32 v35, v35, s22
	v_mad_u64_u32 v[104:105], null, v34, s22, s[16:17]
	s_waitcnt lgkmcnt(0)
	s_add_u32 s10, s30, s10
	s_addc_u32 s11, s31, s11
	v_mul_lo_u32 v37, v37, s22
	v_mad_u64_u32 v[68:69], null, v34, s0, s[10:11]
	v_mul_lo_u32 v34, v36, s23
	v_mad_u64_u32 v[70:71], null, v36, s22, s[16:17]
	v_mul_lo_u32 v36, v38, s23
	v_mul_lo_u32 v39, v39, s22
	v_mad_u64_u32 v[72:73], null, v38, s22, s[16:17]
	v_mul_lo_u32 v38, v40, s23
	;; [unrolled: 3-line block ×15, first 2 shown]
	v_mul_lo_u32 v109, v100, s23
	v_mad_u64_u32 v[100:101], null, v100, s22, s[16:17]
	v_add3_u32 v105, v35, v105, v108
	v_add_co_u32 v170, vcc_lo, 0x200, v104
	v_add3_u32 v71, v37, v71, v34
	v_add3_u32 v73, v39, v73, v36
	;; [unrolled: 1-line block ×17, first 2 shown]
	v_add_co_ci_u32_e64 v171, null, 0, v105, vcc_lo
	s_lshl_b64 s[10:11], s[26:27], 3
	s_lshl_b64 s[16:17], s[0:1], 3
	s_mov_b32 s1, 0
	s_waitcnt vmcnt(0)
	v_mov_b32_e32 v65, v33
	v_mov_b32_e32 v64, v32
	;; [unrolled: 1-line block ×32, first 2 shown]
.LBB248_4:                              ; =>This Inner Loop Header: Depth=1
	v_add_co_u32 v104, vcc_lo, v170, v169
	v_add_co_ci_u32_e64 v105, null, 0, v171, vcc_lo
	s_cmp_eq_u32 s21, s1
	v_add_co_u32 v108, vcc_lo, v104, s6
	v_add_co_ci_u32_e64 v109, null, s7, v105, vcc_lo
	flat_load_dwordx2 v[106:107], v[104:105]
	v_add_co_u32 v110, vcc_lo, v108, s6
	v_add_co_ci_u32_e64 v111, null, s7, v109, vcc_lo
	flat_load_dwordx2 v[108:109], v[108:109]
	;; [unrolled: 3-line block ×3, first 2 shown]
	v_add_co_u32 v116, s0, v112, s6
	v_add_co_ci_u32_e64 v117, null, s7, v113, s0
	flat_load_dwordx2 v[114:115], v[112:113]
	v_add_co_u32 v104, s0, v116, s6
	v_add_co_ci_u32_e64 v105, null, s7, v117, s0
	flat_load_dwordx2 v[118:119], v[116:117]
	;; [unrolled: 3-line block ×3, first 2 shown]
	v_add_co_u32 v124, s0, v120, s6
	v_add_co_ci_u32_e64 v125, null, s7, v121, s0
	v_add_co_u32 v136, vcc_lo, v68, s16
	v_add_co_u32 v112, s0, v124, s6
	v_add_co_ci_u32_e64 v113, null, s7, v125, s0
	v_add_co_ci_u32_e64 v137, null, s17, v69, vcc_lo
	v_add_co_u32 v116, s0, v112, s6
	v_add_co_ci_u32_e64 v117, null, s7, v113, s0
	v_add_co_u32 v104, s0, v116, s6
	v_add_co_ci_u32_e64 v105, null, s7, v117, s0
	s_clause 0x3
	flat_load_dwordx2 v[126:127], v[120:121]
	flat_load_dwordx2 v[124:125], v[124:125]
	;; [unrolled: 1-line block ×5, first 2 shown]
	v_add_co_u32 v104, vcc_lo, v104, s6
	v_add_co_ci_u32_e64 v105, null, s7, v105, vcc_lo
	v_add_co_u32 v138, vcc_lo, v136, s16
	v_add_co_ci_u32_e64 v139, null, s17, v137, vcc_lo
	flat_load_dwordx2 v[130:131], v[104:105]
	v_add_co_u32 v140, vcc_lo, v138, s16
	v_add_co_ci_u32_e64 v141, null, s17, v139, vcc_lo
	v_add_co_u32 v104, vcc_lo, v104, s6
	v_add_co_ci_u32_e64 v105, null, s7, v105, vcc_lo
	v_add_co_u32 v144, vcc_lo, v140, s16
	v_add_co_ci_u32_e64 v145, null, s17, v141, vcc_lo
	flat_load_dwordx2 v[134:135], v[104:105]
	v_add_co_u32 v148, vcc_lo, v144, s16
	v_add_co_ci_u32_e64 v149, null, s17, v145, vcc_lo
	;; [unrolled: 7-line block ×5, first 2 shown]
	flat_load_dwordx2 v[142:143], v[68:69]
	v_add_co_u32 v174, vcc_lo, v172, s16
	v_add_co_ci_u32_e64 v175, null, s17, v173, vcc_lo
	s_clause 0x3
	flat_load_dwordx2 v[154:155], v[136:137]
	flat_load_dwordx2 v[150:151], v[138:139]
	flat_load_dwordx2 v[146:147], v[140:141]
	flat_load_dwordx2 v[144:145], v[144:145]
	v_add_co_u32 v136, vcc_lo, v174, s16
	v_add_co_ci_u32_e64 v137, null, s17, v175, vcc_lo
	s_clause 0x3
	flat_load_dwordx2 v[158:159], v[148:149]
	flat_load_dwordx2 v[156:157], v[152:153]
	;; [unrolled: 1-line block ×4, first 2 shown]
	v_add_co_u32 v138, vcc_lo, v136, s16
	v_add_co_ci_u32_e64 v139, null, s17, v137, vcc_lo
	s_clause 0x1
	flat_load_dwordx2 v[162:163], v[164:165]
	flat_load_dwordx2 v[160:161], v[166:167]
	v_add_co_u32 v176, vcc_lo, v138, s16
	v_add_co_ci_u32_e64 v177, null, s17, v139, vcc_lo
	flat_load_dwordx2 v[166:167], v[172:173]
	flat_load_dwordx2 v[164:165], v[174:175]
	flat_load_dwordx2 v[140:141], v[136:137]
	flat_load_dwordx2 v[138:139], v[138:139]
	flat_load_dwordx2 v[136:137], v[176:177]
	s_cbranch_scc1 .LBB248_6
; %bb.5:                                ;   in Loop: Header=BB248_4 Depth=1
	v_add_co_u32 v34, vcc_lo, v100, v169
	v_add_co_ci_u32_e64 v35, null, 0, v101, vcc_lo
	v_add_co_u32 v36, vcc_lo, v98, v169
	v_add_co_ci_u32_e64 v37, null, 0, v99, vcc_lo
	;; [unrolled: 2-line block ×16, first 2 shown]
	flat_load_dwordx2 v[34:35], v[34:35]
	flat_load_dwordx2 v[36:37], v[36:37]
	;; [unrolled: 1-line block ×16, first 2 shown]
.LBB248_6:                              ;   in Loop: Header=BB248_4 Depth=1
	s_waitcnt vmcnt(15) lgkmcnt(15)
	v_fma_f64 v[2:3], v[2:3], v[142:143], v[102:103]
	v_fma_f64 v[66:67], v[106:107], v[142:143], v[66:67]
	v_add_co_u32 v70, vcc_lo, v70, s8
	v_add_co_ci_u32_e64 v71, null, s9, v71, vcc_lo
	v_add_co_u32 v72, vcc_lo, v72, s8
	v_add_co_ci_u32_e64 v73, null, s9, v73, vcc_lo
	v_add_co_u32 v74, vcc_lo, v74, s8
	v_add_co_ci_u32_e64 v75, null, s9, v75, vcc_lo
	v_add_co_u32 v76, vcc_lo, v76, s8
	v_add_co_ci_u32_e64 v77, null, s9, v77, vcc_lo
	v_add_co_u32 v78, vcc_lo, v78, s8
	v_add_co_ci_u32_e64 v79, null, s9, v79, vcc_lo
	s_waitcnt vmcnt(14) lgkmcnt(14)
	v_fma_f64 v[2:3], v[4:5], v[154:155], v[2:3]
	v_fma_f64 v[4:5], v[108:109], v[154:155], v[66:67]
	v_add_co_u32 v80, vcc_lo, v80, s8
	v_add_co_ci_u32_e64 v81, null, s9, v81, vcc_lo
	v_add_co_u32 v82, vcc_lo, v82, s8
	v_add_co_ci_u32_e64 v83, null, s9, v83, vcc_lo
	v_add_co_u32 v84, vcc_lo, v84, s8
	v_add_co_ci_u32_e64 v85, null, s9, v85, vcc_lo
	v_add_co_u32 v86, vcc_lo, v86, s8
	v_add_co_ci_u32_e64 v87, null, s9, v87, vcc_lo
	v_add_co_u32 v88, vcc_lo, v88, s8
	v_add_co_ci_u32_e64 v89, null, s9, v89, vcc_lo
	s_waitcnt vmcnt(13) lgkmcnt(13)
	v_fma_f64 v[2:3], v[6:7], v[150:151], v[2:3]
	v_fma_f64 v[4:5], v[110:111], v[150:151], v[4:5]
	v_add_co_u32 v90, vcc_lo, v90, s8
	v_add_co_ci_u32_e64 v91, null, s9, v91, vcc_lo
	v_add_co_u32 v92, vcc_lo, v92, s8
	v_add_co_ci_u32_e64 v93, null, s9, v93, vcc_lo
	v_add_co_u32 v94, vcc_lo, v94, s8
	v_add_co_ci_u32_e64 v95, null, s9, v95, vcc_lo
	v_add_co_u32 v96, vcc_lo, v96, s8
	v_add_co_ci_u32_e64 v97, null, s9, v97, vcc_lo
	v_add_co_u32 v98, vcc_lo, v98, s8
	v_add_co_ci_u32_e64 v99, null, s9, v99, vcc_lo
	s_waitcnt vmcnt(12) lgkmcnt(12)
	v_fma_f64 v[2:3], v[8:9], v[146:147], v[2:3]
	v_fma_f64 v[4:5], v[114:115], v[146:147], v[4:5]
	v_add_co_u32 v100, vcc_lo, v100, s8
	v_add_co_ci_u32_e64 v101, null, s9, v101, vcc_lo
	v_add_co_u32 v170, vcc_lo, v170, s8
	v_add_co_ci_u32_e64 v171, null, s9, v171, vcc_lo
	v_add_co_u32 v68, vcc_lo, v68, s10
	v_add_co_ci_u32_e64 v69, null, s11, v69, vcc_lo
	s_add_i32 s1, s1, 1
	s_cmp_lt_i32 s1, s28
	s_waitcnt vmcnt(11) lgkmcnt(11)
	v_fma_f64 v[2:3], v[10:11], v[144:145], v[2:3]
	v_fma_f64 v[4:5], v[118:119], v[144:145], v[4:5]
	s_waitcnt vmcnt(10) lgkmcnt(10)
	v_fma_f64 v[2:3], v[12:13], v[158:159], v[2:3]
	v_fma_f64 v[4:5], v[122:123], v[158:159], v[4:5]
	s_waitcnt vmcnt(9) lgkmcnt(9)
	v_fma_f64 v[2:3], v[14:15], v[156:157], v[2:3]
	v_fma_f64 v[4:5], v[126:127], v[156:157], v[4:5]
	s_waitcnt vmcnt(8) lgkmcnt(8)
	v_fma_f64 v[2:3], v[16:17], v[152:153], v[2:3]
	v_fma_f64 v[4:5], v[124:125], v[152:153], v[4:5]
	s_waitcnt vmcnt(7) lgkmcnt(7)
	v_fma_f64 v[2:3], v[18:19], v[148:149], v[2:3]
	v_fma_f64 v[4:5], v[120:121], v[148:149], v[4:5]
	s_waitcnt vmcnt(6) lgkmcnt(6)
	v_fma_f64 v[2:3], v[20:21], v[162:163], v[2:3]
	v_fma_f64 v[4:5], v[116:117], v[162:163], v[4:5]
	s_waitcnt vmcnt(5) lgkmcnt(5)
	v_fma_f64 v[2:3], v[22:23], v[160:161], v[2:3]
	v_fma_f64 v[4:5], v[112:113], v[160:161], v[4:5]
	s_waitcnt vmcnt(4) lgkmcnt(4)
	v_fma_f64 v[2:3], v[24:25], v[166:167], v[2:3]
	v_fma_f64 v[4:5], v[130:131], v[166:167], v[4:5]
	s_waitcnt vmcnt(3) lgkmcnt(3)
	v_fma_f64 v[2:3], v[26:27], v[164:165], v[2:3]
	v_fma_f64 v[4:5], v[134:135], v[164:165], v[4:5]
	s_waitcnt vmcnt(2) lgkmcnt(2)
	v_fma_f64 v[2:3], v[28:29], v[140:141], v[2:3]
	v_fma_f64 v[4:5], v[132:133], v[140:141], v[4:5]
	s_waitcnt vmcnt(1) lgkmcnt(1)
	v_fma_f64 v[2:3], v[30:31], v[138:139], v[2:3]
	v_fma_f64 v[4:5], v[128:129], v[138:139], v[4:5]
	s_waitcnt vmcnt(0) lgkmcnt(0)
	v_fma_f64 v[102:103], v[32:33], v[136:137], v[2:3]
	v_fma_f64 v[66:67], v[104:105], v[136:137], v[4:5]
	s_cbranch_scc0 .LBB248_9
; %bb.7:                                ;   in Loop: Header=BB248_4 Depth=1
	v_mov_b32_e32 v2, v34
	v_mov_b32_e32 v3, v35
	;; [unrolled: 1-line block ×32, first 2 shown]
	s_branch .LBB248_4
.LBB248_8:
	v_mov_b32_e32 v66, 0
	v_mov_b32_e32 v102, 0
	;; [unrolled: 1-line block ×4, first 2 shown]
.LBB248_9:
	v_lshl_or_b32 v2, v168, 10, v169
	s_mov_b32 s0, 0
	s_mov_b32 s1, exec_lo
	ds_write2st64_b64 v2, v[102:103], v[66:67] offset1:1
	s_waitcnt lgkmcnt(0)
	s_barrier
	buffer_gl0_inv
	v_cmpx_eq_u32_e32 0, v1
	s_cbranch_execz .LBB248_12
; %bb.10:
	s_load_dword s1, s[4:5], 0x68
	s_lshl_b64 s[2:3], s[2:3], 3
	v_lshlrev_b32_e32 v10, 3, v0
	s_add_u32 s4, s14, s2
	s_addc_u32 s5, s15, s3
	ds_read2st64_b64 v[6:9], v10 offset1:2
	s_waitcnt lgkmcnt(0)
	v_mad_i64_i32 v[1:2], null, s1, v0, 0
	s_mul_hi_i32 s3, s1, s20
	s_mul_i32 s2, s1, s20
	s_lshl_b64 s[2:3], s[2:3], 3
	s_add_u32 s1, s4, s2
	v_lshlrev_b64 v[1:2], 3, v[1:2]
	s_addc_u32 s2, s5, s3
	v_add_co_u32 v4, vcc_lo, s1, v1
	v_add_co_ci_u32_e64 v5, null, s2, v2, vcc_lo
	v_add_f64 v[0:1], v[6:7], 0
	flat_load_dwordx2 v[2:3], v[4:5]
	v_add_f64 v[0:1], v[0:1], v[8:9]
	ds_read2st64_b64 v[6:9], v10 offset0:4 offset1:6
	s_waitcnt lgkmcnt(0)
	v_add_f64 v[0:1], v[0:1], v[6:7]
	v_add_f64 v[0:1], v[0:1], v[8:9]
	ds_read2st64_b64 v[6:9], v10 offset0:8 offset1:10
	s_waitcnt lgkmcnt(0)
	v_add_f64 v[0:1], v[0:1], v[6:7]
	;; [unrolled: 4-line block ×3, first 2 shown]
	v_add_f64 v[0:1], v[0:1], v[8:9]
	v_mul_f64 v[6:7], s[12:13], v[0:1]
.LBB248_11:                             ; =>This Inner Loop Header: Depth=1
	s_waitcnt vmcnt(0)
	v_add_f64 v[0:1], v[2:3], v[6:7]
	flat_atomic_cmpswap_x2 v[0:1], v[4:5], v[0:3] glc
	s_waitcnt vmcnt(0) lgkmcnt(0)
	v_cmp_eq_u64_e32 vcc_lo, v[0:1], v[2:3]
	v_mov_b32_e32 v3, v1
	v_mov_b32_e32 v2, v0
	s_or_b32 s0, vcc_lo, s0
	s_andn2_b32 exec_lo, exec_lo, s0
	s_cbranch_execnz .LBB248_11
.LBB248_12:
	s_endpgm
	.section	.rodata,"a",@progbits
	.p2align	6, 0x0
	.amdhsa_kernel _ZL36rocblas_gemvn_double_buffered_kernelILi128ELi4ELi16EPKdS1_KPdEviiT3_lPKT2_lilS7_lilPT4_lili
		.amdhsa_group_segment_fixed_size 8192
		.amdhsa_private_segment_fixed_size 0
		.amdhsa_kernarg_size 384
		.amdhsa_user_sgpr_count 6
		.amdhsa_user_sgpr_private_segment_buffer 1
		.amdhsa_user_sgpr_dispatch_ptr 0
		.amdhsa_user_sgpr_queue_ptr 0
		.amdhsa_user_sgpr_kernarg_segment_ptr 1
		.amdhsa_user_sgpr_dispatch_id 0
		.amdhsa_user_sgpr_flat_scratch_init 0
		.amdhsa_user_sgpr_private_segment_size 0
		.amdhsa_wavefront_size32 1
		.amdhsa_uses_dynamic_stack 0
		.amdhsa_system_sgpr_private_segment_wavefront_offset 0
		.amdhsa_system_sgpr_workgroup_id_x 1
		.amdhsa_system_sgpr_workgroup_id_y 1
		.amdhsa_system_sgpr_workgroup_id_z 1
		.amdhsa_system_sgpr_workgroup_info 0
		.amdhsa_system_vgpr_workitem_id 1
		.amdhsa_next_free_vgpr 178
		.amdhsa_next_free_sgpr 36
		.amdhsa_reserve_vcc 1
		.amdhsa_reserve_flat_scratch 1
		.amdhsa_float_round_mode_32 0
		.amdhsa_float_round_mode_16_64 0
		.amdhsa_float_denorm_mode_32 3
		.amdhsa_float_denorm_mode_16_64 3
		.amdhsa_dx10_clamp 1
		.amdhsa_ieee_mode 1
		.amdhsa_fp16_overflow 0
		.amdhsa_workgroup_processor_mode 1
		.amdhsa_memory_ordered 1
		.amdhsa_forward_progress 1
		.amdhsa_shared_vgpr_count 0
		.amdhsa_exception_fp_ieee_invalid_op 0
		.amdhsa_exception_fp_denorm_src 0
		.amdhsa_exception_fp_ieee_div_zero 0
		.amdhsa_exception_fp_ieee_overflow 0
		.amdhsa_exception_fp_ieee_underflow 0
		.amdhsa_exception_fp_ieee_inexact 0
		.amdhsa_exception_int_div_zero 0
	.end_amdhsa_kernel
	.section	.text._ZL36rocblas_gemvn_double_buffered_kernelILi128ELi4ELi16EPKdS1_KPdEviiT3_lPKT2_lilS7_lilPT4_lili,"axG",@progbits,_ZL36rocblas_gemvn_double_buffered_kernelILi128ELi4ELi16EPKdS1_KPdEviiT3_lPKT2_lilS7_lilPT4_lili,comdat
.Lfunc_end248:
	.size	_ZL36rocblas_gemvn_double_buffered_kernelILi128ELi4ELi16EPKdS1_KPdEviiT3_lPKT2_lilS7_lilPT4_lili, .Lfunc_end248-_ZL36rocblas_gemvn_double_buffered_kernelILi128ELi4ELi16EPKdS1_KPdEviiT3_lPKT2_lilS7_lilPT4_lili
                                        ; -- End function
	.set _ZL36rocblas_gemvn_double_buffered_kernelILi128ELi4ELi16EPKdS1_KPdEviiT3_lPKT2_lilS7_lilPT4_lili.num_vgpr, 178
	.set _ZL36rocblas_gemvn_double_buffered_kernelILi128ELi4ELi16EPKdS1_KPdEviiT3_lPKT2_lilS7_lilPT4_lili.num_agpr, 0
	.set _ZL36rocblas_gemvn_double_buffered_kernelILi128ELi4ELi16EPKdS1_KPdEviiT3_lPKT2_lilS7_lilPT4_lili.numbered_sgpr, 36
	.set _ZL36rocblas_gemvn_double_buffered_kernelILi128ELi4ELi16EPKdS1_KPdEviiT3_lPKT2_lilS7_lilPT4_lili.num_named_barrier, 0
	.set _ZL36rocblas_gemvn_double_buffered_kernelILi128ELi4ELi16EPKdS1_KPdEviiT3_lPKT2_lilS7_lilPT4_lili.private_seg_size, 0
	.set _ZL36rocblas_gemvn_double_buffered_kernelILi128ELi4ELi16EPKdS1_KPdEviiT3_lPKT2_lilS7_lilPT4_lili.uses_vcc, 1
	.set _ZL36rocblas_gemvn_double_buffered_kernelILi128ELi4ELi16EPKdS1_KPdEviiT3_lPKT2_lilS7_lilPT4_lili.uses_flat_scratch, 1
	.set _ZL36rocblas_gemvn_double_buffered_kernelILi128ELi4ELi16EPKdS1_KPdEviiT3_lPKT2_lilS7_lilPT4_lili.has_dyn_sized_stack, 0
	.set _ZL36rocblas_gemvn_double_buffered_kernelILi128ELi4ELi16EPKdS1_KPdEviiT3_lPKT2_lilS7_lilPT4_lili.has_recursion, 0
	.set _ZL36rocblas_gemvn_double_buffered_kernelILi128ELi4ELi16EPKdS1_KPdEviiT3_lPKT2_lilS7_lilPT4_lili.has_indirect_call, 0
	.section	.AMDGPU.csdata,"",@progbits
; Kernel info:
; codeLenInByte = 4272
; TotalNumSgprs: 38
; NumVgprs: 178
; ScratchSize: 0
; MemoryBound: 1
; FloatMode: 240
; IeeeMode: 1
; LDSByteSize: 8192 bytes/workgroup (compile time only)
; SGPRBlocks: 0
; VGPRBlocks: 22
; NumSGPRsForWavesPerEU: 38
; NumVGPRsForWavesPerEU: 178
; Occupancy: 5
; WaveLimiterHint : 1
; COMPUTE_PGM_RSRC2:SCRATCH_EN: 0
; COMPUTE_PGM_RSRC2:USER_SGPR: 6
; COMPUTE_PGM_RSRC2:TRAP_HANDLER: 0
; COMPUTE_PGM_RSRC2:TGID_X_EN: 1
; COMPUTE_PGM_RSRC2:TGID_Y_EN: 1
; COMPUTE_PGM_RSRC2:TGID_Z_EN: 1
; COMPUTE_PGM_RSRC2:TIDIG_COMP_CNT: 1
	.section	.text._ZL36rocblas_gemvn_double_buffered_kernelILi128ELi4ELi16EPKddKPdEviiT3_lPKT2_lilS7_lilPT4_lili,"axG",@progbits,_ZL36rocblas_gemvn_double_buffered_kernelILi128ELi4ELi16EPKddKPdEviiT3_lPKT2_lilS7_lilPT4_lili,comdat
	.globl	_ZL36rocblas_gemvn_double_buffered_kernelILi128ELi4ELi16EPKddKPdEviiT3_lPKT2_lilS7_lilPT4_lili ; -- Begin function _ZL36rocblas_gemvn_double_buffered_kernelILi128ELi4ELi16EPKddKPdEviiT3_lPKT2_lilS7_lilPT4_lili
	.p2align	8
	.type	_ZL36rocblas_gemvn_double_buffered_kernelILi128ELi4ELi16EPKddKPdEviiT3_lPKT2_lilS7_lilPT4_lili,@function
_ZL36rocblas_gemvn_double_buffered_kernelILi128ELi4ELi16EPKddKPdEviiT3_lPKT2_lilS7_lilPT4_lili: ; @_ZL36rocblas_gemvn_double_buffered_kernelILi128ELi4ELi16EPKddKPdEviiT3_lPKT2_lilS7_lilPT4_lili
; %bb.0:
	s_load_dwordx2 s[12:13], s[4:5], 0x8
	s_waitcnt lgkmcnt(0)
	v_cmp_eq_f64_e64 s0, s[12:13], 0
	s_and_b32 vcc_lo, exec_lo, s0
	s_cbranch_vccnz .LBB249_12
; %bb.1:
	s_clause 0x1
	s_load_dword s0, s[4:5], 0x84
	s_load_dword s1, s[4:5], 0x4
	s_waitcnt lgkmcnt(0)
	v_cvt_f32_u32_e32 v2, s0
	s_ashr_i32 s3, s1, 31
	s_sub_i32 s9, 0, s0
	s_lshr_b32 s3, s3, 25
	s_add_i32 s1, s1, s3
	v_rcp_iflag_f32_e32 v2, v2
	s_ashr_i32 s1, s1, 7
	v_mul_f32_e32 v2, 0x4f7ffffe, v2
	v_cvt_u32_f32_e32 v2, v2
	v_readfirstlane_b32 s2, v2
	s_mul_i32 s9, s9, s2
	s_mul_hi_u32 s3, s2, s9
	s_add_i32 s2, s2, s3
	s_mul_hi_u32 s2, s1, s2
	s_mul_i32 s3, s2, s0
	s_add_i32 s9, s2, 1
	s_sub_i32 s3, s1, s3
	s_sub_i32 s10, s3, s0
	s_cmp_ge_u32 s3, s0
	s_cselect_b32 s2, s9, s2
	s_cselect_b32 s3, s10, s3
	s_add_i32 s9, s2, 1
	s_cmp_ge_u32 s3, s0
	s_cselect_b32 s10, s9, s2
	s_mov_b32 s9, 0
	s_mul_i32 s0, s10, s0
	s_sub_i32 s11, s1, s0
	s_cmp_lt_u32 s7, s11
	s_cselect_b32 s0, -1, 0
	s_cmp_lg_u32 s0, 0
	s_addc_u32 s28, s10, 0
	s_cmp_eq_u32 s28, 0
	s_cbranch_scc1 .LBB249_12
; %bb.2:
	s_load_dwordx4 s[0:3], s[4:5], 0x58
	s_lshl_b64 s[22:23], s[8:9], 3
	v_lshl_add_u32 v34, v1, 7, v0
	v_and_b32_e32 v2, 63, v0
	v_lshrrev_b32_e32 v168, 6, v34
	v_lshlrev_b32_e32 v169, 3, v2
	s_waitcnt lgkmcnt(0)
	s_add_u32 s0, s0, s22
	s_addc_u32 s1, s1, s23
	s_lshl_b32 s16, s6, 7
	s_load_dwordx2 s[14:15], s[0:1], 0x0
	s_ashr_i32 s17, s16, 31
	s_cmp_lt_i32 s28, 1
	s_cbranch_scc1 .LBB249_8
; %bb.3:
	v_cvt_f64_i32_e32 v[3:4], s7
	v_cvt_f64_u32_e32 v[5:6], s11
	s_mul_i32 s10, s10, s7
	s_clause 0x1
	s_load_dword s18, s[4:5], 0x28
	s_load_dwordx4 s[24:27], s[4:5], 0x18
	v_cvt_f64_u32_e32 v[7:8], s10
	s_load_dwordx4 s[8:11], s[4:5], 0x38
	v_lshlrev_b32_e32 v34, 1, v34
	v_mov_b32_e32 v66, 0
	v_mov_b32_e32 v102, 0
	;; [unrolled: 1-line block ×4, first 2 shown]
	v_and_b32_e32 v34, 0x3ff80, v34
	s_waitcnt lgkmcnt(0)
	s_ashr_i32 s19, s18, 31
	v_min_f64 v[3:4], v[3:4], v[5:6]
	s_add_u32 s6, s24, s22
	s_addc_u32 s7, s25, s23
	s_load_dword s0, s[4:5], 0x48
	s_load_dwordx2 s[20:21], s[6:7], 0x0
	v_lshlrev_b32_e32 v5, 4, v168
	s_add_u32 s8, s8, s22
	s_addc_u32 s9, s9, s23
	s_lshl_b64 s[22:23], s[26:27], 3
	s_waitcnt lgkmcnt(0)
	s_ashr_i32 s1, s0, 31
	v_add_f64 v[3:4], v[3:4], v[7:8]
	s_add_u32 s6, s20, s22
	s_addc_u32 s7, s21, s23
	s_lshl_b64 s[24:25], s[16:17], 3
	s_add_u32 s17, s6, s24
	s_addc_u32 s29, s7, s25
	v_cvt_i32_f64_e32 v4, v[3:4]
	v_mov_b32_e32 v3, 0
	v_mad_i64_i32 v[2:3], null, s18, v5, v[2:3]
	v_lshlrev_b64 v[2:3], 3, v[2:3]
	v_readfirstlane_b32 s26, v4
	s_lshl_b32 s26, s26, 7
	s_mul_hi_i32 s7, s26, s18
	s_mul_i32 s6, s26, s18
	s_ashr_i32 s27, s26, 31
	s_lshl_b64 s[6:7], s[6:7], 3
	s_add_u32 s6, s17, s6
	s_addc_u32 s7, s29, s7
	v_add_co_u32 v2, vcc_lo, s6, v2
	v_add_co_ci_u32_e64 v3, null, s7, v3, vcc_lo
	s_lshl_b64 s[6:7], s[18:19], 3
	s_lshl_b64 s[34:35], s[26:27], 3
	v_add_co_u32 v4, vcc_lo, v2, s6
	v_add_co_ci_u32_e64 v5, null, s7, v3, vcc_lo
	v_add_co_u32 v34, s27, v34, s34
	v_add_co_u32 v6, vcc_lo, v4, s6
	v_add_co_ci_u32_e64 v7, null, s7, v5, vcc_lo
	v_add_co_ci_u32_e64 v35, null, 0, s35, s27
	v_add_co_u32 v8, vcc_lo, v6, s6
	v_add_co_ci_u32_e64 v9, null, s7, v7, vcc_lo
	s_lshl_b32 s26, s0, 7
	v_add_co_u32 v10, vcc_lo, v8, s6
	v_add_co_ci_u32_e64 v11, null, s7, v9, vcc_lo
	s_clause 0x3
	flat_load_dwordx2 v[2:3], v[2:3]
	flat_load_dwordx2 v[4:5], v[4:5]
	;; [unrolled: 1-line block ×4, first 2 shown]
	v_add_co_u32 v12, vcc_lo, v10, s6
	v_add_co_ci_u32_e64 v13, null, s7, v11, vcc_lo
	s_add_i32 s17, s28, -1
	v_add_co_u32 v14, vcc_lo, v12, s6
	v_add_co_ci_u32_e64 v15, null, s7, v13, vcc_lo
	s_ashr_i32 s27, s26, 31
	v_add_co_u32 v16, vcc_lo, v14, s6
	v_add_co_ci_u32_e64 v17, null, s7, v15, vcc_lo
	s_clause 0x2
	flat_load_dwordx2 v[10:11], v[10:11]
	flat_load_dwordx2 v[12:13], v[12:13]
	;; [unrolled: 1-line block ×3, first 2 shown]
	v_add_co_u32 v18, vcc_lo, v16, s6
	v_add_co_ci_u32_e64 v19, null, s7, v17, vcc_lo
	flat_load_dwordx2 v[16:17], v[16:17]
	v_add_co_u32 v20, vcc_lo, v18, s6
	v_add_co_ci_u32_e64 v21, null, s7, v19, vcc_lo
	flat_load_dwordx2 v[18:19], v[18:19]
	;; [unrolled: 3-line block ×4, first 2 shown]
	v_add_co_u32 v26, vcc_lo, v24, s6
	v_add_co_ci_u32_e64 v27, null, s7, v25, vcc_lo
	v_mul_lo_u32 v107, v35, s0
	v_add_co_u32 v28, vcc_lo, v26, s6
	v_add_co_ci_u32_e64 v29, null, s7, v27, vcc_lo
	v_mul_lo_u32 v108, v34, s19
	;; [unrolled: 3-line block ×3, first 2 shown]
	v_add_co_u32 v32, vcc_lo, v30, s6
	v_add_co_ci_u32_e64 v33, null, s7, v31, vcc_lo
	flat_load_dwordx2 v[24:25], v[24:25]
	flat_load_dwordx2 v[26:27], v[26:27]
	;; [unrolled: 1-line block ×5, first 2 shown]
	v_add_co_u32 v36, vcc_lo, 0x410, v34
	v_add_co_ci_u32_e64 v37, null, 0, v35, vcc_lo
	v_add_co_u32 v38, vcc_lo, 0x418, v34
	v_add_co_ci_u32_e64 v39, null, 0, v35, vcc_lo
	;; [unrolled: 2-line block ×6, first 2 shown]
	v_add_co_u32 v48, vcc_lo, 0x440, v34
	s_load_dwordx2 s[30:31], s[8:9], 0x0
	v_add_co_ci_u32_e64 v49, null, 0, v35, vcc_lo
	v_add_co_u32 v50, vcc_lo, 0x448, v34
	v_add_co_ci_u32_e64 v51, null, 0, v35, vcc_lo
	v_add_co_u32 v52, vcc_lo, 0x450, v34
	;; [unrolled: 2-line block ×7, first 2 shown]
	s_lshl_b64 s[8:9], s[18:19], 10
	s_add_u32 s20, s20, s24
	v_add_co_ci_u32_e64 v63, null, 0, v35, vcc_lo
	v_add_co_u32 v64, vcc_lo, 0x408, v34
	s_addc_u32 s21, s21, s25
	s_add_u32 s20, s20, s22
	v_add_co_ci_u32_e64 v65, null, 0, v35, vcc_lo
	v_add_co_u32 v100, vcc_lo, 0x400, v34
	s_addc_u32 s21, s21, s23
	s_lshl_b64 s[10:11], s[10:11], 3
	v_add_co_ci_u32_e64 v101, null, 0, v35, vcc_lo
	v_mul_lo_u32 v35, v35, s18
	v_mad_u64_u32 v[104:105], null, v34, s18, s[20:21]
	s_waitcnt lgkmcnt(0)
	s_add_u32 s10, s30, s10
	s_addc_u32 s11, s31, s11
	v_mul_lo_u32 v37, v37, s18
	v_mad_u64_u32 v[68:69], null, v34, s0, s[10:11]
	v_mul_lo_u32 v34, v36, s19
	v_mad_u64_u32 v[70:71], null, v36, s18, s[20:21]
	v_mul_lo_u32 v36, v38, s19
	v_mul_lo_u32 v39, v39, s18
	v_mad_u64_u32 v[72:73], null, v38, s18, s[20:21]
	v_mul_lo_u32 v38, v40, s19
	;; [unrolled: 3-line block ×15, first 2 shown]
	v_mul_lo_u32 v109, v100, s19
	v_mad_u64_u32 v[100:101], null, v100, s18, s[20:21]
	v_add3_u32 v105, v35, v105, v108
	v_add_co_u32 v170, vcc_lo, 0x200, v104
	v_add3_u32 v71, v37, v71, v34
	v_add3_u32 v73, v39, v73, v36
	;; [unrolled: 1-line block ×17, first 2 shown]
	v_add_co_ci_u32_e64 v171, null, 0, v105, vcc_lo
	s_lshl_b64 s[10:11], s[26:27], 3
	s_lshl_b64 s[18:19], s[0:1], 3
	s_mov_b32 s1, 0
	s_waitcnt vmcnt(0)
	v_mov_b32_e32 v65, v33
	v_mov_b32_e32 v64, v32
	;; [unrolled: 1-line block ×32, first 2 shown]
.LBB249_4:                              ; =>This Inner Loop Header: Depth=1
	v_add_co_u32 v104, vcc_lo, v170, v169
	v_add_co_ci_u32_e64 v105, null, 0, v171, vcc_lo
	s_cmp_eq_u32 s17, s1
	v_add_co_u32 v108, vcc_lo, v104, s6
	v_add_co_ci_u32_e64 v109, null, s7, v105, vcc_lo
	flat_load_dwordx2 v[106:107], v[104:105]
	v_add_co_u32 v110, vcc_lo, v108, s6
	v_add_co_ci_u32_e64 v111, null, s7, v109, vcc_lo
	flat_load_dwordx2 v[108:109], v[108:109]
	;; [unrolled: 3-line block ×3, first 2 shown]
	v_add_co_u32 v116, s0, v112, s6
	v_add_co_ci_u32_e64 v117, null, s7, v113, s0
	flat_load_dwordx2 v[114:115], v[112:113]
	v_add_co_u32 v104, s0, v116, s6
	v_add_co_ci_u32_e64 v105, null, s7, v117, s0
	flat_load_dwordx2 v[118:119], v[116:117]
	;; [unrolled: 3-line block ×3, first 2 shown]
	v_add_co_u32 v124, s0, v120, s6
	v_add_co_ci_u32_e64 v125, null, s7, v121, s0
	v_add_co_u32 v136, vcc_lo, v68, s18
	v_add_co_u32 v112, s0, v124, s6
	v_add_co_ci_u32_e64 v113, null, s7, v125, s0
	v_add_co_ci_u32_e64 v137, null, s19, v69, vcc_lo
	v_add_co_u32 v116, s0, v112, s6
	v_add_co_ci_u32_e64 v117, null, s7, v113, s0
	v_add_co_u32 v104, s0, v116, s6
	v_add_co_ci_u32_e64 v105, null, s7, v117, s0
	s_clause 0x3
	flat_load_dwordx2 v[126:127], v[120:121]
	flat_load_dwordx2 v[124:125], v[124:125]
	;; [unrolled: 1-line block ×5, first 2 shown]
	v_add_co_u32 v104, vcc_lo, v104, s6
	v_add_co_ci_u32_e64 v105, null, s7, v105, vcc_lo
	v_add_co_u32 v138, vcc_lo, v136, s18
	v_add_co_ci_u32_e64 v139, null, s19, v137, vcc_lo
	flat_load_dwordx2 v[130:131], v[104:105]
	v_add_co_u32 v140, vcc_lo, v138, s18
	v_add_co_ci_u32_e64 v141, null, s19, v139, vcc_lo
	v_add_co_u32 v104, vcc_lo, v104, s6
	v_add_co_ci_u32_e64 v105, null, s7, v105, vcc_lo
	v_add_co_u32 v144, vcc_lo, v140, s18
	v_add_co_ci_u32_e64 v145, null, s19, v141, vcc_lo
	flat_load_dwordx2 v[134:135], v[104:105]
	v_add_co_u32 v148, vcc_lo, v144, s18
	v_add_co_ci_u32_e64 v149, null, s19, v145, vcc_lo
	;; [unrolled: 7-line block ×5, first 2 shown]
	flat_load_dwordx2 v[142:143], v[68:69]
	v_add_co_u32 v174, vcc_lo, v172, s18
	v_add_co_ci_u32_e64 v175, null, s19, v173, vcc_lo
	s_clause 0x3
	flat_load_dwordx2 v[154:155], v[136:137]
	flat_load_dwordx2 v[150:151], v[138:139]
	;; [unrolled: 1-line block ×4, first 2 shown]
	v_add_co_u32 v136, vcc_lo, v174, s18
	v_add_co_ci_u32_e64 v137, null, s19, v175, vcc_lo
	s_clause 0x3
	flat_load_dwordx2 v[158:159], v[148:149]
	flat_load_dwordx2 v[156:157], v[152:153]
	;; [unrolled: 1-line block ×4, first 2 shown]
	v_add_co_u32 v138, vcc_lo, v136, s18
	v_add_co_ci_u32_e64 v139, null, s19, v137, vcc_lo
	s_clause 0x1
	flat_load_dwordx2 v[162:163], v[164:165]
	flat_load_dwordx2 v[160:161], v[166:167]
	v_add_co_u32 v176, vcc_lo, v138, s18
	v_add_co_ci_u32_e64 v177, null, s19, v139, vcc_lo
	flat_load_dwordx2 v[166:167], v[172:173]
	flat_load_dwordx2 v[164:165], v[174:175]
	;; [unrolled: 1-line block ×5, first 2 shown]
	s_cbranch_scc1 .LBB249_6
; %bb.5:                                ;   in Loop: Header=BB249_4 Depth=1
	v_add_co_u32 v34, vcc_lo, v100, v169
	v_add_co_ci_u32_e64 v35, null, 0, v101, vcc_lo
	v_add_co_u32 v36, vcc_lo, v98, v169
	v_add_co_ci_u32_e64 v37, null, 0, v99, vcc_lo
	;; [unrolled: 2-line block ×16, first 2 shown]
	flat_load_dwordx2 v[34:35], v[34:35]
	flat_load_dwordx2 v[36:37], v[36:37]
	;; [unrolled: 1-line block ×16, first 2 shown]
.LBB249_6:                              ;   in Loop: Header=BB249_4 Depth=1
	s_waitcnt vmcnt(15) lgkmcnt(15)
	v_fma_f64 v[2:3], v[2:3], v[142:143], v[102:103]
	v_fma_f64 v[66:67], v[106:107], v[142:143], v[66:67]
	v_add_co_u32 v70, vcc_lo, v70, s8
	v_add_co_ci_u32_e64 v71, null, s9, v71, vcc_lo
	v_add_co_u32 v72, vcc_lo, v72, s8
	v_add_co_ci_u32_e64 v73, null, s9, v73, vcc_lo
	v_add_co_u32 v74, vcc_lo, v74, s8
	v_add_co_ci_u32_e64 v75, null, s9, v75, vcc_lo
	v_add_co_u32 v76, vcc_lo, v76, s8
	v_add_co_ci_u32_e64 v77, null, s9, v77, vcc_lo
	v_add_co_u32 v78, vcc_lo, v78, s8
	v_add_co_ci_u32_e64 v79, null, s9, v79, vcc_lo
	s_waitcnt vmcnt(14) lgkmcnt(14)
	v_fma_f64 v[2:3], v[4:5], v[154:155], v[2:3]
	v_fma_f64 v[4:5], v[108:109], v[154:155], v[66:67]
	v_add_co_u32 v80, vcc_lo, v80, s8
	v_add_co_ci_u32_e64 v81, null, s9, v81, vcc_lo
	v_add_co_u32 v82, vcc_lo, v82, s8
	v_add_co_ci_u32_e64 v83, null, s9, v83, vcc_lo
	v_add_co_u32 v84, vcc_lo, v84, s8
	v_add_co_ci_u32_e64 v85, null, s9, v85, vcc_lo
	v_add_co_u32 v86, vcc_lo, v86, s8
	v_add_co_ci_u32_e64 v87, null, s9, v87, vcc_lo
	v_add_co_u32 v88, vcc_lo, v88, s8
	v_add_co_ci_u32_e64 v89, null, s9, v89, vcc_lo
	;; [unrolled: 13-line block ×3, first 2 shown]
	s_waitcnt vmcnt(12) lgkmcnt(12)
	v_fma_f64 v[2:3], v[8:9], v[146:147], v[2:3]
	v_fma_f64 v[4:5], v[114:115], v[146:147], v[4:5]
	v_add_co_u32 v100, vcc_lo, v100, s8
	v_add_co_ci_u32_e64 v101, null, s9, v101, vcc_lo
	v_add_co_u32 v170, vcc_lo, v170, s8
	v_add_co_ci_u32_e64 v171, null, s9, v171, vcc_lo
	;; [unrolled: 2-line block ×3, first 2 shown]
	s_add_i32 s1, s1, 1
	s_cmp_lt_i32 s1, s28
	s_waitcnt vmcnt(11) lgkmcnt(11)
	v_fma_f64 v[2:3], v[10:11], v[144:145], v[2:3]
	v_fma_f64 v[4:5], v[118:119], v[144:145], v[4:5]
	s_waitcnt vmcnt(10) lgkmcnt(10)
	v_fma_f64 v[2:3], v[12:13], v[158:159], v[2:3]
	v_fma_f64 v[4:5], v[122:123], v[158:159], v[4:5]
	;; [unrolled: 3-line block ×12, first 2 shown]
	s_cbranch_scc0 .LBB249_9
; %bb.7:                                ;   in Loop: Header=BB249_4 Depth=1
	v_mov_b32_e32 v2, v34
	v_mov_b32_e32 v3, v35
	;; [unrolled: 1-line block ×32, first 2 shown]
	s_branch .LBB249_4
.LBB249_8:
	v_mov_b32_e32 v66, 0
	v_mov_b32_e32 v102, 0
	;; [unrolled: 1-line block ×4, first 2 shown]
.LBB249_9:
	v_lshl_or_b32 v2, v168, 10, v169
	s_mov_b32 s0, 0
	s_mov_b32 s1, exec_lo
	ds_write2st64_b64 v2, v[102:103], v[66:67] offset1:1
	s_waitcnt lgkmcnt(0)
	s_barrier
	buffer_gl0_inv
	v_cmpx_eq_u32_e32 0, v1
	s_cbranch_execz .LBB249_12
; %bb.10:
	s_load_dword s1, s[4:5], 0x68
	s_lshl_b64 s[2:3], s[2:3], 3
	v_lshlrev_b32_e32 v10, 3, v0
	s_add_u32 s4, s14, s2
	s_addc_u32 s5, s15, s3
	ds_read2st64_b64 v[6:9], v10 offset1:2
	s_waitcnt lgkmcnt(0)
	v_mad_i64_i32 v[1:2], null, s1, v0, 0
	s_mul_hi_i32 s3, s1, s16
	s_mul_i32 s2, s1, s16
	s_lshl_b64 s[2:3], s[2:3], 3
	s_add_u32 s1, s4, s2
	v_lshlrev_b64 v[1:2], 3, v[1:2]
	s_addc_u32 s2, s5, s3
	v_add_co_u32 v4, vcc_lo, s1, v1
	v_add_co_ci_u32_e64 v5, null, s2, v2, vcc_lo
	v_add_f64 v[0:1], v[6:7], 0
	flat_load_dwordx2 v[2:3], v[4:5]
	v_add_f64 v[0:1], v[0:1], v[8:9]
	ds_read2st64_b64 v[6:9], v10 offset0:4 offset1:6
	s_waitcnt lgkmcnt(0)
	v_add_f64 v[0:1], v[0:1], v[6:7]
	v_add_f64 v[0:1], v[0:1], v[8:9]
	ds_read2st64_b64 v[6:9], v10 offset0:8 offset1:10
	s_waitcnt lgkmcnt(0)
	v_add_f64 v[0:1], v[0:1], v[6:7]
	;; [unrolled: 4-line block ×3, first 2 shown]
	v_add_f64 v[0:1], v[0:1], v[8:9]
	v_mul_f64 v[6:7], s[12:13], v[0:1]
.LBB249_11:                             ; =>This Inner Loop Header: Depth=1
	s_waitcnt vmcnt(0)
	v_add_f64 v[0:1], v[2:3], v[6:7]
	flat_atomic_cmpswap_x2 v[0:1], v[4:5], v[0:3] glc
	s_waitcnt vmcnt(0) lgkmcnt(0)
	v_cmp_eq_u64_e32 vcc_lo, v[0:1], v[2:3]
	v_mov_b32_e32 v3, v1
	v_mov_b32_e32 v2, v0
	s_or_b32 s0, vcc_lo, s0
	s_andn2_b32 exec_lo, exec_lo, s0
	s_cbranch_execnz .LBB249_11
.LBB249_12:
	s_endpgm
	.section	.rodata,"a",@progbits
	.p2align	6, 0x0
	.amdhsa_kernel _ZL36rocblas_gemvn_double_buffered_kernelILi128ELi4ELi16EPKddKPdEviiT3_lPKT2_lilS7_lilPT4_lili
		.amdhsa_group_segment_fixed_size 8192
		.amdhsa_private_segment_fixed_size 0
		.amdhsa_kernarg_size 384
		.amdhsa_user_sgpr_count 6
		.amdhsa_user_sgpr_private_segment_buffer 1
		.amdhsa_user_sgpr_dispatch_ptr 0
		.amdhsa_user_sgpr_queue_ptr 0
		.amdhsa_user_sgpr_kernarg_segment_ptr 1
		.amdhsa_user_sgpr_dispatch_id 0
		.amdhsa_user_sgpr_flat_scratch_init 0
		.amdhsa_user_sgpr_private_segment_size 0
		.amdhsa_wavefront_size32 1
		.amdhsa_uses_dynamic_stack 0
		.amdhsa_system_sgpr_private_segment_wavefront_offset 0
		.amdhsa_system_sgpr_workgroup_id_x 1
		.amdhsa_system_sgpr_workgroup_id_y 1
		.amdhsa_system_sgpr_workgroup_id_z 1
		.amdhsa_system_sgpr_workgroup_info 0
		.amdhsa_system_vgpr_workitem_id 1
		.amdhsa_next_free_vgpr 178
		.amdhsa_next_free_sgpr 36
		.amdhsa_reserve_vcc 1
		.amdhsa_reserve_flat_scratch 1
		.amdhsa_float_round_mode_32 0
		.amdhsa_float_round_mode_16_64 0
		.amdhsa_float_denorm_mode_32 3
		.amdhsa_float_denorm_mode_16_64 3
		.amdhsa_dx10_clamp 1
		.amdhsa_ieee_mode 1
		.amdhsa_fp16_overflow 0
		.amdhsa_workgroup_processor_mode 1
		.amdhsa_memory_ordered 1
		.amdhsa_forward_progress 1
		.amdhsa_shared_vgpr_count 0
		.amdhsa_exception_fp_ieee_invalid_op 0
		.amdhsa_exception_fp_denorm_src 0
		.amdhsa_exception_fp_ieee_div_zero 0
		.amdhsa_exception_fp_ieee_overflow 0
		.amdhsa_exception_fp_ieee_underflow 0
		.amdhsa_exception_fp_ieee_inexact 0
		.amdhsa_exception_int_div_zero 0
	.end_amdhsa_kernel
	.section	.text._ZL36rocblas_gemvn_double_buffered_kernelILi128ELi4ELi16EPKddKPdEviiT3_lPKT2_lilS7_lilPT4_lili,"axG",@progbits,_ZL36rocblas_gemvn_double_buffered_kernelILi128ELi4ELi16EPKddKPdEviiT3_lPKT2_lilS7_lilPT4_lili,comdat
.Lfunc_end249:
	.size	_ZL36rocblas_gemvn_double_buffered_kernelILi128ELi4ELi16EPKddKPdEviiT3_lPKT2_lilS7_lilPT4_lili, .Lfunc_end249-_ZL36rocblas_gemvn_double_buffered_kernelILi128ELi4ELi16EPKddKPdEviiT3_lPKT2_lilS7_lilPT4_lili
                                        ; -- End function
	.set _ZL36rocblas_gemvn_double_buffered_kernelILi128ELi4ELi16EPKddKPdEviiT3_lPKT2_lilS7_lilPT4_lili.num_vgpr, 178
	.set _ZL36rocblas_gemvn_double_buffered_kernelILi128ELi4ELi16EPKddKPdEviiT3_lPKT2_lilS7_lilPT4_lili.num_agpr, 0
	.set _ZL36rocblas_gemvn_double_buffered_kernelILi128ELi4ELi16EPKddKPdEviiT3_lPKT2_lilS7_lilPT4_lili.numbered_sgpr, 36
	.set _ZL36rocblas_gemvn_double_buffered_kernelILi128ELi4ELi16EPKddKPdEviiT3_lPKT2_lilS7_lilPT4_lili.num_named_barrier, 0
	.set _ZL36rocblas_gemvn_double_buffered_kernelILi128ELi4ELi16EPKddKPdEviiT3_lPKT2_lilS7_lilPT4_lili.private_seg_size, 0
	.set _ZL36rocblas_gemvn_double_buffered_kernelILi128ELi4ELi16EPKddKPdEviiT3_lPKT2_lilS7_lilPT4_lili.uses_vcc, 1
	.set _ZL36rocblas_gemvn_double_buffered_kernelILi128ELi4ELi16EPKddKPdEviiT3_lPKT2_lilS7_lilPT4_lili.uses_flat_scratch, 1
	.set _ZL36rocblas_gemvn_double_buffered_kernelILi128ELi4ELi16EPKddKPdEviiT3_lPKT2_lilS7_lilPT4_lili.has_dyn_sized_stack, 0
	.set _ZL36rocblas_gemvn_double_buffered_kernelILi128ELi4ELi16EPKddKPdEviiT3_lPKT2_lilS7_lilPT4_lili.has_recursion, 0
	.set _ZL36rocblas_gemvn_double_buffered_kernelILi128ELi4ELi16EPKddKPdEviiT3_lPKT2_lilS7_lilPT4_lili.has_indirect_call, 0
	.section	.AMDGPU.csdata,"",@progbits
; Kernel info:
; codeLenInByte = 4240
; TotalNumSgprs: 38
; NumVgprs: 178
; ScratchSize: 0
; MemoryBound: 1
; FloatMode: 240
; IeeeMode: 1
; LDSByteSize: 8192 bytes/workgroup (compile time only)
; SGPRBlocks: 0
; VGPRBlocks: 22
; NumSGPRsForWavesPerEU: 38
; NumVGPRsForWavesPerEU: 178
; Occupancy: 5
; WaveLimiterHint : 1
; COMPUTE_PGM_RSRC2:SCRATCH_EN: 0
; COMPUTE_PGM_RSRC2:USER_SGPR: 6
; COMPUTE_PGM_RSRC2:TRAP_HANDLER: 0
; COMPUTE_PGM_RSRC2:TGID_X_EN: 1
; COMPUTE_PGM_RSRC2:TGID_Y_EN: 1
; COMPUTE_PGM_RSRC2:TGID_Z_EN: 1
; COMPUTE_PGM_RSRC2:TIDIG_COMP_CNT: 1
	.section	.text._ZL20rocblas_gemvn_kernelILi32ELi16EiPKdS1_KPdEviiT3_lPKT2_lT1_lS7_lS8_lS4_lPT4_lS8_li,"axG",@progbits,_ZL20rocblas_gemvn_kernelILi32ELi16EiPKdS1_KPdEviiT3_lPKT2_lT1_lS7_lS8_lS4_lPT4_lS8_li,comdat
	.globl	_ZL20rocblas_gemvn_kernelILi32ELi16EiPKdS1_KPdEviiT3_lPKT2_lT1_lS7_lS8_lS4_lPT4_lS8_li ; -- Begin function _ZL20rocblas_gemvn_kernelILi32ELi16EiPKdS1_KPdEviiT3_lPKT2_lT1_lS7_lS8_lS4_lPT4_lS8_li
	.p2align	8
	.type	_ZL20rocblas_gemvn_kernelILi32ELi16EiPKdS1_KPdEviiT3_lPKT2_lT1_lS7_lS8_lS4_lPT4_lS8_li,@function
_ZL20rocblas_gemvn_kernelILi32ELi16EiPKdS1_KPdEviiT3_lPKT2_lT1_lS7_lS8_lS4_lPT4_lS8_li: ; @_ZL20rocblas_gemvn_kernelILi32ELi16EiPKdS1_KPdEviiT3_lPKT2_lT1_lS7_lS8_lS4_lPT4_lS8_li
; %bb.0:
	s_load_dwordx2 s[2:3], s[4:5], 0x9c
	s_waitcnt lgkmcnt(0)
	s_lshr_b32 s1, s2, 16
	s_and_b32 s2, s2, 0xffff
	s_and_b32 s3, s3, 0xffff
	s_mul_i32 s1, s1, s2
	s_mul_i32 s1, s1, s3
	s_cmpk_lg_i32 s1, 0x200
	s_cbranch_scc1 .LBB250_55
; %bb.1:
	s_clause 0x1
	s_load_dwordx8 s[16:23], s[4:5], 0x8
	s_load_dwordx8 s[8:15], s[4:5], 0x58
	s_mov_b32 s0, s7
	s_waitcnt lgkmcnt(0)
	s_mul_i32 s1, s19, s7
	s_mul_hi_u32 s3, s18, s7
	s_mul_i32 s2, s18, s7
	s_add_i32 s3, s3, s1
	s_mul_i32 s1, s11, s7
	s_lshl_b64 s[2:3], s[2:3], 3
	s_mul_hi_u32 s7, s10, s7
	s_add_u32 s2, s16, s2
	s_addc_u32 s3, s17, s3
	s_add_i32 s11, s7, s1
	s_mul_i32 s10, s10, s0
	s_mov_b64 s[16:17], 0
	s_lshl_b64 s[10:11], s[10:11], 3
	s_add_u32 s8, s8, s10
	s_addc_u32 s9, s9, s11
	s_load_dwordx2 s[10:11], s[2:3], 0x0
	s_load_dwordx2 s[8:9], s[8:9], 0x0
	s_waitcnt lgkmcnt(0)
	v_cmp_eq_f64_e64 s2, s[10:11], 0
	v_cmp_eq_f64_e64 s1, s[8:9], 1.0
	s_and_b32 s1, s2, s1
	s_and_b32 vcc_lo, exec_lo, s1
	s_cbranch_vccnz .LBB250_55
; %bb.2:
	v_cmp_neq_f64_e64 s3, s[10:11], 0
	s_and_b32 vcc_lo, exec_lo, s2
	s_mov_b32 s1, 0
	s_cbranch_vccnz .LBB250_4
; %bb.3:
	s_lshl_b64 s[16:17], s[0:1], 3
	s_add_u32 s16, s20, s16
	s_addc_u32 s17, s21, s17
	s_lshl_b64 s[18:19], s[22:23], 3
	s_load_dwordx2 s[16:17], s[16:17], 0x0
	s_waitcnt lgkmcnt(0)
	s_add_u32 s16, s16, s18
	s_addc_u32 s17, s17, s19
.LBB250_4:
	s_andn2_b32 vcc_lo, exec_lo, s3
	s_cbranch_vccnz .LBB250_6
; %bb.5:
	s_load_dwordx4 s[20:23], s[4:5], 0x38
	s_lshl_b64 s[18:19], s[0:1], 3
	s_waitcnt lgkmcnt(0)
	s_add_u32 s18, s20, s18
	s_addc_u32 s19, s21, s19
	s_lshl_b64 s[20:21], s[22:23], 3
	s_load_dwordx2 s[18:19], s[18:19], 0x0
	s_waitcnt lgkmcnt(0)
	s_add_u32 s18, s18, s20
	s_addc_u32 s19, s19, s21
	s_branch .LBB250_7
.LBB250_6:
	s_mov_b64 s[18:19], 0
.LBB250_7:
	s_lshl_b64 s[0:1], s[0:1], 3
	v_lshlrev_b32_e32 v54, 5, v1
	s_add_u32 s0, s12, s0
	s_addc_u32 s1, s13, s1
	s_lshl_b64 s[14:15], s[14:15], 3
	s_load_dwordx2 s[22:23], s[0:1], 0x0
	s_clause 0x1
	s_load_dwordx2 s[12:13], s[4:5], 0x0
	s_load_dword s20, s[4:5], 0x78
	v_add_nc_u32_e32 v53, v54, v0
	v_cmp_gt_u32_e64 s0, 0x80, v53
	s_waitcnt lgkmcnt(0)
	s_add_u32 s7, s22, s14
	s_addc_u32 s14, s23, s15
	s_andn2_b32 vcc_lo, exec_lo, s2
	s_cbranch_vccnz .LBB250_14
; %bb.8:
	s_mov_b32 s1, 0
	s_mov_b32 s15, 0
                                        ; implicit-def: $vgpr4_vgpr5
                                        ; implicit-def: $vgpr2_vgpr3
	s_and_saveexec_b32 s2, s0
	s_cbranch_execz .LBB250_15
; %bb.9:
	v_lshl_or_b32 v6, s6, 7, v53
	v_mov_b32_e32 v7, 0
	s_ashr_i32 s23, s12, 31
	s_mov_b32 s22, s12
	s_mov_b32 s3, 0
	s_mov_b32 s0, exec_lo
                                        ; implicit-def: $vgpr4_vgpr5
                                        ; implicit-def: $vgpr2_vgpr3
	v_cmpx_gt_i64_e64 s[22:23], v[6:7]
	s_cbranch_execz .LBB250_13
; %bb.10:
	v_cmp_eq_f64_e64 s3, s[8:9], 0
	v_mad_u64_u32 v[2:3], null, s20, v6, 0
	s_ashr_i32 s15, s20, 31
	v_mad_u64_u32 v[3:4], null, s15, v6, v[3:4]
	v_mov_b32_e32 v4, 0
	v_mov_b32_e32 v5, 0
	s_and_b32 vcc_lo, exec_lo, s3
	s_cbranch_vccnz .LBB250_12
; %bb.11:
	v_lshlrev_b64 v[4:5], 3, v[2:3]
	v_add_co_u32 v4, vcc_lo, s7, v4
	v_add_co_ci_u32_e64 v5, null, s14, v5, vcc_lo
	flat_load_dwordx2 v[4:5], v[4:5]
	s_waitcnt vmcnt(0) lgkmcnt(0)
	v_mul_f64 v[4:5], s[8:9], v[4:5]
.LBB250_12:
	s_mov_b32 s3, exec_lo
.LBB250_13:
	s_or_b32 exec_lo, exec_lo, s0
	s_and_b32 s15, s3, exec_lo
	s_or_b32 exec_lo, exec_lo, s2
	s_and_b32 vcc_lo, exec_lo, s1
	s_cbranch_vccnz .LBB250_16
	s_branch .LBB250_53
.LBB250_14:
	s_mov_b32 s15, 0
                                        ; implicit-def: $vgpr4_vgpr5
                                        ; implicit-def: $vgpr2_vgpr3
	s_cbranch_execnz .LBB250_16
	s_branch .LBB250_53
.LBB250_15:
	s_or_b32 exec_lo, exec_lo, s2
	s_and_b32 vcc_lo, exec_lo, s1
	s_cbranch_vccz .LBB250_53
.LBB250_16:
	s_clause 0x1
	s_load_dword s21, s[4:5], 0x28
	s_load_dword s4, s[4:5], 0x48
	s_ashr_i32 s0, s13, 31
	s_lshl_b32 s5, s6, 7
	s_lshr_b32 s0, s0, 26
	v_mov_b32_e32 v8, 0
	v_mov_b32_e32 v6, 0
	;; [unrolled: 1-line block ×4, first 2 shown]
	v_add_nc_u32_e32 v55, s5, v0
	v_lshlrev_b32_e32 v56, 2, v1
	v_mov_b32_e32 v9, 0
	v_mov_b32_e32 v7, 0
	v_mov_b32_e32 v5, 0
	v_mov_b32_e32 v3, 0
	s_add_i32 s6, s13, s0
	s_mov_b32 s22, exec_lo
	s_andn2_b32 s6, s6, 63
	v_cmpx_gt_i32_e64 s6, v56
	s_cbranch_execz .LBB250_28
; %bb.17:
	v_add_nc_u32_e32 v2, 32, v55
	v_add_nc_u32_e32 v3, 64, v55
	;; [unrolled: 1-line block ×3, first 2 shown]
	s_waitcnt lgkmcnt(0)
	v_mul_lo_u32 v5, s21, v56
	v_mul_lo_u32 v14, v1, s4
	v_cmp_gt_i32_e64 s0, s12, v2
	v_add_nc_u32_e32 v2, 2, v56
	v_cmp_gt_i32_e64 s1, s12, v3
	v_cmp_gt_i32_e64 s2, s12, v4
	v_mul_lo_u32 v3, v1, s21
	v_add_nc_u32_e32 v4, 3, v56
	v_mad_u64_u32 v[10:11], null, s21, v2, v[0:1]
	v_mul_lo_u32 v59, s4, v2
	v_add3_u32 v57, v5, s21, v0
	v_mad_u64_u32 v[11:12], null, s21, v4, v[0:1]
	v_mad_u64_u32 v[12:13], null, s4, v56, s[4:5]
	v_mul_lo_u32 v60, s4, v4
	v_lshl_add_u32 v58, v3, 2, v0
	v_mov_b32_e32 v8, 0
	v_mov_b32_e32 v6, 0
	;; [unrolled: 1-line block ×8, first 2 shown]
	v_lshlrev_b32_e32 v61, 2, v14
	s_lshl_b32 s23, s21, 6
	s_lshl_b32 s25, s4, 6
	s_mov_b32 s24, 0
	s_mov_b32 s26, 0
	v_cmp_gt_i32_e32 vcc_lo, s12, v55
	s_branch .LBB250_22
.LBB250_18:                             ;   in Loop: Header=BB250_22 Depth=1
	s_or_b32 exec_lo, exec_lo, s29
	s_waitcnt vmcnt(3) lgkmcnt(3)
	v_fma_f64 v[4:5], v[13:14], v[45:46], v[4:5]
	s_waitcnt vmcnt(2) lgkmcnt(2)
	v_fma_f64 v[4:5], v[15:16], v[47:48], v[4:5]
	;; [unrolled: 2-line block ×4, first 2 shown]
.LBB250_19:                             ;   in Loop: Header=BB250_22 Depth=1
	s_or_b32 exec_lo, exec_lo, s28
	s_waitcnt vmcnt(3) lgkmcnt(3)
	v_fma_f64 v[6:7], v[13:14], v[37:38], v[6:7]
	s_waitcnt vmcnt(2) lgkmcnt(2)
	v_fma_f64 v[6:7], v[15:16], v[39:40], v[6:7]
	;; [unrolled: 2-line block ×4, first 2 shown]
.LBB250_20:                             ;   in Loop: Header=BB250_22 Depth=1
	s_or_b32 exec_lo, exec_lo, s3
	s_waitcnt vmcnt(3) lgkmcnt(3)
	v_fma_f64 v[8:9], v[13:14], v[21:22], v[8:9]
	s_waitcnt vmcnt(2) lgkmcnt(2)
	v_fma_f64 v[8:9], v[15:16], v[23:24], v[8:9]
	;; [unrolled: 2-line block ×4, first 2 shown]
.LBB250_21:                             ;   in Loop: Header=BB250_22 Depth=1
	s_or_b32 exec_lo, exec_lo, s27
	v_add_nc_u32_e32 v56, 64, v56
	v_add_nc_u32_e32 v57, s23, v57
	;; [unrolled: 1-line block ×5, first 2 shown]
	v_cmp_le_i32_e64 s3, s6, v56
	s_add_i32 s26, s26, s25
	s_or_b32 s24, s3, s24
	s_andn2_b32 exec_lo, exec_lo, s24
	s_cbranch_execz .LBB250_27
.LBB250_22:                             ; =>This Inner Loop Header: Depth=1
	s_and_saveexec_b32 s27, vcc_lo
	s_cbranch_execz .LBB250_21
; %bb.23:                               ;   in Loop: Header=BB250_22 Depth=1
	v_add_nc_u32_e32 v13, s26, v61
	v_add_nc_u32_e32 v15, s26, v12
	;; [unrolled: 1-line block ×5, first 2 shown]
	v_ashrrev_i32_e32 v14, 31, v13
	v_ashrrev_i32_e32 v16, 31, v15
	;; [unrolled: 1-line block ×3, first 2 shown]
	v_add_nc_u32_e32 v23, s5, v57
	v_ashrrev_i32_e32 v20, 31, v19
	v_lshlrev_b64 v[13:14], 3, v[13:14]
	v_lshlrev_b64 v[15:16], 3, v[15:16]
	v_ashrrev_i32_e32 v22, 31, v21
	v_lshlrev_b64 v[17:18], 3, v[17:18]
	v_ashrrev_i32_e32 v24, 31, v23
	v_lshlrev_b64 v[19:20], 3, v[19:20]
	v_add_co_u32 v13, s3, s18, v13
	v_add_nc_u32_e32 v25, s5, v10
	v_add_co_ci_u32_e64 v14, null, s19, v14, s3
	v_add_co_u32 v15, s3, s18, v15
	v_lshlrev_b64 v[21:22], 3, v[21:22]
	v_add_nc_u32_e32 v27, s5, v11
	v_add_co_ci_u32_e64 v16, null, s19, v16, s3
	v_add_co_u32 v17, s3, s18, v17
	v_lshlrev_b64 v[23:24], 3, v[23:24]
	v_ashrrev_i32_e32 v26, 31, v25
	v_add_co_ci_u32_e64 v18, null, s19, v18, s3
	v_add_co_u32 v19, s3, s18, v19
	v_ashrrev_i32_e32 v28, 31, v27
	v_add_co_ci_u32_e64 v20, null, s19, v20, s3
	v_add_co_u32 v29, s3, s16, v21
	v_add_co_ci_u32_e64 v30, null, s17, v22, s3
	v_lshlrev_b64 v[21:22], 3, v[25:26]
	v_add_co_u32 v31, s3, s16, v23
	v_add_co_ci_u32_e64 v32, null, s17, v24, s3
	v_lshlrev_b64 v[23:24], 3, v[27:28]
	v_add_co_u32 v33, s3, s16, v21
	v_add_co_ci_u32_e64 v34, null, s17, v22, s3
	v_add_co_u32 v35, s3, s16, v23
	v_add_co_ci_u32_e64 v36, null, s17, v24, s3
	s_clause 0x3
	flat_load_dwordx2 v[13:14], v[13:14]
	flat_load_dwordx2 v[15:16], v[15:16]
	flat_load_dwordx2 v[17:18], v[17:18]
	flat_load_dwordx2 v[19:20], v[19:20]
	s_clause 0x3
	flat_load_dwordx2 v[21:22], v[29:30]
	flat_load_dwordx2 v[23:24], v[31:32]
	;; [unrolled: 1-line block ×4, first 2 shown]
	s_and_saveexec_b32 s3, s0
	s_cbranch_execz .LBB250_20
; %bb.24:                               ;   in Loop: Header=BB250_22 Depth=1
	s_clause 0x3
	flat_load_dwordx2 v[37:38], v[29:30] offset:256
	flat_load_dwordx2 v[39:40], v[31:32] offset:256
	flat_load_dwordx2 v[41:42], v[33:34] offset:256
	flat_load_dwordx2 v[43:44], v[35:36] offset:256
	s_and_saveexec_b32 s28, s1
	s_cbranch_execz .LBB250_19
; %bb.25:                               ;   in Loop: Header=BB250_22 Depth=1
	s_clause 0x3
	flat_load_dwordx2 v[45:46], v[29:30] offset:512
	flat_load_dwordx2 v[47:48], v[31:32] offset:512
	flat_load_dwordx2 v[49:50], v[33:34] offset:512
	flat_load_dwordx2 v[51:52], v[35:36] offset:512
	;; [unrolled: 8-line block ×3, first 2 shown]
	s_waitcnt vmcnt(3) lgkmcnt(3)
	v_fma_f64 v[2:3], v[13:14], v[29:30], v[2:3]
	s_waitcnt vmcnt(2) lgkmcnt(2)
	v_fma_f64 v[2:3], v[15:16], v[31:32], v[2:3]
	;; [unrolled: 2-line block ×4, first 2 shown]
	s_branch .LBB250_18
.LBB250_27:
	s_or_b32 exec_lo, exec_lo, s24
.LBB250_28:
	s_or_b32 exec_lo, exec_lo, s22
	s_sub_i32 s0, s13, s6
	s_cmp_lt_i32 s0, 1
	s_cbranch_scc1 .LBB250_46
; %bb.29:
	v_mov_b32_e32 v14, 0
	v_mov_b32_e32 v16, 0
	;; [unrolled: 1-line block ×4, first 2 shown]
	v_cmp_gt_i32_e32 vcc_lo, s13, v56
	v_mov_b32_e32 v15, 0
	v_mov_b32_e32 v17, 0
	;; [unrolled: 1-line block ×4, first 2 shown]
	v_or_b32_e32 v18, 1, v56
	s_and_saveexec_b32 s1, vcc_lo
	s_cbranch_execz .LBB250_37
; %bb.30:
	s_waitcnt lgkmcnt(0)
	v_mul_lo_u32 v10, v56, s4
	v_mov_b32_e32 v12, 0
	v_mov_b32_e32 v16, 0
	;; [unrolled: 1-line block ×6, first 2 shown]
	s_mov_b32 s2, exec_lo
	v_ashrrev_i32_e32 v11, 31, v10
	v_lshlrev_b64 v[10:11], 3, v[10:11]
	v_add_co_u32 v10, s0, s18, v10
	v_add_co_ci_u32_e64 v11, null, s19, v11, s0
	flat_load_dwordx2 v[10:11], v[10:11]
	v_cmpx_gt_i32_e64 s13, v18
	s_cbranch_execz .LBB250_36
; %bb.31:
	v_mul_lo_u32 v12, v18, s4
	v_mov_b32_e32 v16, 0
	v_mov_b32_e32 v14, 0
	v_or_b32_e32 v19, 2, v56
	v_mov_b32_e32 v17, 0
	v_mov_b32_e32 v15, 0
	s_mov_b32 s3, exec_lo
	v_ashrrev_i32_e32 v13, 31, v12
	v_lshlrev_b64 v[12:13], 3, v[12:13]
	v_add_co_u32 v12, s0, s18, v12
	v_add_co_ci_u32_e64 v13, null, s19, v13, s0
	flat_load_dwordx2 v[12:13], v[12:13]
	v_cmpx_gt_i32_e64 s13, v19
	s_cbranch_execz .LBB250_35
; %bb.32:
	v_mul_lo_u32 v14, v19, s4
	v_or_b32_e32 v19, 3, v56
	s_mov_b32 s6, exec_lo
	v_ashrrev_i32_e32 v15, 31, v14
	v_lshlrev_b64 v[14:15], 3, v[14:15]
	v_add_co_u32 v14, s0, s18, v14
	v_add_co_ci_u32_e64 v15, null, s19, v15, s0
	flat_load_dwordx2 v[16:17], v[14:15]
	v_mov_b32_e32 v14, 0
	v_mov_b32_e32 v15, 0
	v_cmpx_gt_i32_e64 s13, v19
	s_cbranch_execz .LBB250_34
; %bb.33:
	v_mul_lo_u32 v14, v19, s4
	v_ashrrev_i32_e32 v15, 31, v14
	v_lshlrev_b64 v[14:15], 3, v[14:15]
	v_add_co_u32 v14, s0, s18, v14
	v_add_co_ci_u32_e64 v15, null, s19, v15, s0
	flat_load_dwordx2 v[14:15], v[14:15]
.LBB250_34:
	s_or_b32 exec_lo, exec_lo, s6
.LBB250_35:
	s_or_b32 exec_lo, exec_lo, s3
.LBB250_36:
	s_or_b32 exec_lo, exec_lo, s2
.LBB250_37:
	s_or_b32 exec_lo, exec_lo, s1
	s_mov_b32 s1, exec_lo
	v_cmpx_gt_i32_e64 s12, v55
	s_cbranch_execz .LBB250_45
; %bb.38:
	s_waitcnt lgkmcnt(0)
	v_mul_lo_u32 v19, v56, s21
	v_mul_lo_u32 v21, v18, s21
	v_or_b32_e32 v22, 2, v56
	v_or_b32_e32 v24, 3, v56
	s_mov_b32 s0, exec_lo
	v_mul_lo_u32 v23, v22, s21
	v_cndmask_b32_e32 v19, 0, v19, vcc_lo
	v_cmp_gt_i32_e32 vcc_lo, s13, v18
	v_mul_lo_u32 v25, v24, s21
	v_add_nc_u32_e32 v19, v19, v55
	v_cndmask_b32_e32 v21, 0, v21, vcc_lo
	v_ashrrev_i32_e32 v20, 31, v19
	v_lshlrev_b64 v[19:20], 3, v[19:20]
	v_add_co_u32 v18, vcc_lo, s16, v19
	v_add_co_ci_u32_e64 v19, null, s17, v20, vcc_lo
	v_add_nc_u32_e32 v20, v21, v55
	flat_load_dwordx2 v[28:29], v[18:19]
	v_ashrrev_i32_e32 v21, 31, v20
	v_lshlrev_b64 v[20:21], 3, v[20:21]
	v_add_co_u32 v20, vcc_lo, s16, v20
	v_add_co_ci_u32_e64 v21, null, s17, v21, vcc_lo
	v_cmp_gt_i32_e32 vcc_lo, s13, v22
	flat_load_dwordx2 v[30:31], v[20:21]
	v_cndmask_b32_e32 v22, 0, v23, vcc_lo
	v_cmp_gt_i32_e32 vcc_lo, s13, v24
	v_add_nc_u32_e32 v22, v22, v55
	v_cndmask_b32_e32 v26, 0, v25, vcc_lo
	v_ashrrev_i32_e32 v23, 31, v22
	v_lshlrev_b64 v[22:23], 3, v[22:23]
	v_add_co_u32 v24, vcc_lo, s16, v22
	v_add_co_ci_u32_e64 v25, null, s17, v23, vcc_lo
	v_add_nc_u32_e32 v22, v26, v55
	flat_load_dwordx2 v[32:33], v[24:25]
	v_ashrrev_i32_e32 v23, 31, v22
	v_lshlrev_b64 v[22:23], 3, v[22:23]
	v_add_co_u32 v26, vcc_lo, s16, v22
	v_add_co_ci_u32_e64 v27, null, s17, v23, vcc_lo
	flat_load_dwordx2 v[22:23], v[26:27]
	s_waitcnt vmcnt(3) lgkmcnt(3)
	v_fma_f64 v[8:9], v[10:11], v[28:29], v[8:9]
	v_add_nc_u32_e32 v28, 32, v55
	s_waitcnt vmcnt(2) lgkmcnt(2)
	v_fma_f64 v[8:9], v[12:13], v[30:31], v[8:9]
	s_waitcnt vmcnt(1) lgkmcnt(1)
	v_fma_f64 v[8:9], v[16:17], v[32:33], v[8:9]
	v_cmpx_gt_i32_e64 s12, v28
	s_cbranch_execz .LBB250_44
; %bb.39:
	s_clause 0x3
	flat_load_dwordx2 v[30:31], v[18:19] offset:256
	flat_load_dwordx2 v[32:33], v[20:21] offset:256
	;; [unrolled: 1-line block ×4, first 2 shown]
	s_mov_b32 s2, exec_lo
	s_waitcnt vmcnt(3) lgkmcnt(3)
	v_fma_f64 v[6:7], v[10:11], v[30:31], v[6:7]
	v_add_nc_u32_e32 v30, 64, v55
	s_waitcnt vmcnt(2) lgkmcnt(2)
	v_fma_f64 v[6:7], v[12:13], v[32:33], v[6:7]
	s_waitcnt vmcnt(1) lgkmcnt(1)
	v_fma_f64 v[6:7], v[16:17], v[34:35], v[6:7]
	v_cmpx_gt_i32_e64 s12, v30
	s_cbranch_execz .LBB250_43
; %bb.40:
	s_clause 0x3
	flat_load_dwordx2 v[32:33], v[18:19] offset:512
	flat_load_dwordx2 v[34:35], v[20:21] offset:512
	flat_load_dwordx2 v[36:37], v[24:25] offset:512
	flat_load_dwordx2 v[30:31], v[26:27] offset:512
	s_mov_b32 s3, exec_lo
	s_waitcnt vmcnt(3) lgkmcnt(3)
	v_fma_f64 v[4:5], v[10:11], v[32:33], v[4:5]
	v_add_nc_u32_e32 v32, 0x60, v55
	s_waitcnt vmcnt(2) lgkmcnt(2)
	v_fma_f64 v[4:5], v[12:13], v[34:35], v[4:5]
	s_waitcnt vmcnt(1) lgkmcnt(1)
	v_fma_f64 v[4:5], v[16:17], v[36:37], v[4:5]
	v_cmpx_gt_i32_e64 s12, v32
	s_cbranch_execz .LBB250_42
; %bb.41:
	s_clause 0x3
	flat_load_dwordx2 v[18:19], v[18:19] offset:768
	flat_load_dwordx2 v[20:21], v[20:21] offset:768
	;; [unrolled: 1-line block ×4, first 2 shown]
	s_waitcnt vmcnt(3) lgkmcnt(3)
	v_fma_f64 v[2:3], v[10:11], v[18:19], v[2:3]
	s_waitcnt vmcnt(2) lgkmcnt(2)
	v_fma_f64 v[2:3], v[12:13], v[20:21], v[2:3]
	;; [unrolled: 2-line block ×4, first 2 shown]
.LBB250_42:
	s_or_b32 exec_lo, exec_lo, s3
	s_waitcnt vmcnt(0) lgkmcnt(0)
	v_fma_f64 v[4:5], v[14:15], v[30:31], v[4:5]
.LBB250_43:
	s_or_b32 exec_lo, exec_lo, s2
	s_waitcnt vmcnt(0) lgkmcnt(0)
	v_fma_f64 v[6:7], v[14:15], v[28:29], v[6:7]
.LBB250_44:
	s_or_b32 exec_lo, exec_lo, s0
	s_waitcnt vmcnt(0) lgkmcnt(0)
	v_fma_f64 v[8:9], v[14:15], v[22:23], v[8:9]
.LBB250_45:
	s_or_b32 exec_lo, exec_lo, s1
.LBB250_46:
	v_lshlrev_b32_e32 v0, 3, v0
	s_mov_b32 s0, exec_lo
	v_lshl_add_u32 v1, v1, 10, v0
	ds_write2_b64 v1, v[8:9], v[6:7] offset1:32
	ds_write2_b64 v1, v[4:5], v[2:3] offset0:64 offset1:96
	s_waitcnt vmcnt(0) lgkmcnt(0)
	s_barrier
	buffer_gl0_inv
                                        ; implicit-def: $vgpr4_vgpr5
                                        ; implicit-def: $vgpr2_vgpr3
	v_cmpx_gt_u32_e32 0x80, v53
	s_cbranch_execz .LBB250_52
; %bb.47:
	v_lshl_add_u32 v7, v54, 3, v0
	v_or_b32_e32 v6, s5, v53
	s_mov_b32 s2, s15
	s_mov_b32 s1, exec_lo
	ds_read2st64_b64 v[0:3], v7 offset1:2
	s_waitcnt lgkmcnt(0)
	v_add_f64 v[4:5], v[0:1], v[2:3]
	ds_read2st64_b64 v[0:3], v7 offset0:4 offset1:6
	s_waitcnt lgkmcnt(0)
	v_add_f64 v[0:1], v[0:1], v[4:5]
	v_add_f64 v[4:5], v[2:3], v[0:1]
	ds_read2st64_b64 v[0:3], v7 offset0:8 offset1:10
	s_waitcnt lgkmcnt(0)
	v_add_f64 v[0:1], v[0:1], v[4:5]
	;; [unrolled: 4-line block ×7, first 2 shown]
                                        ; implicit-def: $vgpr4_vgpr5
	v_add_f64 v[0:1], v[2:3], v[0:1]
                                        ; implicit-def: $vgpr2_vgpr3
	ds_write_b64 v7, v[0:1]
	v_cmpx_gt_i32_e64 s12, v6
	s_cbranch_execz .LBB250_51
; %bb.48:
	v_cmp_eq_f64_e64 s2, s[8:9], 0
	v_mul_f64 v[4:5], s[10:11], v[0:1]
	v_mul_lo_u32 v2, s20, v6
	v_ashrrev_i32_e32 v3, 31, v2
	s_and_b32 vcc_lo, exec_lo, s2
	s_cbranch_vccnz .LBB250_50
; %bb.49:
	v_lshlrev_b64 v[0:1], 3, v[2:3]
	v_add_co_u32 v0, vcc_lo, s7, v0
	v_add_co_ci_u32_e64 v1, null, s14, v1, vcc_lo
	flat_load_dwordx2 v[0:1], v[0:1]
	s_waitcnt vmcnt(0) lgkmcnt(0)
	v_fma_f64 v[4:5], s[8:9], v[0:1], v[4:5]
.LBB250_50:
	s_or_b32 s2, s15, exec_lo
.LBB250_51:
	s_or_b32 exec_lo, exec_lo, s1
	s_andn2_b32 s1, s15, exec_lo
	s_and_b32 s2, s2, exec_lo
	s_or_b32 s15, s1, s2
.LBB250_52:
	s_or_b32 exec_lo, exec_lo, s0
.LBB250_53:
	s_and_saveexec_b32 s0, s15
	s_cbranch_execz .LBB250_55
; %bb.54:
	v_lshlrev_b64 v[0:1], 3, v[2:3]
	v_add_co_u32 v0, vcc_lo, s7, v0
	v_add_co_ci_u32_e64 v1, null, s14, v1, vcc_lo
	flat_store_dwordx2 v[0:1], v[4:5]
.LBB250_55:
	s_endpgm
	.section	.rodata,"a",@progbits
	.p2align	6, 0x0
	.amdhsa_kernel _ZL20rocblas_gemvn_kernelILi32ELi16EiPKdS1_KPdEviiT3_lPKT2_lT1_lS7_lS8_lS4_lPT4_lS8_li
		.amdhsa_group_segment_fixed_size 16384
		.amdhsa_private_segment_fixed_size 0
		.amdhsa_kernarg_size 400
		.amdhsa_user_sgpr_count 6
		.amdhsa_user_sgpr_private_segment_buffer 1
		.amdhsa_user_sgpr_dispatch_ptr 0
		.amdhsa_user_sgpr_queue_ptr 0
		.amdhsa_user_sgpr_kernarg_segment_ptr 1
		.amdhsa_user_sgpr_dispatch_id 0
		.amdhsa_user_sgpr_flat_scratch_init 0
		.amdhsa_user_sgpr_private_segment_size 0
		.amdhsa_wavefront_size32 1
		.amdhsa_uses_dynamic_stack 0
		.amdhsa_system_sgpr_private_segment_wavefront_offset 0
		.amdhsa_system_sgpr_workgroup_id_x 1
		.amdhsa_system_sgpr_workgroup_id_y 0
		.amdhsa_system_sgpr_workgroup_id_z 1
		.amdhsa_system_sgpr_workgroup_info 0
		.amdhsa_system_vgpr_workitem_id 1
		.amdhsa_next_free_vgpr 62
		.amdhsa_next_free_sgpr 30
		.amdhsa_reserve_vcc 1
		.amdhsa_reserve_flat_scratch 1
		.amdhsa_float_round_mode_32 0
		.amdhsa_float_round_mode_16_64 0
		.amdhsa_float_denorm_mode_32 3
		.amdhsa_float_denorm_mode_16_64 3
		.amdhsa_dx10_clamp 1
		.amdhsa_ieee_mode 1
		.amdhsa_fp16_overflow 0
		.amdhsa_workgroup_processor_mode 1
		.amdhsa_memory_ordered 1
		.amdhsa_forward_progress 1
		.amdhsa_shared_vgpr_count 0
		.amdhsa_exception_fp_ieee_invalid_op 0
		.amdhsa_exception_fp_denorm_src 0
		.amdhsa_exception_fp_ieee_div_zero 0
		.amdhsa_exception_fp_ieee_overflow 0
		.amdhsa_exception_fp_ieee_underflow 0
		.amdhsa_exception_fp_ieee_inexact 0
		.amdhsa_exception_int_div_zero 0
	.end_amdhsa_kernel
	.section	.text._ZL20rocblas_gemvn_kernelILi32ELi16EiPKdS1_KPdEviiT3_lPKT2_lT1_lS7_lS8_lS4_lPT4_lS8_li,"axG",@progbits,_ZL20rocblas_gemvn_kernelILi32ELi16EiPKdS1_KPdEviiT3_lPKT2_lT1_lS7_lS8_lS4_lPT4_lS8_li,comdat
.Lfunc_end250:
	.size	_ZL20rocblas_gemvn_kernelILi32ELi16EiPKdS1_KPdEviiT3_lPKT2_lT1_lS7_lS8_lS4_lPT4_lS8_li, .Lfunc_end250-_ZL20rocblas_gemvn_kernelILi32ELi16EiPKdS1_KPdEviiT3_lPKT2_lT1_lS7_lS8_lS4_lPT4_lS8_li
                                        ; -- End function
	.set _ZL20rocblas_gemvn_kernelILi32ELi16EiPKdS1_KPdEviiT3_lPKT2_lT1_lS7_lS8_lS4_lPT4_lS8_li.num_vgpr, 62
	.set _ZL20rocblas_gemvn_kernelILi32ELi16EiPKdS1_KPdEviiT3_lPKT2_lT1_lS7_lS8_lS4_lPT4_lS8_li.num_agpr, 0
	.set _ZL20rocblas_gemvn_kernelILi32ELi16EiPKdS1_KPdEviiT3_lPKT2_lT1_lS7_lS8_lS4_lPT4_lS8_li.numbered_sgpr, 30
	.set _ZL20rocblas_gemvn_kernelILi32ELi16EiPKdS1_KPdEviiT3_lPKT2_lT1_lS7_lS8_lS4_lPT4_lS8_li.num_named_barrier, 0
	.set _ZL20rocblas_gemvn_kernelILi32ELi16EiPKdS1_KPdEviiT3_lPKT2_lT1_lS7_lS8_lS4_lPT4_lS8_li.private_seg_size, 0
	.set _ZL20rocblas_gemvn_kernelILi32ELi16EiPKdS1_KPdEviiT3_lPKT2_lT1_lS7_lS8_lS4_lPT4_lS8_li.uses_vcc, 1
	.set _ZL20rocblas_gemvn_kernelILi32ELi16EiPKdS1_KPdEviiT3_lPKT2_lT1_lS7_lS8_lS4_lPT4_lS8_li.uses_flat_scratch, 1
	.set _ZL20rocblas_gemvn_kernelILi32ELi16EiPKdS1_KPdEviiT3_lPKT2_lT1_lS7_lS8_lS4_lPT4_lS8_li.has_dyn_sized_stack, 0
	.set _ZL20rocblas_gemvn_kernelILi32ELi16EiPKdS1_KPdEviiT3_lPKT2_lT1_lS7_lS8_lS4_lPT4_lS8_li.has_recursion, 0
	.set _ZL20rocblas_gemvn_kernelILi32ELi16EiPKdS1_KPdEviiT3_lPKT2_lT1_lS7_lS8_lS4_lPT4_lS8_li.has_indirect_call, 0
	.section	.AMDGPU.csdata,"",@progbits
; Kernel info:
; codeLenInByte = 3056
; TotalNumSgprs: 32
; NumVgprs: 62
; ScratchSize: 0
; MemoryBound: 0
; FloatMode: 240
; IeeeMode: 1
; LDSByteSize: 16384 bytes/workgroup (compile time only)
; SGPRBlocks: 0
; VGPRBlocks: 7
; NumSGPRsForWavesPerEU: 32
; NumVGPRsForWavesPerEU: 62
; Occupancy: 16
; WaveLimiterHint : 1
; COMPUTE_PGM_RSRC2:SCRATCH_EN: 0
; COMPUTE_PGM_RSRC2:USER_SGPR: 6
; COMPUTE_PGM_RSRC2:TRAP_HANDLER: 0
; COMPUTE_PGM_RSRC2:TGID_X_EN: 1
; COMPUTE_PGM_RSRC2:TGID_Y_EN: 0
; COMPUTE_PGM_RSRC2:TGID_Z_EN: 1
; COMPUTE_PGM_RSRC2:TIDIG_COMP_CNT: 1
	.section	.text._ZL20rocblas_gemvn_kernelILi32ELi16ElPKdS1_KPdEviiT3_lPKT2_lT1_lS7_lS8_lS4_lPT4_lS8_li,"axG",@progbits,_ZL20rocblas_gemvn_kernelILi32ELi16ElPKdS1_KPdEviiT3_lPKT2_lT1_lS7_lS8_lS4_lPT4_lS8_li,comdat
	.globl	_ZL20rocblas_gemvn_kernelILi32ELi16ElPKdS1_KPdEviiT3_lPKT2_lT1_lS7_lS8_lS4_lPT4_lS8_li ; -- Begin function _ZL20rocblas_gemvn_kernelILi32ELi16ElPKdS1_KPdEviiT3_lPKT2_lT1_lS7_lS8_lS4_lPT4_lS8_li
	.p2align	8
	.type	_ZL20rocblas_gemvn_kernelILi32ELi16ElPKdS1_KPdEviiT3_lPKT2_lT1_lS7_lS8_lS4_lPT4_lS8_li,@function
_ZL20rocblas_gemvn_kernelILi32ELi16ElPKdS1_KPdEviiT3_lPKT2_lT1_lS7_lS8_lS4_lPT4_lS8_li: ; @_ZL20rocblas_gemvn_kernelILi32ELi16ElPKdS1_KPdEviiT3_lPKT2_lT1_lS7_lS8_lS4_lPT4_lS8_li
; %bb.0:
	s_load_dwordx2 s[0:1], s[4:5], 0x9c
	s_waitcnt lgkmcnt(0)
	s_lshr_b32 s2, s0, 16
	s_and_b32 s0, s0, 0xffff
	s_and_b32 s1, s1, 0xffff
	s_mul_i32 s0, s2, s0
	s_mul_i32 s0, s0, s1
	s_cmpk_lg_i32 s0, 0x200
	s_cbranch_scc1 .LBB251_55
; %bb.1:
	s_clause 0x1
	s_load_dwordx8 s[16:23], s[4:5], 0x8
	s_load_dwordx8 s[8:15], s[4:5], 0x58
	s_mov_b32 s26, s7
	s_waitcnt lgkmcnt(0)
	s_mul_i32 s1, s19, s7
	s_mul_hi_u32 s2, s18, s7
	s_mul_i32 s0, s18, s7
	s_add_i32 s1, s2, s1
	s_mul_i32 s2, s11, s7
	s_lshl_b64 s[0:1], s[0:1], 3
	s_mul_hi_u32 s3, s10, s7
	s_add_u32 s0, s16, s0
	s_addc_u32 s1, s17, s1
	s_add_i32 s3, s3, s2
	s_mul_i32 s2, s10, s7
	s_mov_b64 s[18:19], 0
	s_lshl_b64 s[2:3], s[2:3], 3
	s_add_u32 s2, s8, s2
	s_addc_u32 s3, s9, s3
	s_load_dwordx2 s[10:11], s[0:1], 0x0
	s_load_dwordx2 s[8:9], s[2:3], 0x0
	s_waitcnt lgkmcnt(0)
	v_cmp_eq_f64_e64 s7, s[10:11], 0
	v_cmp_eq_f64_e64 s0, s[8:9], 1.0
	s_and_b32 s0, s7, s0
	s_and_b32 vcc_lo, exec_lo, s0
	s_cbranch_vccnz .LBB251_55
; %bb.2:
	v_cmp_neq_f64_e64 s28, s[10:11], 0
	s_clause 0x1
	s_load_dwordx2 s[24:25], s[4:5], 0x28
	s_load_dwordx2 s[16:17], s[4:5], 0x78
	s_and_b32 vcc_lo, exec_lo, s7
	s_mov_b32 s27, 0
	s_cbranch_vccnz .LBB251_4
; %bb.3:
	s_lshl_b64 s[0:1], s[26:27], 3
	s_add_u32 s0, s20, s0
	s_addc_u32 s1, s21, s1
	s_lshl_b64 s[2:3], s[22:23], 3
	s_load_dwordx2 s[0:1], s[0:1], 0x0
	s_waitcnt lgkmcnt(0)
	s_add_u32 s18, s0, s2
	s_addc_u32 s19, s1, s3
.LBB251_4:
	s_clause 0x1
	s_load_dwordx4 s[0:3], s[4:5], 0x38
	s_load_dwordx2 s[20:21], s[4:5], 0x48
	s_andn2_b32 vcc_lo, exec_lo, s28
	s_cbranch_vccnz .LBB251_6
; %bb.5:
	s_lshl_b64 s[22:23], s[26:27], 3
	s_waitcnt lgkmcnt(0)
	s_add_u32 s0, s0, s22
	s_addc_u32 s1, s1, s23
	s_lshl_b64 s[2:3], s[2:3], 3
	s_load_dwordx2 s[0:1], s[0:1], 0x0
	s_waitcnt lgkmcnt(0)
	s_add_u32 s22, s0, s2
	s_addc_u32 s23, s1, s3
	s_branch .LBB251_7
.LBB251_6:
	s_mov_b64 s[22:23], 0
.LBB251_7:
	s_waitcnt lgkmcnt(0)
	s_lshl_b64 s[0:1], s[26:27], 3
	v_lshlrev_b32_e32 v63, 5, v1
	s_add_u32 s0, s12, s0
	s_addc_u32 s1, s13, s1
	s_lshl_b64 s[14:15], s[14:15], 3
	s_load_dwordx2 s[2:3], s[0:1], 0x0
	s_load_dwordx2 s[12:13], s[4:5], 0x0
	v_add_nc_u32_e32 v62, v63, v0
	v_cmp_gt_u32_e64 s0, 0x80, v62
	s_waitcnt lgkmcnt(0)
	s_add_u32 s5, s2, s14
	s_addc_u32 s28, s3, s15
	s_andn2_b32 vcc_lo, exec_lo, s7
	s_cbranch_vccnz .LBB251_14
; %bb.8:
	s_mov_b32 s1, 0
	s_mov_b32 s29, 0
                                        ; implicit-def: $vgpr2_vgpr3
                                        ; implicit-def: $vgpr4_vgpr5
	s_and_saveexec_b32 s2, s0
	s_cbranch_execz .LBB251_15
; %bb.9:
	v_lshl_or_b32 v6, s6, 7, v62
	v_mov_b32_e32 v7, 0
	s_ashr_i32 s15, s12, 31
	s_mov_b32 s14, s12
	s_mov_b32 s3, 0
	s_mov_b32 s0, exec_lo
                                        ; implicit-def: $vgpr2_vgpr3
                                        ; implicit-def: $vgpr4_vgpr5
	v_cmpx_gt_i64_e64 s[14:15], v[6:7]
	s_cbranch_execz .LBB251_13
; %bb.10:
	v_cmp_eq_f64_e64 s3, s[8:9], 0
	v_mad_u64_u32 v[4:5], null, s16, v6, 0
	v_mov_b32_e32 v2, v5
	v_mad_u64_u32 v[5:6], null, s17, v6, v[2:3]
	v_mov_b32_e32 v2, 0
	v_mov_b32_e32 v3, 0
	s_and_b32 vcc_lo, exec_lo, s3
	s_cbranch_vccnz .LBB251_12
; %bb.11:
	v_lshlrev_b64 v[2:3], 3, v[4:5]
	v_add_co_u32 v2, vcc_lo, s5, v2
	v_add_co_ci_u32_e64 v3, null, s28, v3, vcc_lo
	flat_load_dwordx2 v[2:3], v[2:3]
	s_waitcnt vmcnt(0) lgkmcnt(0)
	v_mul_f64 v[2:3], s[8:9], v[2:3]
.LBB251_12:
	s_mov_b32 s3, exec_lo
.LBB251_13:
	s_or_b32 exec_lo, exec_lo, s0
	s_and_b32 s29, s3, exec_lo
	s_or_b32 exec_lo, exec_lo, s2
	s_and_b32 vcc_lo, exec_lo, s1
	s_cbranch_vccnz .LBB251_16
	s_branch .LBB251_53
.LBB251_14:
	s_mov_b32 s29, 0
                                        ; implicit-def: $vgpr2_vgpr3
                                        ; implicit-def: $vgpr4_vgpr5
	s_cbranch_execnz .LBB251_16
	s_branch .LBB251_53
.LBB251_15:
	s_or_b32 exec_lo, exec_lo, s2
	s_and_b32 vcc_lo, exec_lo, s1
	s_cbranch_vccz .LBB251_53
.LBB251_16:
	s_ashr_i32 s0, s13, 31
	s_lshl_b32 s30, s6, 7
	s_lshr_b32 s0, s0, 26
	v_mov_b32_e32 v10, 0
	v_mov_b32_e32 v8, 0
	v_mov_b32_e32 v6, 0
	v_mov_b32_e32 v4, 0
	v_lshlrev_b32_e32 v64, 2, v1
	v_add_nc_u32_e32 v2, s30, v0
	v_mov_b32_e32 v11, 0
	v_mov_b32_e32 v9, 0
	;; [unrolled: 1-line block ×4, first 2 shown]
	s_add_i32 s31, s13, s0
	s_mov_b32 s33, exec_lo
	s_andn2_b32 s31, s31, 63
	v_cmpx_gt_i32_e64 s31, v64
	s_cbranch_execz .LBB251_28
; %bb.17:
	v_lshlrev_b32_e32 v26, 2, v1
	v_mad_u64_u32 v[6:7], null, s20, v1, 0
	v_add_nc_u32_e32 v12, 0x60, v2
	v_mad_u64_u32 v[8:9], null, s24, v1, 0
	v_or_b32_e32 v20, 3, v26
	v_add_nc_u32_e32 v10, 32, v2
	v_cmp_gt_i32_e64 s2, s12, v12
	v_add_nc_u32_e32 v11, 64, v2
	v_ashrrev_i32_e32 v3, 31, v2
	v_mad_u64_u32 v[4:5], null, s24, v20, 0
	v_cmp_gt_i32_e64 s0, s12, v10
	v_cmp_gt_i32_e64 s1, s12, v11
	v_mad_u64_u32 v[10:11], null, s20, v26, s[20:21]
	v_mad_u64_u32 v[18:19], null, s20, v20, 0
	;; [unrolled: 1-line block ×3, first 2 shown]
	v_mov_b32_e32 v5, v7
	v_mov_b32_e32 v7, v9
	v_or_b32_e32 v27, 2, v26
	s_lshl_b64 s[6:7], s[24:25], 9
	s_lshl_b64 s[14:15], s[20:21], 9
	v_mad_u64_u32 v[14:15], null, s21, v1, v[5:6]
	v_mov_b32_e32 v5, v12
	v_lshlrev_b64 v[12:13], 3, v[2:3]
	v_mad_u64_u32 v[15:16], null, s25, v1, v[7:8]
	v_mad_u64_u32 v[16:17], null, s24, v27, 0
	v_lshlrev_b64 v[3:4], 3, v[4:5]
	v_mov_b32_e32 v5, v11
	v_mov_b32_e32 v11, v19
	;; [unrolled: 1-line block ×4, first 2 shown]
	v_mad_u64_u32 v[22:23], null, s20, v27, 0
	v_add_co_u32 v3, s3, s18, v3
	v_mad_u64_u32 v[19:20], null, s21, v20, v[11:12]
	v_add_co_ci_u32_e64 v65, null, s19, v4, s3
	v_mad_u64_u32 v[4:5], null, s21, v26, v[5:6]
	v_mad_u64_u32 v[20:21], null, s24, v26, s[24:25]
	v_mov_b32_e32 v5, v17
	v_lshlrev_b64 v[14:15], 5, v[6:7]
	v_mov_b32_e32 v7, v23
	v_lshlrev_b64 v[18:19], 3, v[18:19]
	v_mov_b32_e32 v11, v4
	v_mad_u64_u32 v[24:25], null, s25, v27, v[5:6]
	v_lshlrev_b64 v[5:6], 5, v[8:9]
	v_mov_b32_e32 v4, v21
	s_mov_b32 s34, 0
	s_mov_b64 s[26:27], s[22:23]
	v_cmp_gt_i32_e32 vcc_lo, s12, v2
	v_mad_u64_u32 v[8:9], null, s25, v26, v[4:5]
	v_mov_b32_e32 v17, v24
	v_add_co_u32 v66, s3, s18, v5
	v_add_co_ci_u32_e64 v67, null, s19, v6, s3
	v_lshlrev_b64 v[4:5], 3, v[16:17]
	v_mov_b32_e32 v21, v8
	v_mad_u64_u32 v[23:24], null, s21, v27, v[7:8]
	v_lshlrev_b64 v[16:17], 3, v[10:11]
	v_mov_b32_e32 v10, 0
	v_lshlrev_b64 v[24:25], 3, v[20:21]
	v_add_co_u32 v68, s3, s18, v4
	v_add_co_ci_u32_e64 v69, null, s19, v5, s3
	v_lshlrev_b64 v[20:21], 3, v[22:23]
	v_add_co_u32 v70, s3, s18, v24
	v_mov_b32_e32 v8, 0
	v_mov_b32_e32 v6, 0
	;; [unrolled: 1-line block ×7, first 2 shown]
	v_add_co_ci_u32_e64 v71, null, s19, v25, s3
	s_branch .LBB251_22
.LBB251_18:                             ;   in Loop: Header=BB251_22 Depth=1
	s_or_b32 exec_lo, exec_lo, s36
	s_waitcnt vmcnt(3) lgkmcnt(3)
	v_fma_f64 v[6:7], v[22:23], v[54:55], v[6:7]
	s_waitcnt vmcnt(2) lgkmcnt(2)
	v_fma_f64 v[6:7], v[24:25], v[56:57], v[6:7]
	;; [unrolled: 2-line block ×4, first 2 shown]
.LBB251_19:                             ;   in Loop: Header=BB251_22 Depth=1
	s_or_b32 exec_lo, exec_lo, s35
	s_waitcnt vmcnt(3) lgkmcnt(3)
	v_fma_f64 v[8:9], v[22:23], v[46:47], v[8:9]
	s_waitcnt vmcnt(2) lgkmcnt(2)
	v_fma_f64 v[8:9], v[24:25], v[48:49], v[8:9]
	;; [unrolled: 2-line block ×4, first 2 shown]
.LBB251_20:                             ;   in Loop: Header=BB251_22 Depth=1
	s_or_b32 exec_lo, exec_lo, s3
	s_waitcnt vmcnt(3) lgkmcnt(3)
	v_fma_f64 v[10:11], v[22:23], v[30:31], v[10:11]
	s_waitcnt vmcnt(2) lgkmcnt(2)
	v_fma_f64 v[10:11], v[24:25], v[32:33], v[10:11]
	s_waitcnt vmcnt(1) lgkmcnt(1)
	v_fma_f64 v[10:11], v[26:27], v[34:35], v[10:11]
	s_waitcnt vmcnt(0) lgkmcnt(0)
	v_fma_f64 v[10:11], v[28:29], v[36:37], v[10:11]
.LBB251_21:                             ;   in Loop: Header=BB251_22 Depth=1
	s_or_b32 exec_lo, exec_lo, s4
	v_add_co_u32 v3, s3, v3, s6
	v_add_nc_u32_e32 v64, 64, v64
	v_add_co_ci_u32_e64 v65, null, s7, v65, s3
	v_add_co_u32 v66, s3, v66, s6
	v_add_co_ci_u32_e64 v67, null, s7, v67, s3
	v_add_co_u32 v68, s3, v68, s6
	v_add_co_ci_u32_e64 v69, null, s7, v69, s3
	v_cmp_le_i32_e64 s3, s31, v64
	v_add_co_u32 v70, s4, v70, s6
	v_add_co_ci_u32_e64 v71, null, s7, v71, s4
	s_add_u32 s26, s26, s14
	s_addc_u32 s27, s27, s15
	s_or_b32 s34, s3, s34
	s_andn2_b32 exec_lo, exec_lo, s34
	s_cbranch_execz .LBB251_27
.LBB251_22:                             ; =>This Inner Loop Header: Depth=1
	s_and_saveexec_b32 s4, vcc_lo
	s_cbranch_execz .LBB251_21
; %bb.23:                               ;   in Loop: Header=BB251_22 Depth=1
	v_add_co_u32 v22, s3, s26, v14
	v_add_co_ci_u32_e64 v23, null, s27, v15, s3
	v_add_co_u32 v24, s3, s26, v16
	v_add_co_ci_u32_e64 v25, null, s27, v17, s3
	;; [unrolled: 2-line block ×8, first 2 shown]
	s_clause 0x3
	flat_load_dwordx2 v[22:23], v[22:23]
	flat_load_dwordx2 v[24:25], v[24:25]
	;; [unrolled: 1-line block ×8, first 2 shown]
	s_and_saveexec_b32 s3, s0
	s_cbranch_execz .LBB251_20
; %bb.24:                               ;   in Loop: Header=BB251_22 Depth=1
	flat_load_dwordx2 v[46:47], v[38:39] offset:256
	flat_load_dwordx2 v[48:49], v[40:41] offset:256
	flat_load_dwordx2 v[50:51], v[42:43] offset:256
	flat_load_dwordx2 v[52:53], v[44:45] offset:256
	s_and_saveexec_b32 s35, s1
	s_cbranch_execz .LBB251_19
; %bb.25:                               ;   in Loop: Header=BB251_22 Depth=1
	flat_load_dwordx2 v[54:55], v[38:39] offset:512
	flat_load_dwordx2 v[56:57], v[40:41] offset:512
	flat_load_dwordx2 v[58:59], v[42:43] offset:512
	flat_load_dwordx2 v[60:61], v[44:45] offset:512
	;; [unrolled: 7-line block ×3, first 2 shown]
	s_waitcnt vmcnt(3) lgkmcnt(3)
	v_fma_f64 v[4:5], v[22:23], v[38:39], v[4:5]
	s_waitcnt vmcnt(2) lgkmcnt(2)
	v_fma_f64 v[4:5], v[24:25], v[40:41], v[4:5]
	;; [unrolled: 2-line block ×4, first 2 shown]
	s_branch .LBB251_18
.LBB251_27:
	s_or_b32 exec_lo, exec_lo, s34
.LBB251_28:
	s_or_b32 exec_lo, exec_lo, s33
	s_sub_i32 s0, s13, s31
	s_cmp_lt_i32 s0, 1
	s_cbranch_scc1 .LBB251_46
; %bb.29:
	v_mov_b32_e32 v16, 0
	v_mov_b32_e32 v18, 0
	;; [unrolled: 1-line block ×4, first 2 shown]
	v_cmp_gt_i32_e32 vcc_lo, s13, v64
	v_mov_b32_e32 v17, 0
	v_mov_b32_e32 v19, 0
	;; [unrolled: 1-line block ×4, first 2 shown]
	v_or_b32_e32 v20, 1, v64
	s_and_saveexec_b32 s1, vcc_lo
	s_cbranch_execz .LBB251_37
; %bb.30:
	v_mad_u64_u32 v[12:13], null, s20, v64, 0
	v_mov_b32_e32 v18, 0
	v_mov_b32_e32 v16, 0
	;; [unrolled: 1-line block ×4, first 2 shown]
	s_mov_b32 s2, exec_lo
	v_mov_b32_e32 v3, v13
	v_mad_u64_u32 v[13:14], null, s21, v64, v[3:4]
	v_mov_b32_e32 v14, 0
	v_mov_b32_e32 v15, 0
	v_lshlrev_b64 v[12:13], 3, v[12:13]
	v_add_co_u32 v12, s0, s22, v12
	v_add_co_ci_u32_e64 v13, null, s23, v13, s0
	flat_load_dwordx2 v[12:13], v[12:13]
	v_cmpx_gt_i32_e64 s13, v20
	s_cbranch_execz .LBB251_36
; %bb.31:
	v_mad_u64_u32 v[14:15], null, s20, v20, 0
	v_mov_b32_e32 v18, 0
	v_mov_b32_e32 v19, 0
	s_mov_b32 s3, exec_lo
	v_mov_b32_e32 v3, v15
	v_mad_u64_u32 v[15:16], null, s21, v20, v[3:4]
	v_mov_b32_e32 v16, 0
	v_or_b32_e32 v3, 2, v64
	v_mov_b32_e32 v17, 0
	v_lshlrev_b64 v[14:15], 3, v[14:15]
	v_add_co_u32 v14, s0, s22, v14
	v_add_co_ci_u32_e64 v15, null, s23, v15, s0
	flat_load_dwordx2 v[14:15], v[14:15]
	v_cmpx_gt_i32_e64 s13, v3
	s_cbranch_execz .LBB251_35
; %bb.32:
	v_mad_u64_u32 v[16:17], null, s20, v3, 0
	s_mov_b32 s4, exec_lo
	v_mad_u64_u32 v[17:18], null, s21, v3, v[17:18]
	v_or_b32_e32 v3, 3, v64
	v_lshlrev_b64 v[16:17], 3, v[16:17]
	v_add_co_u32 v16, s0, s22, v16
	v_add_co_ci_u32_e64 v17, null, s23, v17, s0
	flat_load_dwordx2 v[18:19], v[16:17]
	v_mov_b32_e32 v16, 0
	v_mov_b32_e32 v17, 0
	v_cmpx_gt_i32_e64 s13, v3
	s_cbranch_execz .LBB251_34
; %bb.33:
	v_mad_u64_u32 v[16:17], null, s20, v3, 0
	s_waitcnt vmcnt(0) lgkmcnt(0)
	v_mad_u64_u32 v[21:22], null, s21, v3, v[17:18]
	v_mov_b32_e32 v17, v21
	v_lshlrev_b64 v[16:17], 3, v[16:17]
	v_add_co_u32 v16, s0, s22, v16
	v_add_co_ci_u32_e64 v17, null, s23, v17, s0
	flat_load_dwordx2 v[16:17], v[16:17]
.LBB251_34:
	s_or_b32 exec_lo, exec_lo, s4
.LBB251_35:
	s_or_b32 exec_lo, exec_lo, s3
.LBB251_36:
	s_or_b32 exec_lo, exec_lo, s2
.LBB251_37:
	s_or_b32 exec_lo, exec_lo, s1
	s_mov_b32 s1, exec_lo
	v_cmpx_gt_i32_e64 s12, v2
	s_cbranch_execz .LBB251_45
; %bb.38:
	v_mad_u64_u32 v[21:22], null, s24, v64, 0
	v_or_b32_e32 v32, 2, v64
	v_or_b32_e32 v36, 3, v64
	v_mad_u64_u32 v[26:27], null, s24, v32, 0
	v_mov_b32_e32 v3, v22
	v_cndmask_b32_e32 v21, 0, v21, vcc_lo
	v_mad_u64_u32 v[22:23], null, s25, v64, v[3:4]
	v_mad_u64_u32 v[23:24], null, s24, v20, 0
	v_ashrrev_i32_e32 v3, 31, v2
	v_cndmask_b32_e32 v22, 0, v22, vcc_lo
	v_lshlrev_b64 v[28:29], 3, v[2:3]
	v_mad_u64_u32 v[24:25], null, s25, v20, v[24:25]
	v_cmp_gt_i32_e32 vcc_lo, s13, v20
	v_lshlrev_b64 v[21:22], 3, v[21:22]
	v_cndmask_b32_e32 v23, 0, v23, vcc_lo
	v_cndmask_b32_e32 v24, 0, v24, vcc_lo
	v_add_co_u32 v3, s0, s18, v21
	v_add_co_ci_u32_e64 v21, null, s19, v22, s0
	v_lshlrev_b64 v[22:23], 3, v[23:24]
	v_add_co_u32 v20, vcc_lo, v3, v28
	v_add_co_ci_u32_e64 v21, null, v21, v29, vcc_lo
	v_mov_b32_e32 v3, v27
	v_add_co_u32 v24, vcc_lo, s18, v22
	flat_load_dwordx2 v[30:31], v[20:21]
	v_add_co_ci_u32_e64 v25, null, s19, v23, vcc_lo
	v_mad_u64_u32 v[22:23], null, s25, v32, v[3:4]
	v_add_co_u32 v24, s0, v24, v28
	v_cmp_gt_i32_e32 vcc_lo, s13, v32
	v_add_co_ci_u32_e64 v25, null, v25, v29, s0
	v_cndmask_b32_e32 v26, 0, v26, vcc_lo
	v_cndmask_b32_e32 v27, 0, v22, vcc_lo
	v_mad_u64_u32 v[22:23], null, s24, v36, 0
	flat_load_dwordx2 v[32:33], v[24:25]
	v_lshlrev_b64 v[26:27], 3, v[26:27]
	v_mov_b32_e32 v3, v23
	v_add_co_u32 v23, vcc_lo, s18, v26
	v_add_co_ci_u32_e64 v27, null, s19, v27, vcc_lo
	v_mad_u64_u32 v[34:35], null, s25, v36, v[3:4]
	v_add_co_u32 v26, s0, v23, v28
	v_cmp_gt_i32_e32 vcc_lo, s13, v36
	v_add_co_ci_u32_e64 v27, null, v27, v29, s0
	s_mov_b32 s0, exec_lo
	v_cndmask_b32_e32 v22, 0, v22, vcc_lo
	v_cndmask_b32_e32 v23, 0, v34, vcc_lo
	flat_load_dwordx2 v[34:35], v[26:27]
	v_lshlrev_b64 v[22:23], 3, v[22:23]
	v_add_co_u32 v3, vcc_lo, s18, v22
	v_add_co_ci_u32_e64 v22, null, s19, v23, vcc_lo
	v_add_co_u32 v28, vcc_lo, v3, v28
	v_add_co_ci_u32_e64 v29, null, v22, v29, vcc_lo
	v_add_nc_u32_e32 v3, 32, v2
	flat_load_dwordx2 v[22:23], v[28:29]
	s_waitcnt vmcnt(3) lgkmcnt(3)
	v_fma_f64 v[10:11], v[12:13], v[30:31], v[10:11]
	s_waitcnt vmcnt(2) lgkmcnt(2)
	v_fma_f64 v[10:11], v[14:15], v[32:33], v[10:11]
	s_waitcnt vmcnt(1) lgkmcnt(1)
	v_fma_f64 v[10:11], v[18:19], v[34:35], v[10:11]
	v_cmpx_gt_i32_e64 s12, v3
	s_cbranch_execz .LBB251_44
; %bb.39:
	s_clause 0x3
	flat_load_dwordx2 v[32:33], v[20:21] offset:256
	flat_load_dwordx2 v[34:35], v[24:25] offset:256
	;; [unrolled: 1-line block ×4, first 2 shown]
	v_add_nc_u32_e32 v3, 64, v2
	s_mov_b32 s2, exec_lo
	s_waitcnt vmcnt(3) lgkmcnt(3)
	v_fma_f64 v[8:9], v[12:13], v[32:33], v[8:9]
	s_waitcnt vmcnt(2) lgkmcnt(2)
	v_fma_f64 v[8:9], v[14:15], v[34:35], v[8:9]
	;; [unrolled: 2-line block ×3, first 2 shown]
	v_cmpx_gt_i32_e64 s12, v3
	s_cbranch_execz .LBB251_43
; %bb.40:
	s_clause 0x3
	flat_load_dwordx2 v[34:35], v[20:21] offset:512
	flat_load_dwordx2 v[36:37], v[24:25] offset:512
	;; [unrolled: 1-line block ×4, first 2 shown]
	v_add_nc_u32_e32 v2, 0x60, v2
	s_mov_b32 s3, exec_lo
	s_waitcnt vmcnt(3) lgkmcnt(3)
	v_fma_f64 v[6:7], v[12:13], v[34:35], v[6:7]
	s_waitcnt vmcnt(2) lgkmcnt(2)
	v_fma_f64 v[6:7], v[14:15], v[36:37], v[6:7]
	s_waitcnt vmcnt(1) lgkmcnt(1)
	v_fma_f64 v[6:7], v[18:19], v[38:39], v[6:7]
	v_cmpx_gt_i32_e64 s12, v2
	s_cbranch_execz .LBB251_42
; %bb.41:
	s_clause 0x3
	flat_load_dwordx2 v[2:3], v[20:21] offset:768
	flat_load_dwordx2 v[20:21], v[24:25] offset:768
	;; [unrolled: 1-line block ×4, first 2 shown]
	s_waitcnt vmcnt(3) lgkmcnt(3)
	v_fma_f64 v[2:3], v[12:13], v[2:3], v[4:5]
	s_waitcnt vmcnt(2) lgkmcnt(2)
	v_fma_f64 v[2:3], v[14:15], v[20:21], v[2:3]
	;; [unrolled: 2-line block ×4, first 2 shown]
.LBB251_42:
	s_or_b32 exec_lo, exec_lo, s3
	s_waitcnt vmcnt(0) lgkmcnt(0)
	v_fma_f64 v[6:7], v[16:17], v[32:33], v[6:7]
.LBB251_43:
	s_or_b32 exec_lo, exec_lo, s2
	s_waitcnt vmcnt(0) lgkmcnt(0)
	v_fma_f64 v[8:9], v[16:17], v[30:31], v[8:9]
.LBB251_44:
	s_or_b32 exec_lo, exec_lo, s0
	s_waitcnt vmcnt(0) lgkmcnt(0)
	v_fma_f64 v[10:11], v[16:17], v[22:23], v[10:11]
.LBB251_45:
	s_or_b32 exec_lo, exec_lo, s1
.LBB251_46:
	v_lshlrev_b32_e32 v0, 3, v0
	s_mov_b32 s0, exec_lo
                                        ; implicit-def: $vgpr2_vgpr3
	v_lshl_add_u32 v1, v1, 10, v0
	ds_write2_b64 v1, v[10:11], v[8:9] offset1:32
	ds_write2_b64 v1, v[6:7], v[4:5] offset0:64 offset1:96
	s_waitcnt vmcnt(0) lgkmcnt(0)
	s_barrier
	buffer_gl0_inv
                                        ; implicit-def: $vgpr4_vgpr5
	v_cmpx_gt_u32_e32 0x80, v62
	s_cbranch_execz .LBB251_52
; %bb.47:
	v_lshl_add_u32 v7, v63, 3, v0
	v_or_b32_e32 v6, s30, v62
	s_mov_b32 s2, s29
	s_mov_b32 s1, exec_lo
	ds_read2st64_b64 v[0:3], v7 offset1:2
	s_waitcnt lgkmcnt(0)
	v_add_f64 v[4:5], v[0:1], v[2:3]
	ds_read2st64_b64 v[0:3], v7 offset0:4 offset1:6
	s_waitcnt lgkmcnt(0)
	v_add_f64 v[0:1], v[0:1], v[4:5]
	v_add_f64 v[4:5], v[2:3], v[0:1]
	ds_read2st64_b64 v[0:3], v7 offset0:8 offset1:10
	s_waitcnt lgkmcnt(0)
	v_add_f64 v[0:1], v[0:1], v[4:5]
	;; [unrolled: 4-line block ×7, first 2 shown]
                                        ; implicit-def: $vgpr4_vgpr5
	v_add_f64 v[0:1], v[2:3], v[0:1]
                                        ; implicit-def: $vgpr2_vgpr3
	ds_write_b64 v7, v[0:1]
	v_cmpx_gt_i32_e64 s12, v6
	s_cbranch_execz .LBB251_51
; %bb.48:
	v_cmp_eq_f64_e64 s2, s[8:9], 0
	v_mul_f64 v[2:3], s[10:11], v[0:1]
	v_ashrrev_i32_e32 v0, 31, v6
	v_mul_lo_u32 v1, s17, v6
	v_mad_u64_u32 v[4:5], null, s16, v6, 0
	v_mul_lo_u32 v0, s16, v0
	v_add3_u32 v5, v5, v0, v1
	s_and_b32 vcc_lo, exec_lo, s2
	s_cbranch_vccnz .LBB251_50
; %bb.49:
	v_lshlrev_b64 v[0:1], 3, v[4:5]
	v_add_co_u32 v0, vcc_lo, s5, v0
	v_add_co_ci_u32_e64 v1, null, s28, v1, vcc_lo
	flat_load_dwordx2 v[0:1], v[0:1]
	s_waitcnt vmcnt(0) lgkmcnt(0)
	v_fma_f64 v[2:3], s[8:9], v[0:1], v[2:3]
.LBB251_50:
	s_or_b32 s2, s29, exec_lo
.LBB251_51:
	s_or_b32 exec_lo, exec_lo, s1
	s_andn2_b32 s1, s29, exec_lo
	s_and_b32 s2, s2, exec_lo
	s_or_b32 s29, s1, s2
.LBB251_52:
	s_or_b32 exec_lo, exec_lo, s0
.LBB251_53:
	s_and_saveexec_b32 s0, s29
	s_cbranch_execz .LBB251_55
; %bb.54:
	v_lshlrev_b64 v[0:1], 3, v[4:5]
	v_add_co_u32 v0, vcc_lo, s5, v0
	v_add_co_ci_u32_e64 v1, null, s28, v1, vcc_lo
	flat_store_dwordx2 v[0:1], v[2:3]
.LBB251_55:
	s_endpgm
	.section	.rodata,"a",@progbits
	.p2align	6, 0x0
	.amdhsa_kernel _ZL20rocblas_gemvn_kernelILi32ELi16ElPKdS1_KPdEviiT3_lPKT2_lT1_lS7_lS8_lS4_lPT4_lS8_li
		.amdhsa_group_segment_fixed_size 16384
		.amdhsa_private_segment_fixed_size 0
		.amdhsa_kernarg_size 400
		.amdhsa_user_sgpr_count 6
		.amdhsa_user_sgpr_private_segment_buffer 1
		.amdhsa_user_sgpr_dispatch_ptr 0
		.amdhsa_user_sgpr_queue_ptr 0
		.amdhsa_user_sgpr_kernarg_segment_ptr 1
		.amdhsa_user_sgpr_dispatch_id 0
		.amdhsa_user_sgpr_flat_scratch_init 0
		.amdhsa_user_sgpr_private_segment_size 0
		.amdhsa_wavefront_size32 1
		.amdhsa_uses_dynamic_stack 0
		.amdhsa_system_sgpr_private_segment_wavefront_offset 0
		.amdhsa_system_sgpr_workgroup_id_x 1
		.amdhsa_system_sgpr_workgroup_id_y 0
		.amdhsa_system_sgpr_workgroup_id_z 1
		.amdhsa_system_sgpr_workgroup_info 0
		.amdhsa_system_vgpr_workitem_id 1
		.amdhsa_next_free_vgpr 72
		.amdhsa_next_free_sgpr 37
		.amdhsa_reserve_vcc 1
		.amdhsa_reserve_flat_scratch 1
		.amdhsa_float_round_mode_32 0
		.amdhsa_float_round_mode_16_64 0
		.amdhsa_float_denorm_mode_32 3
		.amdhsa_float_denorm_mode_16_64 3
		.amdhsa_dx10_clamp 1
		.amdhsa_ieee_mode 1
		.amdhsa_fp16_overflow 0
		.amdhsa_workgroup_processor_mode 1
		.amdhsa_memory_ordered 1
		.amdhsa_forward_progress 1
		.amdhsa_shared_vgpr_count 0
		.amdhsa_exception_fp_ieee_invalid_op 0
		.amdhsa_exception_fp_denorm_src 0
		.amdhsa_exception_fp_ieee_div_zero 0
		.amdhsa_exception_fp_ieee_overflow 0
		.amdhsa_exception_fp_ieee_underflow 0
		.amdhsa_exception_fp_ieee_inexact 0
		.amdhsa_exception_int_div_zero 0
	.end_amdhsa_kernel
	.section	.text._ZL20rocblas_gemvn_kernelILi32ELi16ElPKdS1_KPdEviiT3_lPKT2_lT1_lS7_lS8_lS4_lPT4_lS8_li,"axG",@progbits,_ZL20rocblas_gemvn_kernelILi32ELi16ElPKdS1_KPdEviiT3_lPKT2_lT1_lS7_lS8_lS4_lPT4_lS8_li,comdat
.Lfunc_end251:
	.size	_ZL20rocblas_gemvn_kernelILi32ELi16ElPKdS1_KPdEviiT3_lPKT2_lT1_lS7_lS8_lS4_lPT4_lS8_li, .Lfunc_end251-_ZL20rocblas_gemvn_kernelILi32ELi16ElPKdS1_KPdEviiT3_lPKT2_lT1_lS7_lS8_lS4_lPT4_lS8_li
                                        ; -- End function
	.set _ZL20rocblas_gemvn_kernelILi32ELi16ElPKdS1_KPdEviiT3_lPKT2_lT1_lS7_lS8_lS4_lPT4_lS8_li.num_vgpr, 72
	.set _ZL20rocblas_gemvn_kernelILi32ELi16ElPKdS1_KPdEviiT3_lPKT2_lT1_lS7_lS8_lS4_lPT4_lS8_li.num_agpr, 0
	.set _ZL20rocblas_gemvn_kernelILi32ELi16ElPKdS1_KPdEviiT3_lPKT2_lT1_lS7_lS8_lS4_lPT4_lS8_li.numbered_sgpr, 37
	.set _ZL20rocblas_gemvn_kernelILi32ELi16ElPKdS1_KPdEviiT3_lPKT2_lT1_lS7_lS8_lS4_lPT4_lS8_li.num_named_barrier, 0
	.set _ZL20rocblas_gemvn_kernelILi32ELi16ElPKdS1_KPdEviiT3_lPKT2_lT1_lS7_lS8_lS4_lPT4_lS8_li.private_seg_size, 0
	.set _ZL20rocblas_gemvn_kernelILi32ELi16ElPKdS1_KPdEviiT3_lPKT2_lT1_lS7_lS8_lS4_lPT4_lS8_li.uses_vcc, 1
	.set _ZL20rocblas_gemvn_kernelILi32ELi16ElPKdS1_KPdEviiT3_lPKT2_lT1_lS7_lS8_lS4_lPT4_lS8_li.uses_flat_scratch, 1
	.set _ZL20rocblas_gemvn_kernelILi32ELi16ElPKdS1_KPdEviiT3_lPKT2_lT1_lS7_lS8_lS4_lPT4_lS8_li.has_dyn_sized_stack, 0
	.set _ZL20rocblas_gemvn_kernelILi32ELi16ElPKdS1_KPdEviiT3_lPKT2_lT1_lS7_lS8_lS4_lPT4_lS8_li.has_recursion, 0
	.set _ZL20rocblas_gemvn_kernelILi32ELi16ElPKdS1_KPdEviiT3_lPKT2_lT1_lS7_lS8_lS4_lPT4_lS8_li.has_indirect_call, 0
	.section	.AMDGPU.csdata,"",@progbits
; Kernel info:
; codeLenInByte = 3356
; TotalNumSgprs: 39
; NumVgprs: 72
; ScratchSize: 0
; MemoryBound: 1
; FloatMode: 240
; IeeeMode: 1
; LDSByteSize: 16384 bytes/workgroup (compile time only)
; SGPRBlocks: 0
; VGPRBlocks: 8
; NumSGPRsForWavesPerEU: 39
; NumVGPRsForWavesPerEU: 72
; Occupancy: 12
; WaveLimiterHint : 1
; COMPUTE_PGM_RSRC2:SCRATCH_EN: 0
; COMPUTE_PGM_RSRC2:USER_SGPR: 6
; COMPUTE_PGM_RSRC2:TRAP_HANDLER: 0
; COMPUTE_PGM_RSRC2:TGID_X_EN: 1
; COMPUTE_PGM_RSRC2:TGID_Y_EN: 0
; COMPUTE_PGM_RSRC2:TGID_Z_EN: 1
; COMPUTE_PGM_RSRC2:TIDIG_COMP_CNT: 1
	.section	.text._ZL20rocblas_gemvn_kernelILi32ELi16EiPKddKPdEviiT3_lPKT2_lT1_lS7_lS8_lS4_lPT4_lS8_li,"axG",@progbits,_ZL20rocblas_gemvn_kernelILi32ELi16EiPKddKPdEviiT3_lPKT2_lT1_lS7_lS8_lS4_lPT4_lS8_li,comdat
	.globl	_ZL20rocblas_gemvn_kernelILi32ELi16EiPKddKPdEviiT3_lPKT2_lT1_lS7_lS8_lS4_lPT4_lS8_li ; -- Begin function _ZL20rocblas_gemvn_kernelILi32ELi16EiPKddKPdEviiT3_lPKT2_lT1_lS7_lS8_lS4_lPT4_lS8_li
	.p2align	8
	.type	_ZL20rocblas_gemvn_kernelILi32ELi16EiPKddKPdEviiT3_lPKT2_lT1_lS7_lS8_lS4_lPT4_lS8_li,@function
_ZL20rocblas_gemvn_kernelILi32ELi16EiPKddKPdEviiT3_lPKT2_lT1_lS7_lS8_lS4_lPT4_lS8_li: ; @_ZL20rocblas_gemvn_kernelILi32ELi16EiPKddKPdEviiT3_lPKT2_lT1_lS7_lS8_lS4_lPT4_lS8_li
; %bb.0:
	s_load_dwordx2 s[2:3], s[4:5], 0x9c
	s_waitcnt lgkmcnt(0)
	s_lshr_b32 s1, s2, 16
	s_and_b32 s2, s2, 0xffff
	s_and_b32 s3, s3, 0xffff
	s_mul_i32 s1, s1, s2
	s_mul_i32 s1, s1, s3
	s_cmpk_lg_i32 s1, 0x200
	s_cbranch_scc1 .LBB252_56
; %bb.1:
	s_clause 0x1
	s_load_dwordx2 s[10:11], s[4:5], 0x8
	s_load_dwordx2 s[8:9], s[4:5], 0x58
	s_waitcnt lgkmcnt(0)
	v_cmp_eq_f64_e64 s2, s[10:11], 0
	v_cmp_eq_f64_e64 s1, s[8:9], 1.0
	s_and_b32 s1, s2, s1
	s_and_b32 vcc_lo, exec_lo, s1
	s_cbranch_vccnz .LBB252_56
; %bb.2:
	v_cmp_neq_f64_e64 s3, s[10:11], 0
	s_mov_b32 s0, s7
	s_mov_b32 s1, 0
	s_and_b32 vcc_lo, exec_lo, s3
	s_cbranch_vccnz .LBB252_4
; %bb.3:
	s_mov_b32 s7, s1
	s_mov_b64 s[16:17], 0
	s_andn2_b32 vcc_lo, exec_lo, s7
	s_mov_b64 s[14:15], 0
	s_cbranch_vccz .LBB252_5
	s_branch .LBB252_6
.LBB252_4:
	s_mov_b64 s[16:17], 0
	s_mov_b64 s[14:15], 0
.LBB252_5:
	s_load_dwordx4 s[12:15], s[4:5], 0x18
	s_lshl_b64 s[18:19], s[0:1], 3
	s_waitcnt lgkmcnt(0)
	s_add_u32 s12, s12, s18
	s_addc_u32 s13, s13, s19
	s_lshl_b64 s[14:15], s[14:15], 3
	s_load_dwordx2 s[12:13], s[12:13], 0x0
	s_waitcnt lgkmcnt(0)
	s_add_u32 s14, s12, s14
	s_addc_u32 s15, s13, s15
.LBB252_6:
	s_andn2_b32 vcc_lo, exec_lo, s3
	s_cbranch_vccnz .LBB252_8
; %bb.7:
	s_load_dwordx4 s[16:19], s[4:5], 0x38
	s_lshl_b64 s[12:13], s[0:1], 3
	s_waitcnt lgkmcnt(0)
	s_add_u32 s12, s16, s12
	s_addc_u32 s13, s17, s13
	s_lshl_b64 s[16:17], s[18:19], 3
	s_load_dwordx2 s[12:13], s[12:13], 0x0
	s_waitcnt lgkmcnt(0)
	s_add_u32 s16, s12, s16
	s_addc_u32 s17, s13, s17
.LBB252_8:
	s_load_dwordx4 s[20:23], s[4:5], 0x68
	s_lshl_b64 s[0:1], s[0:1], 3
	v_lshlrev_b32_e32 v54, 5, v1
	v_add_nc_u32_e32 v53, v54, v0
	s_waitcnt lgkmcnt(0)
	s_add_u32 s0, s20, s0
	s_addc_u32 s1, s21, s1
	s_lshl_b64 s[22:23], s[22:23], 3
	s_load_dwordx2 s[20:21], s[0:1], 0x0
	s_clause 0x1
	s_load_dwordx2 s[12:13], s[4:5], 0x0
	s_load_dword s19, s[4:5], 0x78
	v_cmp_gt_u32_e64 s0, 0x80, v53
	s_waitcnt lgkmcnt(0)
	s_add_u32 s7, s20, s22
	s_addc_u32 s18, s21, s23
	s_andn2_b32 vcc_lo, exec_lo, s2
	s_cbranch_vccnz .LBB252_15
; %bb.9:
	s_mov_b32 s1, 0
	s_mov_b32 s20, 0
                                        ; implicit-def: $vgpr4_vgpr5
                                        ; implicit-def: $vgpr2_vgpr3
	s_and_saveexec_b32 s2, s0
	s_cbranch_execz .LBB252_16
; %bb.10:
	v_lshl_or_b32 v6, s6, 7, v53
	v_mov_b32_e32 v7, 0
	s_ashr_i32 s21, s12, 31
	s_mov_b32 s20, s12
	s_mov_b32 s3, 0
	s_mov_b32 s0, exec_lo
                                        ; implicit-def: $vgpr4_vgpr5
                                        ; implicit-def: $vgpr2_vgpr3
	v_cmpx_gt_i64_e64 s[20:21], v[6:7]
	s_cbranch_execz .LBB252_14
; %bb.11:
	v_cmp_eq_f64_e64 s3, s[8:9], 0
	v_mad_u64_u32 v[2:3], null, s19, v6, 0
	s_ashr_i32 s20, s19, 31
	v_mad_u64_u32 v[3:4], null, s20, v6, v[3:4]
	v_mov_b32_e32 v4, 0
	v_mov_b32_e32 v5, 0
	s_and_b32 vcc_lo, exec_lo, s3
	s_cbranch_vccnz .LBB252_13
; %bb.12:
	v_lshlrev_b64 v[4:5], 3, v[2:3]
	v_add_co_u32 v4, vcc_lo, s7, v4
	v_add_co_ci_u32_e64 v5, null, s18, v5, vcc_lo
	flat_load_dwordx2 v[4:5], v[4:5]
	s_waitcnt vmcnt(0) lgkmcnt(0)
	v_mul_f64 v[4:5], s[8:9], v[4:5]
.LBB252_13:
	s_mov_b32 s3, exec_lo
.LBB252_14:
	s_or_b32 exec_lo, exec_lo, s0
	s_and_b32 s20, s3, exec_lo
	s_or_b32 exec_lo, exec_lo, s2
	s_and_b32 vcc_lo, exec_lo, s1
	s_cbranch_vccnz .LBB252_17
	s_branch .LBB252_54
.LBB252_15:
	s_mov_b32 s20, 0
                                        ; implicit-def: $vgpr4_vgpr5
                                        ; implicit-def: $vgpr2_vgpr3
	s_cbranch_execnz .LBB252_17
	s_branch .LBB252_54
.LBB252_16:
	s_or_b32 exec_lo, exec_lo, s2
	s_and_b32 vcc_lo, exec_lo, s1
	s_cbranch_vccz .LBB252_54
.LBB252_17:
	s_clause 0x1
	s_load_dword s21, s[4:5], 0x28
	s_load_dword s4, s[4:5], 0x48
	s_ashr_i32 s0, s13, 31
	s_lshl_b32 s5, s6, 7
	s_lshr_b32 s0, s0, 26
	v_mov_b32_e32 v8, 0
	v_mov_b32_e32 v6, 0
	;; [unrolled: 1-line block ×4, first 2 shown]
	v_add_nc_u32_e32 v55, s5, v0
	v_lshlrev_b32_e32 v56, 2, v1
	v_mov_b32_e32 v9, 0
	v_mov_b32_e32 v7, 0
	;; [unrolled: 1-line block ×4, first 2 shown]
	s_add_i32 s6, s13, s0
	s_mov_b32 s22, exec_lo
	s_andn2_b32 s6, s6, 63
	v_cmpx_gt_i32_e64 s6, v56
	s_cbranch_execz .LBB252_29
; %bb.18:
	v_add_nc_u32_e32 v2, 32, v55
	v_add_nc_u32_e32 v3, 64, v55
	;; [unrolled: 1-line block ×3, first 2 shown]
	s_waitcnt lgkmcnt(0)
	v_mul_lo_u32 v5, s21, v56
	v_mul_lo_u32 v14, v1, s4
	v_cmp_gt_i32_e64 s0, s12, v2
	v_add_nc_u32_e32 v2, 2, v56
	v_cmp_gt_i32_e64 s1, s12, v3
	v_cmp_gt_i32_e64 s2, s12, v4
	v_mul_lo_u32 v3, v1, s21
	v_add_nc_u32_e32 v4, 3, v56
	v_mad_u64_u32 v[10:11], null, s21, v2, v[0:1]
	v_mul_lo_u32 v59, s4, v2
	v_add3_u32 v57, v5, s21, v0
	v_mad_u64_u32 v[11:12], null, s21, v4, v[0:1]
	v_mad_u64_u32 v[12:13], null, s4, v56, s[4:5]
	v_mul_lo_u32 v60, s4, v4
	v_lshl_add_u32 v58, v3, 2, v0
	v_mov_b32_e32 v8, 0
	v_mov_b32_e32 v6, 0
	;; [unrolled: 1-line block ×8, first 2 shown]
	v_lshlrev_b32_e32 v61, 2, v14
	s_lshl_b32 s23, s21, 6
	s_lshl_b32 s25, s4, 6
	s_mov_b32 s24, 0
	s_mov_b32 s26, 0
	v_cmp_gt_i32_e32 vcc_lo, s12, v55
	s_branch .LBB252_23
.LBB252_19:                             ;   in Loop: Header=BB252_23 Depth=1
	s_or_b32 exec_lo, exec_lo, s29
	s_waitcnt vmcnt(3) lgkmcnt(3)
	v_fma_f64 v[4:5], v[13:14], v[45:46], v[4:5]
	s_waitcnt vmcnt(2) lgkmcnt(2)
	v_fma_f64 v[4:5], v[15:16], v[47:48], v[4:5]
	;; [unrolled: 2-line block ×4, first 2 shown]
.LBB252_20:                             ;   in Loop: Header=BB252_23 Depth=1
	s_or_b32 exec_lo, exec_lo, s28
	s_waitcnt vmcnt(3) lgkmcnt(3)
	v_fma_f64 v[6:7], v[13:14], v[37:38], v[6:7]
	s_waitcnt vmcnt(2) lgkmcnt(2)
	v_fma_f64 v[6:7], v[15:16], v[39:40], v[6:7]
	;; [unrolled: 2-line block ×4, first 2 shown]
.LBB252_21:                             ;   in Loop: Header=BB252_23 Depth=1
	s_or_b32 exec_lo, exec_lo, s3
	s_waitcnt vmcnt(3) lgkmcnt(3)
	v_fma_f64 v[8:9], v[13:14], v[21:22], v[8:9]
	s_waitcnt vmcnt(2) lgkmcnt(2)
	v_fma_f64 v[8:9], v[15:16], v[23:24], v[8:9]
	;; [unrolled: 2-line block ×4, first 2 shown]
.LBB252_22:                             ;   in Loop: Header=BB252_23 Depth=1
	s_or_b32 exec_lo, exec_lo, s27
	v_add_nc_u32_e32 v56, 64, v56
	v_add_nc_u32_e32 v57, s23, v57
	;; [unrolled: 1-line block ×5, first 2 shown]
	v_cmp_le_i32_e64 s3, s6, v56
	s_add_i32 s26, s26, s25
	s_or_b32 s24, s3, s24
	s_andn2_b32 exec_lo, exec_lo, s24
	s_cbranch_execz .LBB252_28
.LBB252_23:                             ; =>This Inner Loop Header: Depth=1
	s_and_saveexec_b32 s27, vcc_lo
	s_cbranch_execz .LBB252_22
; %bb.24:                               ;   in Loop: Header=BB252_23 Depth=1
	v_add_nc_u32_e32 v13, s26, v61
	v_add_nc_u32_e32 v15, s26, v12
	;; [unrolled: 1-line block ×5, first 2 shown]
	v_ashrrev_i32_e32 v14, 31, v13
	v_ashrrev_i32_e32 v16, 31, v15
	;; [unrolled: 1-line block ×3, first 2 shown]
	v_add_nc_u32_e32 v23, s5, v57
	v_ashrrev_i32_e32 v20, 31, v19
	v_lshlrev_b64 v[13:14], 3, v[13:14]
	v_lshlrev_b64 v[15:16], 3, v[15:16]
	v_ashrrev_i32_e32 v22, 31, v21
	v_lshlrev_b64 v[17:18], 3, v[17:18]
	v_ashrrev_i32_e32 v24, 31, v23
	v_lshlrev_b64 v[19:20], 3, v[19:20]
	v_add_co_u32 v13, s3, s16, v13
	v_add_nc_u32_e32 v25, s5, v10
	v_add_co_ci_u32_e64 v14, null, s17, v14, s3
	v_add_co_u32 v15, s3, s16, v15
	v_lshlrev_b64 v[21:22], 3, v[21:22]
	v_add_nc_u32_e32 v27, s5, v11
	v_add_co_ci_u32_e64 v16, null, s17, v16, s3
	v_add_co_u32 v17, s3, s16, v17
	v_lshlrev_b64 v[23:24], 3, v[23:24]
	v_ashrrev_i32_e32 v26, 31, v25
	v_add_co_ci_u32_e64 v18, null, s17, v18, s3
	v_add_co_u32 v19, s3, s16, v19
	v_ashrrev_i32_e32 v28, 31, v27
	v_add_co_ci_u32_e64 v20, null, s17, v20, s3
	v_add_co_u32 v29, s3, s14, v21
	v_add_co_ci_u32_e64 v30, null, s15, v22, s3
	v_lshlrev_b64 v[21:22], 3, v[25:26]
	v_add_co_u32 v31, s3, s14, v23
	v_add_co_ci_u32_e64 v32, null, s15, v24, s3
	v_lshlrev_b64 v[23:24], 3, v[27:28]
	v_add_co_u32 v33, s3, s14, v21
	v_add_co_ci_u32_e64 v34, null, s15, v22, s3
	v_add_co_u32 v35, s3, s14, v23
	v_add_co_ci_u32_e64 v36, null, s15, v24, s3
	s_clause 0x3
	flat_load_dwordx2 v[13:14], v[13:14]
	flat_load_dwordx2 v[15:16], v[15:16]
	;; [unrolled: 1-line block ×4, first 2 shown]
	s_clause 0x3
	flat_load_dwordx2 v[21:22], v[29:30]
	flat_load_dwordx2 v[23:24], v[31:32]
	flat_load_dwordx2 v[25:26], v[33:34]
	flat_load_dwordx2 v[27:28], v[35:36]
	s_and_saveexec_b32 s3, s0
	s_cbranch_execz .LBB252_21
; %bb.25:                               ;   in Loop: Header=BB252_23 Depth=1
	s_clause 0x3
	flat_load_dwordx2 v[37:38], v[29:30] offset:256
	flat_load_dwordx2 v[39:40], v[31:32] offset:256
	flat_load_dwordx2 v[41:42], v[33:34] offset:256
	flat_load_dwordx2 v[43:44], v[35:36] offset:256
	s_and_saveexec_b32 s28, s1
	s_cbranch_execz .LBB252_20
; %bb.26:                               ;   in Loop: Header=BB252_23 Depth=1
	s_clause 0x3
	flat_load_dwordx2 v[45:46], v[29:30] offset:512
	flat_load_dwordx2 v[47:48], v[31:32] offset:512
	flat_load_dwordx2 v[49:50], v[33:34] offset:512
	flat_load_dwordx2 v[51:52], v[35:36] offset:512
	;; [unrolled: 8-line block ×3, first 2 shown]
	s_waitcnt vmcnt(3) lgkmcnt(3)
	v_fma_f64 v[2:3], v[13:14], v[29:30], v[2:3]
	s_waitcnt vmcnt(2) lgkmcnt(2)
	v_fma_f64 v[2:3], v[15:16], v[31:32], v[2:3]
	s_waitcnt vmcnt(1) lgkmcnt(1)
	v_fma_f64 v[2:3], v[17:18], v[33:34], v[2:3]
	s_waitcnt vmcnt(0) lgkmcnt(0)
	v_fma_f64 v[2:3], v[19:20], v[35:36], v[2:3]
	s_branch .LBB252_19
.LBB252_28:
	s_or_b32 exec_lo, exec_lo, s24
.LBB252_29:
	s_or_b32 exec_lo, exec_lo, s22
	s_sub_i32 s0, s13, s6
	s_cmp_lt_i32 s0, 1
	s_cbranch_scc1 .LBB252_47
; %bb.30:
	v_mov_b32_e32 v14, 0
	v_mov_b32_e32 v16, 0
	;; [unrolled: 1-line block ×4, first 2 shown]
	v_cmp_gt_i32_e32 vcc_lo, s13, v56
	v_mov_b32_e32 v15, 0
	v_mov_b32_e32 v17, 0
	;; [unrolled: 1-line block ×4, first 2 shown]
	v_or_b32_e32 v18, 1, v56
	s_and_saveexec_b32 s1, vcc_lo
	s_cbranch_execz .LBB252_38
; %bb.31:
	s_waitcnt lgkmcnt(0)
	v_mul_lo_u32 v10, v56, s4
	v_mov_b32_e32 v12, 0
	v_mov_b32_e32 v16, 0
	;; [unrolled: 1-line block ×6, first 2 shown]
	s_mov_b32 s2, exec_lo
	v_ashrrev_i32_e32 v11, 31, v10
	v_lshlrev_b64 v[10:11], 3, v[10:11]
	v_add_co_u32 v10, s0, s16, v10
	v_add_co_ci_u32_e64 v11, null, s17, v11, s0
	flat_load_dwordx2 v[10:11], v[10:11]
	v_cmpx_gt_i32_e64 s13, v18
	s_cbranch_execz .LBB252_37
; %bb.32:
	v_mul_lo_u32 v12, v18, s4
	v_mov_b32_e32 v16, 0
	v_mov_b32_e32 v14, 0
	v_or_b32_e32 v19, 2, v56
	v_mov_b32_e32 v17, 0
	v_mov_b32_e32 v15, 0
	s_mov_b32 s3, exec_lo
	v_ashrrev_i32_e32 v13, 31, v12
	v_lshlrev_b64 v[12:13], 3, v[12:13]
	v_add_co_u32 v12, s0, s16, v12
	v_add_co_ci_u32_e64 v13, null, s17, v13, s0
	flat_load_dwordx2 v[12:13], v[12:13]
	v_cmpx_gt_i32_e64 s13, v19
	s_cbranch_execz .LBB252_36
; %bb.33:
	v_mul_lo_u32 v14, v19, s4
	v_or_b32_e32 v19, 3, v56
	s_mov_b32 s6, exec_lo
	v_ashrrev_i32_e32 v15, 31, v14
	v_lshlrev_b64 v[14:15], 3, v[14:15]
	v_add_co_u32 v14, s0, s16, v14
	v_add_co_ci_u32_e64 v15, null, s17, v15, s0
	flat_load_dwordx2 v[16:17], v[14:15]
	v_mov_b32_e32 v14, 0
	v_mov_b32_e32 v15, 0
	v_cmpx_gt_i32_e64 s13, v19
	s_cbranch_execz .LBB252_35
; %bb.34:
	v_mul_lo_u32 v14, v19, s4
	v_ashrrev_i32_e32 v15, 31, v14
	v_lshlrev_b64 v[14:15], 3, v[14:15]
	v_add_co_u32 v14, s0, s16, v14
	v_add_co_ci_u32_e64 v15, null, s17, v15, s0
	flat_load_dwordx2 v[14:15], v[14:15]
.LBB252_35:
	s_or_b32 exec_lo, exec_lo, s6
.LBB252_36:
	s_or_b32 exec_lo, exec_lo, s3
.LBB252_37:
	s_or_b32 exec_lo, exec_lo, s2
.LBB252_38:
	s_or_b32 exec_lo, exec_lo, s1
	s_mov_b32 s1, exec_lo
	v_cmpx_gt_i32_e64 s12, v55
	s_cbranch_execz .LBB252_46
; %bb.39:
	s_waitcnt lgkmcnt(0)
	v_mul_lo_u32 v19, v56, s21
	v_mul_lo_u32 v21, v18, s21
	v_or_b32_e32 v22, 2, v56
	v_or_b32_e32 v24, 3, v56
	s_mov_b32 s0, exec_lo
	v_mul_lo_u32 v23, v22, s21
	v_cndmask_b32_e32 v19, 0, v19, vcc_lo
	v_cmp_gt_i32_e32 vcc_lo, s13, v18
	v_mul_lo_u32 v25, v24, s21
	v_add_nc_u32_e32 v19, v19, v55
	v_cndmask_b32_e32 v21, 0, v21, vcc_lo
	v_ashrrev_i32_e32 v20, 31, v19
	v_lshlrev_b64 v[19:20], 3, v[19:20]
	v_add_co_u32 v18, vcc_lo, s14, v19
	v_add_co_ci_u32_e64 v19, null, s15, v20, vcc_lo
	v_add_nc_u32_e32 v20, v21, v55
	flat_load_dwordx2 v[28:29], v[18:19]
	v_ashrrev_i32_e32 v21, 31, v20
	v_lshlrev_b64 v[20:21], 3, v[20:21]
	v_add_co_u32 v20, vcc_lo, s14, v20
	v_add_co_ci_u32_e64 v21, null, s15, v21, vcc_lo
	v_cmp_gt_i32_e32 vcc_lo, s13, v22
	flat_load_dwordx2 v[30:31], v[20:21]
	v_cndmask_b32_e32 v22, 0, v23, vcc_lo
	v_cmp_gt_i32_e32 vcc_lo, s13, v24
	v_add_nc_u32_e32 v22, v22, v55
	v_cndmask_b32_e32 v26, 0, v25, vcc_lo
	v_ashrrev_i32_e32 v23, 31, v22
	v_lshlrev_b64 v[22:23], 3, v[22:23]
	v_add_co_u32 v24, vcc_lo, s14, v22
	v_add_co_ci_u32_e64 v25, null, s15, v23, vcc_lo
	v_add_nc_u32_e32 v22, v26, v55
	flat_load_dwordx2 v[32:33], v[24:25]
	v_ashrrev_i32_e32 v23, 31, v22
	v_lshlrev_b64 v[22:23], 3, v[22:23]
	v_add_co_u32 v26, vcc_lo, s14, v22
	v_add_co_ci_u32_e64 v27, null, s15, v23, vcc_lo
	flat_load_dwordx2 v[22:23], v[26:27]
	s_waitcnt vmcnt(3) lgkmcnt(3)
	v_fma_f64 v[8:9], v[10:11], v[28:29], v[8:9]
	v_add_nc_u32_e32 v28, 32, v55
	s_waitcnt vmcnt(2) lgkmcnt(2)
	v_fma_f64 v[8:9], v[12:13], v[30:31], v[8:9]
	s_waitcnt vmcnt(1) lgkmcnt(1)
	v_fma_f64 v[8:9], v[16:17], v[32:33], v[8:9]
	v_cmpx_gt_i32_e64 s12, v28
	s_cbranch_execz .LBB252_45
; %bb.40:
	s_clause 0x3
	flat_load_dwordx2 v[30:31], v[18:19] offset:256
	flat_load_dwordx2 v[32:33], v[20:21] offset:256
	;; [unrolled: 1-line block ×4, first 2 shown]
	s_mov_b32 s2, exec_lo
	s_waitcnt vmcnt(3) lgkmcnt(3)
	v_fma_f64 v[6:7], v[10:11], v[30:31], v[6:7]
	v_add_nc_u32_e32 v30, 64, v55
	s_waitcnt vmcnt(2) lgkmcnt(2)
	v_fma_f64 v[6:7], v[12:13], v[32:33], v[6:7]
	s_waitcnt vmcnt(1) lgkmcnt(1)
	v_fma_f64 v[6:7], v[16:17], v[34:35], v[6:7]
	v_cmpx_gt_i32_e64 s12, v30
	s_cbranch_execz .LBB252_44
; %bb.41:
	s_clause 0x3
	flat_load_dwordx2 v[32:33], v[18:19] offset:512
	flat_load_dwordx2 v[34:35], v[20:21] offset:512
	;; [unrolled: 1-line block ×4, first 2 shown]
	s_mov_b32 s3, exec_lo
	s_waitcnt vmcnt(3) lgkmcnt(3)
	v_fma_f64 v[4:5], v[10:11], v[32:33], v[4:5]
	v_add_nc_u32_e32 v32, 0x60, v55
	s_waitcnt vmcnt(2) lgkmcnt(2)
	v_fma_f64 v[4:5], v[12:13], v[34:35], v[4:5]
	s_waitcnt vmcnt(1) lgkmcnt(1)
	v_fma_f64 v[4:5], v[16:17], v[36:37], v[4:5]
	v_cmpx_gt_i32_e64 s12, v32
	s_cbranch_execz .LBB252_43
; %bb.42:
	s_clause 0x3
	flat_load_dwordx2 v[18:19], v[18:19] offset:768
	flat_load_dwordx2 v[20:21], v[20:21] offset:768
	;; [unrolled: 1-line block ×4, first 2 shown]
	s_waitcnt vmcnt(3) lgkmcnt(3)
	v_fma_f64 v[2:3], v[10:11], v[18:19], v[2:3]
	s_waitcnt vmcnt(2) lgkmcnt(2)
	v_fma_f64 v[2:3], v[12:13], v[20:21], v[2:3]
	;; [unrolled: 2-line block ×4, first 2 shown]
.LBB252_43:
	s_or_b32 exec_lo, exec_lo, s3
	s_waitcnt vmcnt(0) lgkmcnt(0)
	v_fma_f64 v[4:5], v[14:15], v[30:31], v[4:5]
.LBB252_44:
	s_or_b32 exec_lo, exec_lo, s2
	s_waitcnt vmcnt(0) lgkmcnt(0)
	v_fma_f64 v[6:7], v[14:15], v[28:29], v[6:7]
.LBB252_45:
	s_or_b32 exec_lo, exec_lo, s0
	s_waitcnt vmcnt(0) lgkmcnt(0)
	v_fma_f64 v[8:9], v[14:15], v[22:23], v[8:9]
.LBB252_46:
	s_or_b32 exec_lo, exec_lo, s1
.LBB252_47:
	v_lshlrev_b32_e32 v0, 3, v0
	s_mov_b32 s0, exec_lo
	v_lshl_add_u32 v1, v1, 10, v0
	ds_write2_b64 v1, v[8:9], v[6:7] offset1:32
	ds_write2_b64 v1, v[4:5], v[2:3] offset0:64 offset1:96
	s_waitcnt vmcnt(0) lgkmcnt(0)
	s_barrier
	buffer_gl0_inv
                                        ; implicit-def: $vgpr4_vgpr5
                                        ; implicit-def: $vgpr2_vgpr3
	v_cmpx_gt_u32_e32 0x80, v53
	s_cbranch_execz .LBB252_53
; %bb.48:
	v_lshl_add_u32 v7, v54, 3, v0
	v_or_b32_e32 v6, s5, v53
	s_mov_b32 s2, s20
	s_mov_b32 s1, exec_lo
	ds_read2st64_b64 v[0:3], v7 offset1:2
	s_waitcnt lgkmcnt(0)
	v_add_f64 v[4:5], v[0:1], v[2:3]
	ds_read2st64_b64 v[0:3], v7 offset0:4 offset1:6
	s_waitcnt lgkmcnt(0)
	v_add_f64 v[0:1], v[0:1], v[4:5]
	v_add_f64 v[4:5], v[2:3], v[0:1]
	ds_read2st64_b64 v[0:3], v7 offset0:8 offset1:10
	s_waitcnt lgkmcnt(0)
	v_add_f64 v[0:1], v[0:1], v[4:5]
	;; [unrolled: 4-line block ×7, first 2 shown]
                                        ; implicit-def: $vgpr4_vgpr5
	v_add_f64 v[0:1], v[2:3], v[0:1]
                                        ; implicit-def: $vgpr2_vgpr3
	ds_write_b64 v7, v[0:1]
	v_cmpx_gt_i32_e64 s12, v6
	s_cbranch_execz .LBB252_52
; %bb.49:
	v_cmp_eq_f64_e64 s2, s[8:9], 0
	v_mul_f64 v[4:5], s[10:11], v[0:1]
	v_mul_lo_u32 v2, s19, v6
	v_ashrrev_i32_e32 v3, 31, v2
	s_and_b32 vcc_lo, exec_lo, s2
	s_cbranch_vccnz .LBB252_51
; %bb.50:
	v_lshlrev_b64 v[0:1], 3, v[2:3]
	v_add_co_u32 v0, vcc_lo, s7, v0
	v_add_co_ci_u32_e64 v1, null, s18, v1, vcc_lo
	flat_load_dwordx2 v[0:1], v[0:1]
	s_waitcnt vmcnt(0) lgkmcnt(0)
	v_fma_f64 v[4:5], s[8:9], v[0:1], v[4:5]
.LBB252_51:
	s_or_b32 s2, s20, exec_lo
.LBB252_52:
	s_or_b32 exec_lo, exec_lo, s1
	s_andn2_b32 s1, s20, exec_lo
	s_and_b32 s2, s2, exec_lo
	s_or_b32 s20, s1, s2
.LBB252_53:
	s_or_b32 exec_lo, exec_lo, s0
.LBB252_54:
	s_and_saveexec_b32 s0, s20
	s_cbranch_execz .LBB252_56
; %bb.55:
	v_lshlrev_b64 v[0:1], 3, v[2:3]
	v_add_co_u32 v0, vcc_lo, s7, v0
	v_add_co_ci_u32_e64 v1, null, s18, v1, vcc_lo
	flat_store_dwordx2 v[0:1], v[4:5]
.LBB252_56:
	s_endpgm
	.section	.rodata,"a",@progbits
	.p2align	6, 0x0
	.amdhsa_kernel _ZL20rocblas_gemvn_kernelILi32ELi16EiPKddKPdEviiT3_lPKT2_lT1_lS7_lS8_lS4_lPT4_lS8_li
		.amdhsa_group_segment_fixed_size 16384
		.amdhsa_private_segment_fixed_size 0
		.amdhsa_kernarg_size 400
		.amdhsa_user_sgpr_count 6
		.amdhsa_user_sgpr_private_segment_buffer 1
		.amdhsa_user_sgpr_dispatch_ptr 0
		.amdhsa_user_sgpr_queue_ptr 0
		.amdhsa_user_sgpr_kernarg_segment_ptr 1
		.amdhsa_user_sgpr_dispatch_id 0
		.amdhsa_user_sgpr_flat_scratch_init 0
		.amdhsa_user_sgpr_private_segment_size 0
		.amdhsa_wavefront_size32 1
		.amdhsa_uses_dynamic_stack 0
		.amdhsa_system_sgpr_private_segment_wavefront_offset 0
		.amdhsa_system_sgpr_workgroup_id_x 1
		.amdhsa_system_sgpr_workgroup_id_y 0
		.amdhsa_system_sgpr_workgroup_id_z 1
		.amdhsa_system_sgpr_workgroup_info 0
		.amdhsa_system_vgpr_workitem_id 1
		.amdhsa_next_free_vgpr 62
		.amdhsa_next_free_sgpr 30
		.amdhsa_reserve_vcc 1
		.amdhsa_reserve_flat_scratch 1
		.amdhsa_float_round_mode_32 0
		.amdhsa_float_round_mode_16_64 0
		.amdhsa_float_denorm_mode_32 3
		.amdhsa_float_denorm_mode_16_64 3
		.amdhsa_dx10_clamp 1
		.amdhsa_ieee_mode 1
		.amdhsa_fp16_overflow 0
		.amdhsa_workgroup_processor_mode 1
		.amdhsa_memory_ordered 1
		.amdhsa_forward_progress 1
		.amdhsa_shared_vgpr_count 0
		.amdhsa_exception_fp_ieee_invalid_op 0
		.amdhsa_exception_fp_denorm_src 0
		.amdhsa_exception_fp_ieee_div_zero 0
		.amdhsa_exception_fp_ieee_overflow 0
		.amdhsa_exception_fp_ieee_underflow 0
		.amdhsa_exception_fp_ieee_inexact 0
		.amdhsa_exception_int_div_zero 0
	.end_amdhsa_kernel
	.section	.text._ZL20rocblas_gemvn_kernelILi32ELi16EiPKddKPdEviiT3_lPKT2_lT1_lS7_lS8_lS4_lPT4_lS8_li,"axG",@progbits,_ZL20rocblas_gemvn_kernelILi32ELi16EiPKddKPdEviiT3_lPKT2_lT1_lS7_lS8_lS4_lPT4_lS8_li,comdat
.Lfunc_end252:
	.size	_ZL20rocblas_gemvn_kernelILi32ELi16EiPKddKPdEviiT3_lPKT2_lT1_lS7_lS8_lS4_lPT4_lS8_li, .Lfunc_end252-_ZL20rocblas_gemvn_kernelILi32ELi16EiPKddKPdEviiT3_lPKT2_lT1_lS7_lS8_lS4_lPT4_lS8_li
                                        ; -- End function
	.set _ZL20rocblas_gemvn_kernelILi32ELi16EiPKddKPdEviiT3_lPKT2_lT1_lS7_lS8_lS4_lPT4_lS8_li.num_vgpr, 62
	.set _ZL20rocblas_gemvn_kernelILi32ELi16EiPKddKPdEviiT3_lPKT2_lT1_lS7_lS8_lS4_lPT4_lS8_li.num_agpr, 0
	.set _ZL20rocblas_gemvn_kernelILi32ELi16EiPKddKPdEviiT3_lPKT2_lT1_lS7_lS8_lS4_lPT4_lS8_li.numbered_sgpr, 30
	.set _ZL20rocblas_gemvn_kernelILi32ELi16EiPKddKPdEviiT3_lPKT2_lT1_lS7_lS8_lS4_lPT4_lS8_li.num_named_barrier, 0
	.set _ZL20rocblas_gemvn_kernelILi32ELi16EiPKddKPdEviiT3_lPKT2_lT1_lS7_lS8_lS4_lPT4_lS8_li.private_seg_size, 0
	.set _ZL20rocblas_gemvn_kernelILi32ELi16EiPKddKPdEviiT3_lPKT2_lT1_lS7_lS8_lS4_lPT4_lS8_li.uses_vcc, 1
	.set _ZL20rocblas_gemvn_kernelILi32ELi16EiPKddKPdEviiT3_lPKT2_lT1_lS7_lS8_lS4_lPT4_lS8_li.uses_flat_scratch, 1
	.set _ZL20rocblas_gemvn_kernelILi32ELi16EiPKddKPdEviiT3_lPKT2_lT1_lS7_lS8_lS4_lPT4_lS8_li.has_dyn_sized_stack, 0
	.set _ZL20rocblas_gemvn_kernelILi32ELi16EiPKddKPdEviiT3_lPKT2_lT1_lS7_lS8_lS4_lPT4_lS8_li.has_recursion, 0
	.set _ZL20rocblas_gemvn_kernelILi32ELi16EiPKddKPdEviiT3_lPKT2_lT1_lS7_lS8_lS4_lPT4_lS8_li.has_indirect_call, 0
	.section	.AMDGPU.csdata,"",@progbits
; Kernel info:
; codeLenInByte = 3024
; TotalNumSgprs: 32
; NumVgprs: 62
; ScratchSize: 0
; MemoryBound: 0
; FloatMode: 240
; IeeeMode: 1
; LDSByteSize: 16384 bytes/workgroup (compile time only)
; SGPRBlocks: 0
; VGPRBlocks: 7
; NumSGPRsForWavesPerEU: 32
; NumVGPRsForWavesPerEU: 62
; Occupancy: 16
; WaveLimiterHint : 1
; COMPUTE_PGM_RSRC2:SCRATCH_EN: 0
; COMPUTE_PGM_RSRC2:USER_SGPR: 6
; COMPUTE_PGM_RSRC2:TRAP_HANDLER: 0
; COMPUTE_PGM_RSRC2:TGID_X_EN: 1
; COMPUTE_PGM_RSRC2:TGID_Y_EN: 0
; COMPUTE_PGM_RSRC2:TGID_Z_EN: 1
; COMPUTE_PGM_RSRC2:TIDIG_COMP_CNT: 1
	.section	.text._ZL20rocblas_gemvn_kernelILi32ELi16ElPKddKPdEviiT3_lPKT2_lT1_lS7_lS8_lS4_lPT4_lS8_li,"axG",@progbits,_ZL20rocblas_gemvn_kernelILi32ELi16ElPKddKPdEviiT3_lPKT2_lT1_lS7_lS8_lS4_lPT4_lS8_li,comdat
	.globl	_ZL20rocblas_gemvn_kernelILi32ELi16ElPKddKPdEviiT3_lPKT2_lT1_lS7_lS8_lS4_lPT4_lS8_li ; -- Begin function _ZL20rocblas_gemvn_kernelILi32ELi16ElPKddKPdEviiT3_lPKT2_lT1_lS7_lS8_lS4_lPT4_lS8_li
	.p2align	8
	.type	_ZL20rocblas_gemvn_kernelILi32ELi16ElPKddKPdEviiT3_lPKT2_lT1_lS7_lS8_lS4_lPT4_lS8_li,@function
_ZL20rocblas_gemvn_kernelILi32ELi16ElPKddKPdEviiT3_lPKT2_lT1_lS7_lS8_lS4_lPT4_lS8_li: ; @_ZL20rocblas_gemvn_kernelILi32ELi16ElPKddKPdEviiT3_lPKT2_lT1_lS7_lS8_lS4_lPT4_lS8_li
; %bb.0:
	s_load_dwordx2 s[0:1], s[4:5], 0x9c
	s_waitcnt lgkmcnt(0)
	s_lshr_b32 s2, s0, 16
	s_and_b32 s0, s0, 0xffff
	s_and_b32 s1, s1, 0xffff
	s_mul_i32 s0, s2, s0
	s_mul_i32 s0, s0, s1
	s_cmpk_lg_i32 s0, 0x200
	s_cbranch_scc1 .LBB253_56
; %bb.1:
	s_clause 0x1
	s_load_dwordx2 s[10:11], s[4:5], 0x8
	s_load_dwordx2 s[8:9], s[4:5], 0x58
	s_mov_b32 s12, s7
	s_waitcnt lgkmcnt(0)
	v_cmp_eq_f64_e64 s7, s[10:11], 0
	v_cmp_eq_f64_e64 s0, s[8:9], 1.0
	s_and_b32 s0, s7, s0
	s_and_b32 vcc_lo, exec_lo, s0
	s_cbranch_vccnz .LBB253_56
; %bb.2:
	v_cmp_neq_f64_e64 s14, s[10:11], 0
	s_clause 0x1
	s_load_dwordx4 s[0:3], s[4:5], 0x18
	s_load_dwordx2 s[16:17], s[4:5], 0x28
	s_mov_b32 s13, 0
	s_and_b32 vcc_lo, exec_lo, s14
	s_cbranch_vccnz .LBB253_4
; %bb.3:
	s_mov_b32 s15, s13
	s_mov_b64 s[20:21], 0
	s_andn2_b32 vcc_lo, exec_lo, s15
	s_mov_b64 s[18:19], 0
	s_cbranch_vccz .LBB253_5
	s_branch .LBB253_6
.LBB253_4:
	s_mov_b64 s[20:21], 0
	s_mov_b64 s[18:19], 0
.LBB253_5:
	s_lshl_b64 s[18:19], s[12:13], 3
	s_waitcnt lgkmcnt(0)
	s_add_u32 s0, s0, s18
	s_addc_u32 s1, s1, s19
	s_lshl_b64 s[2:3], s[2:3], 3
	s_load_dwordx2 s[0:1], s[0:1], 0x0
	s_waitcnt lgkmcnt(0)
	s_add_u32 s18, s0, s2
	s_addc_u32 s19, s1, s3
.LBB253_6:
	s_waitcnt lgkmcnt(0)
	s_clause 0x1
	s_load_dwordx4 s[0:3], s[4:5], 0x38
	s_load_dwordx2 s[22:23], s[4:5], 0x48
	s_andn2_b32 vcc_lo, exec_lo, s14
	s_cbranch_vccnz .LBB253_8
; %bb.7:
	s_lshl_b64 s[14:15], s[12:13], 3
	s_waitcnt lgkmcnt(0)
	s_add_u32 s0, s0, s14
	s_addc_u32 s1, s1, s15
	s_lshl_b64 s[2:3], s[2:3], 3
	s_load_dwordx2 s[0:1], s[0:1], 0x0
	s_waitcnt lgkmcnt(0)
	s_add_u32 s20, s0, s2
	s_addc_u32 s21, s1, s3
.LBB253_8:
	s_waitcnt lgkmcnt(0)
	s_load_dwordx4 s[0:3], s[4:5], 0x68
	s_lshl_b64 s[12:13], s[12:13], 3
	v_lshlrev_b32_e32 v63, 5, v1
	v_add_nc_u32_e32 v62, v63, v0
	s_waitcnt lgkmcnt(0)
	s_add_u32 s0, s0, s12
	s_addc_u32 s1, s1, s13
	s_lshl_b64 s[2:3], s[2:3], 3
	s_load_dwordx2 s[24:25], s[0:1], 0x0
	s_clause 0x1
	s_load_dwordx2 s[14:15], s[4:5], 0x0
	s_load_dwordx2 s[12:13], s[4:5], 0x78
	v_cmp_gt_u32_e64 s0, 0x80, v62
	s_waitcnt lgkmcnt(0)
	s_add_u32 s5, s24, s2
	s_addc_u32 s28, s25, s3
	s_andn2_b32 vcc_lo, exec_lo, s7
	s_cbranch_vccnz .LBB253_15
; %bb.9:
	s_mov_b32 s1, 0
	s_mov_b32 s29, 0
                                        ; implicit-def: $vgpr2_vgpr3
                                        ; implicit-def: $vgpr4_vgpr5
	s_and_saveexec_b32 s2, s0
	s_cbranch_execz .LBB253_16
; %bb.10:
	v_lshl_or_b32 v6, s6, 7, v62
	v_mov_b32_e32 v7, 0
	s_ashr_i32 s25, s14, 31
	s_mov_b32 s24, s14
	s_mov_b32 s3, 0
	s_mov_b32 s0, exec_lo
                                        ; implicit-def: $vgpr2_vgpr3
                                        ; implicit-def: $vgpr4_vgpr5
	v_cmpx_gt_i64_e64 s[24:25], v[6:7]
	s_cbranch_execz .LBB253_14
; %bb.11:
	v_cmp_eq_f64_e64 s3, s[8:9], 0
	v_mad_u64_u32 v[4:5], null, s12, v6, 0
	v_mov_b32_e32 v2, v5
	v_mad_u64_u32 v[5:6], null, s13, v6, v[2:3]
	v_mov_b32_e32 v2, 0
	v_mov_b32_e32 v3, 0
	s_and_b32 vcc_lo, exec_lo, s3
	s_cbranch_vccnz .LBB253_13
; %bb.12:
	v_lshlrev_b64 v[2:3], 3, v[4:5]
	v_add_co_u32 v2, vcc_lo, s5, v2
	v_add_co_ci_u32_e64 v3, null, s28, v3, vcc_lo
	flat_load_dwordx2 v[2:3], v[2:3]
	s_waitcnt vmcnt(0) lgkmcnt(0)
	v_mul_f64 v[2:3], s[8:9], v[2:3]
.LBB253_13:
	s_mov_b32 s3, exec_lo
.LBB253_14:
	s_or_b32 exec_lo, exec_lo, s0
	s_and_b32 s29, s3, exec_lo
	s_or_b32 exec_lo, exec_lo, s2
	s_and_b32 vcc_lo, exec_lo, s1
	s_cbranch_vccnz .LBB253_17
	s_branch .LBB253_54
.LBB253_15:
	s_mov_b32 s29, 0
                                        ; implicit-def: $vgpr2_vgpr3
                                        ; implicit-def: $vgpr4_vgpr5
	s_cbranch_execnz .LBB253_17
	s_branch .LBB253_54
.LBB253_16:
	s_or_b32 exec_lo, exec_lo, s2
	s_and_b32 vcc_lo, exec_lo, s1
	s_cbranch_vccz .LBB253_54
.LBB253_17:
	s_ashr_i32 s0, s15, 31
	s_lshl_b32 s30, s6, 7
	s_lshr_b32 s0, s0, 26
	v_mov_b32_e32 v10, 0
	v_mov_b32_e32 v8, 0
	;; [unrolled: 1-line block ×4, first 2 shown]
	v_lshlrev_b32_e32 v64, 2, v1
	v_add_nc_u32_e32 v2, s30, v0
	v_mov_b32_e32 v11, 0
	v_mov_b32_e32 v9, 0
	;; [unrolled: 1-line block ×4, first 2 shown]
	s_add_i32 s31, s15, s0
	s_mov_b32 s33, exec_lo
	s_andn2_b32 s31, s31, 63
	v_cmpx_gt_i32_e64 s31, v64
	s_cbranch_execz .LBB253_29
; %bb.18:
	v_lshlrev_b32_e32 v26, 2, v1
	v_mad_u64_u32 v[6:7], null, s22, v1, 0
	v_add_nc_u32_e32 v12, 0x60, v2
	v_mad_u64_u32 v[8:9], null, s16, v1, 0
	v_or_b32_e32 v20, 3, v26
	v_add_nc_u32_e32 v10, 32, v2
	v_cmp_gt_i32_e64 s2, s14, v12
	v_add_nc_u32_e32 v11, 64, v2
	v_ashrrev_i32_e32 v3, 31, v2
	v_mad_u64_u32 v[4:5], null, s16, v20, 0
	v_cmp_gt_i32_e64 s0, s14, v10
	v_cmp_gt_i32_e64 s1, s14, v11
	v_mad_u64_u32 v[10:11], null, s22, v26, s[22:23]
	v_mad_u64_u32 v[18:19], null, s22, v20, 0
	;; [unrolled: 1-line block ×3, first 2 shown]
	v_mov_b32_e32 v5, v7
	v_mov_b32_e32 v7, v9
	v_or_b32_e32 v27, 2, v26
	s_lshl_b64 s[6:7], s[16:17], 9
	s_lshl_b64 s[24:25], s[22:23], 9
	v_mad_u64_u32 v[14:15], null, s23, v1, v[5:6]
	v_mov_b32_e32 v5, v12
	v_lshlrev_b64 v[12:13], 3, v[2:3]
	v_mad_u64_u32 v[15:16], null, s17, v1, v[7:8]
	v_mad_u64_u32 v[16:17], null, s16, v27, 0
	v_lshlrev_b64 v[3:4], 3, v[4:5]
	v_mov_b32_e32 v5, v11
	v_mov_b32_e32 v11, v19
	;; [unrolled: 1-line block ×4, first 2 shown]
	v_mad_u64_u32 v[22:23], null, s22, v27, 0
	v_add_co_u32 v3, s3, s18, v3
	v_mad_u64_u32 v[19:20], null, s23, v20, v[11:12]
	v_add_co_ci_u32_e64 v65, null, s19, v4, s3
	v_mad_u64_u32 v[4:5], null, s23, v26, v[5:6]
	v_mad_u64_u32 v[20:21], null, s16, v26, s[16:17]
	v_mov_b32_e32 v5, v17
	v_lshlrev_b64 v[14:15], 5, v[6:7]
	v_mov_b32_e32 v7, v23
	v_lshlrev_b64 v[18:19], 3, v[18:19]
	v_mov_b32_e32 v11, v4
	v_mad_u64_u32 v[24:25], null, s17, v27, v[5:6]
	v_lshlrev_b64 v[5:6], 5, v[8:9]
	v_mov_b32_e32 v4, v21
	s_mov_b32 s34, 0
	s_mov_b64 s[26:27], s[20:21]
	v_cmp_gt_i32_e32 vcc_lo, s14, v2
	v_mad_u64_u32 v[8:9], null, s17, v26, v[4:5]
	v_mov_b32_e32 v17, v24
	v_add_co_u32 v66, s3, s18, v5
	v_add_co_ci_u32_e64 v67, null, s19, v6, s3
	v_lshlrev_b64 v[4:5], 3, v[16:17]
	v_mov_b32_e32 v21, v8
	v_mad_u64_u32 v[23:24], null, s23, v27, v[7:8]
	v_lshlrev_b64 v[16:17], 3, v[10:11]
	v_mov_b32_e32 v10, 0
	v_lshlrev_b64 v[24:25], 3, v[20:21]
	v_add_co_u32 v68, s3, s18, v4
	v_add_co_ci_u32_e64 v69, null, s19, v5, s3
	v_lshlrev_b64 v[20:21], 3, v[22:23]
	v_add_co_u32 v70, s3, s18, v24
	v_mov_b32_e32 v8, 0
	v_mov_b32_e32 v6, 0
	;; [unrolled: 1-line block ×7, first 2 shown]
	v_add_co_ci_u32_e64 v71, null, s19, v25, s3
	s_branch .LBB253_23
.LBB253_19:                             ;   in Loop: Header=BB253_23 Depth=1
	s_or_b32 exec_lo, exec_lo, s36
	s_waitcnt vmcnt(3) lgkmcnt(3)
	v_fma_f64 v[6:7], v[22:23], v[54:55], v[6:7]
	s_waitcnt vmcnt(2) lgkmcnt(2)
	v_fma_f64 v[6:7], v[24:25], v[56:57], v[6:7]
	s_waitcnt vmcnt(1) lgkmcnt(1)
	v_fma_f64 v[6:7], v[26:27], v[58:59], v[6:7]
	s_waitcnt vmcnt(0) lgkmcnt(0)
	v_fma_f64 v[6:7], v[28:29], v[60:61], v[6:7]
.LBB253_20:                             ;   in Loop: Header=BB253_23 Depth=1
	s_or_b32 exec_lo, exec_lo, s35
	s_waitcnt vmcnt(3) lgkmcnt(3)
	v_fma_f64 v[8:9], v[22:23], v[46:47], v[8:9]
	s_waitcnt vmcnt(2) lgkmcnt(2)
	v_fma_f64 v[8:9], v[24:25], v[48:49], v[8:9]
	;; [unrolled: 2-line block ×4, first 2 shown]
.LBB253_21:                             ;   in Loop: Header=BB253_23 Depth=1
	s_or_b32 exec_lo, exec_lo, s3
	s_waitcnt vmcnt(3) lgkmcnt(3)
	v_fma_f64 v[10:11], v[22:23], v[30:31], v[10:11]
	s_waitcnt vmcnt(2) lgkmcnt(2)
	v_fma_f64 v[10:11], v[24:25], v[32:33], v[10:11]
	;; [unrolled: 2-line block ×4, first 2 shown]
.LBB253_22:                             ;   in Loop: Header=BB253_23 Depth=1
	s_or_b32 exec_lo, exec_lo, s4
	v_add_co_u32 v3, s3, v3, s6
	v_add_nc_u32_e32 v64, 64, v64
	v_add_co_ci_u32_e64 v65, null, s7, v65, s3
	v_add_co_u32 v66, s3, v66, s6
	v_add_co_ci_u32_e64 v67, null, s7, v67, s3
	v_add_co_u32 v68, s3, v68, s6
	v_add_co_ci_u32_e64 v69, null, s7, v69, s3
	v_cmp_le_i32_e64 s3, s31, v64
	v_add_co_u32 v70, s4, v70, s6
	v_add_co_ci_u32_e64 v71, null, s7, v71, s4
	s_add_u32 s26, s26, s24
	s_addc_u32 s27, s27, s25
	s_or_b32 s34, s3, s34
	s_andn2_b32 exec_lo, exec_lo, s34
	s_cbranch_execz .LBB253_28
.LBB253_23:                             ; =>This Inner Loop Header: Depth=1
	s_and_saveexec_b32 s4, vcc_lo
	s_cbranch_execz .LBB253_22
; %bb.24:                               ;   in Loop: Header=BB253_23 Depth=1
	v_add_co_u32 v22, s3, s26, v14
	v_add_co_ci_u32_e64 v23, null, s27, v15, s3
	v_add_co_u32 v24, s3, s26, v16
	v_add_co_ci_u32_e64 v25, null, s27, v17, s3
	;; [unrolled: 2-line block ×8, first 2 shown]
	s_clause 0x3
	flat_load_dwordx2 v[22:23], v[22:23]
	flat_load_dwordx2 v[24:25], v[24:25]
	;; [unrolled: 1-line block ×8, first 2 shown]
	s_and_saveexec_b32 s3, s0
	s_cbranch_execz .LBB253_21
; %bb.25:                               ;   in Loop: Header=BB253_23 Depth=1
	flat_load_dwordx2 v[46:47], v[38:39] offset:256
	flat_load_dwordx2 v[48:49], v[40:41] offset:256
	flat_load_dwordx2 v[50:51], v[42:43] offset:256
	flat_load_dwordx2 v[52:53], v[44:45] offset:256
	s_and_saveexec_b32 s35, s1
	s_cbranch_execz .LBB253_20
; %bb.26:                               ;   in Loop: Header=BB253_23 Depth=1
	flat_load_dwordx2 v[54:55], v[38:39] offset:512
	flat_load_dwordx2 v[56:57], v[40:41] offset:512
	flat_load_dwordx2 v[58:59], v[42:43] offset:512
	flat_load_dwordx2 v[60:61], v[44:45] offset:512
	;; [unrolled: 7-line block ×3, first 2 shown]
	s_waitcnt vmcnt(3) lgkmcnt(3)
	v_fma_f64 v[4:5], v[22:23], v[38:39], v[4:5]
	s_waitcnt vmcnt(2) lgkmcnt(2)
	v_fma_f64 v[4:5], v[24:25], v[40:41], v[4:5]
	;; [unrolled: 2-line block ×4, first 2 shown]
	s_branch .LBB253_19
.LBB253_28:
	s_or_b32 exec_lo, exec_lo, s34
.LBB253_29:
	s_or_b32 exec_lo, exec_lo, s33
	s_sub_i32 s0, s15, s31
	s_cmp_lt_i32 s0, 1
	s_cbranch_scc1 .LBB253_47
; %bb.30:
	v_mov_b32_e32 v16, 0
	v_mov_b32_e32 v18, 0
	;; [unrolled: 1-line block ×4, first 2 shown]
	v_cmp_gt_i32_e32 vcc_lo, s15, v64
	v_mov_b32_e32 v17, 0
	v_mov_b32_e32 v19, 0
	;; [unrolled: 1-line block ×4, first 2 shown]
	v_or_b32_e32 v20, 1, v64
	s_and_saveexec_b32 s1, vcc_lo
	s_cbranch_execz .LBB253_38
; %bb.31:
	v_mad_u64_u32 v[12:13], null, s22, v64, 0
	v_mov_b32_e32 v18, 0
	v_mov_b32_e32 v16, 0
	;; [unrolled: 1-line block ×4, first 2 shown]
	s_mov_b32 s2, exec_lo
	v_mov_b32_e32 v3, v13
	v_mad_u64_u32 v[13:14], null, s23, v64, v[3:4]
	v_mov_b32_e32 v14, 0
	v_mov_b32_e32 v15, 0
	v_lshlrev_b64 v[12:13], 3, v[12:13]
	v_add_co_u32 v12, s0, s20, v12
	v_add_co_ci_u32_e64 v13, null, s21, v13, s0
	flat_load_dwordx2 v[12:13], v[12:13]
	v_cmpx_gt_i32_e64 s15, v20
	s_cbranch_execz .LBB253_37
; %bb.32:
	v_mad_u64_u32 v[14:15], null, s22, v20, 0
	v_mov_b32_e32 v18, 0
	v_mov_b32_e32 v19, 0
	s_mov_b32 s3, exec_lo
	v_mov_b32_e32 v3, v15
	v_mad_u64_u32 v[15:16], null, s23, v20, v[3:4]
	v_mov_b32_e32 v16, 0
	v_or_b32_e32 v3, 2, v64
	v_mov_b32_e32 v17, 0
	v_lshlrev_b64 v[14:15], 3, v[14:15]
	v_add_co_u32 v14, s0, s20, v14
	v_add_co_ci_u32_e64 v15, null, s21, v15, s0
	flat_load_dwordx2 v[14:15], v[14:15]
	v_cmpx_gt_i32_e64 s15, v3
	s_cbranch_execz .LBB253_36
; %bb.33:
	v_mad_u64_u32 v[16:17], null, s22, v3, 0
	s_mov_b32 s4, exec_lo
	v_mad_u64_u32 v[17:18], null, s23, v3, v[17:18]
	v_or_b32_e32 v3, 3, v64
	v_lshlrev_b64 v[16:17], 3, v[16:17]
	v_add_co_u32 v16, s0, s20, v16
	v_add_co_ci_u32_e64 v17, null, s21, v17, s0
	flat_load_dwordx2 v[18:19], v[16:17]
	v_mov_b32_e32 v16, 0
	v_mov_b32_e32 v17, 0
	v_cmpx_gt_i32_e64 s15, v3
	s_cbranch_execz .LBB253_35
; %bb.34:
	v_mad_u64_u32 v[16:17], null, s22, v3, 0
	s_waitcnt vmcnt(0) lgkmcnt(0)
	v_mad_u64_u32 v[21:22], null, s23, v3, v[17:18]
	v_mov_b32_e32 v17, v21
	v_lshlrev_b64 v[16:17], 3, v[16:17]
	v_add_co_u32 v16, s0, s20, v16
	v_add_co_ci_u32_e64 v17, null, s21, v17, s0
	flat_load_dwordx2 v[16:17], v[16:17]
.LBB253_35:
	s_or_b32 exec_lo, exec_lo, s4
.LBB253_36:
	s_or_b32 exec_lo, exec_lo, s3
.LBB253_37:
	s_or_b32 exec_lo, exec_lo, s2
.LBB253_38:
	s_or_b32 exec_lo, exec_lo, s1
	s_mov_b32 s1, exec_lo
	v_cmpx_gt_i32_e64 s14, v2
	s_cbranch_execz .LBB253_46
; %bb.39:
	v_mad_u64_u32 v[21:22], null, s16, v64, 0
	v_or_b32_e32 v32, 2, v64
	v_or_b32_e32 v36, 3, v64
	v_mad_u64_u32 v[26:27], null, s16, v32, 0
	v_mov_b32_e32 v3, v22
	v_cndmask_b32_e32 v21, 0, v21, vcc_lo
	v_mad_u64_u32 v[22:23], null, s17, v64, v[3:4]
	v_mad_u64_u32 v[23:24], null, s16, v20, 0
	v_ashrrev_i32_e32 v3, 31, v2
	v_cndmask_b32_e32 v22, 0, v22, vcc_lo
	v_lshlrev_b64 v[28:29], 3, v[2:3]
	v_mad_u64_u32 v[24:25], null, s17, v20, v[24:25]
	v_cmp_gt_i32_e32 vcc_lo, s15, v20
	v_lshlrev_b64 v[21:22], 3, v[21:22]
	v_cndmask_b32_e32 v23, 0, v23, vcc_lo
	v_cndmask_b32_e32 v24, 0, v24, vcc_lo
	v_add_co_u32 v3, s0, s18, v21
	v_add_co_ci_u32_e64 v21, null, s19, v22, s0
	v_lshlrev_b64 v[22:23], 3, v[23:24]
	v_add_co_u32 v20, vcc_lo, v3, v28
	v_add_co_ci_u32_e64 v21, null, v21, v29, vcc_lo
	v_mov_b32_e32 v3, v27
	v_add_co_u32 v24, vcc_lo, s18, v22
	flat_load_dwordx2 v[30:31], v[20:21]
	v_add_co_ci_u32_e64 v25, null, s19, v23, vcc_lo
	v_mad_u64_u32 v[22:23], null, s17, v32, v[3:4]
	v_add_co_u32 v24, s0, v24, v28
	v_cmp_gt_i32_e32 vcc_lo, s15, v32
	v_add_co_ci_u32_e64 v25, null, v25, v29, s0
	v_cndmask_b32_e32 v26, 0, v26, vcc_lo
	v_cndmask_b32_e32 v27, 0, v22, vcc_lo
	v_mad_u64_u32 v[22:23], null, s16, v36, 0
	flat_load_dwordx2 v[32:33], v[24:25]
	v_lshlrev_b64 v[26:27], 3, v[26:27]
	v_mov_b32_e32 v3, v23
	v_add_co_u32 v23, vcc_lo, s18, v26
	v_add_co_ci_u32_e64 v27, null, s19, v27, vcc_lo
	v_mad_u64_u32 v[34:35], null, s17, v36, v[3:4]
	v_add_co_u32 v26, s0, v23, v28
	v_cmp_gt_i32_e32 vcc_lo, s15, v36
	v_add_co_ci_u32_e64 v27, null, v27, v29, s0
	s_mov_b32 s0, exec_lo
	v_cndmask_b32_e32 v22, 0, v22, vcc_lo
	v_cndmask_b32_e32 v23, 0, v34, vcc_lo
	flat_load_dwordx2 v[34:35], v[26:27]
	v_lshlrev_b64 v[22:23], 3, v[22:23]
	v_add_co_u32 v3, vcc_lo, s18, v22
	v_add_co_ci_u32_e64 v22, null, s19, v23, vcc_lo
	v_add_co_u32 v28, vcc_lo, v3, v28
	v_add_co_ci_u32_e64 v29, null, v22, v29, vcc_lo
	v_add_nc_u32_e32 v3, 32, v2
	flat_load_dwordx2 v[22:23], v[28:29]
	s_waitcnt vmcnt(3) lgkmcnt(3)
	v_fma_f64 v[10:11], v[12:13], v[30:31], v[10:11]
	s_waitcnt vmcnt(2) lgkmcnt(2)
	v_fma_f64 v[10:11], v[14:15], v[32:33], v[10:11]
	;; [unrolled: 2-line block ×3, first 2 shown]
	v_cmpx_gt_i32_e64 s14, v3
	s_cbranch_execz .LBB253_45
; %bb.40:
	s_clause 0x3
	flat_load_dwordx2 v[32:33], v[20:21] offset:256
	flat_load_dwordx2 v[34:35], v[24:25] offset:256
	;; [unrolled: 1-line block ×4, first 2 shown]
	v_add_nc_u32_e32 v3, 64, v2
	s_mov_b32 s2, exec_lo
	s_waitcnt vmcnt(3) lgkmcnt(3)
	v_fma_f64 v[8:9], v[12:13], v[32:33], v[8:9]
	s_waitcnt vmcnt(2) lgkmcnt(2)
	v_fma_f64 v[8:9], v[14:15], v[34:35], v[8:9]
	;; [unrolled: 2-line block ×3, first 2 shown]
	v_cmpx_gt_i32_e64 s14, v3
	s_cbranch_execz .LBB253_44
; %bb.41:
	s_clause 0x3
	flat_load_dwordx2 v[34:35], v[20:21] offset:512
	flat_load_dwordx2 v[36:37], v[24:25] offset:512
	;; [unrolled: 1-line block ×4, first 2 shown]
	v_add_nc_u32_e32 v2, 0x60, v2
	s_mov_b32 s3, exec_lo
	s_waitcnt vmcnt(3) lgkmcnt(3)
	v_fma_f64 v[6:7], v[12:13], v[34:35], v[6:7]
	s_waitcnt vmcnt(2) lgkmcnt(2)
	v_fma_f64 v[6:7], v[14:15], v[36:37], v[6:7]
	;; [unrolled: 2-line block ×3, first 2 shown]
	v_cmpx_gt_i32_e64 s14, v2
	s_cbranch_execz .LBB253_43
; %bb.42:
	s_clause 0x3
	flat_load_dwordx2 v[2:3], v[20:21] offset:768
	flat_load_dwordx2 v[20:21], v[24:25] offset:768
	;; [unrolled: 1-line block ×4, first 2 shown]
	s_waitcnt vmcnt(3) lgkmcnt(3)
	v_fma_f64 v[2:3], v[12:13], v[2:3], v[4:5]
	s_waitcnt vmcnt(2) lgkmcnt(2)
	v_fma_f64 v[2:3], v[14:15], v[20:21], v[2:3]
	;; [unrolled: 2-line block ×4, first 2 shown]
.LBB253_43:
	s_or_b32 exec_lo, exec_lo, s3
	s_waitcnt vmcnt(0) lgkmcnt(0)
	v_fma_f64 v[6:7], v[16:17], v[32:33], v[6:7]
.LBB253_44:
	s_or_b32 exec_lo, exec_lo, s2
	s_waitcnt vmcnt(0) lgkmcnt(0)
	v_fma_f64 v[8:9], v[16:17], v[30:31], v[8:9]
.LBB253_45:
	s_or_b32 exec_lo, exec_lo, s0
	s_waitcnt vmcnt(0) lgkmcnt(0)
	v_fma_f64 v[10:11], v[16:17], v[22:23], v[10:11]
.LBB253_46:
	s_or_b32 exec_lo, exec_lo, s1
.LBB253_47:
	v_lshlrev_b32_e32 v0, 3, v0
	s_mov_b32 s0, exec_lo
                                        ; implicit-def: $vgpr2_vgpr3
	v_lshl_add_u32 v1, v1, 10, v0
	ds_write2_b64 v1, v[10:11], v[8:9] offset1:32
	ds_write2_b64 v1, v[6:7], v[4:5] offset0:64 offset1:96
	s_waitcnt vmcnt(0) lgkmcnt(0)
	s_barrier
	buffer_gl0_inv
                                        ; implicit-def: $vgpr4_vgpr5
	v_cmpx_gt_u32_e32 0x80, v62
	s_cbranch_execz .LBB253_53
; %bb.48:
	v_lshl_add_u32 v7, v63, 3, v0
	v_or_b32_e32 v6, s30, v62
	s_mov_b32 s2, s29
	s_mov_b32 s1, exec_lo
	ds_read2st64_b64 v[0:3], v7 offset1:2
	s_waitcnt lgkmcnt(0)
	v_add_f64 v[4:5], v[0:1], v[2:3]
	ds_read2st64_b64 v[0:3], v7 offset0:4 offset1:6
	s_waitcnt lgkmcnt(0)
	v_add_f64 v[0:1], v[0:1], v[4:5]
	v_add_f64 v[4:5], v[2:3], v[0:1]
	ds_read2st64_b64 v[0:3], v7 offset0:8 offset1:10
	s_waitcnt lgkmcnt(0)
	v_add_f64 v[0:1], v[0:1], v[4:5]
	;; [unrolled: 4-line block ×7, first 2 shown]
                                        ; implicit-def: $vgpr4_vgpr5
	v_add_f64 v[0:1], v[2:3], v[0:1]
                                        ; implicit-def: $vgpr2_vgpr3
	ds_write_b64 v7, v[0:1]
	v_cmpx_gt_i32_e64 s14, v6
	s_cbranch_execz .LBB253_52
; %bb.49:
	v_cmp_eq_f64_e64 s2, s[8:9], 0
	v_mul_f64 v[2:3], s[10:11], v[0:1]
	v_ashrrev_i32_e32 v0, 31, v6
	v_mul_lo_u32 v1, s13, v6
	v_mad_u64_u32 v[4:5], null, s12, v6, 0
	v_mul_lo_u32 v0, s12, v0
	v_add3_u32 v5, v5, v0, v1
	s_and_b32 vcc_lo, exec_lo, s2
	s_cbranch_vccnz .LBB253_51
; %bb.50:
	v_lshlrev_b64 v[0:1], 3, v[4:5]
	v_add_co_u32 v0, vcc_lo, s5, v0
	v_add_co_ci_u32_e64 v1, null, s28, v1, vcc_lo
	flat_load_dwordx2 v[0:1], v[0:1]
	s_waitcnt vmcnt(0) lgkmcnt(0)
	v_fma_f64 v[2:3], s[8:9], v[0:1], v[2:3]
.LBB253_51:
	s_or_b32 s2, s29, exec_lo
.LBB253_52:
	s_or_b32 exec_lo, exec_lo, s1
	s_andn2_b32 s1, s29, exec_lo
	s_and_b32 s2, s2, exec_lo
	s_or_b32 s29, s1, s2
.LBB253_53:
	s_or_b32 exec_lo, exec_lo, s0
.LBB253_54:
	s_and_saveexec_b32 s0, s29
	s_cbranch_execz .LBB253_56
; %bb.55:
	v_lshlrev_b64 v[0:1], 3, v[4:5]
	v_add_co_u32 v0, vcc_lo, s5, v0
	v_add_co_ci_u32_e64 v1, null, s28, v1, vcc_lo
	flat_store_dwordx2 v[0:1], v[2:3]
.LBB253_56:
	s_endpgm
	.section	.rodata,"a",@progbits
	.p2align	6, 0x0
	.amdhsa_kernel _ZL20rocblas_gemvn_kernelILi32ELi16ElPKddKPdEviiT3_lPKT2_lT1_lS7_lS8_lS4_lPT4_lS8_li
		.amdhsa_group_segment_fixed_size 16384
		.amdhsa_private_segment_fixed_size 0
		.amdhsa_kernarg_size 400
		.amdhsa_user_sgpr_count 6
		.amdhsa_user_sgpr_private_segment_buffer 1
		.amdhsa_user_sgpr_dispatch_ptr 0
		.amdhsa_user_sgpr_queue_ptr 0
		.amdhsa_user_sgpr_kernarg_segment_ptr 1
		.amdhsa_user_sgpr_dispatch_id 0
		.amdhsa_user_sgpr_flat_scratch_init 0
		.amdhsa_user_sgpr_private_segment_size 0
		.amdhsa_wavefront_size32 1
		.amdhsa_uses_dynamic_stack 0
		.amdhsa_system_sgpr_private_segment_wavefront_offset 0
		.amdhsa_system_sgpr_workgroup_id_x 1
		.amdhsa_system_sgpr_workgroup_id_y 0
		.amdhsa_system_sgpr_workgroup_id_z 1
		.amdhsa_system_sgpr_workgroup_info 0
		.amdhsa_system_vgpr_workitem_id 1
		.amdhsa_next_free_vgpr 72
		.amdhsa_next_free_sgpr 37
		.amdhsa_reserve_vcc 1
		.amdhsa_reserve_flat_scratch 1
		.amdhsa_float_round_mode_32 0
		.amdhsa_float_round_mode_16_64 0
		.amdhsa_float_denorm_mode_32 3
		.amdhsa_float_denorm_mode_16_64 3
		.amdhsa_dx10_clamp 1
		.amdhsa_ieee_mode 1
		.amdhsa_fp16_overflow 0
		.amdhsa_workgroup_processor_mode 1
		.amdhsa_memory_ordered 1
		.amdhsa_forward_progress 1
		.amdhsa_shared_vgpr_count 0
		.amdhsa_exception_fp_ieee_invalid_op 0
		.amdhsa_exception_fp_denorm_src 0
		.amdhsa_exception_fp_ieee_div_zero 0
		.amdhsa_exception_fp_ieee_overflow 0
		.amdhsa_exception_fp_ieee_underflow 0
		.amdhsa_exception_fp_ieee_inexact 0
		.amdhsa_exception_int_div_zero 0
	.end_amdhsa_kernel
	.section	.text._ZL20rocblas_gemvn_kernelILi32ELi16ElPKddKPdEviiT3_lPKT2_lT1_lS7_lS8_lS4_lPT4_lS8_li,"axG",@progbits,_ZL20rocblas_gemvn_kernelILi32ELi16ElPKddKPdEviiT3_lPKT2_lT1_lS7_lS8_lS4_lPT4_lS8_li,comdat
.Lfunc_end253:
	.size	_ZL20rocblas_gemvn_kernelILi32ELi16ElPKddKPdEviiT3_lPKT2_lT1_lS7_lS8_lS4_lPT4_lS8_li, .Lfunc_end253-_ZL20rocblas_gemvn_kernelILi32ELi16ElPKddKPdEviiT3_lPKT2_lT1_lS7_lS8_lS4_lPT4_lS8_li
                                        ; -- End function
	.set _ZL20rocblas_gemvn_kernelILi32ELi16ElPKddKPdEviiT3_lPKT2_lT1_lS7_lS8_lS4_lPT4_lS8_li.num_vgpr, 72
	.set _ZL20rocblas_gemvn_kernelILi32ELi16ElPKddKPdEviiT3_lPKT2_lT1_lS7_lS8_lS4_lPT4_lS8_li.num_agpr, 0
	.set _ZL20rocblas_gemvn_kernelILi32ELi16ElPKddKPdEviiT3_lPKT2_lT1_lS7_lS8_lS4_lPT4_lS8_li.numbered_sgpr, 37
	.set _ZL20rocblas_gemvn_kernelILi32ELi16ElPKddKPdEviiT3_lPKT2_lT1_lS7_lS8_lS4_lPT4_lS8_li.num_named_barrier, 0
	.set _ZL20rocblas_gemvn_kernelILi32ELi16ElPKddKPdEviiT3_lPKT2_lT1_lS7_lS8_lS4_lPT4_lS8_li.private_seg_size, 0
	.set _ZL20rocblas_gemvn_kernelILi32ELi16ElPKddKPdEviiT3_lPKT2_lT1_lS7_lS8_lS4_lPT4_lS8_li.uses_vcc, 1
	.set _ZL20rocblas_gemvn_kernelILi32ELi16ElPKddKPdEviiT3_lPKT2_lT1_lS7_lS8_lS4_lPT4_lS8_li.uses_flat_scratch, 1
	.set _ZL20rocblas_gemvn_kernelILi32ELi16ElPKddKPdEviiT3_lPKT2_lT1_lS7_lS8_lS4_lPT4_lS8_li.has_dyn_sized_stack, 0
	.set _ZL20rocblas_gemvn_kernelILi32ELi16ElPKddKPdEviiT3_lPKT2_lT1_lS7_lS8_lS4_lPT4_lS8_li.has_recursion, 0
	.set _ZL20rocblas_gemvn_kernelILi32ELi16ElPKddKPdEviiT3_lPKT2_lT1_lS7_lS8_lS4_lPT4_lS8_li.has_indirect_call, 0
	.section	.AMDGPU.csdata,"",@progbits
; Kernel info:
; codeLenInByte = 3332
; TotalNumSgprs: 39
; NumVgprs: 72
; ScratchSize: 0
; MemoryBound: 1
; FloatMode: 240
; IeeeMode: 1
; LDSByteSize: 16384 bytes/workgroup (compile time only)
; SGPRBlocks: 0
; VGPRBlocks: 8
; NumSGPRsForWavesPerEU: 39
; NumVGPRsForWavesPerEU: 72
; Occupancy: 12
; WaveLimiterHint : 1
; COMPUTE_PGM_RSRC2:SCRATCH_EN: 0
; COMPUTE_PGM_RSRC2:USER_SGPR: 6
; COMPUTE_PGM_RSRC2:TRAP_HANDLER: 0
; COMPUTE_PGM_RSRC2:TGID_X_EN: 1
; COMPUTE_PGM_RSRC2:TGID_Y_EN: 0
; COMPUTE_PGM_RSRC2:TGID_Z_EN: 1
; COMPUTE_PGM_RSRC2:TIDIG_COMP_CNT: 1
	.section	.text._ZL20rocblas_gemvn_kernelILi64ELi16EiPKdS1_KPdEviiT3_lPKT2_lT1_lS7_lS8_lS4_lPT4_lS8_li,"axG",@progbits,_ZL20rocblas_gemvn_kernelILi64ELi16EiPKdS1_KPdEviiT3_lPKT2_lT1_lS7_lS8_lS4_lPT4_lS8_li,comdat
	.globl	_ZL20rocblas_gemvn_kernelILi64ELi16EiPKdS1_KPdEviiT3_lPKT2_lT1_lS7_lS8_lS4_lPT4_lS8_li ; -- Begin function _ZL20rocblas_gemvn_kernelILi64ELi16EiPKdS1_KPdEviiT3_lPKT2_lT1_lS7_lS8_lS4_lPT4_lS8_li
	.p2align	8
	.type	_ZL20rocblas_gemvn_kernelILi64ELi16EiPKdS1_KPdEviiT3_lPKT2_lT1_lS7_lS8_lS4_lPT4_lS8_li,@function
_ZL20rocblas_gemvn_kernelILi64ELi16EiPKdS1_KPdEviiT3_lPKT2_lT1_lS7_lS8_lS4_lPT4_lS8_li: ; @_ZL20rocblas_gemvn_kernelILi64ELi16EiPKdS1_KPdEviiT3_lPKT2_lT1_lS7_lS8_lS4_lPT4_lS8_li
; %bb.0:
	s_load_dwordx2 s[2:3], s[4:5], 0x9c
	s_waitcnt lgkmcnt(0)
	s_lshr_b32 s1, s2, 16
	s_and_b32 s2, s2, 0xffff
	s_and_b32 s3, s3, 0xffff
	s_mul_i32 s1, s1, s2
	s_mul_i32 s1, s1, s3
	s_cmpk_lg_i32 s1, 0x400
	s_cbranch_scc1 .LBB254_55
; %bb.1:
	s_clause 0x1
	s_load_dwordx8 s[16:23], s[4:5], 0x8
	s_load_dwordx8 s[8:15], s[4:5], 0x58
	s_mov_b32 s0, s7
	s_waitcnt lgkmcnt(0)
	s_mul_i32 s1, s19, s7
	s_mul_hi_u32 s3, s18, s7
	s_mul_i32 s2, s18, s7
	s_add_i32 s3, s3, s1
	s_mul_i32 s1, s11, s7
	s_lshl_b64 s[2:3], s[2:3], 3
	s_mul_hi_u32 s7, s10, s7
	s_add_u32 s2, s16, s2
	s_addc_u32 s3, s17, s3
	s_add_i32 s11, s7, s1
	s_mul_i32 s10, s10, s0
	s_mov_b64 s[16:17], 0
	s_lshl_b64 s[10:11], s[10:11], 3
	s_add_u32 s8, s8, s10
	s_addc_u32 s9, s9, s11
	s_load_dwordx2 s[10:11], s[2:3], 0x0
	s_load_dwordx2 s[8:9], s[8:9], 0x0
	s_waitcnt lgkmcnt(0)
	v_cmp_eq_f64_e64 s2, s[10:11], 0
	v_cmp_eq_f64_e64 s1, s[8:9], 1.0
	s_and_b32 s1, s2, s1
	s_and_b32 vcc_lo, exec_lo, s1
	s_cbranch_vccnz .LBB254_55
; %bb.2:
	v_cmp_neq_f64_e64 s3, s[10:11], 0
	s_and_b32 vcc_lo, exec_lo, s2
	s_mov_b32 s1, 0
	s_cbranch_vccnz .LBB254_4
; %bb.3:
	s_lshl_b64 s[16:17], s[0:1], 3
	s_add_u32 s16, s20, s16
	s_addc_u32 s17, s21, s17
	s_lshl_b64 s[18:19], s[22:23], 3
	s_load_dwordx2 s[16:17], s[16:17], 0x0
	s_waitcnt lgkmcnt(0)
	s_add_u32 s16, s16, s18
	s_addc_u32 s17, s17, s19
.LBB254_4:
	s_andn2_b32 vcc_lo, exec_lo, s3
	s_cbranch_vccnz .LBB254_6
; %bb.5:
	s_load_dwordx4 s[20:23], s[4:5], 0x38
	s_lshl_b64 s[18:19], s[0:1], 3
	s_waitcnt lgkmcnt(0)
	s_add_u32 s18, s20, s18
	s_addc_u32 s19, s21, s19
	s_lshl_b64 s[20:21], s[22:23], 3
	s_load_dwordx2 s[18:19], s[18:19], 0x0
	s_waitcnt lgkmcnt(0)
	s_add_u32 s18, s18, s20
	s_addc_u32 s19, s19, s21
	s_branch .LBB254_7
.LBB254_6:
	s_mov_b64 s[18:19], 0
.LBB254_7:
	s_lshl_b64 s[0:1], s[0:1], 3
	v_lshlrev_b32_e32 v54, 6, v1
	s_add_u32 s0, s12, s0
	s_addc_u32 s1, s13, s1
	s_lshl_b64 s[14:15], s[14:15], 3
	s_load_dwordx2 s[22:23], s[0:1], 0x0
	s_clause 0x1
	s_load_dwordx2 s[12:13], s[4:5], 0x0
	s_load_dword s20, s[4:5], 0x78
	v_add_nc_u32_e32 v53, v54, v0
	v_cmp_gt_u32_e64 s0, 0x100, v53
	s_waitcnt lgkmcnt(0)
	s_add_u32 s7, s22, s14
	s_addc_u32 s14, s23, s15
	s_andn2_b32 vcc_lo, exec_lo, s2
	s_cbranch_vccnz .LBB254_14
; %bb.8:
	s_mov_b32 s1, 0
	s_mov_b32 s15, 0
                                        ; implicit-def: $vgpr4_vgpr5
                                        ; implicit-def: $vgpr2_vgpr3
	s_and_saveexec_b32 s2, s0
	s_cbranch_execz .LBB254_15
; %bb.9:
	v_lshl_or_b32 v6, s6, 8, v53
	v_mov_b32_e32 v7, 0
	s_ashr_i32 s23, s12, 31
	s_mov_b32 s22, s12
	s_mov_b32 s3, 0
	s_mov_b32 s0, exec_lo
                                        ; implicit-def: $vgpr4_vgpr5
                                        ; implicit-def: $vgpr2_vgpr3
	v_cmpx_gt_i64_e64 s[22:23], v[6:7]
	s_cbranch_execz .LBB254_13
; %bb.10:
	v_cmp_eq_f64_e64 s3, s[8:9], 0
	v_mad_u64_u32 v[2:3], null, s20, v6, 0
	s_ashr_i32 s15, s20, 31
	v_mad_u64_u32 v[3:4], null, s15, v6, v[3:4]
	v_mov_b32_e32 v4, 0
	v_mov_b32_e32 v5, 0
	s_and_b32 vcc_lo, exec_lo, s3
	s_cbranch_vccnz .LBB254_12
; %bb.11:
	v_lshlrev_b64 v[4:5], 3, v[2:3]
	v_add_co_u32 v4, vcc_lo, s7, v4
	v_add_co_ci_u32_e64 v5, null, s14, v5, vcc_lo
	flat_load_dwordx2 v[4:5], v[4:5]
	s_waitcnt vmcnt(0) lgkmcnt(0)
	v_mul_f64 v[4:5], s[8:9], v[4:5]
.LBB254_12:
	s_mov_b32 s3, exec_lo
.LBB254_13:
	s_or_b32 exec_lo, exec_lo, s0
	s_and_b32 s15, s3, exec_lo
	s_or_b32 exec_lo, exec_lo, s2
	s_and_b32 vcc_lo, exec_lo, s1
	s_cbranch_vccnz .LBB254_16
	s_branch .LBB254_53
.LBB254_14:
	s_mov_b32 s15, 0
                                        ; implicit-def: $vgpr4_vgpr5
                                        ; implicit-def: $vgpr2_vgpr3
	s_cbranch_execnz .LBB254_16
	s_branch .LBB254_53
.LBB254_15:
	s_or_b32 exec_lo, exec_lo, s2
	s_and_b32 vcc_lo, exec_lo, s1
	s_cbranch_vccz .LBB254_53
.LBB254_16:
	s_clause 0x1
	s_load_dword s21, s[4:5], 0x28
	s_load_dword s4, s[4:5], 0x48
	s_ashr_i32 s0, s13, 31
	s_lshl_b32 s5, s6, 8
	s_lshr_b32 s0, s0, 26
	v_mov_b32_e32 v8, 0
	v_mov_b32_e32 v6, 0
	;; [unrolled: 1-line block ×4, first 2 shown]
	v_add_nc_u32_e32 v55, s5, v0
	v_lshlrev_b32_e32 v56, 2, v1
	v_mov_b32_e32 v9, 0
	v_mov_b32_e32 v7, 0
	;; [unrolled: 1-line block ×4, first 2 shown]
	s_add_i32 s6, s13, s0
	s_mov_b32 s22, exec_lo
	s_andn2_b32 s6, s6, 63
	v_cmpx_gt_i32_e64 s6, v56
	s_cbranch_execz .LBB254_28
; %bb.17:
	v_add_nc_u32_e32 v2, 64, v55
	v_add_nc_u32_e32 v3, 0x80, v55
	;; [unrolled: 1-line block ×3, first 2 shown]
	s_waitcnt lgkmcnt(0)
	v_mul_lo_u32 v5, s21, v56
	v_mul_lo_u32 v14, v1, s4
	v_cmp_gt_i32_e64 s0, s12, v2
	v_add_nc_u32_e32 v2, 2, v56
	v_cmp_gt_i32_e64 s1, s12, v3
	v_cmp_gt_i32_e64 s2, s12, v4
	v_mul_lo_u32 v3, v1, s21
	v_add_nc_u32_e32 v4, 3, v56
	v_mad_u64_u32 v[10:11], null, s21, v2, v[0:1]
	v_mul_lo_u32 v59, s4, v2
	v_add3_u32 v57, v5, s21, v0
	v_mad_u64_u32 v[11:12], null, s21, v4, v[0:1]
	v_mad_u64_u32 v[12:13], null, s4, v56, s[4:5]
	v_mul_lo_u32 v60, s4, v4
	v_lshl_add_u32 v58, v3, 2, v0
	v_mov_b32_e32 v8, 0
	v_mov_b32_e32 v6, 0
	;; [unrolled: 1-line block ×8, first 2 shown]
	v_lshlrev_b32_e32 v61, 2, v14
	s_lshl_b32 s23, s21, 6
	s_lshl_b32 s25, s4, 6
	s_mov_b32 s24, 0
	s_mov_b32 s26, 0
	v_cmp_gt_i32_e32 vcc_lo, s12, v55
	s_branch .LBB254_22
.LBB254_18:                             ;   in Loop: Header=BB254_22 Depth=1
	s_or_b32 exec_lo, exec_lo, s29
	s_waitcnt vmcnt(3) lgkmcnt(3)
	v_fma_f64 v[4:5], v[13:14], v[45:46], v[4:5]
	s_waitcnt vmcnt(2) lgkmcnt(2)
	v_fma_f64 v[4:5], v[15:16], v[47:48], v[4:5]
	;; [unrolled: 2-line block ×4, first 2 shown]
.LBB254_19:                             ;   in Loop: Header=BB254_22 Depth=1
	s_or_b32 exec_lo, exec_lo, s28
	s_waitcnt vmcnt(3) lgkmcnt(3)
	v_fma_f64 v[6:7], v[13:14], v[37:38], v[6:7]
	s_waitcnt vmcnt(2) lgkmcnt(2)
	v_fma_f64 v[6:7], v[15:16], v[39:40], v[6:7]
	;; [unrolled: 2-line block ×4, first 2 shown]
.LBB254_20:                             ;   in Loop: Header=BB254_22 Depth=1
	s_or_b32 exec_lo, exec_lo, s3
	s_waitcnt vmcnt(3) lgkmcnt(3)
	v_fma_f64 v[8:9], v[13:14], v[21:22], v[8:9]
	s_waitcnt vmcnt(2) lgkmcnt(2)
	v_fma_f64 v[8:9], v[15:16], v[23:24], v[8:9]
	;; [unrolled: 2-line block ×4, first 2 shown]
.LBB254_21:                             ;   in Loop: Header=BB254_22 Depth=1
	s_or_b32 exec_lo, exec_lo, s27
	v_add_nc_u32_e32 v56, 64, v56
	v_add_nc_u32_e32 v57, s23, v57
	v_add_nc_u32_e32 v10, s23, v10
	v_add_nc_u32_e32 v11, s23, v11
	v_add_nc_u32_e32 v58, s23, v58
	v_cmp_le_i32_e64 s3, s6, v56
	s_add_i32 s26, s26, s25
	s_or_b32 s24, s3, s24
	s_andn2_b32 exec_lo, exec_lo, s24
	s_cbranch_execz .LBB254_27
.LBB254_22:                             ; =>This Inner Loop Header: Depth=1
	s_and_saveexec_b32 s27, vcc_lo
	s_cbranch_execz .LBB254_21
; %bb.23:                               ;   in Loop: Header=BB254_22 Depth=1
	v_add_nc_u32_e32 v13, s26, v61
	v_add_nc_u32_e32 v15, s26, v12
	;; [unrolled: 1-line block ×5, first 2 shown]
	v_ashrrev_i32_e32 v14, 31, v13
	v_ashrrev_i32_e32 v16, 31, v15
	;; [unrolled: 1-line block ×3, first 2 shown]
	v_add_nc_u32_e32 v23, s5, v57
	v_ashrrev_i32_e32 v20, 31, v19
	v_lshlrev_b64 v[13:14], 3, v[13:14]
	v_lshlrev_b64 v[15:16], 3, v[15:16]
	v_ashrrev_i32_e32 v22, 31, v21
	v_lshlrev_b64 v[17:18], 3, v[17:18]
	v_ashrrev_i32_e32 v24, 31, v23
	v_lshlrev_b64 v[19:20], 3, v[19:20]
	v_add_co_u32 v13, s3, s18, v13
	v_add_nc_u32_e32 v25, s5, v10
	v_add_co_ci_u32_e64 v14, null, s19, v14, s3
	v_add_co_u32 v15, s3, s18, v15
	v_lshlrev_b64 v[21:22], 3, v[21:22]
	v_add_nc_u32_e32 v27, s5, v11
	v_add_co_ci_u32_e64 v16, null, s19, v16, s3
	v_add_co_u32 v17, s3, s18, v17
	v_lshlrev_b64 v[23:24], 3, v[23:24]
	v_ashrrev_i32_e32 v26, 31, v25
	v_add_co_ci_u32_e64 v18, null, s19, v18, s3
	v_add_co_u32 v19, s3, s18, v19
	v_ashrrev_i32_e32 v28, 31, v27
	v_add_co_ci_u32_e64 v20, null, s19, v20, s3
	v_add_co_u32 v29, s3, s16, v21
	v_add_co_ci_u32_e64 v30, null, s17, v22, s3
	v_lshlrev_b64 v[21:22], 3, v[25:26]
	v_add_co_u32 v31, s3, s16, v23
	v_add_co_ci_u32_e64 v32, null, s17, v24, s3
	v_lshlrev_b64 v[23:24], 3, v[27:28]
	v_add_co_u32 v33, s3, s16, v21
	v_add_co_ci_u32_e64 v34, null, s17, v22, s3
	v_add_co_u32 v35, s3, s16, v23
	v_add_co_ci_u32_e64 v36, null, s17, v24, s3
	s_clause 0x3
	flat_load_dwordx2 v[13:14], v[13:14]
	flat_load_dwordx2 v[15:16], v[15:16]
	flat_load_dwordx2 v[17:18], v[17:18]
	flat_load_dwordx2 v[19:20], v[19:20]
	s_clause 0x3
	flat_load_dwordx2 v[21:22], v[29:30]
	flat_load_dwordx2 v[23:24], v[31:32]
	;; [unrolled: 1-line block ×4, first 2 shown]
	s_and_saveexec_b32 s3, s0
	s_cbranch_execz .LBB254_20
; %bb.24:                               ;   in Loop: Header=BB254_22 Depth=1
	s_clause 0x3
	flat_load_dwordx2 v[37:38], v[29:30] offset:512
	flat_load_dwordx2 v[39:40], v[31:32] offset:512
	flat_load_dwordx2 v[41:42], v[33:34] offset:512
	flat_load_dwordx2 v[43:44], v[35:36] offset:512
	s_and_saveexec_b32 s28, s1
	s_cbranch_execz .LBB254_19
; %bb.25:                               ;   in Loop: Header=BB254_22 Depth=1
	s_clause 0x3
	flat_load_dwordx2 v[45:46], v[29:30] offset:1024
	flat_load_dwordx2 v[47:48], v[31:32] offset:1024
	flat_load_dwordx2 v[49:50], v[33:34] offset:1024
	flat_load_dwordx2 v[51:52], v[35:36] offset:1024
	;; [unrolled: 8-line block ×3, first 2 shown]
	s_waitcnt vmcnt(3) lgkmcnt(3)
	v_fma_f64 v[2:3], v[13:14], v[29:30], v[2:3]
	s_waitcnt vmcnt(2) lgkmcnt(2)
	v_fma_f64 v[2:3], v[15:16], v[31:32], v[2:3]
	;; [unrolled: 2-line block ×4, first 2 shown]
	s_branch .LBB254_18
.LBB254_27:
	s_or_b32 exec_lo, exec_lo, s24
.LBB254_28:
	s_or_b32 exec_lo, exec_lo, s22
	s_sub_i32 s0, s13, s6
	s_cmp_lt_i32 s0, 1
	s_cbranch_scc1 .LBB254_46
; %bb.29:
	v_mov_b32_e32 v14, 0
	v_mov_b32_e32 v16, 0
	;; [unrolled: 1-line block ×4, first 2 shown]
	v_cmp_gt_i32_e32 vcc_lo, s13, v56
	v_mov_b32_e32 v15, 0
	v_mov_b32_e32 v17, 0
	;; [unrolled: 1-line block ×4, first 2 shown]
	v_or_b32_e32 v18, 1, v56
	s_and_saveexec_b32 s1, vcc_lo
	s_cbranch_execz .LBB254_37
; %bb.30:
	s_waitcnt lgkmcnt(0)
	v_mul_lo_u32 v10, v56, s4
	v_mov_b32_e32 v12, 0
	v_mov_b32_e32 v16, 0
	;; [unrolled: 1-line block ×6, first 2 shown]
	s_mov_b32 s2, exec_lo
	v_ashrrev_i32_e32 v11, 31, v10
	v_lshlrev_b64 v[10:11], 3, v[10:11]
	v_add_co_u32 v10, s0, s18, v10
	v_add_co_ci_u32_e64 v11, null, s19, v11, s0
	flat_load_dwordx2 v[10:11], v[10:11]
	v_cmpx_gt_i32_e64 s13, v18
	s_cbranch_execz .LBB254_36
; %bb.31:
	v_mul_lo_u32 v12, v18, s4
	v_mov_b32_e32 v16, 0
	v_mov_b32_e32 v14, 0
	v_or_b32_e32 v19, 2, v56
	v_mov_b32_e32 v17, 0
	v_mov_b32_e32 v15, 0
	s_mov_b32 s3, exec_lo
	v_ashrrev_i32_e32 v13, 31, v12
	v_lshlrev_b64 v[12:13], 3, v[12:13]
	v_add_co_u32 v12, s0, s18, v12
	v_add_co_ci_u32_e64 v13, null, s19, v13, s0
	flat_load_dwordx2 v[12:13], v[12:13]
	v_cmpx_gt_i32_e64 s13, v19
	s_cbranch_execz .LBB254_35
; %bb.32:
	v_mul_lo_u32 v14, v19, s4
	v_or_b32_e32 v19, 3, v56
	s_mov_b32 s6, exec_lo
	v_ashrrev_i32_e32 v15, 31, v14
	v_lshlrev_b64 v[14:15], 3, v[14:15]
	v_add_co_u32 v14, s0, s18, v14
	v_add_co_ci_u32_e64 v15, null, s19, v15, s0
	flat_load_dwordx2 v[16:17], v[14:15]
	v_mov_b32_e32 v14, 0
	v_mov_b32_e32 v15, 0
	v_cmpx_gt_i32_e64 s13, v19
	s_cbranch_execz .LBB254_34
; %bb.33:
	v_mul_lo_u32 v14, v19, s4
	v_ashrrev_i32_e32 v15, 31, v14
	v_lshlrev_b64 v[14:15], 3, v[14:15]
	v_add_co_u32 v14, s0, s18, v14
	v_add_co_ci_u32_e64 v15, null, s19, v15, s0
	flat_load_dwordx2 v[14:15], v[14:15]
.LBB254_34:
	s_or_b32 exec_lo, exec_lo, s6
.LBB254_35:
	s_or_b32 exec_lo, exec_lo, s3
.LBB254_36:
	s_or_b32 exec_lo, exec_lo, s2
.LBB254_37:
	s_or_b32 exec_lo, exec_lo, s1
	s_mov_b32 s1, exec_lo
	v_cmpx_gt_i32_e64 s12, v55
	s_cbranch_execz .LBB254_45
; %bb.38:
	s_waitcnt lgkmcnt(0)
	v_mul_lo_u32 v19, v56, s21
	v_mul_lo_u32 v21, v18, s21
	v_or_b32_e32 v22, 2, v56
	v_or_b32_e32 v24, 3, v56
	s_mov_b32 s0, exec_lo
	v_mul_lo_u32 v23, v22, s21
	v_cndmask_b32_e32 v19, 0, v19, vcc_lo
	v_cmp_gt_i32_e32 vcc_lo, s13, v18
	v_mul_lo_u32 v25, v24, s21
	v_add_nc_u32_e32 v19, v19, v55
	v_cndmask_b32_e32 v21, 0, v21, vcc_lo
	v_ashrrev_i32_e32 v20, 31, v19
	v_lshlrev_b64 v[19:20], 3, v[19:20]
	v_add_co_u32 v18, vcc_lo, s16, v19
	v_add_co_ci_u32_e64 v19, null, s17, v20, vcc_lo
	v_add_nc_u32_e32 v20, v21, v55
	flat_load_dwordx2 v[28:29], v[18:19]
	v_ashrrev_i32_e32 v21, 31, v20
	v_lshlrev_b64 v[20:21], 3, v[20:21]
	v_add_co_u32 v20, vcc_lo, s16, v20
	v_add_co_ci_u32_e64 v21, null, s17, v21, vcc_lo
	v_cmp_gt_i32_e32 vcc_lo, s13, v22
	flat_load_dwordx2 v[30:31], v[20:21]
	v_cndmask_b32_e32 v22, 0, v23, vcc_lo
	v_cmp_gt_i32_e32 vcc_lo, s13, v24
	v_add_nc_u32_e32 v22, v22, v55
	v_cndmask_b32_e32 v26, 0, v25, vcc_lo
	v_ashrrev_i32_e32 v23, 31, v22
	v_lshlrev_b64 v[22:23], 3, v[22:23]
	v_add_co_u32 v24, vcc_lo, s16, v22
	v_add_co_ci_u32_e64 v25, null, s17, v23, vcc_lo
	v_add_nc_u32_e32 v22, v26, v55
	flat_load_dwordx2 v[32:33], v[24:25]
	v_ashrrev_i32_e32 v23, 31, v22
	v_lshlrev_b64 v[22:23], 3, v[22:23]
	v_add_co_u32 v26, vcc_lo, s16, v22
	v_add_co_ci_u32_e64 v27, null, s17, v23, vcc_lo
	flat_load_dwordx2 v[22:23], v[26:27]
	s_waitcnt vmcnt(3) lgkmcnt(3)
	v_fma_f64 v[8:9], v[10:11], v[28:29], v[8:9]
	v_add_nc_u32_e32 v28, 64, v55
	s_waitcnt vmcnt(2) lgkmcnt(2)
	v_fma_f64 v[8:9], v[12:13], v[30:31], v[8:9]
	s_waitcnt vmcnt(1) lgkmcnt(1)
	v_fma_f64 v[8:9], v[16:17], v[32:33], v[8:9]
	v_cmpx_gt_i32_e64 s12, v28
	s_cbranch_execz .LBB254_44
; %bb.39:
	s_clause 0x3
	flat_load_dwordx2 v[30:31], v[18:19] offset:512
	flat_load_dwordx2 v[32:33], v[20:21] offset:512
	;; [unrolled: 1-line block ×4, first 2 shown]
	s_mov_b32 s2, exec_lo
	s_waitcnt vmcnt(3) lgkmcnt(3)
	v_fma_f64 v[6:7], v[10:11], v[30:31], v[6:7]
	v_add_nc_u32_e32 v30, 0x80, v55
	s_waitcnt vmcnt(2) lgkmcnt(2)
	v_fma_f64 v[6:7], v[12:13], v[32:33], v[6:7]
	s_waitcnt vmcnt(1) lgkmcnt(1)
	v_fma_f64 v[6:7], v[16:17], v[34:35], v[6:7]
	v_cmpx_gt_i32_e64 s12, v30
	s_cbranch_execz .LBB254_43
; %bb.40:
	s_clause 0x3
	flat_load_dwordx2 v[32:33], v[18:19] offset:1024
	flat_load_dwordx2 v[34:35], v[20:21] offset:1024
	;; [unrolled: 1-line block ×4, first 2 shown]
	s_mov_b32 s3, exec_lo
	s_waitcnt vmcnt(3) lgkmcnt(3)
	v_fma_f64 v[4:5], v[10:11], v[32:33], v[4:5]
	v_add_nc_u32_e32 v32, 0xc0, v55
	s_waitcnt vmcnt(2) lgkmcnt(2)
	v_fma_f64 v[4:5], v[12:13], v[34:35], v[4:5]
	s_waitcnt vmcnt(1) lgkmcnt(1)
	v_fma_f64 v[4:5], v[16:17], v[36:37], v[4:5]
	v_cmpx_gt_i32_e64 s12, v32
	s_cbranch_execz .LBB254_42
; %bb.41:
	s_clause 0x3
	flat_load_dwordx2 v[18:19], v[18:19] offset:1536
	flat_load_dwordx2 v[20:21], v[20:21] offset:1536
	;; [unrolled: 1-line block ×4, first 2 shown]
	s_waitcnt vmcnt(3) lgkmcnt(3)
	v_fma_f64 v[2:3], v[10:11], v[18:19], v[2:3]
	s_waitcnt vmcnt(2) lgkmcnt(2)
	v_fma_f64 v[2:3], v[12:13], v[20:21], v[2:3]
	;; [unrolled: 2-line block ×4, first 2 shown]
.LBB254_42:
	s_or_b32 exec_lo, exec_lo, s3
	s_waitcnt vmcnt(0) lgkmcnt(0)
	v_fma_f64 v[4:5], v[14:15], v[30:31], v[4:5]
.LBB254_43:
	s_or_b32 exec_lo, exec_lo, s2
	s_waitcnt vmcnt(0) lgkmcnt(0)
	v_fma_f64 v[6:7], v[14:15], v[28:29], v[6:7]
.LBB254_44:
	s_or_b32 exec_lo, exec_lo, s0
	s_waitcnt vmcnt(0) lgkmcnt(0)
	v_fma_f64 v[8:9], v[14:15], v[22:23], v[8:9]
.LBB254_45:
	s_or_b32 exec_lo, exec_lo, s1
.LBB254_46:
	v_lshlrev_b32_e32 v0, 3, v0
	s_mov_b32 s0, exec_lo
	v_lshl_add_u32 v1, v1, 11, v0
	ds_write2st64_b64 v1, v[8:9], v[6:7] offset1:1
	ds_write2st64_b64 v1, v[4:5], v[2:3] offset0:2 offset1:3
	s_waitcnt vmcnt(0) lgkmcnt(0)
	s_barrier
	buffer_gl0_inv
                                        ; implicit-def: $vgpr4_vgpr5
                                        ; implicit-def: $vgpr2_vgpr3
	v_cmpx_gt_u32_e32 0x100, v53
	s_cbranch_execz .LBB254_52
; %bb.47:
	v_lshl_add_u32 v7, v54, 3, v0
	v_or_b32_e32 v6, s5, v53
	s_mov_b32 s2, s15
	s_mov_b32 s1, exec_lo
	ds_read2st64_b64 v[0:3], v7 offset1:4
	s_waitcnt lgkmcnt(0)
	v_add_f64 v[4:5], v[0:1], v[2:3]
	ds_read2st64_b64 v[0:3], v7 offset0:8 offset1:12
	s_waitcnt lgkmcnt(0)
	v_add_f64 v[0:1], v[0:1], v[4:5]
	v_add_f64 v[4:5], v[2:3], v[0:1]
	ds_read2st64_b64 v[0:3], v7 offset0:16 offset1:20
	s_waitcnt lgkmcnt(0)
	v_add_f64 v[0:1], v[0:1], v[4:5]
	;; [unrolled: 4-line block ×7, first 2 shown]
                                        ; implicit-def: $vgpr4_vgpr5
	v_add_f64 v[0:1], v[2:3], v[0:1]
                                        ; implicit-def: $vgpr2_vgpr3
	ds_write_b64 v7, v[0:1]
	v_cmpx_gt_i32_e64 s12, v6
	s_cbranch_execz .LBB254_51
; %bb.48:
	v_cmp_eq_f64_e64 s2, s[8:9], 0
	v_mul_f64 v[4:5], s[10:11], v[0:1]
	v_mul_lo_u32 v2, s20, v6
	v_ashrrev_i32_e32 v3, 31, v2
	s_and_b32 vcc_lo, exec_lo, s2
	s_cbranch_vccnz .LBB254_50
; %bb.49:
	v_lshlrev_b64 v[0:1], 3, v[2:3]
	v_add_co_u32 v0, vcc_lo, s7, v0
	v_add_co_ci_u32_e64 v1, null, s14, v1, vcc_lo
	flat_load_dwordx2 v[0:1], v[0:1]
	s_waitcnt vmcnt(0) lgkmcnt(0)
	v_fma_f64 v[4:5], s[8:9], v[0:1], v[4:5]
.LBB254_50:
	s_or_b32 s2, s15, exec_lo
.LBB254_51:
	s_or_b32 exec_lo, exec_lo, s1
	s_andn2_b32 s1, s15, exec_lo
	s_and_b32 s2, s2, exec_lo
	s_or_b32 s15, s1, s2
.LBB254_52:
	s_or_b32 exec_lo, exec_lo, s0
.LBB254_53:
	s_and_saveexec_b32 s0, s15
	s_cbranch_execz .LBB254_55
; %bb.54:
	v_lshlrev_b64 v[0:1], 3, v[2:3]
	v_add_co_u32 v0, vcc_lo, s7, v0
	v_add_co_ci_u32_e64 v1, null, s14, v1, vcc_lo
	flat_store_dwordx2 v[0:1], v[4:5]
.LBB254_55:
	s_endpgm
	.section	.rodata,"a",@progbits
	.p2align	6, 0x0
	.amdhsa_kernel _ZL20rocblas_gemvn_kernelILi64ELi16EiPKdS1_KPdEviiT3_lPKT2_lT1_lS7_lS8_lS4_lPT4_lS8_li
		.amdhsa_group_segment_fixed_size 32768
		.amdhsa_private_segment_fixed_size 0
		.amdhsa_kernarg_size 400
		.amdhsa_user_sgpr_count 6
		.amdhsa_user_sgpr_private_segment_buffer 1
		.amdhsa_user_sgpr_dispatch_ptr 0
		.amdhsa_user_sgpr_queue_ptr 0
		.amdhsa_user_sgpr_kernarg_segment_ptr 1
		.amdhsa_user_sgpr_dispatch_id 0
		.amdhsa_user_sgpr_flat_scratch_init 0
		.amdhsa_user_sgpr_private_segment_size 0
		.amdhsa_wavefront_size32 1
		.amdhsa_uses_dynamic_stack 0
		.amdhsa_system_sgpr_private_segment_wavefront_offset 0
		.amdhsa_system_sgpr_workgroup_id_x 1
		.amdhsa_system_sgpr_workgroup_id_y 0
		.amdhsa_system_sgpr_workgroup_id_z 1
		.amdhsa_system_sgpr_workgroup_info 0
		.amdhsa_system_vgpr_workitem_id 1
		.amdhsa_next_free_vgpr 62
		.amdhsa_next_free_sgpr 30
		.amdhsa_reserve_vcc 1
		.amdhsa_reserve_flat_scratch 1
		.amdhsa_float_round_mode_32 0
		.amdhsa_float_round_mode_16_64 0
		.amdhsa_float_denorm_mode_32 3
		.amdhsa_float_denorm_mode_16_64 3
		.amdhsa_dx10_clamp 1
		.amdhsa_ieee_mode 1
		.amdhsa_fp16_overflow 0
		.amdhsa_workgroup_processor_mode 1
		.amdhsa_memory_ordered 1
		.amdhsa_forward_progress 1
		.amdhsa_shared_vgpr_count 0
		.amdhsa_exception_fp_ieee_invalid_op 0
		.amdhsa_exception_fp_denorm_src 0
		.amdhsa_exception_fp_ieee_div_zero 0
		.amdhsa_exception_fp_ieee_overflow 0
		.amdhsa_exception_fp_ieee_underflow 0
		.amdhsa_exception_fp_ieee_inexact 0
		.amdhsa_exception_int_div_zero 0
	.end_amdhsa_kernel
	.section	.text._ZL20rocblas_gemvn_kernelILi64ELi16EiPKdS1_KPdEviiT3_lPKT2_lT1_lS7_lS8_lS4_lPT4_lS8_li,"axG",@progbits,_ZL20rocblas_gemvn_kernelILi64ELi16EiPKdS1_KPdEviiT3_lPKT2_lT1_lS7_lS8_lS4_lPT4_lS8_li,comdat
.Lfunc_end254:
	.size	_ZL20rocblas_gemvn_kernelILi64ELi16EiPKdS1_KPdEviiT3_lPKT2_lT1_lS7_lS8_lS4_lPT4_lS8_li, .Lfunc_end254-_ZL20rocblas_gemvn_kernelILi64ELi16EiPKdS1_KPdEviiT3_lPKT2_lT1_lS7_lS8_lS4_lPT4_lS8_li
                                        ; -- End function
	.set _ZL20rocblas_gemvn_kernelILi64ELi16EiPKdS1_KPdEviiT3_lPKT2_lT1_lS7_lS8_lS4_lPT4_lS8_li.num_vgpr, 62
	.set _ZL20rocblas_gemvn_kernelILi64ELi16EiPKdS1_KPdEviiT3_lPKT2_lT1_lS7_lS8_lS4_lPT4_lS8_li.num_agpr, 0
	.set _ZL20rocblas_gemvn_kernelILi64ELi16EiPKdS1_KPdEviiT3_lPKT2_lT1_lS7_lS8_lS4_lPT4_lS8_li.numbered_sgpr, 30
	.set _ZL20rocblas_gemvn_kernelILi64ELi16EiPKdS1_KPdEviiT3_lPKT2_lT1_lS7_lS8_lS4_lPT4_lS8_li.num_named_barrier, 0
	.set _ZL20rocblas_gemvn_kernelILi64ELi16EiPKdS1_KPdEviiT3_lPKT2_lT1_lS7_lS8_lS4_lPT4_lS8_li.private_seg_size, 0
	.set _ZL20rocblas_gemvn_kernelILi64ELi16EiPKdS1_KPdEviiT3_lPKT2_lT1_lS7_lS8_lS4_lPT4_lS8_li.uses_vcc, 1
	.set _ZL20rocblas_gemvn_kernelILi64ELi16EiPKdS1_KPdEviiT3_lPKT2_lT1_lS7_lS8_lS4_lPT4_lS8_li.uses_flat_scratch, 1
	.set _ZL20rocblas_gemvn_kernelILi64ELi16EiPKdS1_KPdEviiT3_lPKT2_lT1_lS7_lS8_lS4_lPT4_lS8_li.has_dyn_sized_stack, 0
	.set _ZL20rocblas_gemvn_kernelILi64ELi16EiPKdS1_KPdEviiT3_lPKT2_lT1_lS7_lS8_lS4_lPT4_lS8_li.has_recursion, 0
	.set _ZL20rocblas_gemvn_kernelILi64ELi16EiPKdS1_KPdEviiT3_lPKT2_lT1_lS7_lS8_lS4_lPT4_lS8_li.has_indirect_call, 0
	.section	.AMDGPU.csdata,"",@progbits
; Kernel info:
; codeLenInByte = 3064
; TotalNumSgprs: 32
; NumVgprs: 62
; ScratchSize: 0
; MemoryBound: 0
; FloatMode: 240
; IeeeMode: 1
; LDSByteSize: 32768 bytes/workgroup (compile time only)
; SGPRBlocks: 0
; VGPRBlocks: 7
; NumSGPRsForWavesPerEU: 32
; NumVGPRsForWavesPerEU: 62
; Occupancy: 16
; WaveLimiterHint : 1
; COMPUTE_PGM_RSRC2:SCRATCH_EN: 0
; COMPUTE_PGM_RSRC2:USER_SGPR: 6
; COMPUTE_PGM_RSRC2:TRAP_HANDLER: 0
; COMPUTE_PGM_RSRC2:TGID_X_EN: 1
; COMPUTE_PGM_RSRC2:TGID_Y_EN: 0
; COMPUTE_PGM_RSRC2:TGID_Z_EN: 1
; COMPUTE_PGM_RSRC2:TIDIG_COMP_CNT: 1
	.section	.text._ZL20rocblas_gemvn_kernelILi64ELi16ElPKdS1_KPdEviiT3_lPKT2_lT1_lS7_lS8_lS4_lPT4_lS8_li,"axG",@progbits,_ZL20rocblas_gemvn_kernelILi64ELi16ElPKdS1_KPdEviiT3_lPKT2_lT1_lS7_lS8_lS4_lPT4_lS8_li,comdat
	.globl	_ZL20rocblas_gemvn_kernelILi64ELi16ElPKdS1_KPdEviiT3_lPKT2_lT1_lS7_lS8_lS4_lPT4_lS8_li ; -- Begin function _ZL20rocblas_gemvn_kernelILi64ELi16ElPKdS1_KPdEviiT3_lPKT2_lT1_lS7_lS8_lS4_lPT4_lS8_li
	.p2align	8
	.type	_ZL20rocblas_gemvn_kernelILi64ELi16ElPKdS1_KPdEviiT3_lPKT2_lT1_lS7_lS8_lS4_lPT4_lS8_li,@function
_ZL20rocblas_gemvn_kernelILi64ELi16ElPKdS1_KPdEviiT3_lPKT2_lT1_lS7_lS8_lS4_lPT4_lS8_li: ; @_ZL20rocblas_gemvn_kernelILi64ELi16ElPKdS1_KPdEviiT3_lPKT2_lT1_lS7_lS8_lS4_lPT4_lS8_li
; %bb.0:
	s_load_dwordx2 s[0:1], s[4:5], 0x9c
	s_waitcnt lgkmcnt(0)
	s_lshr_b32 s2, s0, 16
	s_and_b32 s0, s0, 0xffff
	s_and_b32 s1, s1, 0xffff
	s_mul_i32 s0, s2, s0
	s_mul_i32 s0, s0, s1
	s_cmpk_lg_i32 s0, 0x400
	s_cbranch_scc1 .LBB255_55
; %bb.1:
	s_clause 0x1
	s_load_dwordx8 s[16:23], s[4:5], 0x8
	s_load_dwordx8 s[8:15], s[4:5], 0x58
	s_mov_b32 s26, s7
	s_waitcnt lgkmcnt(0)
	s_mul_i32 s1, s19, s7
	s_mul_hi_u32 s2, s18, s7
	s_mul_i32 s0, s18, s7
	s_add_i32 s1, s2, s1
	s_mul_i32 s2, s11, s7
	s_lshl_b64 s[0:1], s[0:1], 3
	s_mul_hi_u32 s3, s10, s7
	s_add_u32 s0, s16, s0
	s_addc_u32 s1, s17, s1
	s_add_i32 s3, s3, s2
	s_mul_i32 s2, s10, s7
	s_mov_b64 s[18:19], 0
	s_lshl_b64 s[2:3], s[2:3], 3
	s_add_u32 s2, s8, s2
	s_addc_u32 s3, s9, s3
	s_load_dwordx2 s[10:11], s[0:1], 0x0
	s_load_dwordx2 s[8:9], s[2:3], 0x0
	s_waitcnt lgkmcnt(0)
	v_cmp_eq_f64_e64 s7, s[10:11], 0
	v_cmp_eq_f64_e64 s0, s[8:9], 1.0
	s_and_b32 s0, s7, s0
	s_and_b32 vcc_lo, exec_lo, s0
	s_cbranch_vccnz .LBB255_55
; %bb.2:
	v_cmp_neq_f64_e64 s28, s[10:11], 0
	s_clause 0x1
	s_load_dwordx2 s[24:25], s[4:5], 0x28
	s_load_dwordx2 s[16:17], s[4:5], 0x78
	s_and_b32 vcc_lo, exec_lo, s7
	s_mov_b32 s27, 0
	s_cbranch_vccnz .LBB255_4
; %bb.3:
	s_lshl_b64 s[0:1], s[26:27], 3
	s_add_u32 s0, s20, s0
	s_addc_u32 s1, s21, s1
	s_lshl_b64 s[2:3], s[22:23], 3
	s_load_dwordx2 s[0:1], s[0:1], 0x0
	s_waitcnt lgkmcnt(0)
	s_add_u32 s18, s0, s2
	s_addc_u32 s19, s1, s3
.LBB255_4:
	s_clause 0x1
	s_load_dwordx4 s[0:3], s[4:5], 0x38
	s_load_dwordx2 s[20:21], s[4:5], 0x48
	s_andn2_b32 vcc_lo, exec_lo, s28
	s_cbranch_vccnz .LBB255_6
; %bb.5:
	s_lshl_b64 s[22:23], s[26:27], 3
	s_waitcnt lgkmcnt(0)
	s_add_u32 s0, s0, s22
	s_addc_u32 s1, s1, s23
	s_lshl_b64 s[2:3], s[2:3], 3
	s_load_dwordx2 s[0:1], s[0:1], 0x0
	s_waitcnt lgkmcnt(0)
	s_add_u32 s22, s0, s2
	s_addc_u32 s23, s1, s3
	s_branch .LBB255_7
.LBB255_6:
	s_mov_b64 s[22:23], 0
.LBB255_7:
	s_waitcnt lgkmcnt(0)
	s_lshl_b64 s[0:1], s[26:27], 3
	v_lshlrev_b32_e32 v63, 6, v1
	s_add_u32 s0, s12, s0
	s_addc_u32 s1, s13, s1
	s_lshl_b64 s[14:15], s[14:15], 3
	s_load_dwordx2 s[2:3], s[0:1], 0x0
	s_load_dwordx2 s[12:13], s[4:5], 0x0
	v_add_nc_u32_e32 v62, v63, v0
	v_cmp_gt_u32_e64 s0, 0x100, v62
	s_waitcnt lgkmcnt(0)
	s_add_u32 s5, s2, s14
	s_addc_u32 s28, s3, s15
	s_andn2_b32 vcc_lo, exec_lo, s7
	s_cbranch_vccnz .LBB255_14
; %bb.8:
	s_mov_b32 s1, 0
	s_mov_b32 s29, 0
                                        ; implicit-def: $vgpr2_vgpr3
                                        ; implicit-def: $vgpr4_vgpr5
	s_and_saveexec_b32 s2, s0
	s_cbranch_execz .LBB255_15
; %bb.9:
	v_lshl_or_b32 v6, s6, 8, v62
	v_mov_b32_e32 v7, 0
	s_ashr_i32 s15, s12, 31
	s_mov_b32 s14, s12
	s_mov_b32 s3, 0
	s_mov_b32 s0, exec_lo
                                        ; implicit-def: $vgpr2_vgpr3
                                        ; implicit-def: $vgpr4_vgpr5
	v_cmpx_gt_i64_e64 s[14:15], v[6:7]
	s_cbranch_execz .LBB255_13
; %bb.10:
	v_cmp_eq_f64_e64 s3, s[8:9], 0
	v_mad_u64_u32 v[4:5], null, s16, v6, 0
	v_mov_b32_e32 v2, v5
	v_mad_u64_u32 v[5:6], null, s17, v6, v[2:3]
	v_mov_b32_e32 v2, 0
	v_mov_b32_e32 v3, 0
	s_and_b32 vcc_lo, exec_lo, s3
	s_cbranch_vccnz .LBB255_12
; %bb.11:
	v_lshlrev_b64 v[2:3], 3, v[4:5]
	v_add_co_u32 v2, vcc_lo, s5, v2
	v_add_co_ci_u32_e64 v3, null, s28, v3, vcc_lo
	flat_load_dwordx2 v[2:3], v[2:3]
	s_waitcnt vmcnt(0) lgkmcnt(0)
	v_mul_f64 v[2:3], s[8:9], v[2:3]
.LBB255_12:
	s_mov_b32 s3, exec_lo
.LBB255_13:
	s_or_b32 exec_lo, exec_lo, s0
	s_and_b32 s29, s3, exec_lo
	s_or_b32 exec_lo, exec_lo, s2
	s_and_b32 vcc_lo, exec_lo, s1
	s_cbranch_vccnz .LBB255_16
	s_branch .LBB255_53
.LBB255_14:
	s_mov_b32 s29, 0
                                        ; implicit-def: $vgpr2_vgpr3
                                        ; implicit-def: $vgpr4_vgpr5
	s_cbranch_execnz .LBB255_16
	s_branch .LBB255_53
.LBB255_15:
	s_or_b32 exec_lo, exec_lo, s2
	s_and_b32 vcc_lo, exec_lo, s1
	s_cbranch_vccz .LBB255_53
.LBB255_16:
	s_ashr_i32 s0, s13, 31
	s_lshl_b32 s30, s6, 8
	s_lshr_b32 s0, s0, 26
	v_mov_b32_e32 v10, 0
	v_mov_b32_e32 v8, 0
	;; [unrolled: 1-line block ×4, first 2 shown]
	v_lshlrev_b32_e32 v64, 2, v1
	v_add_nc_u32_e32 v2, s30, v0
	v_mov_b32_e32 v11, 0
	v_mov_b32_e32 v9, 0
	v_mov_b32_e32 v7, 0
	v_mov_b32_e32 v5, 0
	s_add_i32 s31, s13, s0
	s_mov_b32 s33, exec_lo
	s_andn2_b32 s31, s31, 63
	v_cmpx_gt_i32_e64 s31, v64
	s_cbranch_execz .LBB255_28
; %bb.17:
	v_lshlrev_b32_e32 v26, 2, v1
	v_mad_u64_u32 v[6:7], null, s20, v1, 0
	v_add_nc_u32_e32 v12, 0xc0, v2
	v_mad_u64_u32 v[8:9], null, s24, v1, 0
	v_or_b32_e32 v20, 3, v26
	v_add_nc_u32_e32 v10, 64, v2
	v_cmp_gt_i32_e64 s2, s12, v12
	v_add_nc_u32_e32 v11, 0x80, v2
	v_ashrrev_i32_e32 v3, 31, v2
	v_mad_u64_u32 v[4:5], null, s24, v20, 0
	v_cmp_gt_i32_e64 s0, s12, v10
	v_cmp_gt_i32_e64 s1, s12, v11
	v_mad_u64_u32 v[10:11], null, s20, v26, s[20:21]
	v_mad_u64_u32 v[18:19], null, s20, v20, 0
	;; [unrolled: 1-line block ×3, first 2 shown]
	v_mov_b32_e32 v5, v7
	v_mov_b32_e32 v7, v9
	v_or_b32_e32 v27, 2, v26
	s_lshl_b64 s[6:7], s[24:25], 9
	s_lshl_b64 s[14:15], s[20:21], 9
	v_mad_u64_u32 v[14:15], null, s21, v1, v[5:6]
	v_mov_b32_e32 v5, v12
	v_lshlrev_b64 v[12:13], 3, v[2:3]
	v_mad_u64_u32 v[15:16], null, s25, v1, v[7:8]
	v_mad_u64_u32 v[16:17], null, s24, v27, 0
	v_lshlrev_b64 v[3:4], 3, v[4:5]
	v_mov_b32_e32 v5, v11
	v_mov_b32_e32 v11, v19
	;; [unrolled: 1-line block ×4, first 2 shown]
	v_mad_u64_u32 v[22:23], null, s20, v27, 0
	v_add_co_u32 v3, s3, s18, v3
	v_mad_u64_u32 v[19:20], null, s21, v20, v[11:12]
	v_add_co_ci_u32_e64 v65, null, s19, v4, s3
	v_mad_u64_u32 v[4:5], null, s21, v26, v[5:6]
	v_mad_u64_u32 v[20:21], null, s24, v26, s[24:25]
	v_mov_b32_e32 v5, v17
	v_lshlrev_b64 v[14:15], 5, v[6:7]
	v_mov_b32_e32 v7, v23
	v_lshlrev_b64 v[18:19], 3, v[18:19]
	v_mov_b32_e32 v11, v4
	v_mad_u64_u32 v[24:25], null, s25, v27, v[5:6]
	v_lshlrev_b64 v[5:6], 5, v[8:9]
	v_mov_b32_e32 v4, v21
	s_mov_b32 s34, 0
	s_mov_b64 s[26:27], s[22:23]
	v_cmp_gt_i32_e32 vcc_lo, s12, v2
	v_mad_u64_u32 v[8:9], null, s25, v26, v[4:5]
	v_mov_b32_e32 v17, v24
	v_add_co_u32 v66, s3, s18, v5
	v_add_co_ci_u32_e64 v67, null, s19, v6, s3
	v_lshlrev_b64 v[4:5], 3, v[16:17]
	v_mov_b32_e32 v21, v8
	v_mad_u64_u32 v[23:24], null, s21, v27, v[7:8]
	v_lshlrev_b64 v[16:17], 3, v[10:11]
	v_mov_b32_e32 v10, 0
	v_lshlrev_b64 v[24:25], 3, v[20:21]
	v_add_co_u32 v68, s3, s18, v4
	v_add_co_ci_u32_e64 v69, null, s19, v5, s3
	v_lshlrev_b64 v[20:21], 3, v[22:23]
	v_add_co_u32 v70, s3, s18, v24
	v_mov_b32_e32 v8, 0
	v_mov_b32_e32 v6, 0
	;; [unrolled: 1-line block ×7, first 2 shown]
	v_add_co_ci_u32_e64 v71, null, s19, v25, s3
	s_branch .LBB255_22
.LBB255_18:                             ;   in Loop: Header=BB255_22 Depth=1
	s_or_b32 exec_lo, exec_lo, s36
	s_waitcnt vmcnt(3) lgkmcnt(3)
	v_fma_f64 v[6:7], v[22:23], v[54:55], v[6:7]
	s_waitcnt vmcnt(2) lgkmcnt(2)
	v_fma_f64 v[6:7], v[24:25], v[56:57], v[6:7]
	;; [unrolled: 2-line block ×4, first 2 shown]
.LBB255_19:                             ;   in Loop: Header=BB255_22 Depth=1
	s_or_b32 exec_lo, exec_lo, s35
	s_waitcnt vmcnt(3) lgkmcnt(3)
	v_fma_f64 v[8:9], v[22:23], v[46:47], v[8:9]
	s_waitcnt vmcnt(2) lgkmcnt(2)
	v_fma_f64 v[8:9], v[24:25], v[48:49], v[8:9]
	;; [unrolled: 2-line block ×4, first 2 shown]
.LBB255_20:                             ;   in Loop: Header=BB255_22 Depth=1
	s_or_b32 exec_lo, exec_lo, s3
	s_waitcnt vmcnt(3) lgkmcnt(3)
	v_fma_f64 v[10:11], v[22:23], v[30:31], v[10:11]
	s_waitcnt vmcnt(2) lgkmcnt(2)
	v_fma_f64 v[10:11], v[24:25], v[32:33], v[10:11]
	;; [unrolled: 2-line block ×4, first 2 shown]
.LBB255_21:                             ;   in Loop: Header=BB255_22 Depth=1
	s_or_b32 exec_lo, exec_lo, s4
	v_add_co_u32 v3, s3, v3, s6
	v_add_nc_u32_e32 v64, 64, v64
	v_add_co_ci_u32_e64 v65, null, s7, v65, s3
	v_add_co_u32 v66, s3, v66, s6
	v_add_co_ci_u32_e64 v67, null, s7, v67, s3
	v_add_co_u32 v68, s3, v68, s6
	v_add_co_ci_u32_e64 v69, null, s7, v69, s3
	v_cmp_le_i32_e64 s3, s31, v64
	v_add_co_u32 v70, s4, v70, s6
	v_add_co_ci_u32_e64 v71, null, s7, v71, s4
	s_add_u32 s26, s26, s14
	s_addc_u32 s27, s27, s15
	s_or_b32 s34, s3, s34
	s_andn2_b32 exec_lo, exec_lo, s34
	s_cbranch_execz .LBB255_27
.LBB255_22:                             ; =>This Inner Loop Header: Depth=1
	s_and_saveexec_b32 s4, vcc_lo
	s_cbranch_execz .LBB255_21
; %bb.23:                               ;   in Loop: Header=BB255_22 Depth=1
	v_add_co_u32 v22, s3, s26, v14
	v_add_co_ci_u32_e64 v23, null, s27, v15, s3
	v_add_co_u32 v24, s3, s26, v16
	v_add_co_ci_u32_e64 v25, null, s27, v17, s3
	;; [unrolled: 2-line block ×8, first 2 shown]
	s_clause 0x3
	flat_load_dwordx2 v[22:23], v[22:23]
	flat_load_dwordx2 v[24:25], v[24:25]
	;; [unrolled: 1-line block ×8, first 2 shown]
	s_and_saveexec_b32 s3, s0
	s_cbranch_execz .LBB255_20
; %bb.24:                               ;   in Loop: Header=BB255_22 Depth=1
	flat_load_dwordx2 v[46:47], v[38:39] offset:512
	flat_load_dwordx2 v[48:49], v[40:41] offset:512
	flat_load_dwordx2 v[50:51], v[42:43] offset:512
	flat_load_dwordx2 v[52:53], v[44:45] offset:512
	s_and_saveexec_b32 s35, s1
	s_cbranch_execz .LBB255_19
; %bb.25:                               ;   in Loop: Header=BB255_22 Depth=1
	flat_load_dwordx2 v[54:55], v[38:39] offset:1024
	flat_load_dwordx2 v[56:57], v[40:41] offset:1024
	flat_load_dwordx2 v[58:59], v[42:43] offset:1024
	flat_load_dwordx2 v[60:61], v[44:45] offset:1024
	;; [unrolled: 7-line block ×3, first 2 shown]
	s_waitcnt vmcnt(3) lgkmcnt(3)
	v_fma_f64 v[4:5], v[22:23], v[38:39], v[4:5]
	s_waitcnt vmcnt(2) lgkmcnt(2)
	v_fma_f64 v[4:5], v[24:25], v[40:41], v[4:5]
	;; [unrolled: 2-line block ×4, first 2 shown]
	s_branch .LBB255_18
.LBB255_27:
	s_or_b32 exec_lo, exec_lo, s34
.LBB255_28:
	s_or_b32 exec_lo, exec_lo, s33
	s_sub_i32 s0, s13, s31
	s_cmp_lt_i32 s0, 1
	s_cbranch_scc1 .LBB255_46
; %bb.29:
	v_mov_b32_e32 v16, 0
	v_mov_b32_e32 v18, 0
	;; [unrolled: 1-line block ×4, first 2 shown]
	v_cmp_gt_i32_e32 vcc_lo, s13, v64
	v_mov_b32_e32 v17, 0
	v_mov_b32_e32 v19, 0
	;; [unrolled: 1-line block ×4, first 2 shown]
	v_or_b32_e32 v20, 1, v64
	s_and_saveexec_b32 s1, vcc_lo
	s_cbranch_execz .LBB255_37
; %bb.30:
	v_mad_u64_u32 v[12:13], null, s20, v64, 0
	v_mov_b32_e32 v18, 0
	v_mov_b32_e32 v16, 0
	;; [unrolled: 1-line block ×4, first 2 shown]
	s_mov_b32 s2, exec_lo
	v_mov_b32_e32 v3, v13
	v_mad_u64_u32 v[13:14], null, s21, v64, v[3:4]
	v_mov_b32_e32 v14, 0
	v_mov_b32_e32 v15, 0
	v_lshlrev_b64 v[12:13], 3, v[12:13]
	v_add_co_u32 v12, s0, s22, v12
	v_add_co_ci_u32_e64 v13, null, s23, v13, s0
	flat_load_dwordx2 v[12:13], v[12:13]
	v_cmpx_gt_i32_e64 s13, v20
	s_cbranch_execz .LBB255_36
; %bb.31:
	v_mad_u64_u32 v[14:15], null, s20, v20, 0
	v_mov_b32_e32 v18, 0
	v_mov_b32_e32 v19, 0
	s_mov_b32 s3, exec_lo
	v_mov_b32_e32 v3, v15
	v_mad_u64_u32 v[15:16], null, s21, v20, v[3:4]
	v_mov_b32_e32 v16, 0
	v_or_b32_e32 v3, 2, v64
	v_mov_b32_e32 v17, 0
	v_lshlrev_b64 v[14:15], 3, v[14:15]
	v_add_co_u32 v14, s0, s22, v14
	v_add_co_ci_u32_e64 v15, null, s23, v15, s0
	flat_load_dwordx2 v[14:15], v[14:15]
	v_cmpx_gt_i32_e64 s13, v3
	s_cbranch_execz .LBB255_35
; %bb.32:
	v_mad_u64_u32 v[16:17], null, s20, v3, 0
	s_mov_b32 s4, exec_lo
	v_mad_u64_u32 v[17:18], null, s21, v3, v[17:18]
	v_or_b32_e32 v3, 3, v64
	v_lshlrev_b64 v[16:17], 3, v[16:17]
	v_add_co_u32 v16, s0, s22, v16
	v_add_co_ci_u32_e64 v17, null, s23, v17, s0
	flat_load_dwordx2 v[18:19], v[16:17]
	v_mov_b32_e32 v16, 0
	v_mov_b32_e32 v17, 0
	v_cmpx_gt_i32_e64 s13, v3
	s_cbranch_execz .LBB255_34
; %bb.33:
	v_mad_u64_u32 v[16:17], null, s20, v3, 0
	s_waitcnt vmcnt(0) lgkmcnt(0)
	v_mad_u64_u32 v[21:22], null, s21, v3, v[17:18]
	v_mov_b32_e32 v17, v21
	v_lshlrev_b64 v[16:17], 3, v[16:17]
	v_add_co_u32 v16, s0, s22, v16
	v_add_co_ci_u32_e64 v17, null, s23, v17, s0
	flat_load_dwordx2 v[16:17], v[16:17]
.LBB255_34:
	s_or_b32 exec_lo, exec_lo, s4
.LBB255_35:
	s_or_b32 exec_lo, exec_lo, s3
.LBB255_36:
	s_or_b32 exec_lo, exec_lo, s2
.LBB255_37:
	s_or_b32 exec_lo, exec_lo, s1
	s_mov_b32 s1, exec_lo
	v_cmpx_gt_i32_e64 s12, v2
	s_cbranch_execz .LBB255_45
; %bb.38:
	v_mad_u64_u32 v[21:22], null, s24, v64, 0
	v_or_b32_e32 v32, 2, v64
	v_or_b32_e32 v36, 3, v64
	v_mad_u64_u32 v[26:27], null, s24, v32, 0
	v_mov_b32_e32 v3, v22
	v_cndmask_b32_e32 v21, 0, v21, vcc_lo
	v_mad_u64_u32 v[22:23], null, s25, v64, v[3:4]
	v_mad_u64_u32 v[23:24], null, s24, v20, 0
	v_ashrrev_i32_e32 v3, 31, v2
	v_cndmask_b32_e32 v22, 0, v22, vcc_lo
	v_lshlrev_b64 v[28:29], 3, v[2:3]
	v_mad_u64_u32 v[24:25], null, s25, v20, v[24:25]
	v_cmp_gt_i32_e32 vcc_lo, s13, v20
	v_lshlrev_b64 v[21:22], 3, v[21:22]
	v_cndmask_b32_e32 v23, 0, v23, vcc_lo
	v_cndmask_b32_e32 v24, 0, v24, vcc_lo
	v_add_co_u32 v3, s0, s18, v21
	v_add_co_ci_u32_e64 v21, null, s19, v22, s0
	v_lshlrev_b64 v[22:23], 3, v[23:24]
	v_add_co_u32 v20, vcc_lo, v3, v28
	v_add_co_ci_u32_e64 v21, null, v21, v29, vcc_lo
	v_mov_b32_e32 v3, v27
	v_add_co_u32 v24, vcc_lo, s18, v22
	flat_load_dwordx2 v[30:31], v[20:21]
	v_add_co_ci_u32_e64 v25, null, s19, v23, vcc_lo
	v_mad_u64_u32 v[22:23], null, s25, v32, v[3:4]
	v_add_co_u32 v24, s0, v24, v28
	v_cmp_gt_i32_e32 vcc_lo, s13, v32
	v_add_co_ci_u32_e64 v25, null, v25, v29, s0
	v_cndmask_b32_e32 v26, 0, v26, vcc_lo
	v_cndmask_b32_e32 v27, 0, v22, vcc_lo
	v_mad_u64_u32 v[22:23], null, s24, v36, 0
	flat_load_dwordx2 v[32:33], v[24:25]
	v_lshlrev_b64 v[26:27], 3, v[26:27]
	v_mov_b32_e32 v3, v23
	v_add_co_u32 v23, vcc_lo, s18, v26
	v_add_co_ci_u32_e64 v27, null, s19, v27, vcc_lo
	v_mad_u64_u32 v[34:35], null, s25, v36, v[3:4]
	v_add_co_u32 v26, s0, v23, v28
	v_cmp_gt_i32_e32 vcc_lo, s13, v36
	v_add_co_ci_u32_e64 v27, null, v27, v29, s0
	s_mov_b32 s0, exec_lo
	v_cndmask_b32_e32 v22, 0, v22, vcc_lo
	v_cndmask_b32_e32 v23, 0, v34, vcc_lo
	flat_load_dwordx2 v[34:35], v[26:27]
	v_lshlrev_b64 v[22:23], 3, v[22:23]
	v_add_co_u32 v3, vcc_lo, s18, v22
	v_add_co_ci_u32_e64 v22, null, s19, v23, vcc_lo
	v_add_co_u32 v28, vcc_lo, v3, v28
	v_add_co_ci_u32_e64 v29, null, v22, v29, vcc_lo
	v_add_nc_u32_e32 v3, 64, v2
	flat_load_dwordx2 v[22:23], v[28:29]
	s_waitcnt vmcnt(3) lgkmcnt(3)
	v_fma_f64 v[10:11], v[12:13], v[30:31], v[10:11]
	s_waitcnt vmcnt(2) lgkmcnt(2)
	v_fma_f64 v[10:11], v[14:15], v[32:33], v[10:11]
	;; [unrolled: 2-line block ×3, first 2 shown]
	v_cmpx_gt_i32_e64 s12, v3
	s_cbranch_execz .LBB255_44
; %bb.39:
	s_clause 0x3
	flat_load_dwordx2 v[32:33], v[20:21] offset:512
	flat_load_dwordx2 v[34:35], v[24:25] offset:512
	;; [unrolled: 1-line block ×4, first 2 shown]
	v_add_nc_u32_e32 v3, 0x80, v2
	s_mov_b32 s2, exec_lo
	s_waitcnt vmcnt(3) lgkmcnt(3)
	v_fma_f64 v[8:9], v[12:13], v[32:33], v[8:9]
	s_waitcnt vmcnt(2) lgkmcnt(2)
	v_fma_f64 v[8:9], v[14:15], v[34:35], v[8:9]
	;; [unrolled: 2-line block ×3, first 2 shown]
	v_cmpx_gt_i32_e64 s12, v3
	s_cbranch_execz .LBB255_43
; %bb.40:
	s_clause 0x3
	flat_load_dwordx2 v[34:35], v[20:21] offset:1024
	flat_load_dwordx2 v[36:37], v[24:25] offset:1024
	;; [unrolled: 1-line block ×4, first 2 shown]
	v_add_nc_u32_e32 v2, 0xc0, v2
	s_mov_b32 s3, exec_lo
	s_waitcnt vmcnt(3) lgkmcnt(3)
	v_fma_f64 v[6:7], v[12:13], v[34:35], v[6:7]
	s_waitcnt vmcnt(2) lgkmcnt(2)
	v_fma_f64 v[6:7], v[14:15], v[36:37], v[6:7]
	;; [unrolled: 2-line block ×3, first 2 shown]
	v_cmpx_gt_i32_e64 s12, v2
	s_cbranch_execz .LBB255_42
; %bb.41:
	s_clause 0x3
	flat_load_dwordx2 v[2:3], v[20:21] offset:1536
	flat_load_dwordx2 v[20:21], v[24:25] offset:1536
	;; [unrolled: 1-line block ×4, first 2 shown]
	s_waitcnt vmcnt(3) lgkmcnt(3)
	v_fma_f64 v[2:3], v[12:13], v[2:3], v[4:5]
	s_waitcnt vmcnt(2) lgkmcnt(2)
	v_fma_f64 v[2:3], v[14:15], v[20:21], v[2:3]
	;; [unrolled: 2-line block ×4, first 2 shown]
.LBB255_42:
	s_or_b32 exec_lo, exec_lo, s3
	s_waitcnt vmcnt(0) lgkmcnt(0)
	v_fma_f64 v[6:7], v[16:17], v[32:33], v[6:7]
.LBB255_43:
	s_or_b32 exec_lo, exec_lo, s2
	s_waitcnt vmcnt(0) lgkmcnt(0)
	v_fma_f64 v[8:9], v[16:17], v[30:31], v[8:9]
.LBB255_44:
	s_or_b32 exec_lo, exec_lo, s0
	s_waitcnt vmcnt(0) lgkmcnt(0)
	v_fma_f64 v[10:11], v[16:17], v[22:23], v[10:11]
.LBB255_45:
	s_or_b32 exec_lo, exec_lo, s1
.LBB255_46:
	v_lshlrev_b32_e32 v0, 3, v0
	s_mov_b32 s0, exec_lo
                                        ; implicit-def: $vgpr2_vgpr3
	v_lshl_add_u32 v1, v1, 11, v0
	ds_write2st64_b64 v1, v[10:11], v[8:9] offset1:1
	ds_write2st64_b64 v1, v[6:7], v[4:5] offset0:2 offset1:3
	s_waitcnt vmcnt(0) lgkmcnt(0)
	s_barrier
	buffer_gl0_inv
                                        ; implicit-def: $vgpr4_vgpr5
	v_cmpx_gt_u32_e32 0x100, v62
	s_cbranch_execz .LBB255_52
; %bb.47:
	v_lshl_add_u32 v7, v63, 3, v0
	v_or_b32_e32 v6, s30, v62
	s_mov_b32 s2, s29
	s_mov_b32 s1, exec_lo
	ds_read2st64_b64 v[0:3], v7 offset1:4
	s_waitcnt lgkmcnt(0)
	v_add_f64 v[4:5], v[0:1], v[2:3]
	ds_read2st64_b64 v[0:3], v7 offset0:8 offset1:12
	s_waitcnt lgkmcnt(0)
	v_add_f64 v[0:1], v[0:1], v[4:5]
	v_add_f64 v[4:5], v[2:3], v[0:1]
	ds_read2st64_b64 v[0:3], v7 offset0:16 offset1:20
	s_waitcnt lgkmcnt(0)
	v_add_f64 v[0:1], v[0:1], v[4:5]
	;; [unrolled: 4-line block ×7, first 2 shown]
                                        ; implicit-def: $vgpr4_vgpr5
	v_add_f64 v[0:1], v[2:3], v[0:1]
                                        ; implicit-def: $vgpr2_vgpr3
	ds_write_b64 v7, v[0:1]
	v_cmpx_gt_i32_e64 s12, v6
	s_cbranch_execz .LBB255_51
; %bb.48:
	v_cmp_eq_f64_e64 s2, s[8:9], 0
	v_mul_f64 v[2:3], s[10:11], v[0:1]
	v_ashrrev_i32_e32 v0, 31, v6
	v_mul_lo_u32 v1, s17, v6
	v_mad_u64_u32 v[4:5], null, s16, v6, 0
	v_mul_lo_u32 v0, s16, v0
	v_add3_u32 v5, v5, v0, v1
	s_and_b32 vcc_lo, exec_lo, s2
	s_cbranch_vccnz .LBB255_50
; %bb.49:
	v_lshlrev_b64 v[0:1], 3, v[4:5]
	v_add_co_u32 v0, vcc_lo, s5, v0
	v_add_co_ci_u32_e64 v1, null, s28, v1, vcc_lo
	flat_load_dwordx2 v[0:1], v[0:1]
	s_waitcnt vmcnt(0) lgkmcnt(0)
	v_fma_f64 v[2:3], s[8:9], v[0:1], v[2:3]
.LBB255_50:
	s_or_b32 s2, s29, exec_lo
.LBB255_51:
	s_or_b32 exec_lo, exec_lo, s1
	s_andn2_b32 s1, s29, exec_lo
	s_and_b32 s2, s2, exec_lo
	s_or_b32 s29, s1, s2
.LBB255_52:
	s_or_b32 exec_lo, exec_lo, s0
.LBB255_53:
	s_and_saveexec_b32 s0, s29
	s_cbranch_execz .LBB255_55
; %bb.54:
	v_lshlrev_b64 v[0:1], 3, v[4:5]
	v_add_co_u32 v0, vcc_lo, s5, v0
	v_add_co_ci_u32_e64 v1, null, s28, v1, vcc_lo
	flat_store_dwordx2 v[0:1], v[2:3]
.LBB255_55:
	s_endpgm
	.section	.rodata,"a",@progbits
	.p2align	6, 0x0
	.amdhsa_kernel _ZL20rocblas_gemvn_kernelILi64ELi16ElPKdS1_KPdEviiT3_lPKT2_lT1_lS7_lS8_lS4_lPT4_lS8_li
		.amdhsa_group_segment_fixed_size 32768
		.amdhsa_private_segment_fixed_size 0
		.amdhsa_kernarg_size 400
		.amdhsa_user_sgpr_count 6
		.amdhsa_user_sgpr_private_segment_buffer 1
		.amdhsa_user_sgpr_dispatch_ptr 0
		.amdhsa_user_sgpr_queue_ptr 0
		.amdhsa_user_sgpr_kernarg_segment_ptr 1
		.amdhsa_user_sgpr_dispatch_id 0
		.amdhsa_user_sgpr_flat_scratch_init 0
		.amdhsa_user_sgpr_private_segment_size 0
		.amdhsa_wavefront_size32 1
		.amdhsa_uses_dynamic_stack 0
		.amdhsa_system_sgpr_private_segment_wavefront_offset 0
		.amdhsa_system_sgpr_workgroup_id_x 1
		.amdhsa_system_sgpr_workgroup_id_y 0
		.amdhsa_system_sgpr_workgroup_id_z 1
		.amdhsa_system_sgpr_workgroup_info 0
		.amdhsa_system_vgpr_workitem_id 1
		.amdhsa_next_free_vgpr 72
		.amdhsa_next_free_sgpr 37
		.amdhsa_reserve_vcc 1
		.amdhsa_reserve_flat_scratch 1
		.amdhsa_float_round_mode_32 0
		.amdhsa_float_round_mode_16_64 0
		.amdhsa_float_denorm_mode_32 3
		.amdhsa_float_denorm_mode_16_64 3
		.amdhsa_dx10_clamp 1
		.amdhsa_ieee_mode 1
		.amdhsa_fp16_overflow 0
		.amdhsa_workgroup_processor_mode 1
		.amdhsa_memory_ordered 1
		.amdhsa_forward_progress 1
		.amdhsa_shared_vgpr_count 0
		.amdhsa_exception_fp_ieee_invalid_op 0
		.amdhsa_exception_fp_denorm_src 0
		.amdhsa_exception_fp_ieee_div_zero 0
		.amdhsa_exception_fp_ieee_overflow 0
		.amdhsa_exception_fp_ieee_underflow 0
		.amdhsa_exception_fp_ieee_inexact 0
		.amdhsa_exception_int_div_zero 0
	.end_amdhsa_kernel
	.section	.text._ZL20rocblas_gemvn_kernelILi64ELi16ElPKdS1_KPdEviiT3_lPKT2_lT1_lS7_lS8_lS4_lPT4_lS8_li,"axG",@progbits,_ZL20rocblas_gemvn_kernelILi64ELi16ElPKdS1_KPdEviiT3_lPKT2_lT1_lS7_lS8_lS4_lPT4_lS8_li,comdat
.Lfunc_end255:
	.size	_ZL20rocblas_gemvn_kernelILi64ELi16ElPKdS1_KPdEviiT3_lPKT2_lT1_lS7_lS8_lS4_lPT4_lS8_li, .Lfunc_end255-_ZL20rocblas_gemvn_kernelILi64ELi16ElPKdS1_KPdEviiT3_lPKT2_lT1_lS7_lS8_lS4_lPT4_lS8_li
                                        ; -- End function
	.set _ZL20rocblas_gemvn_kernelILi64ELi16ElPKdS1_KPdEviiT3_lPKT2_lT1_lS7_lS8_lS4_lPT4_lS8_li.num_vgpr, 72
	.set _ZL20rocblas_gemvn_kernelILi64ELi16ElPKdS1_KPdEviiT3_lPKT2_lT1_lS7_lS8_lS4_lPT4_lS8_li.num_agpr, 0
	.set _ZL20rocblas_gemvn_kernelILi64ELi16ElPKdS1_KPdEviiT3_lPKT2_lT1_lS7_lS8_lS4_lPT4_lS8_li.numbered_sgpr, 37
	.set _ZL20rocblas_gemvn_kernelILi64ELi16ElPKdS1_KPdEviiT3_lPKT2_lT1_lS7_lS8_lS4_lPT4_lS8_li.num_named_barrier, 0
	.set _ZL20rocblas_gemvn_kernelILi64ELi16ElPKdS1_KPdEviiT3_lPKT2_lT1_lS7_lS8_lS4_lPT4_lS8_li.private_seg_size, 0
	.set _ZL20rocblas_gemvn_kernelILi64ELi16ElPKdS1_KPdEviiT3_lPKT2_lT1_lS7_lS8_lS4_lPT4_lS8_li.uses_vcc, 1
	.set _ZL20rocblas_gemvn_kernelILi64ELi16ElPKdS1_KPdEviiT3_lPKT2_lT1_lS7_lS8_lS4_lPT4_lS8_li.uses_flat_scratch, 1
	.set _ZL20rocblas_gemvn_kernelILi64ELi16ElPKdS1_KPdEviiT3_lPKT2_lT1_lS7_lS8_lS4_lPT4_lS8_li.has_dyn_sized_stack, 0
	.set _ZL20rocblas_gemvn_kernelILi64ELi16ElPKdS1_KPdEviiT3_lPKT2_lT1_lS7_lS8_lS4_lPT4_lS8_li.has_recursion, 0
	.set _ZL20rocblas_gemvn_kernelILi64ELi16ElPKdS1_KPdEviiT3_lPKT2_lT1_lS7_lS8_lS4_lPT4_lS8_li.has_indirect_call, 0
	.section	.AMDGPU.csdata,"",@progbits
; Kernel info:
; codeLenInByte = 3364
; TotalNumSgprs: 39
; NumVgprs: 72
; ScratchSize: 0
; MemoryBound: 1
; FloatMode: 240
; IeeeMode: 1
; LDSByteSize: 32768 bytes/workgroup (compile time only)
; SGPRBlocks: 0
; VGPRBlocks: 8
; NumSGPRsForWavesPerEU: 39
; NumVGPRsForWavesPerEU: 72
; Occupancy: 12
; WaveLimiterHint : 1
; COMPUTE_PGM_RSRC2:SCRATCH_EN: 0
; COMPUTE_PGM_RSRC2:USER_SGPR: 6
; COMPUTE_PGM_RSRC2:TRAP_HANDLER: 0
; COMPUTE_PGM_RSRC2:TGID_X_EN: 1
; COMPUTE_PGM_RSRC2:TGID_Y_EN: 0
; COMPUTE_PGM_RSRC2:TGID_Z_EN: 1
; COMPUTE_PGM_RSRC2:TIDIG_COMP_CNT: 1
	.section	.text._ZL20rocblas_gemvn_kernelILi64ELi16EiPKddKPdEviiT3_lPKT2_lT1_lS7_lS8_lS4_lPT4_lS8_li,"axG",@progbits,_ZL20rocblas_gemvn_kernelILi64ELi16EiPKddKPdEviiT3_lPKT2_lT1_lS7_lS8_lS4_lPT4_lS8_li,comdat
	.globl	_ZL20rocblas_gemvn_kernelILi64ELi16EiPKddKPdEviiT3_lPKT2_lT1_lS7_lS8_lS4_lPT4_lS8_li ; -- Begin function _ZL20rocblas_gemvn_kernelILi64ELi16EiPKddKPdEviiT3_lPKT2_lT1_lS7_lS8_lS4_lPT4_lS8_li
	.p2align	8
	.type	_ZL20rocblas_gemvn_kernelILi64ELi16EiPKddKPdEviiT3_lPKT2_lT1_lS7_lS8_lS4_lPT4_lS8_li,@function
_ZL20rocblas_gemvn_kernelILi64ELi16EiPKddKPdEviiT3_lPKT2_lT1_lS7_lS8_lS4_lPT4_lS8_li: ; @_ZL20rocblas_gemvn_kernelILi64ELi16EiPKddKPdEviiT3_lPKT2_lT1_lS7_lS8_lS4_lPT4_lS8_li
; %bb.0:
	s_load_dwordx2 s[2:3], s[4:5], 0x9c
	s_waitcnt lgkmcnt(0)
	s_lshr_b32 s1, s2, 16
	s_and_b32 s2, s2, 0xffff
	s_and_b32 s3, s3, 0xffff
	s_mul_i32 s1, s1, s2
	s_mul_i32 s1, s1, s3
	s_cmpk_lg_i32 s1, 0x400
	s_cbranch_scc1 .LBB256_56
; %bb.1:
	s_clause 0x1
	s_load_dwordx2 s[10:11], s[4:5], 0x8
	s_load_dwordx2 s[8:9], s[4:5], 0x58
	s_waitcnt lgkmcnt(0)
	v_cmp_eq_f64_e64 s2, s[10:11], 0
	v_cmp_eq_f64_e64 s1, s[8:9], 1.0
	s_and_b32 s1, s2, s1
	s_and_b32 vcc_lo, exec_lo, s1
	s_cbranch_vccnz .LBB256_56
; %bb.2:
	v_cmp_neq_f64_e64 s3, s[10:11], 0
	s_mov_b32 s0, s7
	s_mov_b32 s1, 0
	s_and_b32 vcc_lo, exec_lo, s3
	s_cbranch_vccnz .LBB256_4
; %bb.3:
	s_mov_b32 s7, s1
	s_mov_b64 s[16:17], 0
	s_andn2_b32 vcc_lo, exec_lo, s7
	s_mov_b64 s[14:15], 0
	s_cbranch_vccz .LBB256_5
	s_branch .LBB256_6
.LBB256_4:
	s_mov_b64 s[16:17], 0
	s_mov_b64 s[14:15], 0
.LBB256_5:
	s_load_dwordx4 s[12:15], s[4:5], 0x18
	s_lshl_b64 s[18:19], s[0:1], 3
	s_waitcnt lgkmcnt(0)
	s_add_u32 s12, s12, s18
	s_addc_u32 s13, s13, s19
	s_lshl_b64 s[14:15], s[14:15], 3
	s_load_dwordx2 s[12:13], s[12:13], 0x0
	s_waitcnt lgkmcnt(0)
	s_add_u32 s14, s12, s14
	s_addc_u32 s15, s13, s15
.LBB256_6:
	s_andn2_b32 vcc_lo, exec_lo, s3
	s_cbranch_vccnz .LBB256_8
; %bb.7:
	s_load_dwordx4 s[16:19], s[4:5], 0x38
	s_lshl_b64 s[12:13], s[0:1], 3
	s_waitcnt lgkmcnt(0)
	s_add_u32 s12, s16, s12
	s_addc_u32 s13, s17, s13
	s_lshl_b64 s[16:17], s[18:19], 3
	s_load_dwordx2 s[12:13], s[12:13], 0x0
	s_waitcnt lgkmcnt(0)
	s_add_u32 s16, s12, s16
	s_addc_u32 s17, s13, s17
.LBB256_8:
	s_load_dwordx4 s[20:23], s[4:5], 0x68
	s_lshl_b64 s[0:1], s[0:1], 3
	v_lshlrev_b32_e32 v54, 6, v1
	v_add_nc_u32_e32 v53, v54, v0
	s_waitcnt lgkmcnt(0)
	s_add_u32 s0, s20, s0
	s_addc_u32 s1, s21, s1
	s_lshl_b64 s[22:23], s[22:23], 3
	s_load_dwordx2 s[20:21], s[0:1], 0x0
	s_clause 0x1
	s_load_dwordx2 s[12:13], s[4:5], 0x0
	s_load_dword s19, s[4:5], 0x78
	v_cmp_gt_u32_e64 s0, 0x100, v53
	s_waitcnt lgkmcnt(0)
	s_add_u32 s7, s20, s22
	s_addc_u32 s18, s21, s23
	s_andn2_b32 vcc_lo, exec_lo, s2
	s_cbranch_vccnz .LBB256_15
; %bb.9:
	s_mov_b32 s1, 0
	s_mov_b32 s20, 0
                                        ; implicit-def: $vgpr4_vgpr5
                                        ; implicit-def: $vgpr2_vgpr3
	s_and_saveexec_b32 s2, s0
	s_cbranch_execz .LBB256_16
; %bb.10:
	v_lshl_or_b32 v6, s6, 8, v53
	v_mov_b32_e32 v7, 0
	s_ashr_i32 s21, s12, 31
	s_mov_b32 s20, s12
	s_mov_b32 s3, 0
	s_mov_b32 s0, exec_lo
                                        ; implicit-def: $vgpr4_vgpr5
                                        ; implicit-def: $vgpr2_vgpr3
	v_cmpx_gt_i64_e64 s[20:21], v[6:7]
	s_cbranch_execz .LBB256_14
; %bb.11:
	v_cmp_eq_f64_e64 s3, s[8:9], 0
	v_mad_u64_u32 v[2:3], null, s19, v6, 0
	s_ashr_i32 s20, s19, 31
	v_mad_u64_u32 v[3:4], null, s20, v6, v[3:4]
	v_mov_b32_e32 v4, 0
	v_mov_b32_e32 v5, 0
	s_and_b32 vcc_lo, exec_lo, s3
	s_cbranch_vccnz .LBB256_13
; %bb.12:
	v_lshlrev_b64 v[4:5], 3, v[2:3]
	v_add_co_u32 v4, vcc_lo, s7, v4
	v_add_co_ci_u32_e64 v5, null, s18, v5, vcc_lo
	flat_load_dwordx2 v[4:5], v[4:5]
	s_waitcnt vmcnt(0) lgkmcnt(0)
	v_mul_f64 v[4:5], s[8:9], v[4:5]
.LBB256_13:
	s_mov_b32 s3, exec_lo
.LBB256_14:
	s_or_b32 exec_lo, exec_lo, s0
	s_and_b32 s20, s3, exec_lo
	s_or_b32 exec_lo, exec_lo, s2
	s_and_b32 vcc_lo, exec_lo, s1
	s_cbranch_vccnz .LBB256_17
	s_branch .LBB256_54
.LBB256_15:
	s_mov_b32 s20, 0
                                        ; implicit-def: $vgpr4_vgpr5
                                        ; implicit-def: $vgpr2_vgpr3
	s_cbranch_execnz .LBB256_17
	s_branch .LBB256_54
.LBB256_16:
	s_or_b32 exec_lo, exec_lo, s2
	s_and_b32 vcc_lo, exec_lo, s1
	s_cbranch_vccz .LBB256_54
.LBB256_17:
	s_clause 0x1
	s_load_dword s21, s[4:5], 0x28
	s_load_dword s4, s[4:5], 0x48
	s_ashr_i32 s0, s13, 31
	s_lshl_b32 s5, s6, 8
	s_lshr_b32 s0, s0, 26
	v_mov_b32_e32 v8, 0
	v_mov_b32_e32 v6, 0
	;; [unrolled: 1-line block ×4, first 2 shown]
	v_add_nc_u32_e32 v55, s5, v0
	v_lshlrev_b32_e32 v56, 2, v1
	v_mov_b32_e32 v9, 0
	v_mov_b32_e32 v7, 0
	;; [unrolled: 1-line block ×4, first 2 shown]
	s_add_i32 s6, s13, s0
	s_mov_b32 s22, exec_lo
	s_andn2_b32 s6, s6, 63
	v_cmpx_gt_i32_e64 s6, v56
	s_cbranch_execz .LBB256_29
; %bb.18:
	v_add_nc_u32_e32 v2, 64, v55
	v_add_nc_u32_e32 v3, 0x80, v55
	v_add_nc_u32_e32 v4, 0xc0, v55
	s_waitcnt lgkmcnt(0)
	v_mul_lo_u32 v5, s21, v56
	v_mul_lo_u32 v14, v1, s4
	v_cmp_gt_i32_e64 s0, s12, v2
	v_add_nc_u32_e32 v2, 2, v56
	v_cmp_gt_i32_e64 s1, s12, v3
	v_cmp_gt_i32_e64 s2, s12, v4
	v_mul_lo_u32 v3, v1, s21
	v_add_nc_u32_e32 v4, 3, v56
	v_mad_u64_u32 v[10:11], null, s21, v2, v[0:1]
	v_mul_lo_u32 v59, s4, v2
	v_add3_u32 v57, v5, s21, v0
	v_mad_u64_u32 v[11:12], null, s21, v4, v[0:1]
	v_mad_u64_u32 v[12:13], null, s4, v56, s[4:5]
	v_mul_lo_u32 v60, s4, v4
	v_lshl_add_u32 v58, v3, 2, v0
	v_mov_b32_e32 v8, 0
	v_mov_b32_e32 v6, 0
	;; [unrolled: 1-line block ×8, first 2 shown]
	v_lshlrev_b32_e32 v61, 2, v14
	s_lshl_b32 s23, s21, 6
	s_lshl_b32 s25, s4, 6
	s_mov_b32 s24, 0
	s_mov_b32 s26, 0
	v_cmp_gt_i32_e32 vcc_lo, s12, v55
	s_branch .LBB256_23
.LBB256_19:                             ;   in Loop: Header=BB256_23 Depth=1
	s_or_b32 exec_lo, exec_lo, s29
	s_waitcnt vmcnt(3) lgkmcnt(3)
	v_fma_f64 v[4:5], v[13:14], v[45:46], v[4:5]
	s_waitcnt vmcnt(2) lgkmcnt(2)
	v_fma_f64 v[4:5], v[15:16], v[47:48], v[4:5]
	;; [unrolled: 2-line block ×4, first 2 shown]
.LBB256_20:                             ;   in Loop: Header=BB256_23 Depth=1
	s_or_b32 exec_lo, exec_lo, s28
	s_waitcnt vmcnt(3) lgkmcnt(3)
	v_fma_f64 v[6:7], v[13:14], v[37:38], v[6:7]
	s_waitcnt vmcnt(2) lgkmcnt(2)
	v_fma_f64 v[6:7], v[15:16], v[39:40], v[6:7]
	s_waitcnt vmcnt(1) lgkmcnt(1)
	v_fma_f64 v[6:7], v[17:18], v[41:42], v[6:7]
	s_waitcnt vmcnt(0) lgkmcnt(0)
	v_fma_f64 v[6:7], v[19:20], v[43:44], v[6:7]
.LBB256_21:                             ;   in Loop: Header=BB256_23 Depth=1
	s_or_b32 exec_lo, exec_lo, s3
	s_waitcnt vmcnt(3) lgkmcnt(3)
	v_fma_f64 v[8:9], v[13:14], v[21:22], v[8:9]
	s_waitcnt vmcnt(2) lgkmcnt(2)
	v_fma_f64 v[8:9], v[15:16], v[23:24], v[8:9]
	;; [unrolled: 2-line block ×4, first 2 shown]
.LBB256_22:                             ;   in Loop: Header=BB256_23 Depth=1
	s_or_b32 exec_lo, exec_lo, s27
	v_add_nc_u32_e32 v56, 64, v56
	v_add_nc_u32_e32 v57, s23, v57
	;; [unrolled: 1-line block ×5, first 2 shown]
	v_cmp_le_i32_e64 s3, s6, v56
	s_add_i32 s26, s26, s25
	s_or_b32 s24, s3, s24
	s_andn2_b32 exec_lo, exec_lo, s24
	s_cbranch_execz .LBB256_28
.LBB256_23:                             ; =>This Inner Loop Header: Depth=1
	s_and_saveexec_b32 s27, vcc_lo
	s_cbranch_execz .LBB256_22
; %bb.24:                               ;   in Loop: Header=BB256_23 Depth=1
	v_add_nc_u32_e32 v13, s26, v61
	v_add_nc_u32_e32 v15, s26, v12
	;; [unrolled: 1-line block ×5, first 2 shown]
	v_ashrrev_i32_e32 v14, 31, v13
	v_ashrrev_i32_e32 v16, 31, v15
	;; [unrolled: 1-line block ×3, first 2 shown]
	v_add_nc_u32_e32 v23, s5, v57
	v_ashrrev_i32_e32 v20, 31, v19
	v_lshlrev_b64 v[13:14], 3, v[13:14]
	v_lshlrev_b64 v[15:16], 3, v[15:16]
	v_ashrrev_i32_e32 v22, 31, v21
	v_lshlrev_b64 v[17:18], 3, v[17:18]
	v_ashrrev_i32_e32 v24, 31, v23
	v_lshlrev_b64 v[19:20], 3, v[19:20]
	v_add_co_u32 v13, s3, s16, v13
	v_add_nc_u32_e32 v25, s5, v10
	v_add_co_ci_u32_e64 v14, null, s17, v14, s3
	v_add_co_u32 v15, s3, s16, v15
	v_lshlrev_b64 v[21:22], 3, v[21:22]
	v_add_nc_u32_e32 v27, s5, v11
	v_add_co_ci_u32_e64 v16, null, s17, v16, s3
	v_add_co_u32 v17, s3, s16, v17
	v_lshlrev_b64 v[23:24], 3, v[23:24]
	v_ashrrev_i32_e32 v26, 31, v25
	v_add_co_ci_u32_e64 v18, null, s17, v18, s3
	v_add_co_u32 v19, s3, s16, v19
	v_ashrrev_i32_e32 v28, 31, v27
	v_add_co_ci_u32_e64 v20, null, s17, v20, s3
	v_add_co_u32 v29, s3, s14, v21
	v_add_co_ci_u32_e64 v30, null, s15, v22, s3
	v_lshlrev_b64 v[21:22], 3, v[25:26]
	v_add_co_u32 v31, s3, s14, v23
	v_add_co_ci_u32_e64 v32, null, s15, v24, s3
	v_lshlrev_b64 v[23:24], 3, v[27:28]
	v_add_co_u32 v33, s3, s14, v21
	v_add_co_ci_u32_e64 v34, null, s15, v22, s3
	v_add_co_u32 v35, s3, s14, v23
	v_add_co_ci_u32_e64 v36, null, s15, v24, s3
	s_clause 0x3
	flat_load_dwordx2 v[13:14], v[13:14]
	flat_load_dwordx2 v[15:16], v[15:16]
	;; [unrolled: 1-line block ×4, first 2 shown]
	s_clause 0x3
	flat_load_dwordx2 v[21:22], v[29:30]
	flat_load_dwordx2 v[23:24], v[31:32]
	;; [unrolled: 1-line block ×4, first 2 shown]
	s_and_saveexec_b32 s3, s0
	s_cbranch_execz .LBB256_21
; %bb.25:                               ;   in Loop: Header=BB256_23 Depth=1
	s_clause 0x3
	flat_load_dwordx2 v[37:38], v[29:30] offset:512
	flat_load_dwordx2 v[39:40], v[31:32] offset:512
	flat_load_dwordx2 v[41:42], v[33:34] offset:512
	flat_load_dwordx2 v[43:44], v[35:36] offset:512
	s_and_saveexec_b32 s28, s1
	s_cbranch_execz .LBB256_20
; %bb.26:                               ;   in Loop: Header=BB256_23 Depth=1
	s_clause 0x3
	flat_load_dwordx2 v[45:46], v[29:30] offset:1024
	flat_load_dwordx2 v[47:48], v[31:32] offset:1024
	flat_load_dwordx2 v[49:50], v[33:34] offset:1024
	flat_load_dwordx2 v[51:52], v[35:36] offset:1024
	s_and_saveexec_b32 s29, s2
	s_cbranch_execz .LBB256_19
; %bb.27:                               ;   in Loop: Header=BB256_23 Depth=1
	s_clause 0x3
	flat_load_dwordx2 v[29:30], v[29:30] offset:1536
	flat_load_dwordx2 v[31:32], v[31:32] offset:1536
	flat_load_dwordx2 v[33:34], v[33:34] offset:1536
	flat_load_dwordx2 v[35:36], v[35:36] offset:1536
	s_waitcnt vmcnt(3) lgkmcnt(3)
	v_fma_f64 v[2:3], v[13:14], v[29:30], v[2:3]
	s_waitcnt vmcnt(2) lgkmcnt(2)
	v_fma_f64 v[2:3], v[15:16], v[31:32], v[2:3]
	;; [unrolled: 2-line block ×4, first 2 shown]
	s_branch .LBB256_19
.LBB256_28:
	s_or_b32 exec_lo, exec_lo, s24
.LBB256_29:
	s_or_b32 exec_lo, exec_lo, s22
	s_sub_i32 s0, s13, s6
	s_cmp_lt_i32 s0, 1
	s_cbranch_scc1 .LBB256_47
; %bb.30:
	v_mov_b32_e32 v14, 0
	v_mov_b32_e32 v16, 0
	;; [unrolled: 1-line block ×4, first 2 shown]
	v_cmp_gt_i32_e32 vcc_lo, s13, v56
	v_mov_b32_e32 v15, 0
	v_mov_b32_e32 v17, 0
	;; [unrolled: 1-line block ×4, first 2 shown]
	v_or_b32_e32 v18, 1, v56
	s_and_saveexec_b32 s1, vcc_lo
	s_cbranch_execz .LBB256_38
; %bb.31:
	s_waitcnt lgkmcnt(0)
	v_mul_lo_u32 v10, v56, s4
	v_mov_b32_e32 v12, 0
	v_mov_b32_e32 v16, 0
	;; [unrolled: 1-line block ×6, first 2 shown]
	s_mov_b32 s2, exec_lo
	v_ashrrev_i32_e32 v11, 31, v10
	v_lshlrev_b64 v[10:11], 3, v[10:11]
	v_add_co_u32 v10, s0, s16, v10
	v_add_co_ci_u32_e64 v11, null, s17, v11, s0
	flat_load_dwordx2 v[10:11], v[10:11]
	v_cmpx_gt_i32_e64 s13, v18
	s_cbranch_execz .LBB256_37
; %bb.32:
	v_mul_lo_u32 v12, v18, s4
	v_mov_b32_e32 v16, 0
	v_mov_b32_e32 v14, 0
	v_or_b32_e32 v19, 2, v56
	v_mov_b32_e32 v17, 0
	v_mov_b32_e32 v15, 0
	s_mov_b32 s3, exec_lo
	v_ashrrev_i32_e32 v13, 31, v12
	v_lshlrev_b64 v[12:13], 3, v[12:13]
	v_add_co_u32 v12, s0, s16, v12
	v_add_co_ci_u32_e64 v13, null, s17, v13, s0
	flat_load_dwordx2 v[12:13], v[12:13]
	v_cmpx_gt_i32_e64 s13, v19
	s_cbranch_execz .LBB256_36
; %bb.33:
	v_mul_lo_u32 v14, v19, s4
	v_or_b32_e32 v19, 3, v56
	s_mov_b32 s6, exec_lo
	v_ashrrev_i32_e32 v15, 31, v14
	v_lshlrev_b64 v[14:15], 3, v[14:15]
	v_add_co_u32 v14, s0, s16, v14
	v_add_co_ci_u32_e64 v15, null, s17, v15, s0
	flat_load_dwordx2 v[16:17], v[14:15]
	v_mov_b32_e32 v14, 0
	v_mov_b32_e32 v15, 0
	v_cmpx_gt_i32_e64 s13, v19
	s_cbranch_execz .LBB256_35
; %bb.34:
	v_mul_lo_u32 v14, v19, s4
	v_ashrrev_i32_e32 v15, 31, v14
	v_lshlrev_b64 v[14:15], 3, v[14:15]
	v_add_co_u32 v14, s0, s16, v14
	v_add_co_ci_u32_e64 v15, null, s17, v15, s0
	flat_load_dwordx2 v[14:15], v[14:15]
.LBB256_35:
	s_or_b32 exec_lo, exec_lo, s6
.LBB256_36:
	s_or_b32 exec_lo, exec_lo, s3
.LBB256_37:
	s_or_b32 exec_lo, exec_lo, s2
.LBB256_38:
	s_or_b32 exec_lo, exec_lo, s1
	s_mov_b32 s1, exec_lo
	v_cmpx_gt_i32_e64 s12, v55
	s_cbranch_execz .LBB256_46
; %bb.39:
	s_waitcnt lgkmcnt(0)
	v_mul_lo_u32 v19, v56, s21
	v_mul_lo_u32 v21, v18, s21
	v_or_b32_e32 v22, 2, v56
	v_or_b32_e32 v24, 3, v56
	s_mov_b32 s0, exec_lo
	v_mul_lo_u32 v23, v22, s21
	v_cndmask_b32_e32 v19, 0, v19, vcc_lo
	v_cmp_gt_i32_e32 vcc_lo, s13, v18
	v_mul_lo_u32 v25, v24, s21
	v_add_nc_u32_e32 v19, v19, v55
	v_cndmask_b32_e32 v21, 0, v21, vcc_lo
	v_ashrrev_i32_e32 v20, 31, v19
	v_lshlrev_b64 v[19:20], 3, v[19:20]
	v_add_co_u32 v18, vcc_lo, s14, v19
	v_add_co_ci_u32_e64 v19, null, s15, v20, vcc_lo
	v_add_nc_u32_e32 v20, v21, v55
	flat_load_dwordx2 v[28:29], v[18:19]
	v_ashrrev_i32_e32 v21, 31, v20
	v_lshlrev_b64 v[20:21], 3, v[20:21]
	v_add_co_u32 v20, vcc_lo, s14, v20
	v_add_co_ci_u32_e64 v21, null, s15, v21, vcc_lo
	v_cmp_gt_i32_e32 vcc_lo, s13, v22
	flat_load_dwordx2 v[30:31], v[20:21]
	v_cndmask_b32_e32 v22, 0, v23, vcc_lo
	v_cmp_gt_i32_e32 vcc_lo, s13, v24
	v_add_nc_u32_e32 v22, v22, v55
	v_cndmask_b32_e32 v26, 0, v25, vcc_lo
	v_ashrrev_i32_e32 v23, 31, v22
	v_lshlrev_b64 v[22:23], 3, v[22:23]
	v_add_co_u32 v24, vcc_lo, s14, v22
	v_add_co_ci_u32_e64 v25, null, s15, v23, vcc_lo
	v_add_nc_u32_e32 v22, v26, v55
	flat_load_dwordx2 v[32:33], v[24:25]
	v_ashrrev_i32_e32 v23, 31, v22
	v_lshlrev_b64 v[22:23], 3, v[22:23]
	v_add_co_u32 v26, vcc_lo, s14, v22
	v_add_co_ci_u32_e64 v27, null, s15, v23, vcc_lo
	flat_load_dwordx2 v[22:23], v[26:27]
	s_waitcnt vmcnt(3) lgkmcnt(3)
	v_fma_f64 v[8:9], v[10:11], v[28:29], v[8:9]
	v_add_nc_u32_e32 v28, 64, v55
	s_waitcnt vmcnt(2) lgkmcnt(2)
	v_fma_f64 v[8:9], v[12:13], v[30:31], v[8:9]
	s_waitcnt vmcnt(1) lgkmcnt(1)
	v_fma_f64 v[8:9], v[16:17], v[32:33], v[8:9]
	v_cmpx_gt_i32_e64 s12, v28
	s_cbranch_execz .LBB256_45
; %bb.40:
	s_clause 0x3
	flat_load_dwordx2 v[30:31], v[18:19] offset:512
	flat_load_dwordx2 v[32:33], v[20:21] offset:512
	;; [unrolled: 1-line block ×4, first 2 shown]
	s_mov_b32 s2, exec_lo
	s_waitcnt vmcnt(3) lgkmcnt(3)
	v_fma_f64 v[6:7], v[10:11], v[30:31], v[6:7]
	v_add_nc_u32_e32 v30, 0x80, v55
	s_waitcnt vmcnt(2) lgkmcnt(2)
	v_fma_f64 v[6:7], v[12:13], v[32:33], v[6:7]
	s_waitcnt vmcnt(1) lgkmcnt(1)
	v_fma_f64 v[6:7], v[16:17], v[34:35], v[6:7]
	v_cmpx_gt_i32_e64 s12, v30
	s_cbranch_execz .LBB256_44
; %bb.41:
	s_clause 0x3
	flat_load_dwordx2 v[32:33], v[18:19] offset:1024
	flat_load_dwordx2 v[34:35], v[20:21] offset:1024
	;; [unrolled: 1-line block ×4, first 2 shown]
	s_mov_b32 s3, exec_lo
	s_waitcnt vmcnt(3) lgkmcnt(3)
	v_fma_f64 v[4:5], v[10:11], v[32:33], v[4:5]
	v_add_nc_u32_e32 v32, 0xc0, v55
	s_waitcnt vmcnt(2) lgkmcnt(2)
	v_fma_f64 v[4:5], v[12:13], v[34:35], v[4:5]
	s_waitcnt vmcnt(1) lgkmcnt(1)
	v_fma_f64 v[4:5], v[16:17], v[36:37], v[4:5]
	v_cmpx_gt_i32_e64 s12, v32
	s_cbranch_execz .LBB256_43
; %bb.42:
	s_clause 0x3
	flat_load_dwordx2 v[18:19], v[18:19] offset:1536
	flat_load_dwordx2 v[20:21], v[20:21] offset:1536
	;; [unrolled: 1-line block ×4, first 2 shown]
	s_waitcnt vmcnt(3) lgkmcnt(3)
	v_fma_f64 v[2:3], v[10:11], v[18:19], v[2:3]
	s_waitcnt vmcnt(2) lgkmcnt(2)
	v_fma_f64 v[2:3], v[12:13], v[20:21], v[2:3]
	;; [unrolled: 2-line block ×4, first 2 shown]
.LBB256_43:
	s_or_b32 exec_lo, exec_lo, s3
	s_waitcnt vmcnt(0) lgkmcnt(0)
	v_fma_f64 v[4:5], v[14:15], v[30:31], v[4:5]
.LBB256_44:
	s_or_b32 exec_lo, exec_lo, s2
	s_waitcnt vmcnt(0) lgkmcnt(0)
	v_fma_f64 v[6:7], v[14:15], v[28:29], v[6:7]
.LBB256_45:
	s_or_b32 exec_lo, exec_lo, s0
	s_waitcnt vmcnt(0) lgkmcnt(0)
	v_fma_f64 v[8:9], v[14:15], v[22:23], v[8:9]
.LBB256_46:
	s_or_b32 exec_lo, exec_lo, s1
.LBB256_47:
	v_lshlrev_b32_e32 v0, 3, v0
	s_mov_b32 s0, exec_lo
	v_lshl_add_u32 v1, v1, 11, v0
	ds_write2st64_b64 v1, v[8:9], v[6:7] offset1:1
	ds_write2st64_b64 v1, v[4:5], v[2:3] offset0:2 offset1:3
	s_waitcnt vmcnt(0) lgkmcnt(0)
	s_barrier
	buffer_gl0_inv
                                        ; implicit-def: $vgpr4_vgpr5
                                        ; implicit-def: $vgpr2_vgpr3
	v_cmpx_gt_u32_e32 0x100, v53
	s_cbranch_execz .LBB256_53
; %bb.48:
	v_lshl_add_u32 v7, v54, 3, v0
	v_or_b32_e32 v6, s5, v53
	s_mov_b32 s2, s20
	s_mov_b32 s1, exec_lo
	ds_read2st64_b64 v[0:3], v7 offset1:4
	s_waitcnt lgkmcnt(0)
	v_add_f64 v[4:5], v[0:1], v[2:3]
	ds_read2st64_b64 v[0:3], v7 offset0:8 offset1:12
	s_waitcnt lgkmcnt(0)
	v_add_f64 v[0:1], v[0:1], v[4:5]
	v_add_f64 v[4:5], v[2:3], v[0:1]
	ds_read2st64_b64 v[0:3], v7 offset0:16 offset1:20
	s_waitcnt lgkmcnt(0)
	v_add_f64 v[0:1], v[0:1], v[4:5]
	v_add_f64 v[4:5], v[2:3], v[0:1]
	ds_read2st64_b64 v[0:3], v7 offset0:24 offset1:28
	s_waitcnt lgkmcnt(0)
	v_add_f64 v[0:1], v[0:1], v[4:5]
	v_add_f64 v[4:5], v[2:3], v[0:1]
	ds_read2st64_b64 v[0:3], v7 offset0:32 offset1:36
	s_waitcnt lgkmcnt(0)
	v_add_f64 v[0:1], v[0:1], v[4:5]
	v_add_f64 v[4:5], v[2:3], v[0:1]
	ds_read2st64_b64 v[0:3], v7 offset0:40 offset1:44
	s_waitcnt lgkmcnt(0)
	v_add_f64 v[0:1], v[0:1], v[4:5]
	v_add_f64 v[4:5], v[2:3], v[0:1]
	ds_read2st64_b64 v[0:3], v7 offset0:48 offset1:52
	s_waitcnt lgkmcnt(0)
	v_add_f64 v[0:1], v[0:1], v[4:5]
	v_add_f64 v[4:5], v[2:3], v[0:1]
	ds_read2st64_b64 v[0:3], v7 offset0:56 offset1:60
	s_waitcnt lgkmcnt(0)
	v_add_f64 v[0:1], v[0:1], v[4:5]
                                        ; implicit-def: $vgpr4_vgpr5
	v_add_f64 v[0:1], v[2:3], v[0:1]
                                        ; implicit-def: $vgpr2_vgpr3
	ds_write_b64 v7, v[0:1]
	v_cmpx_gt_i32_e64 s12, v6
	s_cbranch_execz .LBB256_52
; %bb.49:
	v_cmp_eq_f64_e64 s2, s[8:9], 0
	v_mul_f64 v[4:5], s[10:11], v[0:1]
	v_mul_lo_u32 v2, s19, v6
	v_ashrrev_i32_e32 v3, 31, v2
	s_and_b32 vcc_lo, exec_lo, s2
	s_cbranch_vccnz .LBB256_51
; %bb.50:
	v_lshlrev_b64 v[0:1], 3, v[2:3]
	v_add_co_u32 v0, vcc_lo, s7, v0
	v_add_co_ci_u32_e64 v1, null, s18, v1, vcc_lo
	flat_load_dwordx2 v[0:1], v[0:1]
	s_waitcnt vmcnt(0) lgkmcnt(0)
	v_fma_f64 v[4:5], s[8:9], v[0:1], v[4:5]
.LBB256_51:
	s_or_b32 s2, s20, exec_lo
.LBB256_52:
	s_or_b32 exec_lo, exec_lo, s1
	s_andn2_b32 s1, s20, exec_lo
	s_and_b32 s2, s2, exec_lo
	s_or_b32 s20, s1, s2
.LBB256_53:
	s_or_b32 exec_lo, exec_lo, s0
.LBB256_54:
	s_and_saveexec_b32 s0, s20
	s_cbranch_execz .LBB256_56
; %bb.55:
	v_lshlrev_b64 v[0:1], 3, v[2:3]
	v_add_co_u32 v0, vcc_lo, s7, v0
	v_add_co_ci_u32_e64 v1, null, s18, v1, vcc_lo
	flat_store_dwordx2 v[0:1], v[4:5]
.LBB256_56:
	s_endpgm
	.section	.rodata,"a",@progbits
	.p2align	6, 0x0
	.amdhsa_kernel _ZL20rocblas_gemvn_kernelILi64ELi16EiPKddKPdEviiT3_lPKT2_lT1_lS7_lS8_lS4_lPT4_lS8_li
		.amdhsa_group_segment_fixed_size 32768
		.amdhsa_private_segment_fixed_size 0
		.amdhsa_kernarg_size 400
		.amdhsa_user_sgpr_count 6
		.amdhsa_user_sgpr_private_segment_buffer 1
		.amdhsa_user_sgpr_dispatch_ptr 0
		.amdhsa_user_sgpr_queue_ptr 0
		.amdhsa_user_sgpr_kernarg_segment_ptr 1
		.amdhsa_user_sgpr_dispatch_id 0
		.amdhsa_user_sgpr_flat_scratch_init 0
		.amdhsa_user_sgpr_private_segment_size 0
		.amdhsa_wavefront_size32 1
		.amdhsa_uses_dynamic_stack 0
		.amdhsa_system_sgpr_private_segment_wavefront_offset 0
		.amdhsa_system_sgpr_workgroup_id_x 1
		.amdhsa_system_sgpr_workgroup_id_y 0
		.amdhsa_system_sgpr_workgroup_id_z 1
		.amdhsa_system_sgpr_workgroup_info 0
		.amdhsa_system_vgpr_workitem_id 1
		.amdhsa_next_free_vgpr 62
		.amdhsa_next_free_sgpr 30
		.amdhsa_reserve_vcc 1
		.amdhsa_reserve_flat_scratch 1
		.amdhsa_float_round_mode_32 0
		.amdhsa_float_round_mode_16_64 0
		.amdhsa_float_denorm_mode_32 3
		.amdhsa_float_denorm_mode_16_64 3
		.amdhsa_dx10_clamp 1
		.amdhsa_ieee_mode 1
		.amdhsa_fp16_overflow 0
		.amdhsa_workgroup_processor_mode 1
		.amdhsa_memory_ordered 1
		.amdhsa_forward_progress 1
		.amdhsa_shared_vgpr_count 0
		.amdhsa_exception_fp_ieee_invalid_op 0
		.amdhsa_exception_fp_denorm_src 0
		.amdhsa_exception_fp_ieee_div_zero 0
		.amdhsa_exception_fp_ieee_overflow 0
		.amdhsa_exception_fp_ieee_underflow 0
		.amdhsa_exception_fp_ieee_inexact 0
		.amdhsa_exception_int_div_zero 0
	.end_amdhsa_kernel
	.section	.text._ZL20rocblas_gemvn_kernelILi64ELi16EiPKddKPdEviiT3_lPKT2_lT1_lS7_lS8_lS4_lPT4_lS8_li,"axG",@progbits,_ZL20rocblas_gemvn_kernelILi64ELi16EiPKddKPdEviiT3_lPKT2_lT1_lS7_lS8_lS4_lPT4_lS8_li,comdat
.Lfunc_end256:
	.size	_ZL20rocblas_gemvn_kernelILi64ELi16EiPKddKPdEviiT3_lPKT2_lT1_lS7_lS8_lS4_lPT4_lS8_li, .Lfunc_end256-_ZL20rocblas_gemvn_kernelILi64ELi16EiPKddKPdEviiT3_lPKT2_lT1_lS7_lS8_lS4_lPT4_lS8_li
                                        ; -- End function
	.set _ZL20rocblas_gemvn_kernelILi64ELi16EiPKddKPdEviiT3_lPKT2_lT1_lS7_lS8_lS4_lPT4_lS8_li.num_vgpr, 62
	.set _ZL20rocblas_gemvn_kernelILi64ELi16EiPKddKPdEviiT3_lPKT2_lT1_lS7_lS8_lS4_lPT4_lS8_li.num_agpr, 0
	.set _ZL20rocblas_gemvn_kernelILi64ELi16EiPKddKPdEviiT3_lPKT2_lT1_lS7_lS8_lS4_lPT4_lS8_li.numbered_sgpr, 30
	.set _ZL20rocblas_gemvn_kernelILi64ELi16EiPKddKPdEviiT3_lPKT2_lT1_lS7_lS8_lS4_lPT4_lS8_li.num_named_barrier, 0
	.set _ZL20rocblas_gemvn_kernelILi64ELi16EiPKddKPdEviiT3_lPKT2_lT1_lS7_lS8_lS4_lPT4_lS8_li.private_seg_size, 0
	.set _ZL20rocblas_gemvn_kernelILi64ELi16EiPKddKPdEviiT3_lPKT2_lT1_lS7_lS8_lS4_lPT4_lS8_li.uses_vcc, 1
	.set _ZL20rocblas_gemvn_kernelILi64ELi16EiPKddKPdEviiT3_lPKT2_lT1_lS7_lS8_lS4_lPT4_lS8_li.uses_flat_scratch, 1
	.set _ZL20rocblas_gemvn_kernelILi64ELi16EiPKddKPdEviiT3_lPKT2_lT1_lS7_lS8_lS4_lPT4_lS8_li.has_dyn_sized_stack, 0
	.set _ZL20rocblas_gemvn_kernelILi64ELi16EiPKddKPdEviiT3_lPKT2_lT1_lS7_lS8_lS4_lPT4_lS8_li.has_recursion, 0
	.set _ZL20rocblas_gemvn_kernelILi64ELi16EiPKddKPdEviiT3_lPKT2_lT1_lS7_lS8_lS4_lPT4_lS8_li.has_indirect_call, 0
	.section	.AMDGPU.csdata,"",@progbits
; Kernel info:
; codeLenInByte = 3032
; TotalNumSgprs: 32
; NumVgprs: 62
; ScratchSize: 0
; MemoryBound: 0
; FloatMode: 240
; IeeeMode: 1
; LDSByteSize: 32768 bytes/workgroup (compile time only)
; SGPRBlocks: 0
; VGPRBlocks: 7
; NumSGPRsForWavesPerEU: 32
; NumVGPRsForWavesPerEU: 62
; Occupancy: 16
; WaveLimiterHint : 1
; COMPUTE_PGM_RSRC2:SCRATCH_EN: 0
; COMPUTE_PGM_RSRC2:USER_SGPR: 6
; COMPUTE_PGM_RSRC2:TRAP_HANDLER: 0
; COMPUTE_PGM_RSRC2:TGID_X_EN: 1
; COMPUTE_PGM_RSRC2:TGID_Y_EN: 0
; COMPUTE_PGM_RSRC2:TGID_Z_EN: 1
; COMPUTE_PGM_RSRC2:TIDIG_COMP_CNT: 1
	.section	.text._ZL20rocblas_gemvn_kernelILi64ELi16ElPKddKPdEviiT3_lPKT2_lT1_lS7_lS8_lS4_lPT4_lS8_li,"axG",@progbits,_ZL20rocblas_gemvn_kernelILi64ELi16ElPKddKPdEviiT3_lPKT2_lT1_lS7_lS8_lS4_lPT4_lS8_li,comdat
	.globl	_ZL20rocblas_gemvn_kernelILi64ELi16ElPKddKPdEviiT3_lPKT2_lT1_lS7_lS8_lS4_lPT4_lS8_li ; -- Begin function _ZL20rocblas_gemvn_kernelILi64ELi16ElPKddKPdEviiT3_lPKT2_lT1_lS7_lS8_lS4_lPT4_lS8_li
	.p2align	8
	.type	_ZL20rocblas_gemvn_kernelILi64ELi16ElPKddKPdEviiT3_lPKT2_lT1_lS7_lS8_lS4_lPT4_lS8_li,@function
_ZL20rocblas_gemvn_kernelILi64ELi16ElPKddKPdEviiT3_lPKT2_lT1_lS7_lS8_lS4_lPT4_lS8_li: ; @_ZL20rocblas_gemvn_kernelILi64ELi16ElPKddKPdEviiT3_lPKT2_lT1_lS7_lS8_lS4_lPT4_lS8_li
; %bb.0:
	s_load_dwordx2 s[0:1], s[4:5], 0x9c
	s_waitcnt lgkmcnt(0)
	s_lshr_b32 s2, s0, 16
	s_and_b32 s0, s0, 0xffff
	s_and_b32 s1, s1, 0xffff
	s_mul_i32 s0, s2, s0
	s_mul_i32 s0, s0, s1
	s_cmpk_lg_i32 s0, 0x400
	s_cbranch_scc1 .LBB257_56
; %bb.1:
	s_clause 0x1
	s_load_dwordx2 s[10:11], s[4:5], 0x8
	s_load_dwordx2 s[8:9], s[4:5], 0x58
	s_mov_b32 s12, s7
	s_waitcnt lgkmcnt(0)
	v_cmp_eq_f64_e64 s7, s[10:11], 0
	v_cmp_eq_f64_e64 s0, s[8:9], 1.0
	s_and_b32 s0, s7, s0
	s_and_b32 vcc_lo, exec_lo, s0
	s_cbranch_vccnz .LBB257_56
; %bb.2:
	v_cmp_neq_f64_e64 s14, s[10:11], 0
	s_clause 0x1
	s_load_dwordx4 s[0:3], s[4:5], 0x18
	s_load_dwordx2 s[16:17], s[4:5], 0x28
	s_mov_b32 s13, 0
	s_and_b32 vcc_lo, exec_lo, s14
	s_cbranch_vccnz .LBB257_4
; %bb.3:
	s_mov_b32 s15, s13
	s_mov_b64 s[20:21], 0
	s_andn2_b32 vcc_lo, exec_lo, s15
	s_mov_b64 s[18:19], 0
	s_cbranch_vccz .LBB257_5
	s_branch .LBB257_6
.LBB257_4:
	s_mov_b64 s[20:21], 0
	s_mov_b64 s[18:19], 0
.LBB257_5:
	s_lshl_b64 s[18:19], s[12:13], 3
	s_waitcnt lgkmcnt(0)
	s_add_u32 s0, s0, s18
	s_addc_u32 s1, s1, s19
	s_lshl_b64 s[2:3], s[2:3], 3
	s_load_dwordx2 s[0:1], s[0:1], 0x0
	s_waitcnt lgkmcnt(0)
	s_add_u32 s18, s0, s2
	s_addc_u32 s19, s1, s3
.LBB257_6:
	s_waitcnt lgkmcnt(0)
	s_clause 0x1
	s_load_dwordx4 s[0:3], s[4:5], 0x38
	s_load_dwordx2 s[22:23], s[4:5], 0x48
	s_andn2_b32 vcc_lo, exec_lo, s14
	s_cbranch_vccnz .LBB257_8
; %bb.7:
	s_lshl_b64 s[14:15], s[12:13], 3
	s_waitcnt lgkmcnt(0)
	s_add_u32 s0, s0, s14
	s_addc_u32 s1, s1, s15
	s_lshl_b64 s[2:3], s[2:3], 3
	s_load_dwordx2 s[0:1], s[0:1], 0x0
	s_waitcnt lgkmcnt(0)
	s_add_u32 s20, s0, s2
	s_addc_u32 s21, s1, s3
.LBB257_8:
	s_waitcnt lgkmcnt(0)
	s_load_dwordx4 s[0:3], s[4:5], 0x68
	s_lshl_b64 s[12:13], s[12:13], 3
	v_lshlrev_b32_e32 v63, 6, v1
	v_add_nc_u32_e32 v62, v63, v0
	s_waitcnt lgkmcnt(0)
	s_add_u32 s0, s0, s12
	s_addc_u32 s1, s1, s13
	s_lshl_b64 s[2:3], s[2:3], 3
	s_load_dwordx2 s[24:25], s[0:1], 0x0
	s_clause 0x1
	s_load_dwordx2 s[14:15], s[4:5], 0x0
	s_load_dwordx2 s[12:13], s[4:5], 0x78
	v_cmp_gt_u32_e64 s0, 0x100, v62
	s_waitcnt lgkmcnt(0)
	s_add_u32 s5, s24, s2
	s_addc_u32 s28, s25, s3
	s_andn2_b32 vcc_lo, exec_lo, s7
	s_cbranch_vccnz .LBB257_15
; %bb.9:
	s_mov_b32 s1, 0
	s_mov_b32 s29, 0
                                        ; implicit-def: $vgpr2_vgpr3
                                        ; implicit-def: $vgpr4_vgpr5
	s_and_saveexec_b32 s2, s0
	s_cbranch_execz .LBB257_16
; %bb.10:
	v_lshl_or_b32 v6, s6, 8, v62
	v_mov_b32_e32 v7, 0
	s_ashr_i32 s25, s14, 31
	s_mov_b32 s24, s14
	s_mov_b32 s3, 0
	s_mov_b32 s0, exec_lo
                                        ; implicit-def: $vgpr2_vgpr3
                                        ; implicit-def: $vgpr4_vgpr5
	v_cmpx_gt_i64_e64 s[24:25], v[6:7]
	s_cbranch_execz .LBB257_14
; %bb.11:
	v_cmp_eq_f64_e64 s3, s[8:9], 0
	v_mad_u64_u32 v[4:5], null, s12, v6, 0
	v_mov_b32_e32 v2, v5
	v_mad_u64_u32 v[5:6], null, s13, v6, v[2:3]
	v_mov_b32_e32 v2, 0
	v_mov_b32_e32 v3, 0
	s_and_b32 vcc_lo, exec_lo, s3
	s_cbranch_vccnz .LBB257_13
; %bb.12:
	v_lshlrev_b64 v[2:3], 3, v[4:5]
	v_add_co_u32 v2, vcc_lo, s5, v2
	v_add_co_ci_u32_e64 v3, null, s28, v3, vcc_lo
	flat_load_dwordx2 v[2:3], v[2:3]
	s_waitcnt vmcnt(0) lgkmcnt(0)
	v_mul_f64 v[2:3], s[8:9], v[2:3]
.LBB257_13:
	s_mov_b32 s3, exec_lo
.LBB257_14:
	s_or_b32 exec_lo, exec_lo, s0
	s_and_b32 s29, s3, exec_lo
	s_or_b32 exec_lo, exec_lo, s2
	s_and_b32 vcc_lo, exec_lo, s1
	s_cbranch_vccnz .LBB257_17
	s_branch .LBB257_54
.LBB257_15:
	s_mov_b32 s29, 0
                                        ; implicit-def: $vgpr2_vgpr3
                                        ; implicit-def: $vgpr4_vgpr5
	s_cbranch_execnz .LBB257_17
	s_branch .LBB257_54
.LBB257_16:
	s_or_b32 exec_lo, exec_lo, s2
	s_and_b32 vcc_lo, exec_lo, s1
	s_cbranch_vccz .LBB257_54
.LBB257_17:
	s_ashr_i32 s0, s15, 31
	s_lshl_b32 s30, s6, 8
	s_lshr_b32 s0, s0, 26
	v_mov_b32_e32 v10, 0
	v_mov_b32_e32 v8, 0
	v_mov_b32_e32 v6, 0
	v_mov_b32_e32 v4, 0
	v_lshlrev_b32_e32 v64, 2, v1
	v_add_nc_u32_e32 v2, s30, v0
	v_mov_b32_e32 v11, 0
	v_mov_b32_e32 v9, 0
	;; [unrolled: 1-line block ×4, first 2 shown]
	s_add_i32 s31, s15, s0
	s_mov_b32 s33, exec_lo
	s_andn2_b32 s31, s31, 63
	v_cmpx_gt_i32_e64 s31, v64
	s_cbranch_execz .LBB257_29
; %bb.18:
	v_lshlrev_b32_e32 v26, 2, v1
	v_mad_u64_u32 v[6:7], null, s22, v1, 0
	v_add_nc_u32_e32 v12, 0xc0, v2
	v_mad_u64_u32 v[8:9], null, s16, v1, 0
	v_or_b32_e32 v20, 3, v26
	v_add_nc_u32_e32 v10, 64, v2
	v_cmp_gt_i32_e64 s2, s14, v12
	v_add_nc_u32_e32 v11, 0x80, v2
	v_ashrrev_i32_e32 v3, 31, v2
	v_mad_u64_u32 v[4:5], null, s16, v20, 0
	v_cmp_gt_i32_e64 s0, s14, v10
	v_cmp_gt_i32_e64 s1, s14, v11
	v_mad_u64_u32 v[10:11], null, s22, v26, s[22:23]
	v_mad_u64_u32 v[18:19], null, s22, v20, 0
	v_mad_u64_u32 v[12:13], null, s17, v20, v[5:6]
	v_mov_b32_e32 v5, v7
	v_mov_b32_e32 v7, v9
	v_or_b32_e32 v27, 2, v26
	s_lshl_b64 s[6:7], s[16:17], 9
	s_lshl_b64 s[24:25], s[22:23], 9
	v_mad_u64_u32 v[14:15], null, s23, v1, v[5:6]
	v_mov_b32_e32 v5, v12
	v_lshlrev_b64 v[12:13], 3, v[2:3]
	v_mad_u64_u32 v[15:16], null, s17, v1, v[7:8]
	v_mad_u64_u32 v[16:17], null, s16, v27, 0
	v_lshlrev_b64 v[3:4], 3, v[4:5]
	v_mov_b32_e32 v5, v11
	v_mov_b32_e32 v11, v19
	;; [unrolled: 1-line block ×4, first 2 shown]
	v_mad_u64_u32 v[22:23], null, s22, v27, 0
	v_add_co_u32 v3, s3, s18, v3
	v_mad_u64_u32 v[19:20], null, s23, v20, v[11:12]
	v_add_co_ci_u32_e64 v65, null, s19, v4, s3
	v_mad_u64_u32 v[4:5], null, s23, v26, v[5:6]
	v_mad_u64_u32 v[20:21], null, s16, v26, s[16:17]
	v_mov_b32_e32 v5, v17
	v_lshlrev_b64 v[14:15], 5, v[6:7]
	v_mov_b32_e32 v7, v23
	v_lshlrev_b64 v[18:19], 3, v[18:19]
	v_mov_b32_e32 v11, v4
	v_mad_u64_u32 v[24:25], null, s17, v27, v[5:6]
	v_lshlrev_b64 v[5:6], 5, v[8:9]
	v_mov_b32_e32 v4, v21
	s_mov_b32 s34, 0
	s_mov_b64 s[26:27], s[20:21]
	v_cmp_gt_i32_e32 vcc_lo, s14, v2
	v_mad_u64_u32 v[8:9], null, s17, v26, v[4:5]
	v_mov_b32_e32 v17, v24
	v_add_co_u32 v66, s3, s18, v5
	v_add_co_ci_u32_e64 v67, null, s19, v6, s3
	v_lshlrev_b64 v[4:5], 3, v[16:17]
	v_mov_b32_e32 v21, v8
	v_mad_u64_u32 v[23:24], null, s23, v27, v[7:8]
	v_lshlrev_b64 v[16:17], 3, v[10:11]
	v_mov_b32_e32 v10, 0
	v_lshlrev_b64 v[24:25], 3, v[20:21]
	v_add_co_u32 v68, s3, s18, v4
	v_add_co_ci_u32_e64 v69, null, s19, v5, s3
	v_lshlrev_b64 v[20:21], 3, v[22:23]
	v_add_co_u32 v70, s3, s18, v24
	v_mov_b32_e32 v8, 0
	v_mov_b32_e32 v6, 0
	;; [unrolled: 1-line block ×7, first 2 shown]
	v_add_co_ci_u32_e64 v71, null, s19, v25, s3
	s_branch .LBB257_23
.LBB257_19:                             ;   in Loop: Header=BB257_23 Depth=1
	s_or_b32 exec_lo, exec_lo, s36
	s_waitcnt vmcnt(3) lgkmcnt(3)
	v_fma_f64 v[6:7], v[22:23], v[54:55], v[6:7]
	s_waitcnt vmcnt(2) lgkmcnt(2)
	v_fma_f64 v[6:7], v[24:25], v[56:57], v[6:7]
	;; [unrolled: 2-line block ×4, first 2 shown]
.LBB257_20:                             ;   in Loop: Header=BB257_23 Depth=1
	s_or_b32 exec_lo, exec_lo, s35
	s_waitcnt vmcnt(3) lgkmcnt(3)
	v_fma_f64 v[8:9], v[22:23], v[46:47], v[8:9]
	s_waitcnt vmcnt(2) lgkmcnt(2)
	v_fma_f64 v[8:9], v[24:25], v[48:49], v[8:9]
	;; [unrolled: 2-line block ×4, first 2 shown]
.LBB257_21:                             ;   in Loop: Header=BB257_23 Depth=1
	s_or_b32 exec_lo, exec_lo, s3
	s_waitcnt vmcnt(3) lgkmcnt(3)
	v_fma_f64 v[10:11], v[22:23], v[30:31], v[10:11]
	s_waitcnt vmcnt(2) lgkmcnt(2)
	v_fma_f64 v[10:11], v[24:25], v[32:33], v[10:11]
	;; [unrolled: 2-line block ×4, first 2 shown]
.LBB257_22:                             ;   in Loop: Header=BB257_23 Depth=1
	s_or_b32 exec_lo, exec_lo, s4
	v_add_co_u32 v3, s3, v3, s6
	v_add_nc_u32_e32 v64, 64, v64
	v_add_co_ci_u32_e64 v65, null, s7, v65, s3
	v_add_co_u32 v66, s3, v66, s6
	v_add_co_ci_u32_e64 v67, null, s7, v67, s3
	v_add_co_u32 v68, s3, v68, s6
	v_add_co_ci_u32_e64 v69, null, s7, v69, s3
	v_cmp_le_i32_e64 s3, s31, v64
	v_add_co_u32 v70, s4, v70, s6
	v_add_co_ci_u32_e64 v71, null, s7, v71, s4
	s_add_u32 s26, s26, s24
	s_addc_u32 s27, s27, s25
	s_or_b32 s34, s3, s34
	s_andn2_b32 exec_lo, exec_lo, s34
	s_cbranch_execz .LBB257_28
.LBB257_23:                             ; =>This Inner Loop Header: Depth=1
	s_and_saveexec_b32 s4, vcc_lo
	s_cbranch_execz .LBB257_22
; %bb.24:                               ;   in Loop: Header=BB257_23 Depth=1
	v_add_co_u32 v22, s3, s26, v14
	v_add_co_ci_u32_e64 v23, null, s27, v15, s3
	v_add_co_u32 v24, s3, s26, v16
	v_add_co_ci_u32_e64 v25, null, s27, v17, s3
	;; [unrolled: 2-line block ×8, first 2 shown]
	s_clause 0x3
	flat_load_dwordx2 v[22:23], v[22:23]
	flat_load_dwordx2 v[24:25], v[24:25]
	;; [unrolled: 1-line block ×8, first 2 shown]
	s_and_saveexec_b32 s3, s0
	s_cbranch_execz .LBB257_21
; %bb.25:                               ;   in Loop: Header=BB257_23 Depth=1
	flat_load_dwordx2 v[46:47], v[38:39] offset:512
	flat_load_dwordx2 v[48:49], v[40:41] offset:512
	flat_load_dwordx2 v[50:51], v[42:43] offset:512
	flat_load_dwordx2 v[52:53], v[44:45] offset:512
	s_and_saveexec_b32 s35, s1
	s_cbranch_execz .LBB257_20
; %bb.26:                               ;   in Loop: Header=BB257_23 Depth=1
	flat_load_dwordx2 v[54:55], v[38:39] offset:1024
	flat_load_dwordx2 v[56:57], v[40:41] offset:1024
	flat_load_dwordx2 v[58:59], v[42:43] offset:1024
	flat_load_dwordx2 v[60:61], v[44:45] offset:1024
	;; [unrolled: 7-line block ×3, first 2 shown]
	s_waitcnt vmcnt(3) lgkmcnt(3)
	v_fma_f64 v[4:5], v[22:23], v[38:39], v[4:5]
	s_waitcnt vmcnt(2) lgkmcnt(2)
	v_fma_f64 v[4:5], v[24:25], v[40:41], v[4:5]
	s_waitcnt vmcnt(1) lgkmcnt(1)
	v_fma_f64 v[4:5], v[26:27], v[42:43], v[4:5]
	s_waitcnt vmcnt(0) lgkmcnt(0)
	v_fma_f64 v[4:5], v[28:29], v[44:45], v[4:5]
	s_branch .LBB257_19
.LBB257_28:
	s_or_b32 exec_lo, exec_lo, s34
.LBB257_29:
	s_or_b32 exec_lo, exec_lo, s33
	s_sub_i32 s0, s15, s31
	s_cmp_lt_i32 s0, 1
	s_cbranch_scc1 .LBB257_47
; %bb.30:
	v_mov_b32_e32 v16, 0
	v_mov_b32_e32 v18, 0
	;; [unrolled: 1-line block ×4, first 2 shown]
	v_cmp_gt_i32_e32 vcc_lo, s15, v64
	v_mov_b32_e32 v17, 0
	v_mov_b32_e32 v19, 0
	v_mov_b32_e32 v15, 0
	v_mov_b32_e32 v13, 0
	v_or_b32_e32 v20, 1, v64
	s_and_saveexec_b32 s1, vcc_lo
	s_cbranch_execz .LBB257_38
; %bb.31:
	v_mad_u64_u32 v[12:13], null, s22, v64, 0
	v_mov_b32_e32 v18, 0
	v_mov_b32_e32 v16, 0
	;; [unrolled: 1-line block ×4, first 2 shown]
	s_mov_b32 s2, exec_lo
	v_mov_b32_e32 v3, v13
	v_mad_u64_u32 v[13:14], null, s23, v64, v[3:4]
	v_mov_b32_e32 v14, 0
	v_mov_b32_e32 v15, 0
	v_lshlrev_b64 v[12:13], 3, v[12:13]
	v_add_co_u32 v12, s0, s20, v12
	v_add_co_ci_u32_e64 v13, null, s21, v13, s0
	flat_load_dwordx2 v[12:13], v[12:13]
	v_cmpx_gt_i32_e64 s15, v20
	s_cbranch_execz .LBB257_37
; %bb.32:
	v_mad_u64_u32 v[14:15], null, s22, v20, 0
	v_mov_b32_e32 v18, 0
	v_mov_b32_e32 v19, 0
	s_mov_b32 s3, exec_lo
	v_mov_b32_e32 v3, v15
	v_mad_u64_u32 v[15:16], null, s23, v20, v[3:4]
	v_mov_b32_e32 v16, 0
	v_or_b32_e32 v3, 2, v64
	v_mov_b32_e32 v17, 0
	v_lshlrev_b64 v[14:15], 3, v[14:15]
	v_add_co_u32 v14, s0, s20, v14
	v_add_co_ci_u32_e64 v15, null, s21, v15, s0
	flat_load_dwordx2 v[14:15], v[14:15]
	v_cmpx_gt_i32_e64 s15, v3
	s_cbranch_execz .LBB257_36
; %bb.33:
	v_mad_u64_u32 v[16:17], null, s22, v3, 0
	s_mov_b32 s4, exec_lo
	v_mad_u64_u32 v[17:18], null, s23, v3, v[17:18]
	v_or_b32_e32 v3, 3, v64
	v_lshlrev_b64 v[16:17], 3, v[16:17]
	v_add_co_u32 v16, s0, s20, v16
	v_add_co_ci_u32_e64 v17, null, s21, v17, s0
	flat_load_dwordx2 v[18:19], v[16:17]
	v_mov_b32_e32 v16, 0
	v_mov_b32_e32 v17, 0
	v_cmpx_gt_i32_e64 s15, v3
	s_cbranch_execz .LBB257_35
; %bb.34:
	v_mad_u64_u32 v[16:17], null, s22, v3, 0
	s_waitcnt vmcnt(0) lgkmcnt(0)
	v_mad_u64_u32 v[21:22], null, s23, v3, v[17:18]
	v_mov_b32_e32 v17, v21
	v_lshlrev_b64 v[16:17], 3, v[16:17]
	v_add_co_u32 v16, s0, s20, v16
	v_add_co_ci_u32_e64 v17, null, s21, v17, s0
	flat_load_dwordx2 v[16:17], v[16:17]
.LBB257_35:
	s_or_b32 exec_lo, exec_lo, s4
.LBB257_36:
	s_or_b32 exec_lo, exec_lo, s3
.LBB257_37:
	s_or_b32 exec_lo, exec_lo, s2
.LBB257_38:
	s_or_b32 exec_lo, exec_lo, s1
	s_mov_b32 s1, exec_lo
	v_cmpx_gt_i32_e64 s14, v2
	s_cbranch_execz .LBB257_46
; %bb.39:
	v_mad_u64_u32 v[21:22], null, s16, v64, 0
	v_or_b32_e32 v32, 2, v64
	v_or_b32_e32 v36, 3, v64
	v_mad_u64_u32 v[26:27], null, s16, v32, 0
	v_mov_b32_e32 v3, v22
	v_cndmask_b32_e32 v21, 0, v21, vcc_lo
	v_mad_u64_u32 v[22:23], null, s17, v64, v[3:4]
	v_mad_u64_u32 v[23:24], null, s16, v20, 0
	v_ashrrev_i32_e32 v3, 31, v2
	v_cndmask_b32_e32 v22, 0, v22, vcc_lo
	v_lshlrev_b64 v[28:29], 3, v[2:3]
	v_mad_u64_u32 v[24:25], null, s17, v20, v[24:25]
	v_cmp_gt_i32_e32 vcc_lo, s15, v20
	v_lshlrev_b64 v[21:22], 3, v[21:22]
	v_cndmask_b32_e32 v23, 0, v23, vcc_lo
	v_cndmask_b32_e32 v24, 0, v24, vcc_lo
	v_add_co_u32 v3, s0, s18, v21
	v_add_co_ci_u32_e64 v21, null, s19, v22, s0
	v_lshlrev_b64 v[22:23], 3, v[23:24]
	v_add_co_u32 v20, vcc_lo, v3, v28
	v_add_co_ci_u32_e64 v21, null, v21, v29, vcc_lo
	v_mov_b32_e32 v3, v27
	v_add_co_u32 v24, vcc_lo, s18, v22
	flat_load_dwordx2 v[30:31], v[20:21]
	v_add_co_ci_u32_e64 v25, null, s19, v23, vcc_lo
	v_mad_u64_u32 v[22:23], null, s17, v32, v[3:4]
	v_add_co_u32 v24, s0, v24, v28
	v_cmp_gt_i32_e32 vcc_lo, s15, v32
	v_add_co_ci_u32_e64 v25, null, v25, v29, s0
	v_cndmask_b32_e32 v26, 0, v26, vcc_lo
	v_cndmask_b32_e32 v27, 0, v22, vcc_lo
	v_mad_u64_u32 v[22:23], null, s16, v36, 0
	flat_load_dwordx2 v[32:33], v[24:25]
	v_lshlrev_b64 v[26:27], 3, v[26:27]
	v_mov_b32_e32 v3, v23
	v_add_co_u32 v23, vcc_lo, s18, v26
	v_add_co_ci_u32_e64 v27, null, s19, v27, vcc_lo
	v_mad_u64_u32 v[34:35], null, s17, v36, v[3:4]
	v_add_co_u32 v26, s0, v23, v28
	v_cmp_gt_i32_e32 vcc_lo, s15, v36
	v_add_co_ci_u32_e64 v27, null, v27, v29, s0
	s_mov_b32 s0, exec_lo
	v_cndmask_b32_e32 v22, 0, v22, vcc_lo
	v_cndmask_b32_e32 v23, 0, v34, vcc_lo
	flat_load_dwordx2 v[34:35], v[26:27]
	v_lshlrev_b64 v[22:23], 3, v[22:23]
	v_add_co_u32 v3, vcc_lo, s18, v22
	v_add_co_ci_u32_e64 v22, null, s19, v23, vcc_lo
	v_add_co_u32 v28, vcc_lo, v3, v28
	v_add_co_ci_u32_e64 v29, null, v22, v29, vcc_lo
	v_add_nc_u32_e32 v3, 64, v2
	flat_load_dwordx2 v[22:23], v[28:29]
	s_waitcnt vmcnt(3) lgkmcnt(3)
	v_fma_f64 v[10:11], v[12:13], v[30:31], v[10:11]
	s_waitcnt vmcnt(2) lgkmcnt(2)
	v_fma_f64 v[10:11], v[14:15], v[32:33], v[10:11]
	;; [unrolled: 2-line block ×3, first 2 shown]
	v_cmpx_gt_i32_e64 s14, v3
	s_cbranch_execz .LBB257_45
; %bb.40:
	s_clause 0x3
	flat_load_dwordx2 v[32:33], v[20:21] offset:512
	flat_load_dwordx2 v[34:35], v[24:25] offset:512
	;; [unrolled: 1-line block ×4, first 2 shown]
	v_add_nc_u32_e32 v3, 0x80, v2
	s_mov_b32 s2, exec_lo
	s_waitcnt vmcnt(3) lgkmcnt(3)
	v_fma_f64 v[8:9], v[12:13], v[32:33], v[8:9]
	s_waitcnt vmcnt(2) lgkmcnt(2)
	v_fma_f64 v[8:9], v[14:15], v[34:35], v[8:9]
	;; [unrolled: 2-line block ×3, first 2 shown]
	v_cmpx_gt_i32_e64 s14, v3
	s_cbranch_execz .LBB257_44
; %bb.41:
	s_clause 0x3
	flat_load_dwordx2 v[34:35], v[20:21] offset:1024
	flat_load_dwordx2 v[36:37], v[24:25] offset:1024
	;; [unrolled: 1-line block ×4, first 2 shown]
	v_add_nc_u32_e32 v2, 0xc0, v2
	s_mov_b32 s3, exec_lo
	s_waitcnt vmcnt(3) lgkmcnt(3)
	v_fma_f64 v[6:7], v[12:13], v[34:35], v[6:7]
	s_waitcnt vmcnt(2) lgkmcnt(2)
	v_fma_f64 v[6:7], v[14:15], v[36:37], v[6:7]
	;; [unrolled: 2-line block ×3, first 2 shown]
	v_cmpx_gt_i32_e64 s14, v2
	s_cbranch_execz .LBB257_43
; %bb.42:
	s_clause 0x3
	flat_load_dwordx2 v[2:3], v[20:21] offset:1536
	flat_load_dwordx2 v[20:21], v[24:25] offset:1536
	;; [unrolled: 1-line block ×4, first 2 shown]
	s_waitcnt vmcnt(3) lgkmcnt(3)
	v_fma_f64 v[2:3], v[12:13], v[2:3], v[4:5]
	s_waitcnt vmcnt(2) lgkmcnt(2)
	v_fma_f64 v[2:3], v[14:15], v[20:21], v[2:3]
	s_waitcnt vmcnt(1) lgkmcnt(1)
	v_fma_f64 v[2:3], v[18:19], v[24:25], v[2:3]
	s_waitcnt vmcnt(0) lgkmcnt(0)
	v_fma_f64 v[4:5], v[16:17], v[26:27], v[2:3]
.LBB257_43:
	s_or_b32 exec_lo, exec_lo, s3
	s_waitcnt vmcnt(0) lgkmcnt(0)
	v_fma_f64 v[6:7], v[16:17], v[32:33], v[6:7]
.LBB257_44:
	s_or_b32 exec_lo, exec_lo, s2
	s_waitcnt vmcnt(0) lgkmcnt(0)
	v_fma_f64 v[8:9], v[16:17], v[30:31], v[8:9]
.LBB257_45:
	s_or_b32 exec_lo, exec_lo, s0
	s_waitcnt vmcnt(0) lgkmcnt(0)
	v_fma_f64 v[10:11], v[16:17], v[22:23], v[10:11]
.LBB257_46:
	s_or_b32 exec_lo, exec_lo, s1
.LBB257_47:
	v_lshlrev_b32_e32 v0, 3, v0
	s_mov_b32 s0, exec_lo
                                        ; implicit-def: $vgpr2_vgpr3
	v_lshl_add_u32 v1, v1, 11, v0
	ds_write2st64_b64 v1, v[10:11], v[8:9] offset1:1
	ds_write2st64_b64 v1, v[6:7], v[4:5] offset0:2 offset1:3
	s_waitcnt vmcnt(0) lgkmcnt(0)
	s_barrier
	buffer_gl0_inv
                                        ; implicit-def: $vgpr4_vgpr5
	v_cmpx_gt_u32_e32 0x100, v62
	s_cbranch_execz .LBB257_53
; %bb.48:
	v_lshl_add_u32 v7, v63, 3, v0
	v_or_b32_e32 v6, s30, v62
	s_mov_b32 s2, s29
	s_mov_b32 s1, exec_lo
	ds_read2st64_b64 v[0:3], v7 offset1:4
	s_waitcnt lgkmcnt(0)
	v_add_f64 v[4:5], v[0:1], v[2:3]
	ds_read2st64_b64 v[0:3], v7 offset0:8 offset1:12
	s_waitcnt lgkmcnt(0)
	v_add_f64 v[0:1], v[0:1], v[4:5]
	v_add_f64 v[4:5], v[2:3], v[0:1]
	ds_read2st64_b64 v[0:3], v7 offset0:16 offset1:20
	s_waitcnt lgkmcnt(0)
	v_add_f64 v[0:1], v[0:1], v[4:5]
	;; [unrolled: 4-line block ×7, first 2 shown]
                                        ; implicit-def: $vgpr4_vgpr5
	v_add_f64 v[0:1], v[2:3], v[0:1]
                                        ; implicit-def: $vgpr2_vgpr3
	ds_write_b64 v7, v[0:1]
	v_cmpx_gt_i32_e64 s14, v6
	s_cbranch_execz .LBB257_52
; %bb.49:
	v_cmp_eq_f64_e64 s2, s[8:9], 0
	v_mul_f64 v[2:3], s[10:11], v[0:1]
	v_ashrrev_i32_e32 v0, 31, v6
	v_mul_lo_u32 v1, s13, v6
	v_mad_u64_u32 v[4:5], null, s12, v6, 0
	v_mul_lo_u32 v0, s12, v0
	v_add3_u32 v5, v5, v0, v1
	s_and_b32 vcc_lo, exec_lo, s2
	s_cbranch_vccnz .LBB257_51
; %bb.50:
	v_lshlrev_b64 v[0:1], 3, v[4:5]
	v_add_co_u32 v0, vcc_lo, s5, v0
	v_add_co_ci_u32_e64 v1, null, s28, v1, vcc_lo
	flat_load_dwordx2 v[0:1], v[0:1]
	s_waitcnt vmcnt(0) lgkmcnt(0)
	v_fma_f64 v[2:3], s[8:9], v[0:1], v[2:3]
.LBB257_51:
	s_or_b32 s2, s29, exec_lo
.LBB257_52:
	s_or_b32 exec_lo, exec_lo, s1
	s_andn2_b32 s1, s29, exec_lo
	s_and_b32 s2, s2, exec_lo
	s_or_b32 s29, s1, s2
.LBB257_53:
	s_or_b32 exec_lo, exec_lo, s0
.LBB257_54:
	s_and_saveexec_b32 s0, s29
	s_cbranch_execz .LBB257_56
; %bb.55:
	v_lshlrev_b64 v[0:1], 3, v[4:5]
	v_add_co_u32 v0, vcc_lo, s5, v0
	v_add_co_ci_u32_e64 v1, null, s28, v1, vcc_lo
	flat_store_dwordx2 v[0:1], v[2:3]
.LBB257_56:
	s_endpgm
	.section	.rodata,"a",@progbits
	.p2align	6, 0x0
	.amdhsa_kernel _ZL20rocblas_gemvn_kernelILi64ELi16ElPKddKPdEviiT3_lPKT2_lT1_lS7_lS8_lS4_lPT4_lS8_li
		.amdhsa_group_segment_fixed_size 32768
		.amdhsa_private_segment_fixed_size 0
		.amdhsa_kernarg_size 400
		.amdhsa_user_sgpr_count 6
		.amdhsa_user_sgpr_private_segment_buffer 1
		.amdhsa_user_sgpr_dispatch_ptr 0
		.amdhsa_user_sgpr_queue_ptr 0
		.amdhsa_user_sgpr_kernarg_segment_ptr 1
		.amdhsa_user_sgpr_dispatch_id 0
		.amdhsa_user_sgpr_flat_scratch_init 0
		.amdhsa_user_sgpr_private_segment_size 0
		.amdhsa_wavefront_size32 1
		.amdhsa_uses_dynamic_stack 0
		.amdhsa_system_sgpr_private_segment_wavefront_offset 0
		.amdhsa_system_sgpr_workgroup_id_x 1
		.amdhsa_system_sgpr_workgroup_id_y 0
		.amdhsa_system_sgpr_workgroup_id_z 1
		.amdhsa_system_sgpr_workgroup_info 0
		.amdhsa_system_vgpr_workitem_id 1
		.amdhsa_next_free_vgpr 72
		.amdhsa_next_free_sgpr 37
		.amdhsa_reserve_vcc 1
		.amdhsa_reserve_flat_scratch 1
		.amdhsa_float_round_mode_32 0
		.amdhsa_float_round_mode_16_64 0
		.amdhsa_float_denorm_mode_32 3
		.amdhsa_float_denorm_mode_16_64 3
		.amdhsa_dx10_clamp 1
		.amdhsa_ieee_mode 1
		.amdhsa_fp16_overflow 0
		.amdhsa_workgroup_processor_mode 1
		.amdhsa_memory_ordered 1
		.amdhsa_forward_progress 1
		.amdhsa_shared_vgpr_count 0
		.amdhsa_exception_fp_ieee_invalid_op 0
		.amdhsa_exception_fp_denorm_src 0
		.amdhsa_exception_fp_ieee_div_zero 0
		.amdhsa_exception_fp_ieee_overflow 0
		.amdhsa_exception_fp_ieee_underflow 0
		.amdhsa_exception_fp_ieee_inexact 0
		.amdhsa_exception_int_div_zero 0
	.end_amdhsa_kernel
	.section	.text._ZL20rocblas_gemvn_kernelILi64ELi16ElPKddKPdEviiT3_lPKT2_lT1_lS7_lS8_lS4_lPT4_lS8_li,"axG",@progbits,_ZL20rocblas_gemvn_kernelILi64ELi16ElPKddKPdEviiT3_lPKT2_lT1_lS7_lS8_lS4_lPT4_lS8_li,comdat
.Lfunc_end257:
	.size	_ZL20rocblas_gemvn_kernelILi64ELi16ElPKddKPdEviiT3_lPKT2_lT1_lS7_lS8_lS4_lPT4_lS8_li, .Lfunc_end257-_ZL20rocblas_gemvn_kernelILi64ELi16ElPKddKPdEviiT3_lPKT2_lT1_lS7_lS8_lS4_lPT4_lS8_li
                                        ; -- End function
	.set _ZL20rocblas_gemvn_kernelILi64ELi16ElPKddKPdEviiT3_lPKT2_lT1_lS7_lS8_lS4_lPT4_lS8_li.num_vgpr, 72
	.set _ZL20rocblas_gemvn_kernelILi64ELi16ElPKddKPdEviiT3_lPKT2_lT1_lS7_lS8_lS4_lPT4_lS8_li.num_agpr, 0
	.set _ZL20rocblas_gemvn_kernelILi64ELi16ElPKddKPdEviiT3_lPKT2_lT1_lS7_lS8_lS4_lPT4_lS8_li.numbered_sgpr, 37
	.set _ZL20rocblas_gemvn_kernelILi64ELi16ElPKddKPdEviiT3_lPKT2_lT1_lS7_lS8_lS4_lPT4_lS8_li.num_named_barrier, 0
	.set _ZL20rocblas_gemvn_kernelILi64ELi16ElPKddKPdEviiT3_lPKT2_lT1_lS7_lS8_lS4_lPT4_lS8_li.private_seg_size, 0
	.set _ZL20rocblas_gemvn_kernelILi64ELi16ElPKddKPdEviiT3_lPKT2_lT1_lS7_lS8_lS4_lPT4_lS8_li.uses_vcc, 1
	.set _ZL20rocblas_gemvn_kernelILi64ELi16ElPKddKPdEviiT3_lPKT2_lT1_lS7_lS8_lS4_lPT4_lS8_li.uses_flat_scratch, 1
	.set _ZL20rocblas_gemvn_kernelILi64ELi16ElPKddKPdEviiT3_lPKT2_lT1_lS7_lS8_lS4_lPT4_lS8_li.has_dyn_sized_stack, 0
	.set _ZL20rocblas_gemvn_kernelILi64ELi16ElPKddKPdEviiT3_lPKT2_lT1_lS7_lS8_lS4_lPT4_lS8_li.has_recursion, 0
	.set _ZL20rocblas_gemvn_kernelILi64ELi16ElPKddKPdEviiT3_lPKT2_lT1_lS7_lS8_lS4_lPT4_lS8_li.has_indirect_call, 0
	.section	.AMDGPU.csdata,"",@progbits
; Kernel info:
; codeLenInByte = 3340
; TotalNumSgprs: 39
; NumVgprs: 72
; ScratchSize: 0
; MemoryBound: 1
; FloatMode: 240
; IeeeMode: 1
; LDSByteSize: 32768 bytes/workgroup (compile time only)
; SGPRBlocks: 0
; VGPRBlocks: 8
; NumSGPRsForWavesPerEU: 39
; NumVGPRsForWavesPerEU: 72
; Occupancy: 12
; WaveLimiterHint : 1
; COMPUTE_PGM_RSRC2:SCRATCH_EN: 0
; COMPUTE_PGM_RSRC2:USER_SGPR: 6
; COMPUTE_PGM_RSRC2:TRAP_HANDLER: 0
; COMPUTE_PGM_RSRC2:TGID_X_EN: 1
; COMPUTE_PGM_RSRC2:TGID_Y_EN: 0
; COMPUTE_PGM_RSRC2:TGID_Z_EN: 1
; COMPUTE_PGM_RSRC2:TIDIG_COMP_CNT: 1
	.section	.text._ZL22rocblas_gemvtsm_kernelILb0ELi256EPKdS1_KPdEviiT2_lPKT1_lilS7_lilS4_lPT3_lil,"axG",@progbits,_ZL22rocblas_gemvtsm_kernelILb0ELi256EPKdS1_KPdEviiT2_lPKT1_lilS7_lilS4_lPT3_lil,comdat
	.globl	_ZL22rocblas_gemvtsm_kernelILb0ELi256EPKdS1_KPdEviiT2_lPKT1_lilS7_lilS4_lPT3_lil ; -- Begin function _ZL22rocblas_gemvtsm_kernelILb0ELi256EPKdS1_KPdEviiT2_lPKT1_lilS7_lilS4_lPT3_lil
	.p2align	8
	.type	_ZL22rocblas_gemvtsm_kernelILb0ELi256EPKdS1_KPdEviiT2_lPKT1_lilS7_lilS4_lPT3_lil,@function
_ZL22rocblas_gemvtsm_kernelILb0ELi256EPKdS1_KPdEviiT2_lPKT1_lilS7_lilS4_lPT3_lil: ; @_ZL22rocblas_gemvtsm_kernelILb0ELi256EPKdS1_KPdEviiT2_lPKT1_lilS7_lilS4_lPT3_lil
; %bb.0:
	s_clause 0x1
	s_load_dwordx8 s[16:23], s[4:5], 0x8
	s_load_dwordx8 s[8:15], s[4:5], 0x58
	s_waitcnt lgkmcnt(0)
	s_mul_i32 s1, s19, s6
	s_mul_hi_u32 s2, s18, s6
	s_mul_i32 s0, s18, s6
	s_add_i32 s1, s2, s1
	s_mul_i32 s2, s11, s6
	s_lshl_b64 s[0:1], s[0:1], 3
	s_mul_hi_u32 s3, s10, s6
	s_add_u32 s0, s16, s0
	s_addc_u32 s1, s17, s1
	s_add_i32 s3, s3, s2
	s_mul_i32 s2, s10, s6
	s_mov_b64 s[10:11], 0
	s_lshl_b64 s[2:3], s[2:3], 3
	s_add_u32 s2, s8, s2
	s_addc_u32 s3, s9, s3
	s_load_dwordx2 s[16:17], s[0:1], 0x0
	s_load_dwordx2 s[2:3], s[2:3], 0x0
	s_waitcnt lgkmcnt(0)
	v_cmp_eq_f64_e64 s0, s[16:17], 0
	v_cmp_eq_f64_e64 s1, s[2:3], 1.0
	s_and_b32 s1, s0, s1
	s_and_b32 vcc_lo, exec_lo, s1
	s_cbranch_vccnz .LBB258_39
; %bb.1:
	v_cmp_neq_f64_e64 s1, s[16:17], 0
	s_and_b32 vcc_lo, exec_lo, s0
	s_mov_b32 s7, 0
	s_cbranch_vccnz .LBB258_3
; %bb.2:
	s_lshl_b64 s[8:9], s[6:7], 3
	s_add_u32 s8, s20, s8
	s_addc_u32 s9, s21, s9
	s_lshl_b64 s[10:11], s[22:23], 3
	s_load_dwordx2 s[8:9], s[8:9], 0x0
	s_waitcnt lgkmcnt(0)
	s_add_u32 s10, s8, s10
	s_addc_u32 s11, s9, s11
.LBB258_3:
	s_andn2_b32 vcc_lo, exec_lo, s1
	s_cbranch_vccnz .LBB258_5
; %bb.4:
	s_load_dwordx4 s[20:23], s[4:5], 0x38
	s_lshl_b64 s[8:9], s[6:7], 3
	s_waitcnt lgkmcnt(0)
	s_add_u32 s8, s20, s8
	s_addc_u32 s9, s21, s9
	s_lshl_b64 s[18:19], s[22:23], 3
	s_load_dwordx2 s[8:9], s[8:9], 0x0
	s_waitcnt lgkmcnt(0)
	s_add_u32 s18, s8, s18
	s_addc_u32 s19, s9, s19
	s_branch .LBB258_6
.LBB258_5:
	s_mov_b64 s[18:19], 0
.LBB258_6:
	s_lshl_b64 s[6:7], s[6:7], 3
	s_add_u32 s12, s12, s6
	s_addc_u32 s13, s13, s7
	s_clause 0x1
	s_load_dwordx2 s[6:7], s[4:5], 0x0
	s_load_dword s8, s[4:5], 0x78
	s_load_dwordx2 s[12:13], s[12:13], 0x0
	s_andn2_b32 vcc_lo, exec_lo, s0
	s_mov_b32 s0, -1
	s_cbranch_vccnz .LBB258_21
; %bb.7:
	v_cmp_neq_f64_e64 s0, s[2:3], 0
	s_waitcnt lgkmcnt(0)
	s_cmp_gt_i32 s7, 0
	s_cselect_b32 s20, -1, 0
	v_cndmask_b32_e64 v1, 0, 1, s20
	s_and_b32 vcc_lo, exec_lo, s0
	v_cmp_ne_u32_e64 s0, 1, v1
	s_cbranch_vccnz .LBB258_14
; %bb.8:
	s_and_b32 vcc_lo, exec_lo, s0
	s_cbranch_vccnz .LBB258_13
; %bb.9:
	v_mad_i64_i32 v[1:2], null, s8, v0, 0
	s_lshl_b64 s[0:1], s[14:15], 3
	s_ashr_i32 s9, s8, 31
	s_add_u32 s0, s12, s0
	s_addc_u32 s1, s13, s1
	v_mov_b32_e32 v3, 0
	v_lshlrev_b64 v[1:2], 3, v[1:2]
	v_add_co_u32 v1, vcc_lo, s0, v1
	v_add_co_ci_u32_e64 v2, null, s1, v2, vcc_lo
	s_lshl_b64 s[0:1], s[8:9], 11
	s_mov_b32 s9, 0
	s_branch .LBB258_11
	.p2align	6
.LBB258_10:                             ;   in Loop: Header=BB258_11 Depth=1
	s_or_b32 exec_lo, exec_lo, s21
	v_add_co_u32 v1, vcc_lo, v1, s0
	v_add_co_ci_u32_e64 v2, null, s1, v2, vcc_lo
	s_addk_i32 s9, 0x100
	s_cmp_ge_i32 s9, s7
	s_cbranch_scc1 .LBB258_13
.LBB258_11:                             ; =>This Inner Loop Header: Depth=1
	v_add_nc_u32_e32 v4, s9, v0
	s_mov_b32 s21, exec_lo
	v_cmpx_gt_i32_e64 s7, v4
	s_cbranch_execz .LBB258_10
; %bb.12:                               ;   in Loop: Header=BB258_11 Depth=1
	v_mov_b32_e32 v4, v3
	flat_store_dwordx2 v[1:2], v[3:4]
	s_branch .LBB258_10
.LBB258_13:
	s_cbranch_execz .LBB258_15
	s_branch .LBB258_20
.LBB258_14:
.LBB258_15:
	s_andn2_b32 vcc_lo, exec_lo, s20
	s_cbranch_vccnz .LBB258_20
; %bb.16:
	v_mad_i64_i32 v[1:2], null, s8, v0, 0
	s_lshl_b64 s[0:1], s[14:15], 3
	s_ashr_i32 s9, s8, 31
	s_add_u32 s0, s12, s0
	s_addc_u32 s1, s13, s1
	v_lshlrev_b64 v[1:2], 3, v[1:2]
	v_add_co_u32 v1, vcc_lo, s0, v1
	v_add_co_ci_u32_e64 v2, null, s1, v2, vcc_lo
	s_lshl_b64 s[0:1], s[8:9], 11
	s_mov_b32 s9, 0
	s_branch .LBB258_18
	.p2align	6
.LBB258_17:                             ;   in Loop: Header=BB258_18 Depth=1
	s_or_b32 exec_lo, exec_lo, s20
	v_add_co_u32 v1, vcc_lo, v1, s0
	v_add_co_ci_u32_e64 v2, null, s1, v2, vcc_lo
	s_addk_i32 s9, 0x100
	s_cmp_ge_i32 s9, s7
	s_cbranch_scc1 .LBB258_20
.LBB258_18:                             ; =>This Inner Loop Header: Depth=1
	v_add_nc_u32_e32 v3, s9, v0
	s_mov_b32 s20, exec_lo
	v_cmpx_gt_i32_e64 s7, v3
	s_cbranch_execz .LBB258_17
; %bb.19:                               ;   in Loop: Header=BB258_18 Depth=1
	flat_load_dwordx2 v[3:4], v[1:2]
	s_waitcnt vmcnt(0) lgkmcnt(0)
	v_mul_f64 v[3:4], s[2:3], v[3:4]
	flat_store_dwordx2 v[1:2], v[3:4]
	s_branch .LBB258_17
.LBB258_20:
	s_mov_b32 s0, 0
.LBB258_21:
	s_andn2_b32 vcc_lo, exec_lo, s0
	s_cbranch_vccnz .LBB258_39
; %bb.22:
	s_mov_b32 s0, exec_lo
	s_waitcnt lgkmcnt(0)
	v_cmpx_gt_i32_e64 s6, v0
	s_cbranch_execz .LBB258_24
; %bb.23:
	s_load_dword s1, s[4:5], 0x48
	v_lshlrev_b32_e32 v3, 3, v0
	s_waitcnt lgkmcnt(0)
	v_mad_i64_i32 v[1:2], null, s1, v0, 0
	v_lshlrev_b64 v[1:2], 3, v[1:2]
	v_add_co_u32 v1, vcc_lo, s18, v1
	v_add_co_ci_u32_e64 v2, null, s19, v2, vcc_lo
	flat_load_dwordx2 v[1:2], v[1:2]
	s_waitcnt vmcnt(0) lgkmcnt(0)
	v_mul_f64 v[1:2], s[16:17], v[1:2]
	ds_write_b64 v3, v[1:2]
.LBB258_24:
	s_or_b32 exec_lo, exec_lo, s0
	s_cmp_lt_i32 s7, 1
	s_waitcnt lgkmcnt(0)
	s_waitcnt_vscnt null, 0x0
	s_barrier
	buffer_gl0_inv
	s_cbranch_scc1 .LBB258_39
; %bb.25:
	s_load_dword s4, s[4:5], 0x28
	s_lshl_b64 s[14:15], s[14:15], 3
	s_mov_b32 s1, 0
	s_add_u32 s9, s12, s14
	v_cmp_neq_f64_e64 s14, s[2:3], 0
	s_addc_u32 s12, s13, s15
	s_ashr_i32 s13, s8, 31
	s_waitcnt lgkmcnt(0)
	v_mad_i64_i32 v[1:2], null, s4, v0, 0
	s_ashr_i32 s5, s4, 31
	s_cmp_gt_i32 s6, 0
	s_cselect_b32 s15, -1, 0
	s_and_b32 s16, s6, 7
	s_cmp_gt_u32 s6, 7
	v_lshlrev_b64 v[1:2], 3, v[1:2]
	s_cselect_b32 s17, -1, 0
	s_and_b32 s6, s6, 0x7ffffff8
	s_cmp_lg_u32 s16, 0
	v_add_co_u32 v1, vcc_lo, s10, v1
	v_add_co_ci_u32_e64 v2, null, s11, v2, vcc_lo
	s_cselect_b32 s10, -1, 0
	s_lshl_b64 s[4:5], s[4:5], 11
	s_mov_b32 s11, 0
	s_branch .LBB258_28
.LBB258_26:                             ;   in Loop: Header=BB258_28 Depth=1
	v_add_co_u32 v3, vcc_lo, s9, v3
	v_add_co_ci_u32_e64 v4, null, s12, v4, vcc_lo
	flat_store_dwordx2 v[3:4], v[5:6]
.LBB258_27:                             ;   in Loop: Header=BB258_28 Depth=1
	s_or_b32 exec_lo, exec_lo, s18
	v_add_co_u32 v1, vcc_lo, v1, s4
	v_add_co_ci_u32_e64 v2, null, s5, v2, vcc_lo
	s_addk_i32 s11, 0x100
	s_cmp_ge_i32 s11, s7
	s_cbranch_scc1 .LBB258_39
.LBB258_28:                             ; =>This Loop Header: Depth=1
                                        ;     Child Loop BB258_34 Depth 2
                                        ;     Child Loop BB258_38 Depth 2
	v_add_nc_u32_e32 v3, s11, v0
	s_mov_b32 s18, exec_lo
	v_cmpx_gt_i32_e64 s7, v3
	s_cbranch_execz .LBB258_27
; %bb.29:                               ;   in Loop: Header=BB258_28 Depth=1
	v_mad_u64_u32 v[4:5], null, v3, s8, 0
	s_andn2_b32 vcc_lo, exec_lo, s14
	v_mad_u64_u32 v[5:6], null, v3, s13, v[5:6]
	v_lshlrev_b64 v[3:4], 3, v[4:5]
	s_cbranch_vccnz .LBB258_31
; %bb.30:                               ;   in Loop: Header=BB258_28 Depth=1
	v_add_co_u32 v5, vcc_lo, s9, v3
	v_add_co_ci_u32_e64 v6, null, s12, v4, vcc_lo
	flat_load_dwordx2 v[5:6], v[5:6]
	s_waitcnt vmcnt(0) lgkmcnt(0)
	v_mul_f64 v[5:6], s[2:3], v[5:6]
	s_andn2_b32 vcc_lo, exec_lo, s15
	s_cbranch_vccz .LBB258_32
	s_branch .LBB258_26
.LBB258_31:                             ;   in Loop: Header=BB258_28 Depth=1
	v_mov_b32_e32 v5, 0
	v_mov_b32_e32 v6, 0
	s_andn2_b32 vcc_lo, exec_lo, s15
	s_cbranch_vccnz .LBB258_26
.LBB258_32:                             ;   in Loop: Header=BB258_28 Depth=1
	s_andn2_b32 vcc_lo, exec_lo, s17
	s_mov_b32 s0, 0
	s_cbranch_vccnz .LBB258_36
; %bb.33:                               ;   in Loop: Header=BB258_28 Depth=1
	v_mov_b32_e32 v8, v2
	v_mov_b32_e32 v7, v1
	s_mov_b32 s19, 0
	s_inst_prefetch 0x1
	.p2align	6
.LBB258_34:                             ;   Parent Loop BB258_28 Depth=1
                                        ; =>  This Inner Loop Header: Depth=2
	s_clause 0x3
	flat_load_dwordx4 v[9:12], v[7:8]
	flat_load_dwordx4 v[13:16], v[7:8] offset:16
	flat_load_dwordx4 v[17:20], v[7:8] offset:32
	;; [unrolled: 1-line block ×3, first 2 shown]
	v_mov_b32_e32 v33, s0
	v_add_co_u32 v7, vcc_lo, v7, 64
	v_add_co_ci_u32_e64 v8, null, 0, v8, vcc_lo
	ds_read_b128 v[25:28], v33
	ds_read_b128 v[29:32], v33 offset:16
	s_add_i32 s19, s19, 8
	s_add_i32 s0, s0, 64
	s_cmp_eq_u32 s6, s19
	s_waitcnt vmcnt(3) lgkmcnt(1)
	v_fma_f64 v[5:6], v[25:26], v[9:10], v[5:6]
	v_fma_f64 v[5:6], v[27:28], v[11:12], v[5:6]
	s_waitcnt vmcnt(2) lgkmcnt(0)
	v_fma_f64 v[5:6], v[29:30], v[13:14], v[5:6]
	v_fma_f64 v[5:6], v[31:32], v[15:16], v[5:6]
	ds_read_b128 v[9:12], v33 offset:32
	ds_read_b128 v[13:16], v33 offset:48
	s_waitcnt vmcnt(1) lgkmcnt(1)
	v_fma_f64 v[5:6], v[9:10], v[17:18], v[5:6]
	v_fma_f64 v[5:6], v[11:12], v[19:20], v[5:6]
	s_waitcnt vmcnt(0) lgkmcnt(0)
	v_fma_f64 v[5:6], v[13:14], v[21:22], v[5:6]
	v_fma_f64 v[5:6], v[15:16], v[23:24], v[5:6]
	s_cbranch_scc0 .LBB258_34
; %bb.35:                               ;   in Loop: Header=BB258_28 Depth=1
	s_inst_prefetch 0x2
	s_mov_b32 s0, s6
.LBB258_36:                             ;   in Loop: Header=BB258_28 Depth=1
	s_andn2_b32 vcc_lo, exec_lo, s10
	s_cbranch_vccnz .LBB258_26
; %bb.37:                               ;   in Loop: Header=BB258_28 Depth=1
	s_lshl_b64 s[20:21], s[0:1], 3
	s_lshl_b32 s0, s0, 3
	v_add_co_u32 v7, vcc_lo, v1, s20
	v_add_co_ci_u32_e64 v8, null, s21, v2, vcc_lo
	s_mov_b32 s19, s16
.LBB258_38:                             ;   Parent Loop BB258_28 Depth=1
                                        ; =>  This Inner Loop Header: Depth=2
	flat_load_dwordx2 v[9:10], v[7:8]
	v_mov_b32_e32 v11, s0
	v_add_co_u32 v7, vcc_lo, v7, 8
	v_add_co_ci_u32_e64 v8, null, 0, v8, vcc_lo
	ds_read_b64 v[11:12], v11
	s_add_i32 s19, s19, -1
	s_add_i32 s0, s0, 8
	s_cmp_lg_u32 s19, 0
	s_waitcnt vmcnt(0) lgkmcnt(0)
	v_fma_f64 v[5:6], v[11:12], v[9:10], v[5:6]
	s_cbranch_scc1 .LBB258_38
	s_branch .LBB258_26
.LBB258_39:
	s_endpgm
	.section	.rodata,"a",@progbits
	.p2align	6, 0x0
	.amdhsa_kernel _ZL22rocblas_gemvtsm_kernelILb0ELi256EPKdS1_KPdEviiT2_lPKT1_lilS7_lilS4_lPT3_lil
		.amdhsa_group_segment_fixed_size 512
		.amdhsa_private_segment_fixed_size 0
		.amdhsa_kernarg_size 136
		.amdhsa_user_sgpr_count 6
		.amdhsa_user_sgpr_private_segment_buffer 1
		.amdhsa_user_sgpr_dispatch_ptr 0
		.amdhsa_user_sgpr_queue_ptr 0
		.amdhsa_user_sgpr_kernarg_segment_ptr 1
		.amdhsa_user_sgpr_dispatch_id 0
		.amdhsa_user_sgpr_flat_scratch_init 0
		.amdhsa_user_sgpr_private_segment_size 0
		.amdhsa_wavefront_size32 1
		.amdhsa_uses_dynamic_stack 0
		.amdhsa_system_sgpr_private_segment_wavefront_offset 0
		.amdhsa_system_sgpr_workgroup_id_x 1
		.amdhsa_system_sgpr_workgroup_id_y 0
		.amdhsa_system_sgpr_workgroup_id_z 0
		.amdhsa_system_sgpr_workgroup_info 0
		.amdhsa_system_vgpr_workitem_id 0
		.amdhsa_next_free_vgpr 34
		.amdhsa_next_free_sgpr 24
		.amdhsa_reserve_vcc 1
		.amdhsa_reserve_flat_scratch 1
		.amdhsa_float_round_mode_32 0
		.amdhsa_float_round_mode_16_64 0
		.amdhsa_float_denorm_mode_32 3
		.amdhsa_float_denorm_mode_16_64 3
		.amdhsa_dx10_clamp 1
		.amdhsa_ieee_mode 1
		.amdhsa_fp16_overflow 0
		.amdhsa_workgroup_processor_mode 1
		.amdhsa_memory_ordered 1
		.amdhsa_forward_progress 1
		.amdhsa_shared_vgpr_count 0
		.amdhsa_exception_fp_ieee_invalid_op 0
		.amdhsa_exception_fp_denorm_src 0
		.amdhsa_exception_fp_ieee_div_zero 0
		.amdhsa_exception_fp_ieee_overflow 0
		.amdhsa_exception_fp_ieee_underflow 0
		.amdhsa_exception_fp_ieee_inexact 0
		.amdhsa_exception_int_div_zero 0
	.end_amdhsa_kernel
	.section	.text._ZL22rocblas_gemvtsm_kernelILb0ELi256EPKdS1_KPdEviiT2_lPKT1_lilS7_lilS4_lPT3_lil,"axG",@progbits,_ZL22rocblas_gemvtsm_kernelILb0ELi256EPKdS1_KPdEviiT2_lPKT1_lilS7_lilS4_lPT3_lil,comdat
.Lfunc_end258:
	.size	_ZL22rocblas_gemvtsm_kernelILb0ELi256EPKdS1_KPdEviiT2_lPKT1_lilS7_lilS4_lPT3_lil, .Lfunc_end258-_ZL22rocblas_gemvtsm_kernelILb0ELi256EPKdS1_KPdEviiT2_lPKT1_lilS7_lilS4_lPT3_lil
                                        ; -- End function
	.set _ZL22rocblas_gemvtsm_kernelILb0ELi256EPKdS1_KPdEviiT2_lPKT1_lilS7_lilS4_lPT3_lil.num_vgpr, 34
	.set _ZL22rocblas_gemvtsm_kernelILb0ELi256EPKdS1_KPdEviiT2_lPKT1_lilS7_lilS4_lPT3_lil.num_agpr, 0
	.set _ZL22rocblas_gemvtsm_kernelILb0ELi256EPKdS1_KPdEviiT2_lPKT1_lilS7_lilS4_lPT3_lil.numbered_sgpr, 24
	.set _ZL22rocblas_gemvtsm_kernelILb0ELi256EPKdS1_KPdEviiT2_lPKT1_lilS7_lilS4_lPT3_lil.num_named_barrier, 0
	.set _ZL22rocblas_gemvtsm_kernelILb0ELi256EPKdS1_KPdEviiT2_lPKT1_lilS7_lilS4_lPT3_lil.private_seg_size, 0
	.set _ZL22rocblas_gemvtsm_kernelILb0ELi256EPKdS1_KPdEviiT2_lPKT1_lilS7_lilS4_lPT3_lil.uses_vcc, 1
	.set _ZL22rocblas_gemvtsm_kernelILb0ELi256EPKdS1_KPdEviiT2_lPKT1_lilS7_lilS4_lPT3_lil.uses_flat_scratch, 1
	.set _ZL22rocblas_gemvtsm_kernelILb0ELi256EPKdS1_KPdEviiT2_lPKT1_lilS7_lilS4_lPT3_lil.has_dyn_sized_stack, 0
	.set _ZL22rocblas_gemvtsm_kernelILb0ELi256EPKdS1_KPdEviiT2_lPKT1_lilS7_lilS4_lPT3_lil.has_recursion, 0
	.set _ZL22rocblas_gemvtsm_kernelILb0ELi256EPKdS1_KPdEviiT2_lPKT1_lilS7_lilS4_lPT3_lil.has_indirect_call, 0
	.section	.AMDGPU.csdata,"",@progbits
; Kernel info:
; codeLenInByte = 1516
; TotalNumSgprs: 26
; NumVgprs: 34
; ScratchSize: 0
; MemoryBound: 0
; FloatMode: 240
; IeeeMode: 1
; LDSByteSize: 512 bytes/workgroup (compile time only)
; SGPRBlocks: 0
; VGPRBlocks: 4
; NumSGPRsForWavesPerEU: 26
; NumVGPRsForWavesPerEU: 34
; Occupancy: 16
; WaveLimiterHint : 1
; COMPUTE_PGM_RSRC2:SCRATCH_EN: 0
; COMPUTE_PGM_RSRC2:USER_SGPR: 6
; COMPUTE_PGM_RSRC2:TRAP_HANDLER: 0
; COMPUTE_PGM_RSRC2:TGID_X_EN: 1
; COMPUTE_PGM_RSRC2:TGID_Y_EN: 0
; COMPUTE_PGM_RSRC2:TGID_Z_EN: 0
; COMPUTE_PGM_RSRC2:TIDIG_COMP_CNT: 0
	.section	.text._ZL22rocblas_gemvtsm_kernelILb0ELi256EPKddKPdEviiT2_lPKT1_lilS7_lilS4_lPT3_lil,"axG",@progbits,_ZL22rocblas_gemvtsm_kernelILb0ELi256EPKddKPdEviiT2_lPKT1_lilS7_lilS4_lPT3_lil,comdat
	.globl	_ZL22rocblas_gemvtsm_kernelILb0ELi256EPKddKPdEviiT2_lPKT1_lilS7_lilS4_lPT3_lil ; -- Begin function _ZL22rocblas_gemvtsm_kernelILb0ELi256EPKddKPdEviiT2_lPKT1_lilS7_lilS4_lPT3_lil
	.p2align	8
	.type	_ZL22rocblas_gemvtsm_kernelILb0ELi256EPKddKPdEviiT2_lPKT1_lilS7_lilS4_lPT3_lil,@function
_ZL22rocblas_gemvtsm_kernelILb0ELi256EPKddKPdEviiT2_lPKT1_lilS7_lilS4_lPT3_lil: ; @_ZL22rocblas_gemvtsm_kernelILb0ELi256EPKddKPdEviiT2_lPKT1_lilS7_lilS4_lPT3_lil
; %bb.0:
	s_clause 0x1
	s_load_dwordx2 s[14:15], s[4:5], 0x8
	s_load_dwordx2 s[8:9], s[4:5], 0x58
	s_waitcnt lgkmcnt(0)
	v_cmp_eq_f64_e64 s11, s[14:15], 0
	v_cmp_eq_f64_e64 s0, s[8:9], 1.0
	s_and_b32 s0, s11, s0
	s_and_b32 vcc_lo, exec_lo, s0
	s_cbranch_vccnz .LBB259_40
; %bb.1:
	v_cmp_neq_f64_e64 s0, s[14:15], 0
	s_mov_b32 s7, 0
	s_and_b32 vcc_lo, exec_lo, s0
	s_cbranch_vccnz .LBB259_3
; %bb.2:
	s_mov_b32 s1, s7
	s_mov_b64 s[16:17], 0
	s_andn2_b32 vcc_lo, exec_lo, s1
	s_mov_b64 s[12:13], 0
	s_cbranch_vccz .LBB259_4
	s_branch .LBB259_5
.LBB259_3:
	s_mov_b64 s[16:17], 0
	s_mov_b64 s[12:13], 0
.LBB259_4:
	s_load_dwordx4 s[20:23], s[4:5], 0x18
	s_lshl_b64 s[2:3], s[6:7], 3
	s_waitcnt lgkmcnt(0)
	s_add_u32 s2, s20, s2
	s_addc_u32 s3, s21, s3
	s_lshl_b64 s[12:13], s[22:23], 3
	s_load_dwordx2 s[2:3], s[2:3], 0x0
	s_waitcnt lgkmcnt(0)
	s_add_u32 s12, s2, s12
	s_addc_u32 s13, s3, s13
.LBB259_5:
	s_andn2_b32 vcc_lo, exec_lo, s0
	s_cbranch_vccnz .LBB259_7
; %bb.6:
	s_load_dwordx4 s[0:3], s[4:5], 0x38
	s_lshl_b64 s[16:17], s[6:7], 3
	s_waitcnt lgkmcnt(0)
	s_add_u32 s0, s0, s16
	s_addc_u32 s1, s1, s17
	s_lshl_b64 s[2:3], s[2:3], 3
	s_load_dwordx2 s[0:1], s[0:1], 0x0
	s_waitcnt lgkmcnt(0)
	s_add_u32 s16, s0, s2
	s_addc_u32 s17, s1, s3
.LBB259_7:
	s_load_dwordx4 s[0:3], s[4:5], 0x68
	s_lshl_b64 s[18:19], s[6:7], 3
	s_load_dwordx2 s[6:7], s[4:5], 0x0
	s_waitcnt lgkmcnt(0)
	s_add_u32 s0, s0, s18
	s_addc_u32 s1, s1, s19
	s_load_dword s10, s[4:5], 0x78
	s_load_dwordx2 s[18:19], s[0:1], 0x0
	s_andn2_b32 vcc_lo, exec_lo, s11
	s_mov_b32 s0, -1
	s_cbranch_vccnz .LBB259_22
; %bb.8:
	v_cmp_neq_f64_e64 s0, s[8:9], 0
	s_cmp_gt_i32 s7, 0
	s_cselect_b32 s20, -1, 0
	v_cndmask_b32_e64 v1, 0, 1, s20
	s_and_b32 vcc_lo, exec_lo, s0
	v_cmp_ne_u32_e64 s0, 1, v1
	s_cbranch_vccnz .LBB259_15
; %bb.9:
	s_and_b32 vcc_lo, exec_lo, s0
	s_cbranch_vccnz .LBB259_14
; %bb.10:
	s_waitcnt lgkmcnt(0)
	v_mad_i64_i32 v[1:2], null, s10, v0, 0
	s_lshl_b64 s[0:1], s[2:3], 3
	s_ashr_i32 s11, s10, 31
	s_add_u32 s0, s18, s0
	s_addc_u32 s1, s19, s1
	v_mov_b32_e32 v3, 0
	v_lshlrev_b64 v[1:2], 3, v[1:2]
	v_add_co_u32 v1, vcc_lo, s0, v1
	v_add_co_ci_u32_e64 v2, null, s1, v2, vcc_lo
	s_lshl_b64 s[0:1], s[10:11], 11
	s_mov_b32 s11, 0
	s_branch .LBB259_12
	.p2align	6
.LBB259_11:                             ;   in Loop: Header=BB259_12 Depth=1
	s_or_b32 exec_lo, exec_lo, s21
	v_add_co_u32 v1, vcc_lo, v1, s0
	v_add_co_ci_u32_e64 v2, null, s1, v2, vcc_lo
	s_addk_i32 s11, 0x100
	s_cmp_ge_i32 s11, s7
	s_cbranch_scc1 .LBB259_14
.LBB259_12:                             ; =>This Inner Loop Header: Depth=1
	v_add_nc_u32_e32 v4, s11, v0
	s_mov_b32 s21, exec_lo
	v_cmpx_gt_i32_e64 s7, v4
	s_cbranch_execz .LBB259_11
; %bb.13:                               ;   in Loop: Header=BB259_12 Depth=1
	v_mov_b32_e32 v4, v3
	flat_store_dwordx2 v[1:2], v[3:4]
	s_branch .LBB259_11
.LBB259_14:
	s_cbranch_execz .LBB259_16
	s_branch .LBB259_21
.LBB259_15:
.LBB259_16:
	s_andn2_b32 vcc_lo, exec_lo, s20
	s_cbranch_vccnz .LBB259_21
; %bb.17:
	s_waitcnt lgkmcnt(0)
	v_mad_i64_i32 v[1:2], null, s10, v0, 0
	s_lshl_b64 s[0:1], s[2:3], 3
	s_ashr_i32 s11, s10, 31
	s_add_u32 s0, s18, s0
	s_addc_u32 s1, s19, s1
	v_lshlrev_b64 v[1:2], 3, v[1:2]
	v_add_co_u32 v1, vcc_lo, s0, v1
	v_add_co_ci_u32_e64 v2, null, s1, v2, vcc_lo
	s_lshl_b64 s[0:1], s[10:11], 11
	s_mov_b32 s11, 0
	s_branch .LBB259_19
	.p2align	6
.LBB259_18:                             ;   in Loop: Header=BB259_19 Depth=1
	s_or_b32 exec_lo, exec_lo, s20
	v_add_co_u32 v1, vcc_lo, v1, s0
	v_add_co_ci_u32_e64 v2, null, s1, v2, vcc_lo
	s_addk_i32 s11, 0x100
	s_cmp_ge_i32 s11, s7
	s_cbranch_scc1 .LBB259_21
.LBB259_19:                             ; =>This Inner Loop Header: Depth=1
	v_add_nc_u32_e32 v3, s11, v0
	s_mov_b32 s20, exec_lo
	v_cmpx_gt_i32_e64 s7, v3
	s_cbranch_execz .LBB259_18
; %bb.20:                               ;   in Loop: Header=BB259_19 Depth=1
	flat_load_dwordx2 v[3:4], v[1:2]
	s_waitcnt vmcnt(0) lgkmcnt(0)
	v_mul_f64 v[3:4], s[8:9], v[3:4]
	flat_store_dwordx2 v[1:2], v[3:4]
	s_branch .LBB259_18
.LBB259_21:
	s_mov_b32 s0, 0
.LBB259_22:
	s_andn2_b32 vcc_lo, exec_lo, s0
	s_cbranch_vccnz .LBB259_40
; %bb.23:
	s_mov_b32 s0, exec_lo
	v_cmpx_gt_i32_e64 s6, v0
	s_cbranch_execz .LBB259_25
; %bb.24:
	s_load_dword s1, s[4:5], 0x48
	v_lshlrev_b32_e32 v3, 3, v0
	s_waitcnt lgkmcnt(0)
	v_mad_i64_i32 v[1:2], null, s1, v0, 0
	v_lshlrev_b64 v[1:2], 3, v[1:2]
	v_add_co_u32 v1, vcc_lo, s16, v1
	v_add_co_ci_u32_e64 v2, null, s17, v2, vcc_lo
	flat_load_dwordx2 v[1:2], v[1:2]
	s_waitcnt vmcnt(0) lgkmcnt(0)
	v_mul_f64 v[1:2], s[14:15], v[1:2]
	ds_write_b64 v3, v[1:2]
.LBB259_25:
	s_or_b32 exec_lo, exec_lo, s0
	s_cmp_lt_i32 s7, 1
	s_waitcnt lgkmcnt(0)
	s_waitcnt_vscnt null, 0x0
	s_barrier
	buffer_gl0_inv
	s_cbranch_scc1 .LBB259_40
; %bb.26:
	s_load_dword s20, s[4:5], 0x28
	v_cmp_neq_f64_e64 s14, s[8:9], 0
	s_lshl_b64 s[2:3], s[2:3], 3
	s_mov_b32 s1, 0
	s_add_u32 s4, s18, s2
	s_addc_u32 s5, s19, s3
	s_ashr_i32 s11, s10, 31
	s_waitcnt lgkmcnt(0)
	v_mad_i64_i32 v[1:2], null, s20, v0, 0
	s_ashr_i32 s21, s20, 31
	s_cmp_gt_i32 s6, 0
	s_cselect_b32 s15, -1, 0
	s_and_b32 s16, s6, 7
	s_cmp_gt_u32 s6, 7
	v_lshlrev_b64 v[1:2], 3, v[1:2]
	s_cselect_b32 s17, -1, 0
	s_and_b32 s6, s6, 0x7ffffff8
	s_cmp_lg_u32 s16, 0
	v_add_co_u32 v1, vcc_lo, s12, v1
	v_add_co_ci_u32_e64 v2, null, s13, v2, vcc_lo
	s_cselect_b32 s12, -1, 0
	s_lshl_b64 s[2:3], s[20:21], 11
	s_mov_b32 s13, 0
	s_branch .LBB259_29
.LBB259_27:                             ;   in Loop: Header=BB259_29 Depth=1
	v_add_co_u32 v3, vcc_lo, s4, v3
	v_add_co_ci_u32_e64 v4, null, s5, v4, vcc_lo
	flat_store_dwordx2 v[3:4], v[5:6]
.LBB259_28:                             ;   in Loop: Header=BB259_29 Depth=1
	s_or_b32 exec_lo, exec_lo, s18
	v_add_co_u32 v1, vcc_lo, v1, s2
	v_add_co_ci_u32_e64 v2, null, s3, v2, vcc_lo
	s_addk_i32 s13, 0x100
	s_cmp_ge_i32 s13, s7
	s_cbranch_scc1 .LBB259_40
.LBB259_29:                             ; =>This Loop Header: Depth=1
                                        ;     Child Loop BB259_35 Depth 2
                                        ;     Child Loop BB259_39 Depth 2
	v_add_nc_u32_e32 v3, s13, v0
	s_mov_b32 s18, exec_lo
	v_cmpx_gt_i32_e64 s7, v3
	s_cbranch_execz .LBB259_28
; %bb.30:                               ;   in Loop: Header=BB259_29 Depth=1
	v_mad_u64_u32 v[4:5], null, v3, s10, 0
	s_andn2_b32 vcc_lo, exec_lo, s14
	v_mad_u64_u32 v[5:6], null, v3, s11, v[5:6]
	v_lshlrev_b64 v[3:4], 3, v[4:5]
	s_cbranch_vccnz .LBB259_32
; %bb.31:                               ;   in Loop: Header=BB259_29 Depth=1
	v_add_co_u32 v5, vcc_lo, s4, v3
	v_add_co_ci_u32_e64 v6, null, s5, v4, vcc_lo
	flat_load_dwordx2 v[5:6], v[5:6]
	s_waitcnt vmcnt(0) lgkmcnt(0)
	v_mul_f64 v[5:6], s[8:9], v[5:6]
	s_andn2_b32 vcc_lo, exec_lo, s15
	s_cbranch_vccz .LBB259_33
	s_branch .LBB259_27
.LBB259_32:                             ;   in Loop: Header=BB259_29 Depth=1
	v_mov_b32_e32 v5, 0
	v_mov_b32_e32 v6, 0
	s_andn2_b32 vcc_lo, exec_lo, s15
	s_cbranch_vccnz .LBB259_27
.LBB259_33:                             ;   in Loop: Header=BB259_29 Depth=1
	s_andn2_b32 vcc_lo, exec_lo, s17
	s_mov_b32 s0, 0
	s_cbranch_vccnz .LBB259_37
; %bb.34:                               ;   in Loop: Header=BB259_29 Depth=1
	v_mov_b32_e32 v8, v2
	v_mov_b32_e32 v7, v1
	s_mov_b32 s19, 0
	s_inst_prefetch 0x1
	.p2align	6
.LBB259_35:                             ;   Parent Loop BB259_29 Depth=1
                                        ; =>  This Inner Loop Header: Depth=2
	s_clause 0x3
	flat_load_dwordx4 v[9:12], v[7:8]
	flat_load_dwordx4 v[13:16], v[7:8] offset:16
	flat_load_dwordx4 v[17:20], v[7:8] offset:32
	;; [unrolled: 1-line block ×3, first 2 shown]
	v_mov_b32_e32 v33, s0
	v_add_co_u32 v7, vcc_lo, v7, 64
	v_add_co_ci_u32_e64 v8, null, 0, v8, vcc_lo
	ds_read_b128 v[25:28], v33
	ds_read_b128 v[29:32], v33 offset:16
	s_add_i32 s19, s19, 8
	s_add_i32 s0, s0, 64
	s_cmp_eq_u32 s6, s19
	s_waitcnt vmcnt(3) lgkmcnt(1)
	v_fma_f64 v[5:6], v[25:26], v[9:10], v[5:6]
	v_fma_f64 v[5:6], v[27:28], v[11:12], v[5:6]
	s_waitcnt vmcnt(2) lgkmcnt(0)
	v_fma_f64 v[5:6], v[29:30], v[13:14], v[5:6]
	v_fma_f64 v[5:6], v[31:32], v[15:16], v[5:6]
	ds_read_b128 v[9:12], v33 offset:32
	ds_read_b128 v[13:16], v33 offset:48
	s_waitcnt vmcnt(1) lgkmcnt(1)
	v_fma_f64 v[5:6], v[9:10], v[17:18], v[5:6]
	v_fma_f64 v[5:6], v[11:12], v[19:20], v[5:6]
	s_waitcnt vmcnt(0) lgkmcnt(0)
	v_fma_f64 v[5:6], v[13:14], v[21:22], v[5:6]
	v_fma_f64 v[5:6], v[15:16], v[23:24], v[5:6]
	s_cbranch_scc0 .LBB259_35
; %bb.36:                               ;   in Loop: Header=BB259_29 Depth=1
	s_inst_prefetch 0x2
	s_mov_b32 s0, s6
.LBB259_37:                             ;   in Loop: Header=BB259_29 Depth=1
	s_andn2_b32 vcc_lo, exec_lo, s12
	s_cbranch_vccnz .LBB259_27
; %bb.38:                               ;   in Loop: Header=BB259_29 Depth=1
	s_lshl_b64 s[20:21], s[0:1], 3
	s_lshl_b32 s0, s0, 3
	v_add_co_u32 v7, vcc_lo, v1, s20
	v_add_co_ci_u32_e64 v8, null, s21, v2, vcc_lo
	s_mov_b32 s19, s16
.LBB259_39:                             ;   Parent Loop BB259_29 Depth=1
                                        ; =>  This Inner Loop Header: Depth=2
	flat_load_dwordx2 v[9:10], v[7:8]
	v_mov_b32_e32 v11, s0
	v_add_co_u32 v7, vcc_lo, v7, 8
	v_add_co_ci_u32_e64 v8, null, 0, v8, vcc_lo
	ds_read_b64 v[11:12], v11
	s_add_i32 s19, s19, -1
	s_add_i32 s0, s0, 8
	s_cmp_lg_u32 s19, 0
	s_waitcnt vmcnt(0) lgkmcnt(0)
	v_fma_f64 v[5:6], v[11:12], v[9:10], v[5:6]
	s_cbranch_scc1 .LBB259_39
	s_branch .LBB259_27
.LBB259_40:
	s_endpgm
	.section	.rodata,"a",@progbits
	.p2align	6, 0x0
	.amdhsa_kernel _ZL22rocblas_gemvtsm_kernelILb0ELi256EPKddKPdEviiT2_lPKT1_lilS7_lilS4_lPT3_lil
		.amdhsa_group_segment_fixed_size 512
		.amdhsa_private_segment_fixed_size 0
		.amdhsa_kernarg_size 136
		.amdhsa_user_sgpr_count 6
		.amdhsa_user_sgpr_private_segment_buffer 1
		.amdhsa_user_sgpr_dispatch_ptr 0
		.amdhsa_user_sgpr_queue_ptr 0
		.amdhsa_user_sgpr_kernarg_segment_ptr 1
		.amdhsa_user_sgpr_dispatch_id 0
		.amdhsa_user_sgpr_flat_scratch_init 0
		.amdhsa_user_sgpr_private_segment_size 0
		.amdhsa_wavefront_size32 1
		.amdhsa_uses_dynamic_stack 0
		.amdhsa_system_sgpr_private_segment_wavefront_offset 0
		.amdhsa_system_sgpr_workgroup_id_x 1
		.amdhsa_system_sgpr_workgroup_id_y 0
		.amdhsa_system_sgpr_workgroup_id_z 0
		.amdhsa_system_sgpr_workgroup_info 0
		.amdhsa_system_vgpr_workitem_id 0
		.amdhsa_next_free_vgpr 34
		.amdhsa_next_free_sgpr 24
		.amdhsa_reserve_vcc 1
		.amdhsa_reserve_flat_scratch 1
		.amdhsa_float_round_mode_32 0
		.amdhsa_float_round_mode_16_64 0
		.amdhsa_float_denorm_mode_32 3
		.amdhsa_float_denorm_mode_16_64 3
		.amdhsa_dx10_clamp 1
		.amdhsa_ieee_mode 1
		.amdhsa_fp16_overflow 0
		.amdhsa_workgroup_processor_mode 1
		.amdhsa_memory_ordered 1
		.amdhsa_forward_progress 1
		.amdhsa_shared_vgpr_count 0
		.amdhsa_exception_fp_ieee_invalid_op 0
		.amdhsa_exception_fp_denorm_src 0
		.amdhsa_exception_fp_ieee_div_zero 0
		.amdhsa_exception_fp_ieee_overflow 0
		.amdhsa_exception_fp_ieee_underflow 0
		.amdhsa_exception_fp_ieee_inexact 0
		.amdhsa_exception_int_div_zero 0
	.end_amdhsa_kernel
	.section	.text._ZL22rocblas_gemvtsm_kernelILb0ELi256EPKddKPdEviiT2_lPKT1_lilS7_lilS4_lPT3_lil,"axG",@progbits,_ZL22rocblas_gemvtsm_kernelILb0ELi256EPKddKPdEviiT2_lPKT1_lilS7_lilS4_lPT3_lil,comdat
.Lfunc_end259:
	.size	_ZL22rocblas_gemvtsm_kernelILb0ELi256EPKddKPdEviiT2_lPKT1_lilS7_lilS4_lPT3_lil, .Lfunc_end259-_ZL22rocblas_gemvtsm_kernelILb0ELi256EPKddKPdEviiT2_lPKT1_lilS7_lilS4_lPT3_lil
                                        ; -- End function
	.set _ZL22rocblas_gemvtsm_kernelILb0ELi256EPKddKPdEviiT2_lPKT1_lilS7_lilS4_lPT3_lil.num_vgpr, 34
	.set _ZL22rocblas_gemvtsm_kernelILb0ELi256EPKddKPdEviiT2_lPKT1_lilS7_lilS4_lPT3_lil.num_agpr, 0
	.set _ZL22rocblas_gemvtsm_kernelILb0ELi256EPKddKPdEviiT2_lPKT1_lilS7_lilS4_lPT3_lil.numbered_sgpr, 24
	.set _ZL22rocblas_gemvtsm_kernelILb0ELi256EPKddKPdEviiT2_lPKT1_lilS7_lilS4_lPT3_lil.num_named_barrier, 0
	.set _ZL22rocblas_gemvtsm_kernelILb0ELi256EPKddKPdEviiT2_lPKT1_lilS7_lilS4_lPT3_lil.private_seg_size, 0
	.set _ZL22rocblas_gemvtsm_kernelILb0ELi256EPKddKPdEviiT2_lPKT1_lilS7_lilS4_lPT3_lil.uses_vcc, 1
	.set _ZL22rocblas_gemvtsm_kernelILb0ELi256EPKddKPdEviiT2_lPKT1_lilS7_lilS4_lPT3_lil.uses_flat_scratch, 1
	.set _ZL22rocblas_gemvtsm_kernelILb0ELi256EPKddKPdEviiT2_lPKT1_lilS7_lilS4_lPT3_lil.has_dyn_sized_stack, 0
	.set _ZL22rocblas_gemvtsm_kernelILb0ELi256EPKddKPdEviiT2_lPKT1_lilS7_lilS4_lPT3_lil.has_recursion, 0
	.set _ZL22rocblas_gemvtsm_kernelILb0ELi256EPKddKPdEviiT2_lPKT1_lilS7_lilS4_lPT3_lil.has_indirect_call, 0
	.section	.AMDGPU.csdata,"",@progbits
; Kernel info:
; codeLenInByte = 1452
; TotalNumSgprs: 26
; NumVgprs: 34
; ScratchSize: 0
; MemoryBound: 0
; FloatMode: 240
; IeeeMode: 1
; LDSByteSize: 512 bytes/workgroup (compile time only)
; SGPRBlocks: 0
; VGPRBlocks: 4
; NumSGPRsForWavesPerEU: 26
; NumVGPRsForWavesPerEU: 34
; Occupancy: 16
; WaveLimiterHint : 1
; COMPUTE_PGM_RSRC2:SCRATCH_EN: 0
; COMPUTE_PGM_RSRC2:USER_SGPR: 6
; COMPUTE_PGM_RSRC2:TRAP_HANDLER: 0
; COMPUTE_PGM_RSRC2:TGID_X_EN: 1
; COMPUTE_PGM_RSRC2:TGID_Y_EN: 0
; COMPUTE_PGM_RSRC2:TGID_Z_EN: 0
; COMPUTE_PGM_RSRC2:TIDIG_COMP_CNT: 0
	.section	.text._ZL23rocblas_gemvt_sn_kernelILb0ELi256ELi4EiPKdS1_dEviiT4_lPKT3_lilS5_lilPT5_i,"axG",@progbits,_ZL23rocblas_gemvt_sn_kernelILb0ELi256ELi4EiPKdS1_dEviiT4_lPKT3_lilS5_lilPT5_i,comdat
	.globl	_ZL23rocblas_gemvt_sn_kernelILb0ELi256ELi4EiPKdS1_dEviiT4_lPKT3_lilS5_lilPT5_i ; -- Begin function _ZL23rocblas_gemvt_sn_kernelILb0ELi256ELi4EiPKdS1_dEviiT4_lPKT3_lilS5_lilPT5_i
	.p2align	8
	.type	_ZL23rocblas_gemvt_sn_kernelILb0ELi256ELi4EiPKdS1_dEviiT4_lPKT3_lilS5_lilPT5_i,@function
_ZL23rocblas_gemvt_sn_kernelILb0ELi256ELi4EiPKdS1_dEviiT4_lPKT3_lilS5_lilPT5_i: ; @_ZL23rocblas_gemvt_sn_kernelILb0ELi256ELi4EiPKdS1_dEviiT4_lPKT3_lilS5_lilPT5_i
; %bb.0:
	s_load_dwordx8 s[8:15], s[4:5], 0x8
	s_mov_b32 s2, s7
	s_mov_b32 s3, 0
	s_mov_b64 s[16:17], 0
	s_waitcnt lgkmcnt(0)
	s_mul_i32 s0, s11, s7
	s_mul_hi_u32 s1, s10, s7
	s_add_i32 s1, s1, s0
	s_mul_i32 s0, s10, s7
	s_lshl_b64 s[0:1], s[0:1], 3
	s_add_u32 s0, s8, s0
	s_addc_u32 s1, s9, s1
	s_load_dwordx2 s[10:11], s[0:1], 0x0
	s_mov_b64 s[0:1], 0
	s_waitcnt lgkmcnt(0)
	v_cmp_eq_f64_e64 s7, s[10:11], 0
	v_cmp_neq_f64_e64 s8, s[10:11], 0
	s_and_b32 vcc_lo, exec_lo, s7
	s_cbranch_vccnz .LBB260_2
; %bb.1:
	s_lshl_b64 s[0:1], s[2:3], 3
	s_add_u32 s0, s12, s0
	s_addc_u32 s1, s13, s1
	s_lshl_b64 s[12:13], s[14:15], 3
	s_load_dwordx2 s[0:1], s[0:1], 0x0
	s_waitcnt lgkmcnt(0)
	s_add_u32 s0, s0, s12
	s_addc_u32 s1, s1, s13
.LBB260_2:
	s_andn2_b32 vcc_lo, exec_lo, s8
	s_cbranch_vccnz .LBB260_4
; %bb.3:
	s_load_dwordx4 s[12:15], s[4:5], 0x38
	s_lshl_b64 s[8:9], s[2:3], 3
	s_waitcnt lgkmcnt(0)
	s_add_u32 s8, s12, s8
	s_addc_u32 s9, s13, s9
	s_lshl_b64 s[12:13], s[14:15], 3
	s_load_dwordx2 s[8:9], s[8:9], 0x0
	s_waitcnt lgkmcnt(0)
	s_add_u32 s16, s8, s12
	s_addc_u32 s17, s9, s13
.LBB260_4:
	s_clause 0x2
	s_load_dwordx2 s[12:13], s[4:5], 0x0
	s_load_dword s14, s[4:5], 0x68
	s_load_dwordx2 s[8:9], s[4:5], 0x58
	s_waitcnt lgkmcnt(0)
	s_ashr_i32 s19, s13, 31
	s_mul_hi_u32 s3, s13, s2
	s_mul_i32 s15, s19, s2
	s_mul_i32 s2, s13, s2
	s_add_i32 s3, s3, s15
	s_mul_hi_u32 s15, s2, s14
	s_mul_i32 s3, s3, s14
	s_mul_i32 s2, s2, s14
	s_add_i32 s3, s15, s3
	s_mov_b32 s15, 0
	s_lshl_b64 s[2:3], s[2:3], 3
	s_add_u32 s31, s8, s2
	s_addc_u32 s33, s9, s3
	s_andn2_b32 vcc_lo, exec_lo, s7
	s_mov_b32 s2, -1
	s_cbranch_vccnz .LBB260_9
; %bb.5:
	v_cmp_eq_u32_e32 vcc_lo, 0, v0
	s_cmp_gt_i32 s13, 0
	s_cselect_b32 s2, -1, 0
	s_and_b32 s2, vcc_lo, s2
	s_and_saveexec_b32 s18, s2
	s_cbranch_execz .LBB260_8
; %bb.6:
	v_mov_b32_e32 v1, 0
	s_mov_b32 s7, 0
	s_lshl_b64 s[2:3], s[6:7], 3
	s_mov_b32 s7, s13
	v_mov_b32_e32 v2, v1
	s_add_u32 s2, s31, s2
	s_addc_u32 s3, s33, s3
	s_lshl_b64 s[8:9], s[14:15], 3
.LBB260_7:                              ; =>This Inner Loop Header: Depth=1
	s_add_i32 s7, s7, -1
	global_store_dwordx2 v1, v[1:2], s[2:3]
	s_add_u32 s2, s2, s8
	s_addc_u32 s3, s3, s9
	s_cmp_eq_u32 s7, 0
	s_cbranch_scc0 .LBB260_7
.LBB260_8:
	s_or_b32 exec_lo, exec_lo, s18
	s_mov_b32 s2, 0
.LBB260_9:
	s_andn2_b32 vcc_lo, exec_lo, s2
	s_cbranch_vccnz .LBB260_62
; %bb.10:
	s_clause 0x1
	s_load_dword s18, s[4:5], 0x28
	s_load_dword s15, s[4:5], 0x48
	s_lshl_b32 s2, s6, 10
	s_lshr_b32 s3, s19, 30
	v_lshl_or_b32 v1, v0, 2, s2
	s_ashr_i32 s2, s12, 31
	s_add_i32 s3, s13, s3
	s_lshr_b32 s2, s2, 30
	v_and_b32_e32 v35, 31, v0
	v_ashrrev_i32_e32 v2, 31, v1
	s_add_i32 s2, s12, s2
	v_add_nc_u32_e32 v38, 4, v1
	s_and_b32 s2, s2, -4
	v_mbcnt_lo_u32_b32 v37, -1, 0
	v_lshlrev_b64 v[2:3], 3, v[1:2]
	s_sub_i32 s30, s12, s2
	v_lshrrev_b32_e32 v36, 2, v0
	v_add_nc_u32_e32 v39, s30, v1
	v_cmp_eq_u32_e64 s2, 0, v0
	s_and_b32 s34, s3, -4
	v_add_co_u32 v33, vcc_lo, s0, v2
	s_waitcnt lgkmcnt(0)
	v_mul_lo_u32 v19, s15, v1
	v_add_co_ci_u32_e64 v34, null, s1, v3, vcc_lo
	v_cmp_gt_u32_e64 s0, 32, v0
	v_cmp_gt_u32_e64 s1, 8, v0
	s_cmp_lt_i32 s34, 1
	s_cbranch_scc1 .LBB260_37
; %bb.11:
	v_cmp_gt_u32_e32 vcc_lo, 24, v37
	v_mul_lo_u32 v20, s15, v1
	v_mov_b32_e32 v9, 0
	s_cmp_gt_i32 s30, 0
	s_mov_b32 s21, 0
	v_cndmask_b32_e64 v2, 0, 8, vcc_lo
	v_cmp_gt_u32_e32 vcc_lo, 28, v37
	v_mov_b32_e32 v10, v9
	v_mov_b32_e32 v11, v9
	v_add_nc_u32_e32 v1, s15, v20
	v_ashrrev_i32_e32 v21, 31, v20
	v_cndmask_b32_e64 v3, 0, 4, vcc_lo
	v_cmp_gt_u32_e32 vcc_lo, 30, v37
	v_add_lshl_u32 v41, v2, v37, 2
	v_ashrrev_i32_e32 v2, 31, v1
	v_mov_b32_e32 v12, v9
	v_add_lshl_u32 v42, v3, v37, 2
	v_cndmask_b32_e64 v4, 0, 2, vcc_lo
	v_cmp_ne_u32_e32 vcc_lo, 31, v37
	v_add_nc_u32_e32 v3, s15, v1
	v_lshlrev_b64 v[1:2], 3, v[1:2]
	v_mov_b32_e32 v13, v9
	v_add_lshl_u32 v43, v4, v37, 2
	v_add_co_ci_u32_e64 v5, null, 0, v37, vcc_lo
	v_add_nc_u32_e32 v7, s15, v3
	v_ashrrev_i32_e32 v4, 31, v3
	v_mov_b32_e32 v14, v9
	v_lshlrev_b32_e32 v44, 2, v5
	v_lshlrev_b64 v[5:6], 3, v[20:21]
	v_ashrrev_i32_e32 v8, 31, v7
	v_lshlrev_b64 v[3:4], 3, v[3:4]
	v_mov_b32_e32 v15, v9
	v_mov_b32_e32 v16, v9
	v_cmp_ge_i32_e64 s3, s12, v38
	v_add_co_u32 v21, vcc_lo, s16, v5
	v_add_co_ci_u32_e64 v22, null, s17, v6, vcc_lo
	v_add_co_u32 v23, vcc_lo, s16, v1
	v_add_co_ci_u32_e64 v24, null, s17, v2, vcc_lo
	v_lshlrev_b64 v[1:2], 3, v[7:8]
	v_add_co_u32 v25, vcc_lo, s16, v3
	v_add_co_ci_u32_e64 v26, null, s17, v4, vcc_lo
	v_cmp_ge_i32_e64 s4, s12, v39
	v_add_co_u32 v27, vcc_lo, s16, v1
	v_add_co_ci_u32_e64 v28, null, s17, v2, vcc_lo
	v_mov_b32_e32 v1, v9
	v_lshl_or_b32 v40, v37, 2, 64
	v_cmp_eq_u32_e64 s5, 0, v35
	v_lshlrev_b32_e32 v45, 3, v35
	v_and_b32_e32 v46, 56, v36
	v_mov_b32_e32 v2, v10
	v_mov_b32_e32 v3, v11
	v_mov_b32_e32 v4, v12
	v_mov_b32_e32 v5, v13
	v_mov_b32_e32 v6, v14
	v_mov_b32_e32 v7, v15
	v_mov_b32_e32 v8, v16
	s_cselect_b32 s35, -1, 0
	s_mov_b32 s19, s21
	s_lshl_b32 s20, s18, 1
	s_lshl_b32 s36, s18, 2
	s_mul_i32 s37, s18, 3
	s_mov_b32 s38, s21
	s_mov_b32 s22, s21
	s_mov_b64 s[24:25], s[20:21]
	s_mov_b64 s[26:27], s[18:19]
	s_mov_b32 s19, 0
	s_branch .LBB260_13
.LBB260_12:                             ;   in Loop: Header=BB260_13 Depth=1
	s_or_b32 exec_lo, exec_lo, s7
	s_add_i32 s19, s19, 4
	s_add_u32 s26, s26, s36
	s_addc_u32 s27, s27, 0
	s_add_u32 s24, s24, s36
	s_addc_u32 s25, s25, 0
	;; [unrolled: 2-line block ×3, first 2 shown]
	s_add_i32 s22, s22, s36
	s_cmp_ge_i32 s19, s34
	s_cbranch_scc1 .LBB260_38
.LBB260_13:                             ; =>This Loop Header: Depth=1
                                        ;     Child Loop BB260_19 Depth 2
                                        ;     Child Loop BB260_22 Depth 2
	;; [unrolled: 1-line block ×3, first 2 shown]
                                        ; implicit-def: $vgpr11_vgpr12_vgpr13_vgpr14_vgpr15_vgpr16_vgpr17_vgpr18
	s_and_saveexec_b32 s7, s3
	s_xor_b32 s7, exec_lo, s7
	s_cbranch_execz .LBB260_15
; %bb.14:                               ;   in Loop: Header=BB260_13 Depth=1
	s_mul_i32 s8, s19, s18
	s_ashr_i32 s9, s8, 31
	s_add_i32 s28, s8, s18
	s_lshl_b64 s[8:9], s[8:9], 3
	s_ashr_i32 s29, s28, 31
	v_add_co_u32 v7, vcc_lo, v33, s8
	v_add_co_ci_u32_e64 v8, null, s9, v34, vcc_lo
	s_lshl_b64 s[8:9], s[28:29], 3
	s_add_i32 s28, s28, s18
	v_add_co_u32 v55, vcc_lo, v33, s8
	s_ashr_i32 s29, s28, 31
	s_add_i32 s8, s28, s18
	v_add_co_ci_u32_e64 v56, null, s9, v34, vcc_lo
	s_lshl_b64 s[28:29], s[28:29], 3
	s_ashr_i32 s9, s8, 31
	v_add_co_u32 v59, vcc_lo, v33, s28
	s_lshl_b64 s[8:9], s[8:9], 3
	v_add_co_ci_u32_e64 v60, null, s29, v34, vcc_lo
	v_add_co_u32 v63, vcc_lo, v33, s8
	v_add_co_ci_u32_e64 v64, null, s9, v34, vcc_lo
	flat_load_dwordx2 v[1:2], v[21:22]
	s_clause 0x3
	flat_load_dwordx4 v[10:13], v[7:8]
	flat_load_dwordx4 v[14:17], v[55:56]
	;; [unrolled: 1-line block ×4, first 2 shown]
	s_clause 0x1
	flat_load_dwordx2 v[3:4], v[23:24]
	flat_load_dwordx2 v[5:6], v[25:26]
	s_clause 0x3
	flat_load_dwordx4 v[51:54], v[7:8] offset:16
	flat_load_dwordx4 v[55:58], v[55:56] offset:16
	;; [unrolled: 1-line block ×4, first 2 shown]
	flat_load_dwordx2 v[7:8], v[27:28]
	s_waitcnt vmcnt(10) lgkmcnt(10)
	v_fma_f64 v[10:11], v[1:2], v[10:11], 0
	s_waitcnt vmcnt(9) lgkmcnt(9)
	v_fma_f64 v[14:15], v[1:2], v[14:15], 0
	s_waitcnt vmcnt(8) lgkmcnt(8)
	v_fma_f64 v[29:30], v[1:2], v[29:30], 0
	s_waitcnt vmcnt(7) lgkmcnt(7)
	v_fma_f64 v[47:48], v[1:2], v[47:48], 0
	s_waitcnt vmcnt(6) lgkmcnt(6)
	v_fma_f64 v[10:11], v[3:4], v[12:13], v[10:11]
	v_fma_f64 v[12:13], v[3:4], v[16:17], v[14:15]
	v_fma_f64 v[14:15], v[3:4], v[31:32], v[29:30]
	;; [unrolled: 1-line block ×3, first 2 shown]
	s_waitcnt vmcnt(4) lgkmcnt(4)
	v_fma_f64 v[10:11], v[5:6], v[51:52], v[10:11]
	s_waitcnt vmcnt(3) lgkmcnt(3)
	v_fma_f64 v[29:30], v[5:6], v[55:56], v[12:13]
	;; [unrolled: 2-line block ×5, first 2 shown]
	v_fma_f64 v[13:14], v[7:8], v[57:58], v[29:30]
	v_fma_f64 v[15:16], v[7:8], v[61:62], v[31:32]
	;; [unrolled: 1-line block ×3, first 2 shown]
.LBB260_15:                             ;   in Loop: Header=BB260_13 Depth=1
	s_andn2_saveexec_b32 s20, s7
	s_cbranch_execz .LBB260_25
; %bb.16:                               ;   in Loop: Header=BB260_13 Depth=1
	v_mov_b32_e32 v16, v9
	v_mov_b32_e32 v10, v9
	;; [unrolled: 1-line block ×15, first 2 shown]
	s_and_saveexec_b32 s39, s4
	s_cbranch_execz .LBB260_24
; %bb.17:                               ;   in Loop: Header=BB260_13 Depth=1
	s_andn2_b32 vcc_lo, exec_lo, s35
	s_cbranch_vccnz .LBB260_20
; %bb.18:                               ;   in Loop: Header=BB260_13 Depth=1
	v_mov_b32_e32 v10, v20
	s_mov_b64 s[28:29], 0
	s_inst_prefetch 0x1
	.p2align	6
.LBB260_19:                             ;   Parent Loop BB260_13 Depth=1
                                        ; =>  This Inner Loop Header: Depth=2
	v_ashrrev_i32_e32 v11, 31, v10
	s_cmp_eq_u32 s28, 3
	v_lshlrev_b64 v[11:12], 3, v[10:11]
	v_add_nc_u32_e32 v10, s15, v10
	v_add_co_u32 v11, vcc_lo, s16, v11
	v_add_co_ci_u32_e64 v12, null, s17, v12, vcc_lo
	s_cselect_b32 vcc_lo, -1, 0
	s_cmp_eq_u32 s28, 2
	s_cselect_b32 s7, -1, 0
	flat_load_dwordx2 v[11:12], v[11:12]
	s_cmp_eq_u32 s28, 1
	s_cselect_b32 s8, -1, 0
	s_cmp_eq_u32 s28, 0
	s_cselect_b32 s9, -1, 0
	s_add_u32 s28, s28, 1
	s_addc_u32 s29, s29, 0
	s_cmp_eq_u32 s30, s28
	s_waitcnt vmcnt(0) lgkmcnt(0)
	v_cndmask_b32_e32 v8, v8, v12, vcc_lo
	v_cndmask_b32_e32 v7, v7, v11, vcc_lo
	v_cndmask_b32_e64 v6, v6, v12, s7
	v_cndmask_b32_e64 v5, v5, v11, s7
	;; [unrolled: 1-line block ×6, first 2 shown]
	s_cbranch_scc0 .LBB260_19
.LBB260_20:                             ;   in Loop: Header=BB260_13 Depth=1
	s_inst_prefetch 0x2
	s_andn2_b32 vcc_lo, exec_lo, s35
	s_cbranch_vccnz .LBB260_23
; %bb.21:                               ;   in Loop: Header=BB260_13 Depth=1
	s_ashr_i32 s23, s22, 31
	v_mov_b32_e32 v11, 0
	s_lshl_b64 s[8:9], s[22:23], 3
	v_mov_b32_e32 v13, 0
	v_add_co_u32 v29, vcc_lo, v33, s8
	v_mov_b32_e32 v15, 0
	v_mov_b32_e32 v17, 0
	;; [unrolled: 1-line block ×6, first 2 shown]
	v_add_co_ci_u32_e64 v30, null, s9, v34, vcc_lo
	s_mov_b64 s[28:29], 0
.LBB260_22:                             ;   Parent Loop BB260_13 Depth=1
                                        ; =>  This Inner Loop Header: Depth=2
	s_cmp_eq_u32 s28, 1
	s_cselect_b32 vcc_lo, -1, 0
	s_cmp_eq_u32 s28, 2
	v_cndmask_b32_e32 v10, v2, v4, vcc_lo
	s_cselect_b32 s7, -1, 0
	s_cmp_eq_u32 s28, 3
	v_cndmask_b32_e32 v53, v1, v3, vcc_lo
	s_cselect_b32 s8, -1, 0
	s_add_i32 s40, s26, s28
	s_add_i32 s42, s24, s28
	s_ashr_i32 s41, s40, 31
	s_add_i32 s44, s37, s28
	s_ashr_i32 s43, s42, 31
	s_lshl_b64 s[40:41], s[40:41], 3
	s_ashr_i32 s45, s44, 31
	s_lshl_b64 s[42:43], s[42:43], 3
	v_add_co_u32 v31, s9, v33, s40
	s_lshl_b64 s[44:45], s[44:45], 3
	v_add_co_ci_u32_e64 v32, null, s41, v34, s9
	v_add_co_u32 v47, s9, v33, s42
	v_add_co_ci_u32_e64 v48, null, s43, v34, s9
	v_add_co_u32 v49, s9, v33, s44
	v_add_co_ci_u32_e64 v50, null, s45, v34, s9
	flat_load_dwordx2 v[51:52], v[29:30]
	s_clause 0x2
	flat_load_dwordx2 v[31:32], v[31:32]
	flat_load_dwordx2 v[47:48], v[47:48]
	;; [unrolled: 1-line block ×3, first 2 shown]
	v_cndmask_b32_e64 v10, v10, v6, s7
	v_cndmask_b32_e64 v53, v53, v5, s7
	v_add_co_u32 v29, vcc_lo, v29, 8
	v_add_co_ci_u32_e64 v30, null, 0, v30, vcc_lo
	v_cndmask_b32_e64 v54, v10, v8, s8
	v_cndmask_b32_e64 v53, v53, v7, s8
	s_add_u32 s28, s28, 1
	s_addc_u32 s29, s29, 0
	s_cmp_lg_u32 s30, s28
	s_waitcnt vmcnt(3) lgkmcnt(3)
	v_fma_f64 v[11:12], v[53:54], v[51:52], v[11:12]
	s_waitcnt vmcnt(2) lgkmcnt(2)
	v_fma_f64 v[13:14], v[53:54], v[31:32], v[13:14]
	;; [unrolled: 2-line block ×4, first 2 shown]
	s_cbranch_scc1 .LBB260_22
	s_branch .LBB260_24
.LBB260_23:                             ;   in Loop: Header=BB260_13 Depth=1
	v_mov_b32_e32 v16, v9
	v_mov_b32_e32 v10, v9
	;; [unrolled: 1-line block ×15, first 2 shown]
.LBB260_24:                             ;   in Loop: Header=BB260_13 Depth=1
	s_or_b32 exec_lo, exec_lo, s39
.LBB260_25:                             ;   in Loop: Header=BB260_13 Depth=1
	s_or_b32 exec_lo, exec_lo, s20
	s_mov_b64 s[8:9], 0
	s_branch .LBB260_27
.LBB260_26:                             ;   in Loop: Header=BB260_27 Depth=2
	s_or_b32 exec_lo, exec_lo, s7
	s_cmp_eq_u32 s8, 3
	s_cselect_b32 vcc_lo, -1, 0
	s_cmp_eq_u32 s8, 2
	s_waitcnt lgkmcnt(0)
	v_cndmask_b32_e32 v18, v18, v30, vcc_lo
	v_cndmask_b32_e32 v17, v17, v29, vcc_lo
	s_cselect_b32 vcc_lo, -1, 0
	s_cmp_eq_u32 s8, 1
	v_cndmask_b32_e32 v16, v16, v30, vcc_lo
	v_cndmask_b32_e32 v15, v15, v29, vcc_lo
	s_cselect_b32 vcc_lo, -1, 0
	s_cmp_eq_u32 s8, 0
	v_cndmask_b32_e32 v14, v14, v30, vcc_lo
	v_cndmask_b32_e32 v13, v13, v29, vcc_lo
	s_cselect_b32 vcc_lo, -1, 0
	s_add_u32 s8, s8, 1
	v_cndmask_b32_e32 v12, v12, v30, vcc_lo
	v_cndmask_b32_e32 v11, v11, v29, vcc_lo
	s_addc_u32 s9, s9, 0
	s_cmp_eq_u32 s8, 4
	s_cbranch_scc1 .LBB260_35
.LBB260_27:                             ;   Parent Loop BB260_13 Depth=1
                                        ; =>  This Inner Loop Header: Depth=2
	s_and_saveexec_b32 s7, s0
; %bb.28:                               ;   in Loop: Header=BB260_27 Depth=2
	v_mov_b32_e32 v10, v9
	ds_write_b64 v45, v[9:10]
; %bb.29:                               ;   in Loop: Header=BB260_27 Depth=2
	s_or_b32 exec_lo, exec_lo, s7
	s_cmp_eq_u32 s8, 1
	s_waitcnt lgkmcnt(0)
	s_waitcnt_vscnt null, 0x0
	s_cselect_b32 vcc_lo, -1, 0
	s_cmp_eq_u32 s8, 2
	v_cndmask_b32_e32 v10, v12, v14, vcc_lo
	v_cndmask_b32_e32 v29, v11, v13, vcc_lo
	s_cselect_b32 vcc_lo, -1, 0
	s_cmp_eq_u32 s8, 3
	s_barrier
	v_cndmask_b32_e32 v10, v10, v16, vcc_lo
	v_cndmask_b32_e32 v29, v29, v15, vcc_lo
	s_cselect_b32 vcc_lo, -1, 0
	buffer_gl0_inv
	v_cndmask_b32_e32 v30, v10, v18, vcc_lo
	v_cndmask_b32_e32 v29, v29, v17, vcc_lo
	ds_bpermute_b32 v32, v40, v30
	ds_bpermute_b32 v31, v40, v29
	s_waitcnt lgkmcnt(0)
	v_add_f64 v[29:30], v[29:30], v[31:32]
	ds_bpermute_b32 v31, v41, v29
	ds_bpermute_b32 v32, v41, v30
	s_waitcnt lgkmcnt(0)
	v_add_f64 v[29:30], v[29:30], v[31:32]
	;; [unrolled: 4-line block ×4, first 2 shown]
	ds_bpermute_b32 v31, v44, v29
	ds_bpermute_b32 v32, v44, v30
	s_and_saveexec_b32 s7, s5
	s_cbranch_execz .LBB260_31
; %bb.30:                               ;   in Loop: Header=BB260_27 Depth=2
	s_waitcnt lgkmcnt(0)
	v_add_f64 v[29:30], v[29:30], v[31:32]
	ds_write_b64 v46, v[29:30]
.LBB260_31:                             ;   in Loop: Header=BB260_27 Depth=2
	s_or_b32 exec_lo, exec_lo, s7
	v_mov_b32_e32 v29, 0
	v_mov_b32_e32 v30, 0
	s_waitcnt lgkmcnt(0)
	s_barrier
	buffer_gl0_inv
	s_and_saveexec_b32 s7, s1
; %bb.32:                               ;   in Loop: Header=BB260_27 Depth=2
	ds_read_b64 v[29:30], v45
; %bb.33:                               ;   in Loop: Header=BB260_27 Depth=2
	s_or_b32 exec_lo, exec_lo, s7
	s_and_saveexec_b32 s7, s0
	s_cbranch_execz .LBB260_26
; %bb.34:                               ;   in Loop: Header=BB260_27 Depth=2
	s_waitcnt lgkmcnt(0)
	ds_bpermute_b32 v31, v42, v29
	ds_bpermute_b32 v32, v42, v30
	s_waitcnt lgkmcnt(0)
	v_add_f64 v[29:30], v[29:30], v[31:32]
	ds_bpermute_b32 v31, v43, v29
	ds_bpermute_b32 v32, v43, v30
	s_waitcnt lgkmcnt(0)
	v_add_f64 v[29:30], v[29:30], v[31:32]
	;; [unrolled: 4-line block ×3, first 2 shown]
	s_branch .LBB260_26
.LBB260_35:                             ;   in Loop: Header=BB260_13 Depth=1
	s_and_saveexec_b32 s7, s2
	s_cbranch_execz .LBB260_12
; %bb.36:                               ;   in Loop: Header=BB260_13 Depth=1
	s_mul_i32 s8, s19, s14
	v_mul_f64 v[10:11], s[10:11], v[11:12]
	v_mul_f64 v[12:13], s[10:11], v[13:14]
	;; [unrolled: 1-line block ×3, first 2 shown]
	s_add_i32 s20, s8, s6
	v_mul_f64 v[16:17], s[10:11], v[17:18]
	s_lshl_b64 s[8:9], s[20:21], 3
	s_add_u32 s8, s31, s8
	s_addc_u32 s9, s33, s9
	s_add_i32 s20, s20, s14
	s_lshl_b64 s[28:29], s[20:21], 3
	s_add_u32 s28, s31, s28
	s_addc_u32 s29, s33, s29
	s_add_i32 s20, s20, s14
	global_store_dwordx2 v9, v[10:11], s[8:9]
	global_store_dwordx2 v9, v[12:13], s[28:29]
	s_lshl_b64 s[40:41], s[20:21], 3
	s_add_u32 s40, s31, s40
	s_addc_u32 s41, s33, s41
	s_add_i32 s20, s20, s14
	s_lshl_b64 s[42:43], s[20:21], 3
	s_add_u32 s42, s31, s42
	s_addc_u32 s43, s33, s43
	global_store_dwordx2 v9, v[14:15], s[40:41]
	global_store_dwordx2 v9, v[16:17], s[42:43]
	s_branch .LBB260_12
.LBB260_37:
	v_mov_b32_e32 v1, 0
	s_mov_b32 s19, 0
	v_mov_b32_e32 v2, v1
	v_mov_b32_e32 v3, v1
	;; [unrolled: 1-line block ×7, first 2 shown]
.LBB260_38:
	s_cmp_ge_i32 s19, s13
	s_cbranch_scc1 .LBB260_62
; %bb.39:
	v_cmp_gt_u32_e32 vcc_lo, 24, v37
	v_ashrrev_i32_e32 v20, 31, v19
	s_cmp_gt_i32 s30, 0
	s_mov_b32 s7, 0
	v_cmp_ge_i32_e64 s0, s12, v38
	v_cndmask_b32_e64 v9, 0, 8, vcc_lo
	v_cmp_gt_u32_e32 vcc_lo, 28, v37
	v_lshlrev_b64 v[13:14], 3, v[19:20]
	v_cmp_ge_i32_e64 s1, s12, v39
	s_cselect_b32 s12, -1, 0
	v_add_lshl_u32 v26, v9, v37, 2
	v_cndmask_b32_e64 v10, 0, 4, vcc_lo
	v_cmp_gt_u32_e32 vcc_lo, 30, v37
	v_add_nc_u32_e32 v9, s15, v19
	v_cmp_gt_u32_e64 s2, 32, v0
	v_lshlrev_b32_e32 v24, 3, v35
	v_add_lshl_u32 v27, v10, v37, 2
	v_cndmask_b32_e64 v11, 0, 2, vcc_lo
	v_cmp_ne_u32_e32 vcc_lo, 31, v37
	v_ashrrev_i32_e32 v10, 31, v9
	v_lshl_or_b32 v25, v37, 2, 64
	v_cmp_eq_u32_e64 s3, 0, v35
	v_add_lshl_u32 v28, v11, v37, 2
	v_add_nc_u32_e32 v11, s15, v9
	v_add_co_ci_u32_e64 v12, null, 0, v37, vcc_lo
	v_lshlrev_b64 v[15:16], 3, v[9:10]
	v_add_co_u32 v9, vcc_lo, s16, v13
	v_add_nc_u32_e32 v17, s15, v11
	v_lshlrev_b32_e32 v29, 2, v12
	v_ashrrev_i32_e32 v12, 31, v11
	v_add_co_ci_u32_e64 v10, null, s17, v14, vcc_lo
	v_ashrrev_i32_e32 v18, 31, v17
	v_and_b32_e32 v30, 56, v36
	v_lshlrev_b64 v[13:14], 3, v[11:12]
	v_add_co_u32 v11, vcc_lo, s16, v15
	v_add_co_ci_u32_e64 v12, null, s17, v16, vcc_lo
	v_lshlrev_b64 v[15:16], 3, v[17:18]
	v_add_co_u32 v13, vcc_lo, s16, v13
	v_add_co_ci_u32_e64 v14, null, s17, v14, vcc_lo
	v_cmp_gt_u32_e64 s4, 8, v0
	v_add_co_u32 v15, vcc_lo, s16, v15
	v_cmp_eq_u32_e64 s5, 0, v0
	s_lshl_b64 s[8:9], s[6:7], 3
	v_add_co_ci_u32_e64 v16, null, s17, v16, vcc_lo
	v_mov_b32_e32 v17, 0
	s_add_u32 s24, s31, s8
	s_addc_u32 s25, s33, s9
	s_mul_i32 s20, s19, s18
	s_branch .LBB260_41
.LBB260_40:                             ;   in Loop: Header=BB260_41 Depth=1
	s_or_b32 exec_lo, exec_lo, s6
	s_add_i32 s19, s19, 1
	s_add_i32 s20, s20, s18
	s_cmp_ge_i32 s19, s13
	s_cbranch_scc1 .LBB260_62
.LBB260_41:                             ; =>This Loop Header: Depth=1
                                        ;     Child Loop BB260_54 Depth 2
                                        ;     Child Loop BB260_57 Depth 2
	s_waitcnt lgkmcnt(0)
	v_mov_b32_e32 v20, s7
	v_mov_b32_e32 v21, s7
	s_and_saveexec_b32 s6, s0
	s_xor_b32 s6, exec_lo, s6
	s_cbranch_execnz .LBB260_50
; %bb.42:                               ;   in Loop: Header=BB260_41 Depth=1
	s_andn2_saveexec_b32 s26, s6
	s_cbranch_execnz .LBB260_51
.LBB260_43:                             ;   in Loop: Header=BB260_41 Depth=1
	s_or_b32 exec_lo, exec_lo, s26
	s_and_saveexec_b32 s6, s2
.LBB260_44:                             ;   in Loop: Header=BB260_41 Depth=1
	v_mov_b32_e32 v18, v17
	ds_write_b64 v24, v[17:18]
.LBB260_45:                             ;   in Loop: Header=BB260_41 Depth=1
	s_or_b32 exec_lo, exec_lo, s6
	ds_bpermute_b32 v22, v25, v20
	ds_bpermute_b32 v23, v25, v21
	s_waitcnt lgkmcnt(0)
	s_waitcnt_vscnt null, 0x0
	s_barrier
	buffer_gl0_inv
	v_add_f64 v[20:21], v[20:21], v[22:23]
	ds_bpermute_b32 v22, v26, v20
	ds_bpermute_b32 v23, v26, v21
	s_waitcnt lgkmcnt(0)
	v_add_f64 v[20:21], v[20:21], v[22:23]
	ds_bpermute_b32 v22, v27, v20
	ds_bpermute_b32 v23, v27, v21
	s_waitcnt lgkmcnt(0)
	v_add_f64 v[20:21], v[20:21], v[22:23]
	ds_bpermute_b32 v22, v28, v20
	ds_bpermute_b32 v23, v28, v21
	s_waitcnt lgkmcnt(0)
	v_add_f64 v[20:21], v[20:21], v[22:23]
	ds_bpermute_b32 v22, v29, v20
	ds_bpermute_b32 v23, v29, v21
	s_and_saveexec_b32 s6, s3
	s_cbranch_execz .LBB260_47
; %bb.46:                               ;   in Loop: Header=BB260_41 Depth=1
	s_waitcnt lgkmcnt(0)
	v_add_f64 v[20:21], v[20:21], v[22:23]
	ds_write_b64 v30, v[20:21]
.LBB260_47:                             ;   in Loop: Header=BB260_41 Depth=1
	s_or_b32 exec_lo, exec_lo, s6
	v_mov_b32_e32 v20, 0
	v_mov_b32_e32 v21, 0
	s_waitcnt lgkmcnt(0)
	s_barrier
	buffer_gl0_inv
	s_and_saveexec_b32 s6, s4
	s_cbranch_execnz .LBB260_59
; %bb.48:                               ;   in Loop: Header=BB260_41 Depth=1
	s_or_b32 exec_lo, exec_lo, s6
	s_and_saveexec_b32 s6, s2
	s_cbranch_execnz .LBB260_60
.LBB260_49:                             ;   in Loop: Header=BB260_41 Depth=1
	s_or_b32 exec_lo, exec_lo, s6
	s_and_saveexec_b32 s6, s5
	s_cbranch_execz .LBB260_40
	s_branch .LBB260_61
.LBB260_50:                             ;   in Loop: Header=BB260_41 Depth=1
	s_mul_i32 s8, s19, s18
	s_ashr_i32 s9, s8, 31
	s_lshl_b64 s[8:9], s[8:9], 3
	v_add_co_u32 v5, vcc_lo, v33, s8
	v_add_co_ci_u32_e64 v6, null, s9, v34, vcc_lo
	flat_load_dwordx4 v[20:23], v[5:6]
	s_clause 0x1
	flat_load_dwordx2 v[1:2], v[9:10]
	flat_load_dwordx2 v[3:4], v[11:12]
	flat_load_dwordx4 v[35:38], v[5:6] offset:16
	s_clause 0x1
	flat_load_dwordx2 v[5:6], v[13:14]
	flat_load_dwordx2 v[7:8], v[15:16]
	s_waitcnt vmcnt(4) lgkmcnt(4)
	v_fma_f64 v[20:21], v[1:2], v[20:21], 0
	s_waitcnt vmcnt(3) lgkmcnt(3)
	v_fma_f64 v[20:21], v[3:4], v[22:23], v[20:21]
	;; [unrolled: 2-line block ×4, first 2 shown]
	s_andn2_saveexec_b32 s26, s6
	s_cbranch_execz .LBB260_43
.LBB260_51:                             ;   in Loop: Header=BB260_41 Depth=1
	s_and_saveexec_b32 s27, s1
	s_cbranch_execz .LBB260_58
; %bb.52:                               ;   in Loop: Header=BB260_41 Depth=1
	s_andn2_b32 vcc_lo, exec_lo, s12
	s_cbranch_vccnz .LBB260_55
; %bb.53:                               ;   in Loop: Header=BB260_41 Depth=1
	v_mov_b32_e32 v22, v19
	s_mov_b64 s[22:23], 0
	s_inst_prefetch 0x1
	.p2align	6
.LBB260_54:                             ;   Parent Loop BB260_41 Depth=1
                                        ; =>  This Inner Loop Header: Depth=2
	v_ashrrev_i32_e32 v23, 31, v22
	s_cmp_eq_u32 s22, 3
	v_lshlrev_b64 v[31:32], 3, v[22:23]
	v_add_nc_u32_e32 v22, s15, v22
	v_add_co_u32 v31, vcc_lo, s16, v31
	v_add_co_ci_u32_e64 v32, null, s17, v32, vcc_lo
	s_cselect_b32 vcc_lo, -1, 0
	s_cmp_eq_u32 s22, 2
	s_cselect_b32 s6, -1, 0
	flat_load_dwordx2 v[31:32], v[31:32]
	s_cmp_eq_u32 s22, 1
	s_cselect_b32 s8, -1, 0
	s_cmp_eq_u32 s22, 0
	s_cselect_b32 s9, -1, 0
	s_add_u32 s22, s22, 1
	s_addc_u32 s23, s23, 0
	s_cmp_eq_u32 s30, s22
	s_waitcnt vmcnt(0) lgkmcnt(0)
	v_cndmask_b32_e32 v8, v8, v32, vcc_lo
	v_cndmask_b32_e32 v7, v7, v31, vcc_lo
	v_cndmask_b32_e64 v6, v6, v32, s6
	v_cndmask_b32_e64 v5, v5, v31, s6
	;; [unrolled: 1-line block ×6, first 2 shown]
	s_cbranch_scc0 .LBB260_54
.LBB260_55:                             ;   in Loop: Header=BB260_41 Depth=1
	s_inst_prefetch 0x2
	s_andn2_b32 vcc_lo, exec_lo, s12
	s_cbranch_vccnz .LBB260_58
; %bb.56:                               ;   in Loop: Header=BB260_41 Depth=1
	s_ashr_i32 s21, s20, 31
	s_lshl_b64 s[8:9], s[20:21], 3
	v_add_co_u32 v22, vcc_lo, v33, s8
	v_add_co_ci_u32_e64 v23, null, s9, v34, vcc_lo
	s_mov_b64 s[8:9], 0
	.p2align	6
.LBB260_57:                             ;   Parent Loop BB260_41 Depth=1
                                        ; =>  This Inner Loop Header: Depth=2
	flat_load_dwordx2 v[31:32], v[22:23]
	s_cmp_eq_u32 s8, 1
	s_cselect_b32 vcc_lo, -1, 0
	s_cmp_eq_u32 s8, 2
	v_cndmask_b32_e32 v0, v2, v4, vcc_lo
	v_cndmask_b32_e32 v18, v1, v3, vcc_lo
	s_cselect_b32 vcc_lo, -1, 0
	s_cmp_eq_u32 s8, 3
	v_cndmask_b32_e32 v0, v0, v6, vcc_lo
	v_cndmask_b32_e32 v18, v18, v5, vcc_lo
	s_cselect_b32 vcc_lo, -1, 0
	s_add_u32 s8, s8, 1
	s_addc_u32 s9, s9, 0
	v_cndmask_b32_e32 v36, v0, v8, vcc_lo
	v_cndmask_b32_e32 v35, v18, v7, vcc_lo
	v_add_co_u32 v22, vcc_lo, v22, 8
	v_add_co_ci_u32_e64 v23, null, 0, v23, vcc_lo
	s_cmp_lg_u32 s30, s8
	s_waitcnt vmcnt(0) lgkmcnt(0)
	v_fma_f64 v[20:21], v[35:36], v[31:32], v[20:21]
	s_cbranch_scc1 .LBB260_57
.LBB260_58:                             ;   in Loop: Header=BB260_41 Depth=1
	s_or_b32 exec_lo, exec_lo, s27
	s_or_b32 exec_lo, exec_lo, s26
	s_and_saveexec_b32 s6, s2
	s_cbranch_execnz .LBB260_44
	s_branch .LBB260_45
.LBB260_59:                             ;   in Loop: Header=BB260_41 Depth=1
	ds_read_b64 v[20:21], v24
	s_or_b32 exec_lo, exec_lo, s6
	s_and_saveexec_b32 s6, s2
	s_cbranch_execz .LBB260_49
.LBB260_60:                             ;   in Loop: Header=BB260_41 Depth=1
	s_waitcnt lgkmcnt(0)
	ds_bpermute_b32 v22, v27, v20
	ds_bpermute_b32 v23, v27, v21
	s_waitcnt lgkmcnt(0)
	v_add_f64 v[20:21], v[20:21], v[22:23]
	ds_bpermute_b32 v22, v28, v20
	ds_bpermute_b32 v23, v28, v21
	s_waitcnt lgkmcnt(0)
	v_add_f64 v[20:21], v[20:21], v[22:23]
	;; [unrolled: 4-line block ×3, first 2 shown]
	s_or_b32 exec_lo, exec_lo, s6
	s_and_saveexec_b32 s6, s5
	s_cbranch_execz .LBB260_40
.LBB260_61:                             ;   in Loop: Header=BB260_41 Depth=1
	s_waitcnt lgkmcnt(0)
	v_mul_f64 v[20:21], s[10:11], v[20:21]
	s_mul_hi_u32 s9, s19, s14
	s_mul_i32 s8, s19, s14
	s_lshl_b64 s[8:9], s[8:9], 3
	s_add_u32 s8, s24, s8
	s_addc_u32 s9, s25, s9
	global_store_dwordx2 v17, v[20:21], s[8:9]
	s_branch .LBB260_40
.LBB260_62:
	s_endpgm
	.section	.rodata,"a",@progbits
	.p2align	6, 0x0
	.amdhsa_kernel _ZL23rocblas_gemvt_sn_kernelILb0ELi256ELi4EiPKdS1_dEviiT4_lPKT3_lilS5_lilPT5_i
		.amdhsa_group_segment_fixed_size 256
		.amdhsa_private_segment_fixed_size 0
		.amdhsa_kernarg_size 360
		.amdhsa_user_sgpr_count 6
		.amdhsa_user_sgpr_private_segment_buffer 1
		.amdhsa_user_sgpr_dispatch_ptr 0
		.amdhsa_user_sgpr_queue_ptr 0
		.amdhsa_user_sgpr_kernarg_segment_ptr 1
		.amdhsa_user_sgpr_dispatch_id 0
		.amdhsa_user_sgpr_flat_scratch_init 0
		.amdhsa_user_sgpr_private_segment_size 0
		.amdhsa_wavefront_size32 1
		.amdhsa_uses_dynamic_stack 0
		.amdhsa_system_sgpr_private_segment_wavefront_offset 0
		.amdhsa_system_sgpr_workgroup_id_x 1
		.amdhsa_system_sgpr_workgroup_id_y 0
		.amdhsa_system_sgpr_workgroup_id_z 1
		.amdhsa_system_sgpr_workgroup_info 0
		.amdhsa_system_vgpr_workitem_id 0
		.amdhsa_next_free_vgpr 67
		.amdhsa_next_free_sgpr 46
		.amdhsa_reserve_vcc 1
		.amdhsa_reserve_flat_scratch 1
		.amdhsa_float_round_mode_32 0
		.amdhsa_float_round_mode_16_64 0
		.amdhsa_float_denorm_mode_32 3
		.amdhsa_float_denorm_mode_16_64 3
		.amdhsa_dx10_clamp 1
		.amdhsa_ieee_mode 1
		.amdhsa_fp16_overflow 0
		.amdhsa_workgroup_processor_mode 1
		.amdhsa_memory_ordered 1
		.amdhsa_forward_progress 1
		.amdhsa_shared_vgpr_count 0
		.amdhsa_exception_fp_ieee_invalid_op 0
		.amdhsa_exception_fp_denorm_src 0
		.amdhsa_exception_fp_ieee_div_zero 0
		.amdhsa_exception_fp_ieee_overflow 0
		.amdhsa_exception_fp_ieee_underflow 0
		.amdhsa_exception_fp_ieee_inexact 0
		.amdhsa_exception_int_div_zero 0
	.end_amdhsa_kernel
	.section	.text._ZL23rocblas_gemvt_sn_kernelILb0ELi256ELi4EiPKdS1_dEviiT4_lPKT3_lilS5_lilPT5_i,"axG",@progbits,_ZL23rocblas_gemvt_sn_kernelILb0ELi256ELi4EiPKdS1_dEviiT4_lPKT3_lilS5_lilPT5_i,comdat
.Lfunc_end260:
	.size	_ZL23rocblas_gemvt_sn_kernelILb0ELi256ELi4EiPKdS1_dEviiT4_lPKT3_lilS5_lilPT5_i, .Lfunc_end260-_ZL23rocblas_gemvt_sn_kernelILb0ELi256ELi4EiPKdS1_dEviiT4_lPKT3_lilS5_lilPT5_i
                                        ; -- End function
	.set _ZL23rocblas_gemvt_sn_kernelILb0ELi256ELi4EiPKdS1_dEviiT4_lPKT3_lilS5_lilPT5_i.num_vgpr, 67
	.set _ZL23rocblas_gemvt_sn_kernelILb0ELi256ELi4EiPKdS1_dEviiT4_lPKT3_lilS5_lilPT5_i.num_agpr, 0
	.set _ZL23rocblas_gemvt_sn_kernelILb0ELi256ELi4EiPKdS1_dEviiT4_lPKT3_lilS5_lilPT5_i.numbered_sgpr, 46
	.set _ZL23rocblas_gemvt_sn_kernelILb0ELi256ELi4EiPKdS1_dEviiT4_lPKT3_lilS5_lilPT5_i.num_named_barrier, 0
	.set _ZL23rocblas_gemvt_sn_kernelILb0ELi256ELi4EiPKdS1_dEviiT4_lPKT3_lilS5_lilPT5_i.private_seg_size, 0
	.set _ZL23rocblas_gemvt_sn_kernelILb0ELi256ELi4EiPKdS1_dEviiT4_lPKT3_lilS5_lilPT5_i.uses_vcc, 1
	.set _ZL23rocblas_gemvt_sn_kernelILb0ELi256ELi4EiPKdS1_dEviiT4_lPKT3_lilS5_lilPT5_i.uses_flat_scratch, 1
	.set _ZL23rocblas_gemvt_sn_kernelILb0ELi256ELi4EiPKdS1_dEviiT4_lPKT3_lilS5_lilPT5_i.has_dyn_sized_stack, 0
	.set _ZL23rocblas_gemvt_sn_kernelILb0ELi256ELi4EiPKdS1_dEviiT4_lPKT3_lilS5_lilPT5_i.has_recursion, 0
	.set _ZL23rocblas_gemvt_sn_kernelILb0ELi256ELi4EiPKdS1_dEviiT4_lPKT3_lilS5_lilPT5_i.has_indirect_call, 0
	.section	.AMDGPU.csdata,"",@progbits
; Kernel info:
; codeLenInByte = 4000
; TotalNumSgprs: 48
; NumVgprs: 67
; ScratchSize: 0
; MemoryBound: 1
; FloatMode: 240
; IeeeMode: 1
; LDSByteSize: 256 bytes/workgroup (compile time only)
; SGPRBlocks: 0
; VGPRBlocks: 8
; NumSGPRsForWavesPerEU: 48
; NumVGPRsForWavesPerEU: 67
; Occupancy: 12
; WaveLimiterHint : 0
; COMPUTE_PGM_RSRC2:SCRATCH_EN: 0
; COMPUTE_PGM_RSRC2:USER_SGPR: 6
; COMPUTE_PGM_RSRC2:TRAP_HANDLER: 0
; COMPUTE_PGM_RSRC2:TGID_X_EN: 1
; COMPUTE_PGM_RSRC2:TGID_Y_EN: 0
; COMPUTE_PGM_RSRC2:TGID_Z_EN: 1
; COMPUTE_PGM_RSRC2:TIDIG_COMP_CNT: 0
	.section	.text._ZL23rocblas_gemvt_sn_kernelILb0ELi256ELi4ElPKdS1_dEviiT4_lPKT3_lilS5_lilPT5_i,"axG",@progbits,_ZL23rocblas_gemvt_sn_kernelILb0ELi256ELi4ElPKdS1_dEviiT4_lPKT3_lilS5_lilPT5_i,comdat
	.globl	_ZL23rocblas_gemvt_sn_kernelILb0ELi256ELi4ElPKdS1_dEviiT4_lPKT3_lilS5_lilPT5_i ; -- Begin function _ZL23rocblas_gemvt_sn_kernelILb0ELi256ELi4ElPKdS1_dEviiT4_lPKT3_lilS5_lilPT5_i
	.p2align	8
	.type	_ZL23rocblas_gemvt_sn_kernelILb0ELi256ELi4ElPKdS1_dEviiT4_lPKT3_lilS5_lilPT5_i,@function
_ZL23rocblas_gemvt_sn_kernelILb0ELi256ELi4ElPKdS1_dEviiT4_lPKT3_lilS5_lilPT5_i: ; @_ZL23rocblas_gemvt_sn_kernelILb0ELi256ELi4ElPKdS1_dEviiT4_lPKT3_lilS5_lilPT5_i
; %bb.0:
	s_load_dwordx8 s[8:15], s[4:5], 0x8
	s_mov_b32 s0, s7
	s_mov_b64 s[22:23], 0
	s_mov_b64 s[20:21], 0
	s_waitcnt lgkmcnt(0)
	s_mul_i32 s1, s11, s7
	s_mul_hi_u32 s2, s10, s7
	s_add_i32 s3, s2, s1
	s_mul_i32 s2, s10, s7
	s_mov_b32 s1, 0
	s_lshl_b64 s[2:3], s[2:3], 3
	s_add_u32 s2, s8, s2
	s_addc_u32 s3, s9, s3
	s_load_dwordx2 s[16:17], s[2:3], 0x0
	s_waitcnt lgkmcnt(0)
	v_cmp_eq_f64_e64 s2, s[16:17], 0
	v_cmp_neq_f64_e64 s3, s[16:17], 0
	s_and_b32 vcc_lo, exec_lo, s2
	s_cbranch_vccnz .LBB261_2
; %bb.1:
	s_lshl_b64 s[8:9], s[0:1], 3
	s_add_u32 s8, s12, s8
	s_addc_u32 s9, s13, s9
	s_lshl_b64 s[10:11], s[14:15], 3
	s_load_dwordx2 s[8:9], s[8:9], 0x0
	s_waitcnt lgkmcnt(0)
	s_add_u32 s20, s8, s10
	s_addc_u32 s21, s9, s11
.LBB261_2:
	s_andn2_b32 vcc_lo, exec_lo, s3
	s_cbranch_vccnz .LBB261_4
; %bb.3:
	s_load_dwordx4 s[8:11], s[4:5], 0x38
	s_lshl_b64 s[12:13], s[0:1], 3
	s_waitcnt lgkmcnt(0)
	s_add_u32 s8, s8, s12
	s_addc_u32 s9, s9, s13
	s_lshl_b64 s[10:11], s[10:11], 3
	s_load_dwordx2 s[8:9], s[8:9], 0x0
	s_waitcnt lgkmcnt(0)
	s_add_u32 s22, s8, s10
	s_addc_u32 s23, s9, s11
.LBB261_4:
	s_clause 0x2
	s_load_dwordx2 s[12:13], s[4:5], 0x0
	s_load_dword s14, s[4:5], 0x68
	s_load_dwordx2 s[10:11], s[4:5], 0x58
	s_mov_b32 s15, 0
	s_waitcnt lgkmcnt(0)
	s_ashr_i32 s8, s13, 31
	s_mul_hi_u32 s1, s13, s0
	s_mul_i32 s3, s8, s0
	s_mul_i32 s0, s13, s0
	s_add_i32 s1, s1, s3
	s_mul_hi_u32 s3, s0, s14
	s_mul_i32 s1, s1, s14
	s_mul_i32 s0, s0, s14
	s_add_i32 s1, s3, s1
	s_lshl_b64 s[0:1], s[0:1], 3
	s_add_u32 s33, s10, s0
	s_addc_u32 s38, s11, s1
	s_andn2_b32 vcc_lo, exec_lo, s2
	s_mov_b32 s0, -1
	s_cbranch_vccnz .LBB261_9
; %bb.5:
	v_cmp_eq_u32_e32 vcc_lo, 0, v0
	s_cmp_gt_i32 s13, 0
	s_cselect_b32 s0, -1, 0
	s_and_b32 s0, vcc_lo, s0
	s_and_saveexec_b32 s9, s0
	s_cbranch_execz .LBB261_8
; %bb.6:
	v_mov_b32_e32 v1, 0
	s_mov_b32 s7, 0
	s_lshl_b64 s[0:1], s[6:7], 3
	s_mov_b32 s7, s13
	v_mov_b32_e32 v2, v1
	s_add_u32 s0, s33, s0
	s_addc_u32 s1, s38, s1
	s_lshl_b64 s[2:3], s[14:15], 3
.LBB261_7:                              ; =>This Inner Loop Header: Depth=1
	s_add_i32 s7, s7, -1
	global_store_dwordx2 v1, v[1:2], s[0:1]
	s_add_u32 s0, s0, s2
	s_addc_u32 s1, s1, s3
	s_cmp_eq_u32 s7, 0
	s_cbranch_scc0 .LBB261_7
.LBB261_8:
	s_or_b32 exec_lo, exec_lo, s9
	s_mov_b32 s0, 0
.LBB261_9:
	s_andn2_b32 vcc_lo, exec_lo, s0
	s_cbranch_vccnz .LBB261_62
; %bb.10:
	s_lshl_b32 s0, s6, 10
	s_clause 0x1
	s_load_dword s18, s[4:5], 0x28
	s_load_dword s24, s[4:5], 0x48
	v_lshl_or_b32 v23, v0, 2, s0
	s_ashr_i32 s0, s12, 31
	s_lshr_b32 s1, s8, 30
	s_lshr_b32 s0, s0, 30
	s_add_i32 s1, s13, s1
	v_ashrrev_i32_e32 v24, 31, v23
	s_add_i32 s0, s12, s0
	s_and_b32 s39, s1, -4
	s_and_b32 s0, s0, -4
	v_add_nc_u32_e32 v44, 4, v23
	v_lshlrev_b64 v[21:22], 3, v[23:24]
	s_sub_i32 s15, s12, s0
	v_and_b32_e32 v41, 31, v0
	v_add_nc_u32_e32 v45, s15, v23
	v_cmp_gt_u32_e64 s0, 32, v0
	v_mbcnt_lo_u32_b32 v43, -1, 0
	v_add_co_u32 v19, vcc_lo, s20, v21
	v_add_co_ci_u32_e64 v20, null, s21, v22, vcc_lo
	v_cmp_gt_u32_e64 s1, 8, v0
	v_lshrrev_b32_e32 v42, 2, v0
	v_cmp_eq_u32_e64 s2, 0, v0
	v_or_b32_e32 v40, 1, v23
	v_or_b32_e32 v39, 2, v23
	;; [unrolled: 1-line block ×3, first 2 shown]
	s_waitcnt lgkmcnt(0)
	s_ashr_i32 s19, s18, 31
	s_ashr_i32 s25, s24, 31
	s_cmp_lt_i32 s39, 1
	s_cbranch_scc1 .LBB261_37
; %bb.11:
	v_cmp_gt_u32_e32 vcc_lo, 24, v43
	v_mad_i64_i32 v[5:6], null, s24, v39, 0
	v_mad_i64_i32 v[7:8], null, s24, v38, 0
	v_cndmask_b32_e64 v1, 0, 8, vcc_lo
	v_cmp_gt_u32_e32 vcc_lo, 28, v43
	v_mov_b32_e32 v9, 0
	s_cmp_gt_i32 s15, 0
	s_mov_b32 s7, 0
	v_add_lshl_u32 v47, v1, v43, 2
	v_cndmask_b32_e64 v2, 0, 4, vcc_lo
	v_cmp_gt_u32_e32 vcc_lo, 30, v43
	v_mov_b32_e32 v10, v9
	v_mov_b32_e32 v11, v9
	;; [unrolled: 1-line block ×3, first 2 shown]
	v_add_lshl_u32 v48, v2, v43, 2
	v_cndmask_b32_e64 v3, 0, 2, vcc_lo
	v_cmp_ne_u32_e32 vcc_lo, 31, v43
	v_mad_i64_i32 v[1:2], null, s24, v23, 0
	v_mov_b32_e32 v13, v9
	v_add_lshl_u32 v49, v3, v43, 2
	v_add_co_ci_u32_e64 v4, null, 0, v43, vcc_lo
	v_mov_b32_e32 v14, v9
	v_mov_b32_e32 v15, v9
	v_lshlrev_b64 v[1:2], 3, v[1:2]
	v_lshlrev_b32_e32 v50, 2, v4
	v_mad_i64_i32 v[3:4], null, s24, v40, 0
	v_mov_b32_e32 v16, v9
	v_mov_b32_e32 v33, v20
	v_add_co_u32 v24, vcc_lo, s22, v1
	v_add_co_ci_u32_e64 v25, null, s23, v2, vcc_lo
	v_lshlrev_b64 v[3:4], 3, v[3:4]
	v_lshlrev_b64 v[1:2], 3, v[5:6]
	v_cmp_ge_i32_e64 s3, s12, v44
	v_cmp_ge_i32_e64 s4, s12, v45
	s_cselect_b32 s40, -1, 0
	v_lshl_or_b32 v46, v43, 2, 64
	v_add_co_u32 v26, vcc_lo, s22, v3
	v_add_co_ci_u32_e64 v27, null, s23, v4, vcc_lo
	v_lshlrev_b64 v[3:4], 3, v[7:8]
	v_add_co_u32 v28, vcc_lo, s22, v1
	v_add_co_ci_u32_e64 v29, null, s23, v2, vcc_lo
	v_cmp_eq_u32_e64 s5, 0, v41
	v_add_co_u32 v30, vcc_lo, s22, v3
	v_add_co_ci_u32_e64 v31, null, s23, v4, vcc_lo
	v_mov_b32_e32 v1, v9
	v_lshlrev_b32_e32 v51, 3, v41
	s_lshl_b64 s[8:9], s[6:7], 3
	v_and_b32_e32 v52, 56, v42
	v_mov_b32_e32 v32, v19
	v_mov_b32_e32 v2, v10
	;; [unrolled: 1-line block ×8, first 2 shown]
	s_add_u32 s41, s33, s8
	s_addc_u32 s42, s38, s9
	s_lshl_b64 s[26:27], s[24:25], 3
	s_mul_hi_i32 s43, s18, 24
	s_mul_i32 s44, s18, 24
	s_lshl_b64 s[28:29], s[18:19], 5
	s_lshl_b64 s[30:31], s[18:19], 4
	;; [unrolled: 1-line block ×3, first 2 shown]
	s_branch .LBB261_13
.LBB261_12:                             ;   in Loop: Header=BB261_13 Depth=1
	s_or_b32 exec_lo, exec_lo, s8
	v_add_co_u32 v32, vcc_lo, v32, s28
	v_add_co_ci_u32_e64 v33, null, s29, v33, vcc_lo
	s_add_i32 s7, s7, 4
	s_cmp_ge_i32 s7, s39
	s_cbranch_scc1 .LBB261_38
.LBB261_13:                             ; =>This Loop Header: Depth=1
                                        ;     Child Loop BB261_19 Depth 2
                                        ;     Child Loop BB261_22 Depth 2
	;; [unrolled: 1-line block ×3, first 2 shown]
                                        ; implicit-def: $vgpr11_vgpr12_vgpr13_vgpr14_vgpr15_vgpr16_vgpr17_vgpr18
	s_and_saveexec_b32 s8, s3
	s_xor_b32 s8, exec_lo, s8
	s_cbranch_execz .LBB261_15
; %bb.14:                               ;   in Loop: Header=BB261_13 Depth=1
	s_mul_i32 s9, s7, s19
	s_mul_hi_u32 s10, s7, s18
	s_add_i32 s11, s10, s9
	s_mul_i32 s10, s7, s18
	s_or_b32 s9, s7, 1
	s_lshl_b64 s[10:11], s[10:11], 3
	s_mul_i32 s36, s9, s19
	s_mul_hi_u32 s37, s9, s18
	v_add_co_u32 v7, vcc_lo, v19, s10
	v_add_co_ci_u32_e64 v8, null, s11, v20, vcc_lo
	s_add_i32 s11, s37, s36
	s_mul_i32 s10, s9, s18
	s_or_b32 s9, s7, 2
	s_lshl_b64 s[10:11], s[10:11], 3
	s_mul_i32 s36, s9, s19
	s_mul_hi_u32 s37, s9, s18
	v_add_co_u32 v61, vcc_lo, v19, s10
	v_add_co_ci_u32_e64 v62, null, s11, v20, vcc_lo
	s_add_i32 s11, s37, s36
	s_or_b32 s36, s7, 3
	s_mul_i32 s10, s9, s18
	s_mul_i32 s9, s36, s19
	s_mul_hi_u32 s37, s36, s18
	s_lshl_b64 s[10:11], s[10:11], 3
	s_add_i32 s37, s37, s9
	s_mul_i32 s36, s36, s18
	v_add_co_u32 v65, vcc_lo, v19, s10
	v_add_co_ci_u32_e64 v66, null, s11, v20, vcc_lo
	s_lshl_b64 s[10:11], s[36:37], 3
	v_add_co_u32 v69, vcc_lo, v19, s10
	v_add_co_ci_u32_e64 v70, null, s11, v20, vcc_lo
	flat_load_dwordx2 v[1:2], v[24:25]
	s_clause 0x3
	flat_load_dwordx4 v[10:13], v[7:8]
	flat_load_dwordx4 v[14:17], v[61:62]
	;; [unrolled: 1-line block ×4, first 2 shown]
	s_clause 0x1
	flat_load_dwordx2 v[3:4], v[26:27]
	flat_load_dwordx2 v[5:6], v[28:29]
	s_clause 0x3
	flat_load_dwordx4 v[57:60], v[7:8] offset:16
	flat_load_dwordx4 v[61:64], v[61:62] offset:16
	;; [unrolled: 1-line block ×4, first 2 shown]
	flat_load_dwordx2 v[7:8], v[30:31]
	s_waitcnt vmcnt(10) lgkmcnt(10)
	v_fma_f64 v[10:11], v[1:2], v[10:11], 0
	s_waitcnt vmcnt(9) lgkmcnt(9)
	v_fma_f64 v[14:15], v[1:2], v[14:15], 0
	s_waitcnt vmcnt(8) lgkmcnt(8)
	v_fma_f64 v[34:35], v[1:2], v[34:35], 0
	s_waitcnt vmcnt(7) lgkmcnt(7)
	v_fma_f64 v[53:54], v[1:2], v[53:54], 0
	s_waitcnt vmcnt(6) lgkmcnt(6)
	v_fma_f64 v[10:11], v[3:4], v[12:13], v[10:11]
	v_fma_f64 v[12:13], v[3:4], v[16:17], v[14:15]
	v_fma_f64 v[14:15], v[3:4], v[36:37], v[34:35]
	;; [unrolled: 1-line block ×3, first 2 shown]
	s_waitcnt vmcnt(4) lgkmcnt(4)
	v_fma_f64 v[10:11], v[5:6], v[57:58], v[10:11]
	s_waitcnt vmcnt(3) lgkmcnt(3)
	v_fma_f64 v[34:35], v[5:6], v[61:62], v[12:13]
	;; [unrolled: 2-line block ×5, first 2 shown]
	v_fma_f64 v[13:14], v[7:8], v[63:64], v[34:35]
	v_fma_f64 v[15:16], v[7:8], v[67:68], v[36:37]
	;; [unrolled: 1-line block ×3, first 2 shown]
.LBB261_15:                             ;   in Loop: Header=BB261_13 Depth=1
	s_andn2_saveexec_b32 s45, s8
	s_cbranch_execz .LBB261_25
; %bb.16:                               ;   in Loop: Header=BB261_13 Depth=1
	v_mov_b32_e32 v16, v9
	v_mov_b32_e32 v10, v9
	v_mov_b32_e32 v11, v9
	v_mov_b32_e32 v12, v9
	v_mov_b32_e32 v13, v9
	v_mov_b32_e32 v14, v9
	v_mov_b32_e32 v15, v9
	v_mov_b32_e32 v18, v16
	v_mov_b32_e32 v17, v15
	v_mov_b32_e32 v16, v14
	v_mov_b32_e32 v15, v13
	v_mov_b32_e32 v14, v12
	v_mov_b32_e32 v13, v11
	v_mov_b32_e32 v12, v10
	v_mov_b32_e32 v11, v9
	s_and_saveexec_b32 s46, s4
	s_cbranch_execz .LBB261_24
; %bb.17:                               ;   in Loop: Header=BB261_13 Depth=1
	s_andn2_b32 vcc_lo, exec_lo, s40
	s_cbranch_vccnz .LBB261_20
; %bb.18:                               ;   in Loop: Header=BB261_13 Depth=1
	v_mov_b32_e32 v10, v24
	v_mov_b32_e32 v11, v25
	s_mov_b64 s[36:37], 0
	.p2align	6
.LBB261_19:                             ;   Parent Loop BB261_13 Depth=1
                                        ; =>  This Inner Loop Header: Depth=2
	flat_load_dwordx2 v[12:13], v[10:11]
	s_cmp_eq_u32 s36, 3
	v_add_co_u32 v10, vcc_lo, v10, s26
	v_add_co_ci_u32_e64 v11, null, s27, v11, vcc_lo
	s_cselect_b32 vcc_lo, -1, 0
	s_cmp_eq_u32 s36, 2
	s_cselect_b32 s8, -1, 0
	s_cmp_eq_u32 s36, 1
	s_cselect_b32 s9, -1, 0
	;; [unrolled: 2-line block ×3, first 2 shown]
	s_add_u32 s36, s36, 1
	s_addc_u32 s37, s37, 0
	s_cmp_eq_u32 s15, s36
	s_waitcnt vmcnt(0) lgkmcnt(0)
	v_cndmask_b32_e32 v8, v8, v13, vcc_lo
	v_cndmask_b32_e32 v7, v7, v12, vcc_lo
	v_cndmask_b32_e64 v6, v6, v13, s8
	v_cndmask_b32_e64 v5, v5, v12, s8
	;; [unrolled: 1-line block ×6, first 2 shown]
	s_cbranch_scc0 .LBB261_19
.LBB261_20:                             ;   in Loop: Header=BB261_13 Depth=1
	s_andn2_b32 vcc_lo, exec_lo, s40
	s_cbranch_vccnz .LBB261_23
; %bb.21:                               ;   in Loop: Header=BB261_13 Depth=1
	v_mov_b32_e32 v11, 0
	v_mov_b32_e32 v13, 0
	;; [unrolled: 1-line block ×10, first 2 shown]
	s_mov_b64 s[10:11], 0
.LBB261_22:                             ;   Parent Loop BB261_13 Depth=1
                                        ; =>  This Inner Loop Header: Depth=2
	v_add_co_u32 v36, vcc_lo, v34, s34
	v_add_co_ci_u32_e64 v37, null, s35, v35, vcc_lo
	v_add_co_u32 v53, vcc_lo, v34, s30
	v_add_co_ci_u32_e64 v54, null, s31, v35, vcc_lo
	;; [unrolled: 2-line block ×3, first 2 shown]
	s_clause 0x3
	flat_load_dwordx2 v[57:58], v[34:35]
	flat_load_dwordx2 v[36:37], v[36:37]
	;; [unrolled: 1-line block ×4, first 2 shown]
	s_cmp_eq_u32 s10, 1
	s_cselect_b32 vcc_lo, -1, 0
	s_cmp_eq_u32 s10, 2
	v_cndmask_b32_e32 v10, v2, v4, vcc_lo
	v_cndmask_b32_e32 v59, v1, v3, vcc_lo
	s_cselect_b32 vcc_lo, -1, 0
	s_cmp_eq_u32 s10, 3
	v_cndmask_b32_e32 v10, v10, v6, vcc_lo
	v_cndmask_b32_e32 v59, v59, v5, vcc_lo
	s_cselect_b32 s8, -1, 0
	v_add_co_u32 v34, vcc_lo, v34, 8
	v_cndmask_b32_e64 v60, v10, v8, s8
	v_cndmask_b32_e64 v59, v59, v7, s8
	v_add_co_ci_u32_e64 v35, null, 0, v35, vcc_lo
	s_add_u32 s10, s10, 1
	s_addc_u32 s11, s11, 0
	s_cmp_lg_u32 s15, s10
	s_waitcnt vmcnt(3) lgkmcnt(3)
	v_fma_f64 v[11:12], v[59:60], v[57:58], v[11:12]
	s_waitcnt vmcnt(2) lgkmcnt(2)
	v_fma_f64 v[13:14], v[59:60], v[36:37], v[13:14]
	;; [unrolled: 2-line block ×4, first 2 shown]
	s_cbranch_scc1 .LBB261_22
	s_branch .LBB261_24
.LBB261_23:                             ;   in Loop: Header=BB261_13 Depth=1
	v_mov_b32_e32 v16, v9
	v_mov_b32_e32 v10, v9
	;; [unrolled: 1-line block ×15, first 2 shown]
.LBB261_24:                             ;   in Loop: Header=BB261_13 Depth=1
	s_or_b32 exec_lo, exec_lo, s46
.LBB261_25:                             ;   in Loop: Header=BB261_13 Depth=1
	s_or_b32 exec_lo, exec_lo, s45
	s_mov_b64 s[8:9], 0
	s_branch .LBB261_27
.LBB261_26:                             ;   in Loop: Header=BB261_27 Depth=2
	s_or_b32 exec_lo, exec_lo, s10
	s_cmp_eq_u32 s8, 3
	s_cselect_b32 vcc_lo, -1, 0
	s_cmp_eq_u32 s8, 2
	s_waitcnt lgkmcnt(0)
	v_cndmask_b32_e32 v18, v18, v35, vcc_lo
	v_cndmask_b32_e32 v17, v17, v34, vcc_lo
	s_cselect_b32 vcc_lo, -1, 0
	s_cmp_eq_u32 s8, 1
	v_cndmask_b32_e32 v16, v16, v35, vcc_lo
	v_cndmask_b32_e32 v15, v15, v34, vcc_lo
	s_cselect_b32 vcc_lo, -1, 0
	s_cmp_eq_u32 s8, 0
	v_cndmask_b32_e32 v14, v14, v35, vcc_lo
	v_cndmask_b32_e32 v13, v13, v34, vcc_lo
	s_cselect_b32 vcc_lo, -1, 0
	s_add_u32 s8, s8, 1
	v_cndmask_b32_e32 v12, v12, v35, vcc_lo
	v_cndmask_b32_e32 v11, v11, v34, vcc_lo
	s_addc_u32 s9, s9, 0
	s_cmp_eq_u32 s8, 4
	s_cbranch_scc1 .LBB261_35
.LBB261_27:                             ;   Parent Loop BB261_13 Depth=1
                                        ; =>  This Inner Loop Header: Depth=2
	s_and_saveexec_b32 s10, s0
; %bb.28:                               ;   in Loop: Header=BB261_27 Depth=2
	v_mov_b32_e32 v10, v9
	ds_write_b64 v51, v[9:10]
; %bb.29:                               ;   in Loop: Header=BB261_27 Depth=2
	s_or_b32 exec_lo, exec_lo, s10
	s_cmp_eq_u32 s8, 1
	s_waitcnt lgkmcnt(0)
	s_waitcnt_vscnt null, 0x0
	s_cselect_b32 vcc_lo, -1, 0
	s_cmp_eq_u32 s8, 2
	v_cndmask_b32_e32 v10, v12, v14, vcc_lo
	v_cndmask_b32_e32 v34, v11, v13, vcc_lo
	s_cselect_b32 vcc_lo, -1, 0
	s_cmp_eq_u32 s8, 3
	s_barrier
	v_cndmask_b32_e32 v10, v10, v16, vcc_lo
	v_cndmask_b32_e32 v34, v34, v15, vcc_lo
	s_cselect_b32 vcc_lo, -1, 0
	buffer_gl0_inv
	v_cndmask_b32_e32 v35, v10, v18, vcc_lo
	v_cndmask_b32_e32 v34, v34, v17, vcc_lo
	ds_bpermute_b32 v37, v46, v35
	ds_bpermute_b32 v36, v46, v34
	s_waitcnt lgkmcnt(0)
	v_add_f64 v[34:35], v[34:35], v[36:37]
	ds_bpermute_b32 v36, v47, v34
	ds_bpermute_b32 v37, v47, v35
	s_waitcnt lgkmcnt(0)
	v_add_f64 v[34:35], v[34:35], v[36:37]
	;; [unrolled: 4-line block ×4, first 2 shown]
	ds_bpermute_b32 v36, v50, v34
	ds_bpermute_b32 v37, v50, v35
	s_and_saveexec_b32 s10, s5
	s_cbranch_execz .LBB261_31
; %bb.30:                               ;   in Loop: Header=BB261_27 Depth=2
	s_waitcnt lgkmcnt(0)
	v_add_f64 v[34:35], v[34:35], v[36:37]
	ds_write_b64 v52, v[34:35]
.LBB261_31:                             ;   in Loop: Header=BB261_27 Depth=2
	s_or_b32 exec_lo, exec_lo, s10
	v_mov_b32_e32 v34, 0
	v_mov_b32_e32 v35, 0
	s_waitcnt lgkmcnt(0)
	s_barrier
	buffer_gl0_inv
	s_and_saveexec_b32 s10, s1
; %bb.32:                               ;   in Loop: Header=BB261_27 Depth=2
	ds_read_b64 v[34:35], v51
; %bb.33:                               ;   in Loop: Header=BB261_27 Depth=2
	s_or_b32 exec_lo, exec_lo, s10
	s_and_saveexec_b32 s10, s0
	s_cbranch_execz .LBB261_26
; %bb.34:                               ;   in Loop: Header=BB261_27 Depth=2
	s_waitcnt lgkmcnt(0)
	ds_bpermute_b32 v36, v48, v34
	ds_bpermute_b32 v37, v48, v35
	s_waitcnt lgkmcnt(0)
	v_add_f64 v[34:35], v[34:35], v[36:37]
	ds_bpermute_b32 v36, v49, v34
	ds_bpermute_b32 v37, v49, v35
	s_waitcnt lgkmcnt(0)
	v_add_f64 v[34:35], v[34:35], v[36:37]
	;; [unrolled: 4-line block ×3, first 2 shown]
	s_branch .LBB261_26
.LBB261_35:                             ;   in Loop: Header=BB261_13 Depth=1
	s_and_saveexec_b32 s8, s2
	s_cbranch_execz .LBB261_12
; %bb.36:                               ;   in Loop: Header=BB261_13 Depth=1
	s_mul_hi_u32 s11, s7, s14
	s_mul_i32 s10, s7, s14
	v_mul_f64 v[10:11], s[16:17], v[11:12]
	s_lshl_b64 s[10:11], s[10:11], 3
	v_mul_f64 v[12:13], s[16:17], v[13:14]
	s_add_u32 s10, s41, s10
	s_addc_u32 s11, s42, s11
	s_or_b32 s9, s7, 1
	v_mul_f64 v[14:15], s[16:17], v[15:16]
	v_mul_f64 v[16:17], s[16:17], v[17:18]
	s_mul_hi_u32 s37, s9, s14
	s_mul_i32 s36, s9, s14
	s_lshl_b64 s[36:37], s[36:37], 3
	s_add_u32 s36, s41, s36
	s_addc_u32 s37, s42, s37
	s_or_b32 s9, s7, 2
	s_mul_hi_u32 s47, s9, s14
	s_mul_i32 s46, s9, s14
	s_lshl_b64 s[46:47], s[46:47], 3
	s_add_u32 s46, s41, s46
	s_addc_u32 s47, s42, s47
	s_or_b32 s9, s7, 3
	global_store_dwordx2 v9, v[10:11], s[10:11]
	s_mul_hi_u32 s49, s9, s14
	s_mul_i32 s48, s9, s14
	global_store_dwordx2 v9, v[12:13], s[36:37]
	s_lshl_b64 s[10:11], s[48:49], 3
	s_add_u32 s10, s41, s10
	s_addc_u32 s11, s42, s11
	global_store_dwordx2 v9, v[14:15], s[46:47]
	global_store_dwordx2 v9, v[16:17], s[10:11]
	s_branch .LBB261_12
.LBB261_37:
	v_mov_b32_e32 v1, 0
	s_mov_b32 s7, 0
	v_mov_b32_e32 v2, v1
	v_mov_b32_e32 v3, v1
	;; [unrolled: 1-line block ×7, first 2 shown]
.LBB261_38:
	s_cmp_ge_i32 s7, s13
	s_cbranch_scc1 .LBB261_62
; %bb.39:
	v_cmp_gt_u32_e32 vcc_lo, 24, v43
	v_mad_i64_i32 v[13:14], null, s24, v39, 0
	v_mad_i64_i32 v[15:16], null, s24, v38, 0
	v_cndmask_b32_e64 v9, 0, 8, vcc_lo
	v_cmp_gt_u32_e32 vcc_lo, 28, v43
	s_cmp_gt_i32 s15, 0
	s_mov_b32 s11, 0
	v_lshlrev_b64 v[13:14], 3, v[13:14]
	v_add_lshl_u32 v29, v9, v43, 2
	v_cndmask_b32_e64 v10, 0, 4, vcc_lo
	v_cmp_gt_u32_e32 vcc_lo, 30, v43
	s_mov_b32 s10, s6
	v_lshlrev_b64 v[15:16], 3, v[15:16]
	v_cmp_ge_i32_e64 s0, s12, v44
	v_add_lshl_u32 v30, v10, v43, 2
	v_cndmask_b32_e64 v11, 0, 2, vcc_lo
	v_cmp_ne_u32_e32 vcc_lo, 31, v43
	v_mad_i64_i32 v[9:10], null, s24, v23, 0
	v_cmp_ge_i32_e64 s1, s12, v45
	v_add_lshl_u32 v31, v11, v43, 2
	v_add_co_ci_u32_e64 v12, null, 0, v43, vcc_lo
	s_cselect_b32 s12, -1, 0
	s_lshl_b64 s[8:9], s[10:11], 3
	v_lshlrev_b64 v[9:10], 3, v[9:10]
	v_lshlrev_b32_e32 v32, 2, v12
	v_mad_i64_i32 v[11:12], null, s24, v40, 0
	s_add_u32 s10, s33, s8
	s_mul_i32 s6, s19, s7
	v_add_co_u32 v9, vcc_lo, s22, v9
	v_add_co_ci_u32_e64 v10, null, s23, v10, vcc_lo
	v_lshlrev_b64 v[11:12], 3, v[11:12]
	s_mul_hi_u32 s8, s18, s7
	s_addc_u32 s26, s38, s9
	s_add_i32 s9, s8, s6
	s_mul_i32 s8, s18, s7
	v_cmp_gt_u32_e64 s2, 32, v0
	v_add_co_u32 v11, vcc_lo, s22, v11
	v_add_co_ci_u32_e64 v12, null, s23, v12, vcc_lo
	v_add_co_u32 v13, vcc_lo, s22, v13
	v_add_co_ci_u32_e64 v14, null, s23, v14, vcc_lo
	v_add_co_u32 v15, vcc_lo, s22, v15
	s_lshl_b64 s[8:9], s[8:9], 3
	v_add_co_ci_u32_e64 v16, null, s23, v16, vcc_lo
	s_lshl_b64 s[22:23], s[24:25], 3
	s_add_u32 s6, s20, s8
	s_addc_u32 s8, s21, s9
	v_add_co_u32 v17, vcc_lo, s6, v21
	v_lshlrev_b32_e32 v27, 3, v41
	v_lshl_or_b32 v28, v43, 2, 64
	v_cmp_eq_u32_e64 s3, 0, v41
	v_and_b32_e32 v33, 56, v42
	v_cmp_gt_u32_e64 s4, 8, v0
	v_cmp_eq_u32_e64 s5, 0, v0
	v_add_co_ci_u32_e64 v18, null, s8, v22, vcc_lo
	v_mov_b32_e32 v21, 0
	s_lshl_b64 s[20:21], s[18:19], 3
	s_branch .LBB261_41
.LBB261_40:                             ;   in Loop: Header=BB261_41 Depth=1
	s_or_b32 exec_lo, exec_lo, s6
	v_add_co_u32 v17, vcc_lo, v17, s20
	v_add_co_ci_u32_e64 v18, null, s21, v18, vcc_lo
	s_add_i32 s7, s7, 1
	s_cmp_ge_i32 s7, s13
	s_cbranch_scc1 .LBB261_62
.LBB261_41:                             ; =>This Loop Header: Depth=1
                                        ;     Child Loop BB261_54 Depth 2
                                        ;     Child Loop BB261_57 Depth 2
	s_waitcnt lgkmcnt(0)
	v_mov_b32_e32 v23, s11
	v_mov_b32_e32 v24, s11
	s_and_saveexec_b32 s6, s0
	s_xor_b32 s6, exec_lo, s6
	s_cbranch_execnz .LBB261_50
; %bb.42:                               ;   in Loop: Header=BB261_41 Depth=1
	s_andn2_saveexec_b32 s27, s6
	s_cbranch_execnz .LBB261_51
.LBB261_43:                             ;   in Loop: Header=BB261_41 Depth=1
	s_or_b32 exec_lo, exec_lo, s27
	s_and_saveexec_b32 s6, s2
.LBB261_44:                             ;   in Loop: Header=BB261_41 Depth=1
	v_mov_b32_e32 v22, v21
	ds_write_b64 v27, v[21:22]
.LBB261_45:                             ;   in Loop: Header=BB261_41 Depth=1
	s_or_b32 exec_lo, exec_lo, s6
	ds_bpermute_b32 v25, v28, v23
	ds_bpermute_b32 v26, v28, v24
	s_waitcnt lgkmcnt(0)
	s_waitcnt_vscnt null, 0x0
	s_barrier
	buffer_gl0_inv
	v_add_f64 v[22:23], v[23:24], v[25:26]
	ds_bpermute_b32 v24, v29, v22
	ds_bpermute_b32 v25, v29, v23
	s_waitcnt lgkmcnt(0)
	v_add_f64 v[22:23], v[22:23], v[24:25]
	ds_bpermute_b32 v24, v30, v22
	ds_bpermute_b32 v25, v30, v23
	s_waitcnt lgkmcnt(0)
	;; [unrolled: 4-line block ×3, first 2 shown]
	v_add_f64 v[22:23], v[22:23], v[24:25]
	ds_bpermute_b32 v24, v32, v22
	ds_bpermute_b32 v25, v32, v23
	s_and_saveexec_b32 s6, s3
	s_cbranch_execz .LBB261_47
; %bb.46:                               ;   in Loop: Header=BB261_41 Depth=1
	s_waitcnt lgkmcnt(0)
	v_add_f64 v[22:23], v[22:23], v[24:25]
	ds_write_b64 v33, v[22:23]
.LBB261_47:                             ;   in Loop: Header=BB261_41 Depth=1
	s_or_b32 exec_lo, exec_lo, s6
	v_mov_b32_e32 v22, 0
	v_mov_b32_e32 v23, 0
	s_waitcnt lgkmcnt(0)
	s_barrier
	buffer_gl0_inv
	s_and_saveexec_b32 s6, s4
	s_cbranch_execnz .LBB261_59
; %bb.48:                               ;   in Loop: Header=BB261_41 Depth=1
	s_or_b32 exec_lo, exec_lo, s6
	s_and_saveexec_b32 s6, s2
	s_cbranch_execnz .LBB261_60
.LBB261_49:                             ;   in Loop: Header=BB261_41 Depth=1
	s_or_b32 exec_lo, exec_lo, s6
	s_and_saveexec_b32 s6, s5
	s_cbranch_execz .LBB261_40
	s_branch .LBB261_61
.LBB261_50:                             ;   in Loop: Header=BB261_41 Depth=1
	s_mul_i32 s9, s7, s19
	s_mul_hi_u32 s24, s7, s18
	s_mul_i32 s8, s7, s18
	s_add_i32 s9, s24, s9
	s_lshl_b64 s[8:9], s[8:9], 3
	v_add_co_u32 v5, vcc_lo, v19, s8
	v_add_co_ci_u32_e64 v6, null, s9, v20, vcc_lo
	flat_load_dwordx4 v[22:25], v[5:6]
	s_clause 0x1
	flat_load_dwordx2 v[1:2], v[9:10]
	flat_load_dwordx2 v[3:4], v[11:12]
	flat_load_dwordx4 v[34:37], v[5:6] offset:16
	s_clause 0x1
	flat_load_dwordx2 v[5:6], v[13:14]
	flat_load_dwordx2 v[7:8], v[15:16]
	s_waitcnt vmcnt(4) lgkmcnt(4)
	v_fma_f64 v[22:23], v[1:2], v[22:23], 0
	s_waitcnt vmcnt(3) lgkmcnt(3)
	v_fma_f64 v[22:23], v[3:4], v[24:25], v[22:23]
	;; [unrolled: 2-line block ×4, first 2 shown]
	s_andn2_saveexec_b32 s27, s6
	s_cbranch_execz .LBB261_43
.LBB261_51:                             ;   in Loop: Header=BB261_41 Depth=1
	s_and_saveexec_b32 s28, s1
	s_cbranch_execz .LBB261_58
; %bb.52:                               ;   in Loop: Header=BB261_41 Depth=1
	s_andn2_b32 vcc_lo, exec_lo, s12
	s_cbranch_vccnz .LBB261_55
; %bb.53:                               ;   in Loop: Header=BB261_41 Depth=1
	v_mov_b32_e32 v26, v10
	v_mov_b32_e32 v25, v9
	s_mov_b64 s[24:25], 0
	.p2align	6
.LBB261_54:                             ;   Parent Loop BB261_41 Depth=1
                                        ; =>  This Inner Loop Header: Depth=2
	flat_load_dwordx2 v[34:35], v[25:26]
	s_cmp_eq_u32 s24, 3
	v_add_co_u32 v25, vcc_lo, v25, s22
	v_add_co_ci_u32_e64 v26, null, s23, v26, vcc_lo
	s_cselect_b32 vcc_lo, -1, 0
	s_cmp_eq_u32 s24, 2
	s_cselect_b32 s6, -1, 0
	s_cmp_eq_u32 s24, 1
	s_cselect_b32 s8, -1, 0
	s_cmp_eq_u32 s24, 0
	s_cselect_b32 s9, -1, 0
	s_add_u32 s24, s24, 1
	s_addc_u32 s25, s25, 0
	s_cmp_eq_u32 s15, s24
	s_waitcnt vmcnt(0) lgkmcnt(0)
	v_cndmask_b32_e32 v8, v8, v35, vcc_lo
	v_cndmask_b32_e32 v7, v7, v34, vcc_lo
	v_cndmask_b32_e64 v6, v6, v35, s6
	v_cndmask_b32_e64 v5, v5, v34, s6
	v_cndmask_b32_e64 v4, v4, v35, s8
	v_cndmask_b32_e64 v3, v3, v34, s8
	v_cndmask_b32_e64 v2, v2, v35, s9
	v_cndmask_b32_e64 v1, v1, v34, s9
	s_cbranch_scc0 .LBB261_54
.LBB261_55:                             ;   in Loop: Header=BB261_41 Depth=1
	s_andn2_b32 vcc_lo, exec_lo, s12
	s_cbranch_vccnz .LBB261_58
; %bb.56:                               ;   in Loop: Header=BB261_41 Depth=1
	v_mov_b32_e32 v26, v18
	v_mov_b32_e32 v25, v17
	s_mov_b64 s[8:9], 0
	.p2align	6
.LBB261_57:                             ;   Parent Loop BB261_41 Depth=1
                                        ; =>  This Inner Loop Header: Depth=2
	flat_load_dwordx2 v[34:35], v[25:26]
	s_cmp_eq_u32 s8, 1
	s_cselect_b32 vcc_lo, -1, 0
	s_cmp_eq_u32 s8, 2
	v_cndmask_b32_e32 v0, v2, v4, vcc_lo
	v_cndmask_b32_e32 v22, v1, v3, vcc_lo
	s_cselect_b32 vcc_lo, -1, 0
	s_cmp_eq_u32 s8, 3
	v_cndmask_b32_e32 v0, v0, v6, vcc_lo
	v_cndmask_b32_e32 v22, v22, v5, vcc_lo
	s_cselect_b32 vcc_lo, -1, 0
	s_add_u32 s8, s8, 1
	s_addc_u32 s9, s9, 0
	v_cndmask_b32_e32 v37, v0, v8, vcc_lo
	v_cndmask_b32_e32 v36, v22, v7, vcc_lo
	v_add_co_u32 v25, vcc_lo, v25, 8
	v_add_co_ci_u32_e64 v26, null, 0, v26, vcc_lo
	s_cmp_lg_u32 s15, s8
	s_waitcnt vmcnt(0) lgkmcnt(0)
	v_fma_f64 v[23:24], v[36:37], v[34:35], v[23:24]
	s_cbranch_scc1 .LBB261_57
.LBB261_58:                             ;   in Loop: Header=BB261_41 Depth=1
	s_or_b32 exec_lo, exec_lo, s28
	s_or_b32 exec_lo, exec_lo, s27
	s_and_saveexec_b32 s6, s2
	s_cbranch_execnz .LBB261_44
	s_branch .LBB261_45
.LBB261_59:                             ;   in Loop: Header=BB261_41 Depth=1
	ds_read_b64 v[22:23], v27
	s_or_b32 exec_lo, exec_lo, s6
	s_and_saveexec_b32 s6, s2
	s_cbranch_execz .LBB261_49
.LBB261_60:                             ;   in Loop: Header=BB261_41 Depth=1
	s_waitcnt lgkmcnt(0)
	ds_bpermute_b32 v24, v30, v22
	ds_bpermute_b32 v25, v30, v23
	s_waitcnt lgkmcnt(0)
	v_add_f64 v[22:23], v[22:23], v[24:25]
	ds_bpermute_b32 v24, v31, v22
	ds_bpermute_b32 v25, v31, v23
	s_waitcnt lgkmcnt(0)
	v_add_f64 v[22:23], v[22:23], v[24:25]
	;; [unrolled: 4-line block ×3, first 2 shown]
	s_or_b32 exec_lo, exec_lo, s6
	s_and_saveexec_b32 s6, s5
	s_cbranch_execz .LBB261_40
.LBB261_61:                             ;   in Loop: Header=BB261_41 Depth=1
	s_waitcnt lgkmcnt(0)
	v_mul_f64 v[22:23], s[16:17], v[22:23]
	s_mul_hi_u32 s9, s7, s14
	s_mul_i32 s8, s7, s14
	s_lshl_b64 s[8:9], s[8:9], 3
	s_add_u32 s8, s10, s8
	s_addc_u32 s9, s26, s9
	global_store_dwordx2 v21, v[22:23], s[8:9]
	s_branch .LBB261_40
.LBB261_62:
	s_endpgm
	.section	.rodata,"a",@progbits
	.p2align	6, 0x0
	.amdhsa_kernel _ZL23rocblas_gemvt_sn_kernelILb0ELi256ELi4ElPKdS1_dEviiT4_lPKT3_lilS5_lilPT5_i
		.amdhsa_group_segment_fixed_size 256
		.amdhsa_private_segment_fixed_size 0
		.amdhsa_kernarg_size 360
		.amdhsa_user_sgpr_count 6
		.amdhsa_user_sgpr_private_segment_buffer 1
		.amdhsa_user_sgpr_dispatch_ptr 0
		.amdhsa_user_sgpr_queue_ptr 0
		.amdhsa_user_sgpr_kernarg_segment_ptr 1
		.amdhsa_user_sgpr_dispatch_id 0
		.amdhsa_user_sgpr_flat_scratch_init 0
		.amdhsa_user_sgpr_private_segment_size 0
		.amdhsa_wavefront_size32 1
		.amdhsa_uses_dynamic_stack 0
		.amdhsa_system_sgpr_private_segment_wavefront_offset 0
		.amdhsa_system_sgpr_workgroup_id_x 1
		.amdhsa_system_sgpr_workgroup_id_y 0
		.amdhsa_system_sgpr_workgroup_id_z 1
		.amdhsa_system_sgpr_workgroup_info 0
		.amdhsa_system_vgpr_workitem_id 0
		.amdhsa_next_free_vgpr 73
		.amdhsa_next_free_sgpr 50
		.amdhsa_reserve_vcc 1
		.amdhsa_reserve_flat_scratch 1
		.amdhsa_float_round_mode_32 0
		.amdhsa_float_round_mode_16_64 0
		.amdhsa_float_denorm_mode_32 3
		.amdhsa_float_denorm_mode_16_64 3
		.amdhsa_dx10_clamp 1
		.amdhsa_ieee_mode 1
		.amdhsa_fp16_overflow 0
		.amdhsa_workgroup_processor_mode 1
		.amdhsa_memory_ordered 1
		.amdhsa_forward_progress 1
		.amdhsa_shared_vgpr_count 0
		.amdhsa_exception_fp_ieee_invalid_op 0
		.amdhsa_exception_fp_denorm_src 0
		.amdhsa_exception_fp_ieee_div_zero 0
		.amdhsa_exception_fp_ieee_overflow 0
		.amdhsa_exception_fp_ieee_underflow 0
		.amdhsa_exception_fp_ieee_inexact 0
		.amdhsa_exception_int_div_zero 0
	.end_amdhsa_kernel
	.section	.text._ZL23rocblas_gemvt_sn_kernelILb0ELi256ELi4ElPKdS1_dEviiT4_lPKT3_lilS5_lilPT5_i,"axG",@progbits,_ZL23rocblas_gemvt_sn_kernelILb0ELi256ELi4ElPKdS1_dEviiT4_lPKT3_lilS5_lilPT5_i,comdat
.Lfunc_end261:
	.size	_ZL23rocblas_gemvt_sn_kernelILb0ELi256ELi4ElPKdS1_dEviiT4_lPKT3_lilS5_lilPT5_i, .Lfunc_end261-_ZL23rocblas_gemvt_sn_kernelILb0ELi256ELi4ElPKdS1_dEviiT4_lPKT3_lilS5_lilPT5_i
                                        ; -- End function
	.set _ZL23rocblas_gemvt_sn_kernelILb0ELi256ELi4ElPKdS1_dEviiT4_lPKT3_lilS5_lilPT5_i.num_vgpr, 73
	.set _ZL23rocblas_gemvt_sn_kernelILb0ELi256ELi4ElPKdS1_dEviiT4_lPKT3_lilS5_lilPT5_i.num_agpr, 0
	.set _ZL23rocblas_gemvt_sn_kernelILb0ELi256ELi4ElPKdS1_dEviiT4_lPKT3_lilS5_lilPT5_i.numbered_sgpr, 50
	.set _ZL23rocblas_gemvt_sn_kernelILb0ELi256ELi4ElPKdS1_dEviiT4_lPKT3_lilS5_lilPT5_i.num_named_barrier, 0
	.set _ZL23rocblas_gemvt_sn_kernelILb0ELi256ELi4ElPKdS1_dEviiT4_lPKT3_lilS5_lilPT5_i.private_seg_size, 0
	.set _ZL23rocblas_gemvt_sn_kernelILb0ELi256ELi4ElPKdS1_dEviiT4_lPKT3_lilS5_lilPT5_i.uses_vcc, 1
	.set _ZL23rocblas_gemvt_sn_kernelILb0ELi256ELi4ElPKdS1_dEviiT4_lPKT3_lilS5_lilPT5_i.uses_flat_scratch, 1
	.set _ZL23rocblas_gemvt_sn_kernelILb0ELi256ELi4ElPKdS1_dEviiT4_lPKT3_lilS5_lilPT5_i.has_dyn_sized_stack, 0
	.set _ZL23rocblas_gemvt_sn_kernelILb0ELi256ELi4ElPKdS1_dEviiT4_lPKT3_lilS5_lilPT5_i.has_recursion, 0
	.set _ZL23rocblas_gemvt_sn_kernelILb0ELi256ELi4ElPKdS1_dEviiT4_lPKT3_lilS5_lilPT5_i.has_indirect_call, 0
	.section	.AMDGPU.csdata,"",@progbits
; Kernel info:
; codeLenInByte = 4064
; TotalNumSgprs: 52
; NumVgprs: 73
; ScratchSize: 0
; MemoryBound: 1
; FloatMode: 240
; IeeeMode: 1
; LDSByteSize: 256 bytes/workgroup (compile time only)
; SGPRBlocks: 0
; VGPRBlocks: 9
; NumSGPRsForWavesPerEU: 52
; NumVGPRsForWavesPerEU: 73
; Occupancy: 12
; WaveLimiterHint : 0
; COMPUTE_PGM_RSRC2:SCRATCH_EN: 0
; COMPUTE_PGM_RSRC2:USER_SGPR: 6
; COMPUTE_PGM_RSRC2:TRAP_HANDLER: 0
; COMPUTE_PGM_RSRC2:TGID_X_EN: 1
; COMPUTE_PGM_RSRC2:TGID_Y_EN: 0
; COMPUTE_PGM_RSRC2:TGID_Z_EN: 1
; COMPUTE_PGM_RSRC2:TIDIG_COMP_CNT: 0
	.section	.text._ZL23rocblas_gemvt_sn_reduceILi256ELi8EdPKdKPdEviT2_lPT3_lilPT1_i,"axG",@progbits,_ZL23rocblas_gemvt_sn_reduceILi256ELi8EdPKdKPdEviT2_lPT3_lilPT1_i,comdat
	.globl	_ZL23rocblas_gemvt_sn_reduceILi256ELi8EdPKdKPdEviT2_lPT3_lilPT1_i ; -- Begin function _ZL23rocblas_gemvt_sn_reduceILi256ELi8EdPKdKPdEviT2_lPT3_lilPT1_i
	.p2align	8
	.type	_ZL23rocblas_gemvt_sn_reduceILi256ELi8EdPKdKPdEviT2_lPT3_lilPT1_i,@function
_ZL23rocblas_gemvt_sn_reduceILi256ELi8EdPKdKPdEviT2_lPT3_lilPT1_i: ; @_ZL23rocblas_gemvt_sn_reduceILi256ELi8EdPKdKPdEviT2_lPT3_lilPT1_i
; %bb.0:
	s_clause 0x1
	s_load_dword s6, s[4:5], 0x0
	s_load_dwordx8 s[12:19], s[4:5], 0x8
	s_mov_b32 s9, 0
	s_load_dword s20, s[4:5], 0x4c
	s_lshl_b64 s[0:1], s[8:9], 3
	v_mov_b32_e32 v1, 0
	v_lshlrev_b32_e32 v5, 3, v0
	v_mov_b32_e32 v2, 0
	s_waitcnt lgkmcnt(0)
	s_ashr_i32 s21, s6, 31
	s_mul_i32 s2, s15, s8
	s_mul_hi_u32 s3, s14, s8
	s_add_u32 s0, s16, s0
	s_addc_u32 s1, s17, s1
	s_add_i32 s3, s3, s2
	s_mul_i32 s2, s14, s8
	s_load_dwordx2 s[14:15], s[4:5], 0x38
	s_lshl_b64 s[2:3], s[2:3], 3
	s_mul_i32 s8, s20, s8
	s_add_u32 s2, s12, s2
	s_addc_u32 s3, s13, s3
	s_load_dwordx2 s[10:11], s[0:1], 0x0
	s_load_dwordx2 s[2:3], s[2:3], 0x0
	s_add_u32 s0, s4, 0x48
	s_addc_u32 s1, s5, 0
	s_add_i32 s12, s8, s7
	s_lshr_b32 s8, s21, 29
	s_mul_i32 s13, s12, s21
	s_add_i32 s8, s6, s8
	s_mul_hi_u32 s16, s12, s6
	s_and_b32 s8, s8, -8
	s_add_i32 s13, s16, s13
	s_mul_i32 s12, s12, s6
	s_mov_b32 s16, exec_lo
	v_cmpx_gt_i32_e64 s8, v5
	s_cbranch_execz .LBB262_4
; %bb.1:
	s_load_dword s0, s[0:1], 0xc
	v_lshlrev_b32_e32 v1, 6, v0
	s_lshl_b64 s[20:21], s[12:13], 3
	s_waitcnt lgkmcnt(0)
	s_and_b32 s0, s0, 0xffff
	s_lshl_b32 s1, s0, 3
	s_add_u32 s17, s14, s20
	s_addc_u32 s20, s15, s21
	v_add_co_u32 v3, s17, s17, v1
	v_add_co_ci_u32_e64 v4, null, s20, 0, s17
	v_mov_b32_e32 v1, 0
	v_add_co_u32 v3, vcc_lo, v3, 56
	v_mov_b32_e32 v2, 0
	v_add_co_ci_u32_e64 v4, null, 0, v4, vcc_lo
	s_lshl_b32 s17, s0, 6
	s_inst_prefetch 0x1
	.p2align	6
.LBB262_2:                              ; =>This Inner Loop Header: Depth=1
	s_clause 0x3
	global_load_dwordx4 v[6:9], v[3:4], off offset:-56
	global_load_dwordx4 v[10:13], v[3:4], off offset:-40
	;; [unrolled: 1-line block ×4, first 2 shown]
	v_add_nc_u32_e32 v5, s1, v5
	v_add_co_u32 v3, s0, v3, s17
	v_add_co_ci_u32_e64 v4, null, 0, v4, s0
	v_cmp_le_i32_e32 vcc_lo, s8, v5
	s_or_b32 s9, vcc_lo, s9
	s_waitcnt vmcnt(3)
	v_add_f64 v[1:2], v[1:2], v[6:7]
	v_add_f64 v[1:2], v[1:2], v[8:9]
	s_waitcnt vmcnt(2)
	v_add_f64 v[1:2], v[1:2], v[10:11]
	v_add_f64 v[1:2], v[1:2], v[12:13]
	;; [unrolled: 3-line block ×4, first 2 shown]
	s_andn2_b32 exec_lo, exec_lo, s9
	s_cbranch_execnz .LBB262_2
; %bb.3:
	s_inst_prefetch 0x2
	s_or_b32 exec_lo, exec_lo, s9
.LBB262_4:
	s_or_b32 exec_lo, exec_lo, s16
	s_sub_i32 s0, s6, s8
	v_cmp_gt_u32_e32 vcc_lo, s0, v0
	s_and_saveexec_b32 s0, vcc_lo
	s_cbranch_execz .LBB262_6
; %bb.5:
	v_xad_u32 v3, v0, -1, s6
	v_mov_b32_e32 v4, 0
	s_lshl_b64 s[8:9], s[12:13], 3
	s_waitcnt lgkmcnt(0)
	s_add_u32 s1, s14, s8
	s_addc_u32 s6, s15, s9
	v_lshlrev_b64 v[3:4], 3, v[3:4]
	v_add_co_u32 v3, vcc_lo, s1, v3
	v_add_co_ci_u32_e64 v4, null, s6, v4, vcc_lo
	global_load_dwordx2 v[3:4], v[3:4], off
	s_waitcnt vmcnt(0)
	v_add_f64 v[1:2], v[1:2], v[3:4]
.LBB262_6:
	s_or_b32 exec_lo, exec_lo, s0
	v_and_b32_e32 v9, 31, v0
	v_cmp_gt_u32_e32 vcc_lo, 32, v0
	v_lshlrev_b32_e32 v5, 3, v9
	s_and_saveexec_b32 s0, vcc_lo
; %bb.7:
	v_mov_b32_e32 v3, 0
	v_mov_b32_e32 v4, v3
	ds_write_b64 v5, v[3:4]
; %bb.8:
	s_or_b32 exec_lo, exec_lo, s0
	v_mbcnt_lo_u32_b32 v8, -1, 0
	s_mov_b32 s1, exec_lo
	s_waitcnt lgkmcnt(0)
	s_barrier
	buffer_gl0_inv
	v_lshl_or_b32 v4, v8, 2, 64
	v_cmp_gt_u32_e64 s0, 24, v8
	ds_bpermute_b32 v3, v4, v1
	ds_bpermute_b32 v4, v4, v2
	s_waitcnt lgkmcnt(0)
	v_add_f64 v[1:2], v[1:2], v[3:4]
	v_cndmask_b32_e64 v3, 0, 8, s0
	v_cmp_gt_u32_e64 s0, 28, v8
	v_add_lshl_u32 v4, v3, v8, 2
	ds_bpermute_b32 v3, v4, v1
	ds_bpermute_b32 v4, v4, v2
	s_waitcnt lgkmcnt(0)
	v_add_f64 v[1:2], v[1:2], v[3:4]
	v_cndmask_b32_e64 v3, 0, 4, s0
	v_cmp_gt_u32_e64 s0, 30, v8
	v_add_lshl_u32 v6, v3, v8, 2
	ds_bpermute_b32 v3, v6, v1
	ds_bpermute_b32 v4, v6, v2
	s_waitcnt lgkmcnt(0)
	v_add_f64 v[1:2], v[1:2], v[3:4]
	v_cndmask_b32_e64 v3, 0, 2, s0
	v_cmp_ne_u32_e64 s0, 31, v8
	v_add_lshl_u32 v7, v3, v8, 2
	ds_bpermute_b32 v3, v7, v1
	ds_bpermute_b32 v4, v7, v2
	s_waitcnt lgkmcnt(0)
	v_add_f64 v[1:2], v[1:2], v[3:4]
	v_add_co_ci_u32_e64 v3, null, 0, v8, s0
	v_lshlrev_b32_e32 v8, 2, v3
	ds_bpermute_b32 v3, v8, v1
	ds_bpermute_b32 v4, v8, v2
	v_cmpx_eq_u32_e32 0, v9
	s_cbranch_execz .LBB262_10
; %bb.9:
	s_waitcnt lgkmcnt(0)
	v_add_f64 v[1:2], v[1:2], v[3:4]
	v_lshrrev_b32_e32 v3, 2, v0
	v_and_b32_e32 v3, 56, v3
	ds_write_b64 v3, v[1:2]
.LBB262_10:
	s_or_b32 exec_lo, exec_lo, s1
	v_mov_b32_e32 v1, 0
	v_mov_b32_e32 v2, 0
	s_mov_b32 s1, exec_lo
	s_waitcnt lgkmcnt(0)
	s_barrier
	buffer_gl0_inv
	v_cmpx_gt_u32_e32 8, v0
; %bb.11:
	ds_read_b64 v[1:2], v5
; %bb.12:
	s_or_b32 exec_lo, exec_lo, s1
	s_and_saveexec_b32 s0, vcc_lo
	s_cbranch_execz .LBB262_14
; %bb.13:
	s_waitcnt lgkmcnt(0)
	ds_bpermute_b32 v3, v6, v1
	ds_bpermute_b32 v4, v6, v2
	s_waitcnt lgkmcnt(0)
	v_add_f64 v[1:2], v[1:2], v[3:4]
	ds_bpermute_b32 v3, v7, v1
	ds_bpermute_b32 v4, v7, v2
	s_waitcnt lgkmcnt(0)
	v_add_f64 v[1:2], v[1:2], v[3:4]
	ds_bpermute_b32 v3, v8, v1
	ds_bpermute_b32 v4, v8, v2
	s_waitcnt lgkmcnt(0)
	v_add_f64 v[1:2], v[1:2], v[3:4]
.LBB262_14:
	s_or_b32 exec_lo, exec_lo, s0
	s_mov_b32 s0, exec_lo
	v_cmpx_eq_u32_e32 0, v0
	s_cbranch_execz .LBB262_18
; %bb.15:
	s_load_dword s0, s[4:5], 0x28
	v_cmp_eq_f64_e64 s1, s[2:3], 0
	s_lshl_b64 s[4:5], s[18:19], 3
	s_waitcnt lgkmcnt(0)
	s_ashr_i32 s6, s0, 31
	s_mul_hi_u32 s8, s0, s7
	s_mul_i32 s6, s6, s7
	s_add_u32 s4, s10, s4
	s_mul_i32 s0, s0, s7
	s_addc_u32 s5, s11, s5
	s_and_b32 vcc_lo, exec_lo, s1
	s_add_i32 s1, s8, s6
	s_cbranch_vccnz .LBB262_17
; %bb.16:
	s_lshl_b64 s[6:7], s[0:1], 3
	s_add_u32 s6, s4, s6
	s_addc_u32 s7, s5, s7
	v_mov_b32_e32 v3, s6
	v_mov_b32_e32 v4, s7
	flat_load_dwordx2 v[3:4], v[3:4]
	s_waitcnt vmcnt(0) lgkmcnt(0)
	v_fma_f64 v[1:2], s[2:3], v[3:4], v[1:2]
.LBB262_17:
	s_lshl_b64 s[0:1], s[0:1], 3
	s_add_u32 s0, s4, s0
	s_addc_u32 s1, s5, s1
	v_mov_b32_e32 v4, s1
	v_mov_b32_e32 v3, s0
	flat_store_dwordx2 v[3:4], v[1:2]
.LBB262_18:
	s_endpgm
	.section	.rodata,"a",@progbits
	.p2align	6, 0x0
	.amdhsa_kernel _ZL23rocblas_gemvt_sn_reduceILi256ELi8EdPKdKPdEviT2_lPT3_lilPT1_i
		.amdhsa_group_segment_fixed_size 256
		.amdhsa_private_segment_fixed_size 0
		.amdhsa_kernarg_size 328
		.amdhsa_user_sgpr_count 6
		.amdhsa_user_sgpr_private_segment_buffer 1
		.amdhsa_user_sgpr_dispatch_ptr 0
		.amdhsa_user_sgpr_queue_ptr 0
		.amdhsa_user_sgpr_kernarg_segment_ptr 1
		.amdhsa_user_sgpr_dispatch_id 0
		.amdhsa_user_sgpr_flat_scratch_init 0
		.amdhsa_user_sgpr_private_segment_size 0
		.amdhsa_wavefront_size32 1
		.amdhsa_uses_dynamic_stack 0
		.amdhsa_system_sgpr_private_segment_wavefront_offset 0
		.amdhsa_system_sgpr_workgroup_id_x 1
		.amdhsa_system_sgpr_workgroup_id_y 1
		.amdhsa_system_sgpr_workgroup_id_z 1
		.amdhsa_system_sgpr_workgroup_info 0
		.amdhsa_system_vgpr_workitem_id 0
		.amdhsa_next_free_vgpr 22
		.amdhsa_next_free_sgpr 22
		.amdhsa_reserve_vcc 1
		.amdhsa_reserve_flat_scratch 0
		.amdhsa_float_round_mode_32 0
		.amdhsa_float_round_mode_16_64 0
		.amdhsa_float_denorm_mode_32 3
		.amdhsa_float_denorm_mode_16_64 3
		.amdhsa_dx10_clamp 1
		.amdhsa_ieee_mode 1
		.amdhsa_fp16_overflow 0
		.amdhsa_workgroup_processor_mode 1
		.amdhsa_memory_ordered 1
		.amdhsa_forward_progress 1
		.amdhsa_shared_vgpr_count 0
		.amdhsa_exception_fp_ieee_invalid_op 0
		.amdhsa_exception_fp_denorm_src 0
		.amdhsa_exception_fp_ieee_div_zero 0
		.amdhsa_exception_fp_ieee_overflow 0
		.amdhsa_exception_fp_ieee_underflow 0
		.amdhsa_exception_fp_ieee_inexact 0
		.amdhsa_exception_int_div_zero 0
	.end_amdhsa_kernel
	.section	.text._ZL23rocblas_gemvt_sn_reduceILi256ELi8EdPKdKPdEviT2_lPT3_lilPT1_i,"axG",@progbits,_ZL23rocblas_gemvt_sn_reduceILi256ELi8EdPKdKPdEviT2_lPT3_lilPT1_i,comdat
.Lfunc_end262:
	.size	_ZL23rocblas_gemvt_sn_reduceILi256ELi8EdPKdKPdEviT2_lPT3_lilPT1_i, .Lfunc_end262-_ZL23rocblas_gemvt_sn_reduceILi256ELi8EdPKdKPdEviT2_lPT3_lilPT1_i
                                        ; -- End function
	.set _ZL23rocblas_gemvt_sn_reduceILi256ELi8EdPKdKPdEviT2_lPT3_lilPT1_i.num_vgpr, 22
	.set _ZL23rocblas_gemvt_sn_reduceILi256ELi8EdPKdKPdEviT2_lPT3_lilPT1_i.num_agpr, 0
	.set _ZL23rocblas_gemvt_sn_reduceILi256ELi8EdPKdKPdEviT2_lPT3_lilPT1_i.numbered_sgpr, 22
	.set _ZL23rocblas_gemvt_sn_reduceILi256ELi8EdPKdKPdEviT2_lPT3_lilPT1_i.num_named_barrier, 0
	.set _ZL23rocblas_gemvt_sn_reduceILi256ELi8EdPKdKPdEviT2_lPT3_lilPT1_i.private_seg_size, 0
	.set _ZL23rocblas_gemvt_sn_reduceILi256ELi8EdPKdKPdEviT2_lPT3_lilPT1_i.uses_vcc, 1
	.set _ZL23rocblas_gemvt_sn_reduceILi256ELi8EdPKdKPdEviT2_lPT3_lilPT1_i.uses_flat_scratch, 0
	.set _ZL23rocblas_gemvt_sn_reduceILi256ELi8EdPKdKPdEviT2_lPT3_lilPT1_i.has_dyn_sized_stack, 0
	.set _ZL23rocblas_gemvt_sn_reduceILi256ELi8EdPKdKPdEviT2_lPT3_lilPT1_i.has_recursion, 0
	.set _ZL23rocblas_gemvt_sn_reduceILi256ELi8EdPKdKPdEviT2_lPT3_lilPT1_i.has_indirect_call, 0
	.section	.AMDGPU.csdata,"",@progbits
; Kernel info:
; codeLenInByte = 1196
; TotalNumSgprs: 24
; NumVgprs: 22
; ScratchSize: 0
; MemoryBound: 1
; FloatMode: 240
; IeeeMode: 1
; LDSByteSize: 256 bytes/workgroup (compile time only)
; SGPRBlocks: 0
; VGPRBlocks: 2
; NumSGPRsForWavesPerEU: 24
; NumVGPRsForWavesPerEU: 22
; Occupancy: 16
; WaveLimiterHint : 1
; COMPUTE_PGM_RSRC2:SCRATCH_EN: 0
; COMPUTE_PGM_RSRC2:USER_SGPR: 6
; COMPUTE_PGM_RSRC2:TRAP_HANDLER: 0
; COMPUTE_PGM_RSRC2:TGID_X_EN: 1
; COMPUTE_PGM_RSRC2:TGID_Y_EN: 1
; COMPUTE_PGM_RSRC2:TGID_Z_EN: 1
; COMPUTE_PGM_RSRC2:TIDIG_COMP_CNT: 0
	.section	.text._ZL23rocblas_gemvt_sn_kernelILb0ELi256ELi4EiPKdddEviiT4_lPKT3_lilS5_lilPT5_i,"axG",@progbits,_ZL23rocblas_gemvt_sn_kernelILb0ELi256ELi4EiPKdddEviiT4_lPKT3_lilS5_lilPT5_i,comdat
	.globl	_ZL23rocblas_gemvt_sn_kernelILb0ELi256ELi4EiPKdddEviiT4_lPKT3_lilS5_lilPT5_i ; -- Begin function _ZL23rocblas_gemvt_sn_kernelILb0ELi256ELi4EiPKdddEviiT4_lPKT3_lilS5_lilPT5_i
	.p2align	8
	.type	_ZL23rocblas_gemvt_sn_kernelILb0ELi256ELi4EiPKdddEviiT4_lPKT3_lilS5_lilPT5_i,@function
_ZL23rocblas_gemvt_sn_kernelILb0ELi256ELi4EiPKdddEviiT4_lPKT3_lilS5_lilPT5_i: ; @_ZL23rocblas_gemvt_sn_kernelILb0ELi256ELi4EiPKdddEviiT4_lPKT3_lilS5_lilPT5_i
; %bb.0:
	s_load_dwordx2 s[10:11], s[4:5], 0x8
	s_mov_b32 s2, s7
	s_mov_b64 s[0:1], 0
	s_mov_b32 s3, 0
	s_waitcnt lgkmcnt(0)
	v_cmp_neq_f64_e64 s8, s[10:11], 0
	v_cmp_eq_f64_e64 s7, s[10:11], 0
	s_and_b32 vcc_lo, exec_lo, s8
	s_cbranch_vccnz .LBB263_2
; %bb.1:
	s_mov_b32 s9, s3
	s_andn2_b32 vcc_lo, exec_lo, s9
	s_cbranch_vccz .LBB263_3
	s_branch .LBB263_4
.LBB263_2:
.LBB263_3:
	s_load_dwordx4 s[12:15], s[4:5], 0x18
	s_lshl_b64 s[0:1], s[2:3], 3
	s_waitcnt lgkmcnt(0)
	s_add_u32 s0, s12, s0
	s_addc_u32 s1, s13, s1
	s_lshl_b64 s[12:13], s[14:15], 3
	s_load_dwordx2 s[0:1], s[0:1], 0x0
	s_waitcnt lgkmcnt(0)
	s_add_u32 s0, s0, s12
	s_addc_u32 s1, s1, s13
.LBB263_4:
	s_andn2_b32 vcc_lo, exec_lo, s8
	s_cbranch_vccnz .LBB263_6
; %bb.5:
	s_load_dwordx4 s[12:15], s[4:5], 0x38
	s_lshl_b64 s[8:9], s[2:3], 3
	s_waitcnt lgkmcnt(0)
	s_add_u32 s8, s12, s8
	s_addc_u32 s9, s13, s9
	s_lshl_b64 s[12:13], s[14:15], 3
	s_load_dwordx2 s[8:9], s[8:9], 0x0
	s_waitcnt lgkmcnt(0)
	s_add_u32 s12, s8, s12
	s_addc_u32 s13, s9, s13
	s_branch .LBB263_7
.LBB263_6:
	s_mov_b64 s[12:13], 0
.LBB263_7:
	s_clause 0x2
	s_load_dwordx2 s[14:15], s[4:5], 0x0
	s_load_dword s16, s[4:5], 0x68
	s_load_dwordx2 s[8:9], s[4:5], 0x58
	s_waitcnt lgkmcnt(0)
	s_ashr_i32 s19, s15, 31
	s_mul_hi_u32 s3, s2, s15
	s_mul_i32 s17, s2, s19
	s_mul_i32 s2, s2, s15
	s_add_i32 s3, s3, s17
	s_mul_hi_u32 s17, s2, s16
	s_mul_i32 s3, s3, s16
	s_mul_i32 s2, s2, s16
	s_add_i32 s3, s17, s3
	s_mov_b32 s17, 0
	s_lshl_b64 s[2:3], s[2:3], 3
	s_add_u32 s31, s8, s2
	s_addc_u32 s33, s9, s3
	s_andn2_b32 vcc_lo, exec_lo, s7
	s_mov_b32 s2, -1
	s_cbranch_vccnz .LBB263_12
; %bb.8:
	v_cmp_eq_u32_e32 vcc_lo, 0, v0
	s_cmp_gt_i32 s15, 0
	s_cselect_b32 s2, -1, 0
	s_and_b32 s2, vcc_lo, s2
	s_and_saveexec_b32 s18, s2
	s_cbranch_execz .LBB263_11
; %bb.9:
	v_mov_b32_e32 v1, 0
	s_mov_b32 s7, 0
	s_lshl_b64 s[2:3], s[6:7], 3
	s_mov_b32 s7, s15
	v_mov_b32_e32 v2, v1
	s_add_u32 s2, s31, s2
	s_addc_u32 s3, s33, s3
	s_lshl_b64 s[8:9], s[16:17], 3
.LBB263_10:                             ; =>This Inner Loop Header: Depth=1
	s_add_i32 s7, s7, -1
	global_store_dwordx2 v1, v[1:2], s[2:3]
	s_add_u32 s2, s2, s8
	s_addc_u32 s3, s3, s9
	s_cmp_eq_u32 s7, 0
	s_cbranch_scc0 .LBB263_10
.LBB263_11:
	s_or_b32 exec_lo, exec_lo, s18
	s_mov_b32 s2, 0
.LBB263_12:
	s_andn2_b32 vcc_lo, exec_lo, s2
	s_cbranch_vccnz .LBB263_65
; %bb.13:
	s_clause 0x1
	s_load_dword s18, s[4:5], 0x28
	s_load_dword s17, s[4:5], 0x48
	s_lshl_b32 s2, s6, 10
	s_lshr_b32 s3, s19, 30
	v_lshl_or_b32 v1, v0, 2, s2
	s_ashr_i32 s2, s14, 31
	s_add_i32 s3, s15, s3
	s_lshr_b32 s2, s2, 30
	v_and_b32_e32 v35, 31, v0
	v_ashrrev_i32_e32 v2, 31, v1
	s_add_i32 s2, s14, s2
	v_add_nc_u32_e32 v38, 4, v1
	s_and_b32 s2, s2, -4
	v_mbcnt_lo_u32_b32 v37, -1, 0
	v_lshlrev_b64 v[2:3], 3, v[1:2]
	s_sub_i32 s30, s14, s2
	v_lshrrev_b32_e32 v36, 2, v0
	v_add_nc_u32_e32 v39, s30, v1
	v_cmp_eq_u32_e64 s2, 0, v0
	s_and_b32 s34, s3, -4
	v_add_co_u32 v33, vcc_lo, s0, v2
	s_waitcnt lgkmcnt(0)
	v_mul_lo_u32 v19, s17, v1
	v_add_co_ci_u32_e64 v34, null, s1, v3, vcc_lo
	v_cmp_gt_u32_e64 s0, 32, v0
	v_cmp_gt_u32_e64 s1, 8, v0
	s_cmp_lt_i32 s34, 1
	s_cbranch_scc1 .LBB263_40
; %bb.14:
	v_cmp_gt_u32_e32 vcc_lo, 24, v37
	v_mul_lo_u32 v20, s17, v1
	v_mov_b32_e32 v9, 0
	s_cmp_gt_i32 s30, 0
	s_mov_b32 s21, 0
	v_cndmask_b32_e64 v2, 0, 8, vcc_lo
	v_cmp_gt_u32_e32 vcc_lo, 28, v37
	v_mov_b32_e32 v10, v9
	v_mov_b32_e32 v11, v9
	v_add_nc_u32_e32 v1, s17, v20
	v_ashrrev_i32_e32 v21, 31, v20
	v_cndmask_b32_e64 v3, 0, 4, vcc_lo
	v_cmp_gt_u32_e32 vcc_lo, 30, v37
	v_add_lshl_u32 v41, v2, v37, 2
	v_ashrrev_i32_e32 v2, 31, v1
	v_mov_b32_e32 v12, v9
	v_add_lshl_u32 v42, v3, v37, 2
	v_cndmask_b32_e64 v4, 0, 2, vcc_lo
	v_cmp_ne_u32_e32 vcc_lo, 31, v37
	v_add_nc_u32_e32 v3, s17, v1
	v_lshlrev_b64 v[1:2], 3, v[1:2]
	v_mov_b32_e32 v13, v9
	v_add_lshl_u32 v43, v4, v37, 2
	v_add_co_ci_u32_e64 v5, null, 0, v37, vcc_lo
	v_add_nc_u32_e32 v7, s17, v3
	v_ashrrev_i32_e32 v4, 31, v3
	v_mov_b32_e32 v14, v9
	v_lshlrev_b32_e32 v44, 2, v5
	v_lshlrev_b64 v[5:6], 3, v[20:21]
	v_ashrrev_i32_e32 v8, 31, v7
	v_lshlrev_b64 v[3:4], 3, v[3:4]
	v_mov_b32_e32 v15, v9
	v_mov_b32_e32 v16, v9
	v_cmp_ge_i32_e64 s3, s14, v38
	v_add_co_u32 v21, vcc_lo, s12, v5
	v_add_co_ci_u32_e64 v22, null, s13, v6, vcc_lo
	v_add_co_u32 v23, vcc_lo, s12, v1
	v_add_co_ci_u32_e64 v24, null, s13, v2, vcc_lo
	v_lshlrev_b64 v[1:2], 3, v[7:8]
	v_add_co_u32 v25, vcc_lo, s12, v3
	v_add_co_ci_u32_e64 v26, null, s13, v4, vcc_lo
	v_cmp_ge_i32_e64 s4, s14, v39
	v_add_co_u32 v27, vcc_lo, s12, v1
	v_add_co_ci_u32_e64 v28, null, s13, v2, vcc_lo
	v_mov_b32_e32 v1, v9
	v_lshl_or_b32 v40, v37, 2, 64
	v_cmp_eq_u32_e64 s5, 0, v35
	v_lshlrev_b32_e32 v45, 3, v35
	v_and_b32_e32 v46, 56, v36
	v_mov_b32_e32 v2, v10
	v_mov_b32_e32 v3, v11
	;; [unrolled: 1-line block ×7, first 2 shown]
	s_cselect_b32 s35, -1, 0
	s_mov_b32 s19, s21
	s_lshl_b32 s20, s18, 1
	s_lshl_b32 s36, s18, 2
	s_mul_i32 s37, s18, 3
	s_mov_b32 s38, s21
	s_mov_b32 s22, s21
	s_mov_b64 s[24:25], s[20:21]
	s_mov_b64 s[26:27], s[18:19]
	s_mov_b32 s19, 0
	s_branch .LBB263_16
.LBB263_15:                             ;   in Loop: Header=BB263_16 Depth=1
	s_or_b32 exec_lo, exec_lo, s7
	s_add_i32 s19, s19, 4
	s_add_u32 s26, s26, s36
	s_addc_u32 s27, s27, 0
	s_add_u32 s24, s24, s36
	s_addc_u32 s25, s25, 0
	;; [unrolled: 2-line block ×3, first 2 shown]
	s_add_i32 s22, s22, s36
	s_cmp_ge_i32 s19, s34
	s_cbranch_scc1 .LBB263_41
.LBB263_16:                             ; =>This Loop Header: Depth=1
                                        ;     Child Loop BB263_22 Depth 2
                                        ;     Child Loop BB263_25 Depth 2
	;; [unrolled: 1-line block ×3, first 2 shown]
                                        ; implicit-def: $vgpr11_vgpr12_vgpr13_vgpr14_vgpr15_vgpr16_vgpr17_vgpr18
	s_and_saveexec_b32 s7, s3
	s_xor_b32 s7, exec_lo, s7
	s_cbranch_execz .LBB263_18
; %bb.17:                               ;   in Loop: Header=BB263_16 Depth=1
	s_mul_i32 s8, s19, s18
	s_ashr_i32 s9, s8, 31
	s_add_i32 s28, s8, s18
	s_lshl_b64 s[8:9], s[8:9], 3
	s_ashr_i32 s29, s28, 31
	v_add_co_u32 v7, vcc_lo, v33, s8
	v_add_co_ci_u32_e64 v8, null, s9, v34, vcc_lo
	s_lshl_b64 s[8:9], s[28:29], 3
	s_add_i32 s28, s28, s18
	v_add_co_u32 v55, vcc_lo, v33, s8
	s_ashr_i32 s29, s28, 31
	s_add_i32 s8, s28, s18
	v_add_co_ci_u32_e64 v56, null, s9, v34, vcc_lo
	s_lshl_b64 s[28:29], s[28:29], 3
	s_ashr_i32 s9, s8, 31
	v_add_co_u32 v59, vcc_lo, v33, s28
	s_lshl_b64 s[8:9], s[8:9], 3
	v_add_co_ci_u32_e64 v60, null, s29, v34, vcc_lo
	v_add_co_u32 v63, vcc_lo, v33, s8
	v_add_co_ci_u32_e64 v64, null, s9, v34, vcc_lo
	flat_load_dwordx2 v[1:2], v[21:22]
	s_clause 0x3
	flat_load_dwordx4 v[10:13], v[7:8]
	flat_load_dwordx4 v[14:17], v[55:56]
	;; [unrolled: 1-line block ×4, first 2 shown]
	s_clause 0x1
	flat_load_dwordx2 v[3:4], v[23:24]
	flat_load_dwordx2 v[5:6], v[25:26]
	s_clause 0x3
	flat_load_dwordx4 v[51:54], v[7:8] offset:16
	flat_load_dwordx4 v[55:58], v[55:56] offset:16
	;; [unrolled: 1-line block ×4, first 2 shown]
	flat_load_dwordx2 v[7:8], v[27:28]
	s_waitcnt vmcnt(10) lgkmcnt(10)
	v_fma_f64 v[10:11], v[1:2], v[10:11], 0
	s_waitcnt vmcnt(9) lgkmcnt(9)
	v_fma_f64 v[14:15], v[1:2], v[14:15], 0
	;; [unrolled: 2-line block ×5, first 2 shown]
	v_fma_f64 v[12:13], v[3:4], v[16:17], v[14:15]
	v_fma_f64 v[14:15], v[3:4], v[31:32], v[29:30]
	;; [unrolled: 1-line block ×3, first 2 shown]
	s_waitcnt vmcnt(4) lgkmcnt(4)
	v_fma_f64 v[10:11], v[5:6], v[51:52], v[10:11]
	s_waitcnt vmcnt(3) lgkmcnt(3)
	v_fma_f64 v[29:30], v[5:6], v[55:56], v[12:13]
	;; [unrolled: 2-line block ×5, first 2 shown]
	v_fma_f64 v[13:14], v[7:8], v[57:58], v[29:30]
	v_fma_f64 v[15:16], v[7:8], v[61:62], v[31:32]
	;; [unrolled: 1-line block ×3, first 2 shown]
.LBB263_18:                             ;   in Loop: Header=BB263_16 Depth=1
	s_andn2_saveexec_b32 s20, s7
	s_cbranch_execz .LBB263_28
; %bb.19:                               ;   in Loop: Header=BB263_16 Depth=1
	v_mov_b32_e32 v16, v9
	v_mov_b32_e32 v10, v9
	;; [unrolled: 1-line block ×15, first 2 shown]
	s_and_saveexec_b32 s39, s4
	s_cbranch_execz .LBB263_27
; %bb.20:                               ;   in Loop: Header=BB263_16 Depth=1
	s_andn2_b32 vcc_lo, exec_lo, s35
	s_cbranch_vccnz .LBB263_23
; %bb.21:                               ;   in Loop: Header=BB263_16 Depth=1
	v_mov_b32_e32 v10, v20
	s_mov_b64 s[28:29], 0
	s_inst_prefetch 0x1
	.p2align	6
.LBB263_22:                             ;   Parent Loop BB263_16 Depth=1
                                        ; =>  This Inner Loop Header: Depth=2
	v_ashrrev_i32_e32 v11, 31, v10
	s_cmp_eq_u32 s28, 3
	v_lshlrev_b64 v[11:12], 3, v[10:11]
	v_add_nc_u32_e32 v10, s17, v10
	v_add_co_u32 v11, vcc_lo, s12, v11
	v_add_co_ci_u32_e64 v12, null, s13, v12, vcc_lo
	s_cselect_b32 vcc_lo, -1, 0
	s_cmp_eq_u32 s28, 2
	s_cselect_b32 s7, -1, 0
	flat_load_dwordx2 v[11:12], v[11:12]
	s_cmp_eq_u32 s28, 1
	s_cselect_b32 s8, -1, 0
	s_cmp_eq_u32 s28, 0
	s_cselect_b32 s9, -1, 0
	s_add_u32 s28, s28, 1
	s_addc_u32 s29, s29, 0
	s_cmp_eq_u32 s30, s28
	s_waitcnt vmcnt(0) lgkmcnt(0)
	v_cndmask_b32_e32 v8, v8, v12, vcc_lo
	v_cndmask_b32_e32 v7, v7, v11, vcc_lo
	v_cndmask_b32_e64 v6, v6, v12, s7
	v_cndmask_b32_e64 v5, v5, v11, s7
	;; [unrolled: 1-line block ×6, first 2 shown]
	s_cbranch_scc0 .LBB263_22
.LBB263_23:                             ;   in Loop: Header=BB263_16 Depth=1
	s_inst_prefetch 0x2
	s_andn2_b32 vcc_lo, exec_lo, s35
	s_cbranch_vccnz .LBB263_26
; %bb.24:                               ;   in Loop: Header=BB263_16 Depth=1
	s_ashr_i32 s23, s22, 31
	v_mov_b32_e32 v11, 0
	s_lshl_b64 s[8:9], s[22:23], 3
	v_mov_b32_e32 v13, 0
	v_add_co_u32 v29, vcc_lo, v33, s8
	v_mov_b32_e32 v15, 0
	v_mov_b32_e32 v17, 0
	;; [unrolled: 1-line block ×6, first 2 shown]
	v_add_co_ci_u32_e64 v30, null, s9, v34, vcc_lo
	s_mov_b64 s[28:29], 0
.LBB263_25:                             ;   Parent Loop BB263_16 Depth=1
                                        ; =>  This Inner Loop Header: Depth=2
	s_cmp_eq_u32 s28, 1
	s_cselect_b32 vcc_lo, -1, 0
	s_cmp_eq_u32 s28, 2
	v_cndmask_b32_e32 v10, v2, v4, vcc_lo
	s_cselect_b32 s7, -1, 0
	s_cmp_eq_u32 s28, 3
	v_cndmask_b32_e32 v53, v1, v3, vcc_lo
	s_cselect_b32 s8, -1, 0
	s_add_i32 s40, s26, s28
	s_add_i32 s42, s24, s28
	s_ashr_i32 s41, s40, 31
	s_add_i32 s44, s37, s28
	s_ashr_i32 s43, s42, 31
	s_lshl_b64 s[40:41], s[40:41], 3
	s_ashr_i32 s45, s44, 31
	s_lshl_b64 s[42:43], s[42:43], 3
	v_add_co_u32 v31, s9, v33, s40
	s_lshl_b64 s[44:45], s[44:45], 3
	v_add_co_ci_u32_e64 v32, null, s41, v34, s9
	v_add_co_u32 v47, s9, v33, s42
	v_add_co_ci_u32_e64 v48, null, s43, v34, s9
	v_add_co_u32 v49, s9, v33, s44
	v_add_co_ci_u32_e64 v50, null, s45, v34, s9
	flat_load_dwordx2 v[51:52], v[29:30]
	s_clause 0x2
	flat_load_dwordx2 v[31:32], v[31:32]
	flat_load_dwordx2 v[47:48], v[47:48]
	;; [unrolled: 1-line block ×3, first 2 shown]
	v_cndmask_b32_e64 v10, v10, v6, s7
	v_cndmask_b32_e64 v53, v53, v5, s7
	v_add_co_u32 v29, vcc_lo, v29, 8
	v_add_co_ci_u32_e64 v30, null, 0, v30, vcc_lo
	v_cndmask_b32_e64 v54, v10, v8, s8
	v_cndmask_b32_e64 v53, v53, v7, s8
	s_add_u32 s28, s28, 1
	s_addc_u32 s29, s29, 0
	s_cmp_lg_u32 s30, s28
	s_waitcnt vmcnt(3) lgkmcnt(3)
	v_fma_f64 v[11:12], v[53:54], v[51:52], v[11:12]
	s_waitcnt vmcnt(2) lgkmcnt(2)
	v_fma_f64 v[13:14], v[53:54], v[31:32], v[13:14]
	;; [unrolled: 2-line block ×4, first 2 shown]
	s_cbranch_scc1 .LBB263_25
	s_branch .LBB263_27
.LBB263_26:                             ;   in Loop: Header=BB263_16 Depth=1
	v_mov_b32_e32 v16, v9
	v_mov_b32_e32 v10, v9
	;; [unrolled: 1-line block ×15, first 2 shown]
.LBB263_27:                             ;   in Loop: Header=BB263_16 Depth=1
	s_or_b32 exec_lo, exec_lo, s39
.LBB263_28:                             ;   in Loop: Header=BB263_16 Depth=1
	s_or_b32 exec_lo, exec_lo, s20
	s_mov_b64 s[8:9], 0
	s_branch .LBB263_30
.LBB263_29:                             ;   in Loop: Header=BB263_30 Depth=2
	s_or_b32 exec_lo, exec_lo, s7
	s_cmp_eq_u32 s8, 3
	s_cselect_b32 vcc_lo, -1, 0
	s_cmp_eq_u32 s8, 2
	s_waitcnt lgkmcnt(0)
	v_cndmask_b32_e32 v18, v18, v30, vcc_lo
	v_cndmask_b32_e32 v17, v17, v29, vcc_lo
	s_cselect_b32 vcc_lo, -1, 0
	s_cmp_eq_u32 s8, 1
	v_cndmask_b32_e32 v16, v16, v30, vcc_lo
	v_cndmask_b32_e32 v15, v15, v29, vcc_lo
	s_cselect_b32 vcc_lo, -1, 0
	s_cmp_eq_u32 s8, 0
	v_cndmask_b32_e32 v14, v14, v30, vcc_lo
	v_cndmask_b32_e32 v13, v13, v29, vcc_lo
	s_cselect_b32 vcc_lo, -1, 0
	s_add_u32 s8, s8, 1
	v_cndmask_b32_e32 v12, v12, v30, vcc_lo
	v_cndmask_b32_e32 v11, v11, v29, vcc_lo
	s_addc_u32 s9, s9, 0
	s_cmp_eq_u32 s8, 4
	s_cbranch_scc1 .LBB263_38
.LBB263_30:                             ;   Parent Loop BB263_16 Depth=1
                                        ; =>  This Inner Loop Header: Depth=2
	s_and_saveexec_b32 s7, s0
; %bb.31:                               ;   in Loop: Header=BB263_30 Depth=2
	v_mov_b32_e32 v10, v9
	ds_write_b64 v45, v[9:10]
; %bb.32:                               ;   in Loop: Header=BB263_30 Depth=2
	s_or_b32 exec_lo, exec_lo, s7
	s_cmp_eq_u32 s8, 1
	s_waitcnt lgkmcnt(0)
	s_waitcnt_vscnt null, 0x0
	s_cselect_b32 vcc_lo, -1, 0
	s_cmp_eq_u32 s8, 2
	v_cndmask_b32_e32 v10, v12, v14, vcc_lo
	v_cndmask_b32_e32 v29, v11, v13, vcc_lo
	s_cselect_b32 vcc_lo, -1, 0
	s_cmp_eq_u32 s8, 3
	s_barrier
	v_cndmask_b32_e32 v10, v10, v16, vcc_lo
	v_cndmask_b32_e32 v29, v29, v15, vcc_lo
	s_cselect_b32 vcc_lo, -1, 0
	buffer_gl0_inv
	v_cndmask_b32_e32 v30, v10, v18, vcc_lo
	v_cndmask_b32_e32 v29, v29, v17, vcc_lo
	ds_bpermute_b32 v32, v40, v30
	ds_bpermute_b32 v31, v40, v29
	s_waitcnt lgkmcnt(0)
	v_add_f64 v[29:30], v[29:30], v[31:32]
	ds_bpermute_b32 v31, v41, v29
	ds_bpermute_b32 v32, v41, v30
	s_waitcnt lgkmcnt(0)
	v_add_f64 v[29:30], v[29:30], v[31:32]
	;; [unrolled: 4-line block ×4, first 2 shown]
	ds_bpermute_b32 v31, v44, v29
	ds_bpermute_b32 v32, v44, v30
	s_and_saveexec_b32 s7, s5
	s_cbranch_execz .LBB263_34
; %bb.33:                               ;   in Loop: Header=BB263_30 Depth=2
	s_waitcnt lgkmcnt(0)
	v_add_f64 v[29:30], v[29:30], v[31:32]
	ds_write_b64 v46, v[29:30]
.LBB263_34:                             ;   in Loop: Header=BB263_30 Depth=2
	s_or_b32 exec_lo, exec_lo, s7
	v_mov_b32_e32 v29, 0
	v_mov_b32_e32 v30, 0
	s_waitcnt lgkmcnt(0)
	s_barrier
	buffer_gl0_inv
	s_and_saveexec_b32 s7, s1
; %bb.35:                               ;   in Loop: Header=BB263_30 Depth=2
	ds_read_b64 v[29:30], v45
; %bb.36:                               ;   in Loop: Header=BB263_30 Depth=2
	s_or_b32 exec_lo, exec_lo, s7
	s_and_saveexec_b32 s7, s0
	s_cbranch_execz .LBB263_29
; %bb.37:                               ;   in Loop: Header=BB263_30 Depth=2
	s_waitcnt lgkmcnt(0)
	ds_bpermute_b32 v31, v42, v29
	ds_bpermute_b32 v32, v42, v30
	s_waitcnt lgkmcnt(0)
	v_add_f64 v[29:30], v[29:30], v[31:32]
	ds_bpermute_b32 v31, v43, v29
	ds_bpermute_b32 v32, v43, v30
	s_waitcnt lgkmcnt(0)
	v_add_f64 v[29:30], v[29:30], v[31:32]
	ds_bpermute_b32 v31, v44, v29
	ds_bpermute_b32 v32, v44, v30
	s_waitcnt lgkmcnt(0)
	v_add_f64 v[29:30], v[29:30], v[31:32]
	s_branch .LBB263_29
.LBB263_38:                             ;   in Loop: Header=BB263_16 Depth=1
	s_and_saveexec_b32 s7, s2
	s_cbranch_execz .LBB263_15
; %bb.39:                               ;   in Loop: Header=BB263_16 Depth=1
	s_mul_i32 s8, s19, s16
	v_mul_f64 v[10:11], s[10:11], v[11:12]
	v_mul_f64 v[12:13], s[10:11], v[13:14]
	;; [unrolled: 1-line block ×3, first 2 shown]
	s_add_i32 s20, s8, s6
	v_mul_f64 v[16:17], s[10:11], v[17:18]
	s_lshl_b64 s[8:9], s[20:21], 3
	s_add_u32 s8, s31, s8
	s_addc_u32 s9, s33, s9
	s_add_i32 s20, s20, s16
	s_lshl_b64 s[28:29], s[20:21], 3
	s_add_u32 s28, s31, s28
	s_addc_u32 s29, s33, s29
	s_add_i32 s20, s20, s16
	global_store_dwordx2 v9, v[10:11], s[8:9]
	global_store_dwordx2 v9, v[12:13], s[28:29]
	s_lshl_b64 s[40:41], s[20:21], 3
	s_add_u32 s40, s31, s40
	s_addc_u32 s41, s33, s41
	s_add_i32 s20, s20, s16
	s_lshl_b64 s[42:43], s[20:21], 3
	s_add_u32 s42, s31, s42
	s_addc_u32 s43, s33, s43
	global_store_dwordx2 v9, v[14:15], s[40:41]
	global_store_dwordx2 v9, v[16:17], s[42:43]
	s_branch .LBB263_15
.LBB263_40:
	v_mov_b32_e32 v1, 0
	s_mov_b32 s19, 0
	v_mov_b32_e32 v2, v1
	v_mov_b32_e32 v3, v1
	v_mov_b32_e32 v4, v1
	v_mov_b32_e32 v5, v1
	v_mov_b32_e32 v6, v1
	v_mov_b32_e32 v7, v1
	v_mov_b32_e32 v8, v1
.LBB263_41:
	s_cmp_ge_i32 s19, s15
	s_cbranch_scc1 .LBB263_65
; %bb.42:
	v_cmp_gt_u32_e32 vcc_lo, 24, v37
	v_ashrrev_i32_e32 v20, 31, v19
	s_cmp_gt_i32 s30, 0
	s_mov_b32 s7, 0
	v_cmp_ge_i32_e64 s0, s14, v38
	v_cndmask_b32_e64 v9, 0, 8, vcc_lo
	v_cmp_gt_u32_e32 vcc_lo, 28, v37
	v_lshlrev_b64 v[13:14], 3, v[19:20]
	v_cmp_ge_i32_e64 s1, s14, v39
	s_cselect_b32 s14, -1, 0
	v_add_lshl_u32 v26, v9, v37, 2
	v_cndmask_b32_e64 v10, 0, 4, vcc_lo
	v_cmp_gt_u32_e32 vcc_lo, 30, v37
	v_add_nc_u32_e32 v9, s17, v19
	v_cmp_gt_u32_e64 s2, 32, v0
	v_lshlrev_b32_e32 v24, 3, v35
	v_add_lshl_u32 v27, v10, v37, 2
	v_cndmask_b32_e64 v11, 0, 2, vcc_lo
	v_cmp_ne_u32_e32 vcc_lo, 31, v37
	v_ashrrev_i32_e32 v10, 31, v9
	v_lshl_or_b32 v25, v37, 2, 64
	v_cmp_eq_u32_e64 s3, 0, v35
	v_add_lshl_u32 v28, v11, v37, 2
	v_add_nc_u32_e32 v11, s17, v9
	v_add_co_ci_u32_e64 v12, null, 0, v37, vcc_lo
	v_lshlrev_b64 v[15:16], 3, v[9:10]
	v_add_co_u32 v9, vcc_lo, s12, v13
	v_add_nc_u32_e32 v17, s17, v11
	v_lshlrev_b32_e32 v29, 2, v12
	v_ashrrev_i32_e32 v12, 31, v11
	v_add_co_ci_u32_e64 v10, null, s13, v14, vcc_lo
	v_ashrrev_i32_e32 v18, 31, v17
	v_and_b32_e32 v30, 56, v36
	v_lshlrev_b64 v[13:14], 3, v[11:12]
	v_add_co_u32 v11, vcc_lo, s12, v15
	v_add_co_ci_u32_e64 v12, null, s13, v16, vcc_lo
	v_lshlrev_b64 v[15:16], 3, v[17:18]
	v_add_co_u32 v13, vcc_lo, s12, v13
	v_add_co_ci_u32_e64 v14, null, s13, v14, vcc_lo
	v_cmp_gt_u32_e64 s4, 8, v0
	v_add_co_u32 v15, vcc_lo, s12, v15
	v_cmp_eq_u32_e64 s5, 0, v0
	s_lshl_b64 s[8:9], s[6:7], 3
	v_add_co_ci_u32_e64 v16, null, s13, v16, vcc_lo
	v_mov_b32_e32 v17, 0
	s_add_u32 s24, s31, s8
	s_addc_u32 s25, s33, s9
	s_mul_i32 s20, s19, s18
	s_branch .LBB263_44
.LBB263_43:                             ;   in Loop: Header=BB263_44 Depth=1
	s_or_b32 exec_lo, exec_lo, s6
	s_add_i32 s19, s19, 1
	s_add_i32 s20, s20, s18
	s_cmp_ge_i32 s19, s15
	s_cbranch_scc1 .LBB263_65
.LBB263_44:                             ; =>This Loop Header: Depth=1
                                        ;     Child Loop BB263_57 Depth 2
                                        ;     Child Loop BB263_60 Depth 2
	s_waitcnt lgkmcnt(0)
	v_mov_b32_e32 v20, s7
	v_mov_b32_e32 v21, s7
	s_and_saveexec_b32 s6, s0
	s_xor_b32 s6, exec_lo, s6
	s_cbranch_execnz .LBB263_53
; %bb.45:                               ;   in Loop: Header=BB263_44 Depth=1
	s_andn2_saveexec_b32 s26, s6
	s_cbranch_execnz .LBB263_54
.LBB263_46:                             ;   in Loop: Header=BB263_44 Depth=1
	s_or_b32 exec_lo, exec_lo, s26
	s_and_saveexec_b32 s6, s2
.LBB263_47:                             ;   in Loop: Header=BB263_44 Depth=1
	v_mov_b32_e32 v18, v17
	ds_write_b64 v24, v[17:18]
.LBB263_48:                             ;   in Loop: Header=BB263_44 Depth=1
	s_or_b32 exec_lo, exec_lo, s6
	ds_bpermute_b32 v22, v25, v20
	ds_bpermute_b32 v23, v25, v21
	s_waitcnt lgkmcnt(0)
	s_waitcnt_vscnt null, 0x0
	s_barrier
	buffer_gl0_inv
	v_add_f64 v[20:21], v[20:21], v[22:23]
	ds_bpermute_b32 v22, v26, v20
	ds_bpermute_b32 v23, v26, v21
	s_waitcnt lgkmcnt(0)
	v_add_f64 v[20:21], v[20:21], v[22:23]
	ds_bpermute_b32 v22, v27, v20
	ds_bpermute_b32 v23, v27, v21
	s_waitcnt lgkmcnt(0)
	;; [unrolled: 4-line block ×3, first 2 shown]
	v_add_f64 v[20:21], v[20:21], v[22:23]
	ds_bpermute_b32 v22, v29, v20
	ds_bpermute_b32 v23, v29, v21
	s_and_saveexec_b32 s6, s3
	s_cbranch_execz .LBB263_50
; %bb.49:                               ;   in Loop: Header=BB263_44 Depth=1
	s_waitcnt lgkmcnt(0)
	v_add_f64 v[20:21], v[20:21], v[22:23]
	ds_write_b64 v30, v[20:21]
.LBB263_50:                             ;   in Loop: Header=BB263_44 Depth=1
	s_or_b32 exec_lo, exec_lo, s6
	v_mov_b32_e32 v20, 0
	v_mov_b32_e32 v21, 0
	s_waitcnt lgkmcnt(0)
	s_barrier
	buffer_gl0_inv
	s_and_saveexec_b32 s6, s4
	s_cbranch_execnz .LBB263_62
; %bb.51:                               ;   in Loop: Header=BB263_44 Depth=1
	s_or_b32 exec_lo, exec_lo, s6
	s_and_saveexec_b32 s6, s2
	s_cbranch_execnz .LBB263_63
.LBB263_52:                             ;   in Loop: Header=BB263_44 Depth=1
	s_or_b32 exec_lo, exec_lo, s6
	s_and_saveexec_b32 s6, s5
	s_cbranch_execz .LBB263_43
	s_branch .LBB263_64
.LBB263_53:                             ;   in Loop: Header=BB263_44 Depth=1
	s_mul_i32 s8, s19, s18
	s_ashr_i32 s9, s8, 31
	s_lshl_b64 s[8:9], s[8:9], 3
	v_add_co_u32 v5, vcc_lo, v33, s8
	v_add_co_ci_u32_e64 v6, null, s9, v34, vcc_lo
	flat_load_dwordx4 v[20:23], v[5:6]
	s_clause 0x1
	flat_load_dwordx2 v[1:2], v[9:10]
	flat_load_dwordx2 v[3:4], v[11:12]
	flat_load_dwordx4 v[35:38], v[5:6] offset:16
	s_clause 0x1
	flat_load_dwordx2 v[5:6], v[13:14]
	flat_load_dwordx2 v[7:8], v[15:16]
	s_waitcnt vmcnt(4) lgkmcnt(4)
	v_fma_f64 v[20:21], v[1:2], v[20:21], 0
	s_waitcnt vmcnt(3) lgkmcnt(3)
	v_fma_f64 v[20:21], v[3:4], v[22:23], v[20:21]
	;; [unrolled: 2-line block ×4, first 2 shown]
	s_andn2_saveexec_b32 s26, s6
	s_cbranch_execz .LBB263_46
.LBB263_54:                             ;   in Loop: Header=BB263_44 Depth=1
	s_and_saveexec_b32 s27, s1
	s_cbranch_execz .LBB263_61
; %bb.55:                               ;   in Loop: Header=BB263_44 Depth=1
	s_andn2_b32 vcc_lo, exec_lo, s14
	s_cbranch_vccnz .LBB263_58
; %bb.56:                               ;   in Loop: Header=BB263_44 Depth=1
	v_mov_b32_e32 v22, v19
	s_mov_b64 s[22:23], 0
	s_inst_prefetch 0x1
	.p2align	6
.LBB263_57:                             ;   Parent Loop BB263_44 Depth=1
                                        ; =>  This Inner Loop Header: Depth=2
	v_ashrrev_i32_e32 v23, 31, v22
	s_cmp_eq_u32 s22, 3
	v_lshlrev_b64 v[31:32], 3, v[22:23]
	v_add_nc_u32_e32 v22, s17, v22
	v_add_co_u32 v31, vcc_lo, s12, v31
	v_add_co_ci_u32_e64 v32, null, s13, v32, vcc_lo
	s_cselect_b32 vcc_lo, -1, 0
	s_cmp_eq_u32 s22, 2
	s_cselect_b32 s6, -1, 0
	flat_load_dwordx2 v[31:32], v[31:32]
	s_cmp_eq_u32 s22, 1
	s_cselect_b32 s8, -1, 0
	s_cmp_eq_u32 s22, 0
	s_cselect_b32 s9, -1, 0
	s_add_u32 s22, s22, 1
	s_addc_u32 s23, s23, 0
	s_cmp_eq_u32 s30, s22
	s_waitcnt vmcnt(0) lgkmcnt(0)
	v_cndmask_b32_e32 v8, v8, v32, vcc_lo
	v_cndmask_b32_e32 v7, v7, v31, vcc_lo
	v_cndmask_b32_e64 v6, v6, v32, s6
	v_cndmask_b32_e64 v5, v5, v31, s6
	;; [unrolled: 1-line block ×6, first 2 shown]
	s_cbranch_scc0 .LBB263_57
.LBB263_58:                             ;   in Loop: Header=BB263_44 Depth=1
	s_inst_prefetch 0x2
	s_andn2_b32 vcc_lo, exec_lo, s14
	s_cbranch_vccnz .LBB263_61
; %bb.59:                               ;   in Loop: Header=BB263_44 Depth=1
	s_ashr_i32 s21, s20, 31
	s_lshl_b64 s[8:9], s[20:21], 3
	v_add_co_u32 v22, vcc_lo, v33, s8
	v_add_co_ci_u32_e64 v23, null, s9, v34, vcc_lo
	s_mov_b64 s[8:9], 0
	.p2align	6
.LBB263_60:                             ;   Parent Loop BB263_44 Depth=1
                                        ; =>  This Inner Loop Header: Depth=2
	flat_load_dwordx2 v[31:32], v[22:23]
	s_cmp_eq_u32 s8, 1
	s_cselect_b32 vcc_lo, -1, 0
	s_cmp_eq_u32 s8, 2
	v_cndmask_b32_e32 v0, v2, v4, vcc_lo
	v_cndmask_b32_e32 v18, v1, v3, vcc_lo
	s_cselect_b32 vcc_lo, -1, 0
	s_cmp_eq_u32 s8, 3
	v_cndmask_b32_e32 v0, v0, v6, vcc_lo
	v_cndmask_b32_e32 v18, v18, v5, vcc_lo
	s_cselect_b32 vcc_lo, -1, 0
	s_add_u32 s8, s8, 1
	s_addc_u32 s9, s9, 0
	v_cndmask_b32_e32 v36, v0, v8, vcc_lo
	v_cndmask_b32_e32 v35, v18, v7, vcc_lo
	v_add_co_u32 v22, vcc_lo, v22, 8
	v_add_co_ci_u32_e64 v23, null, 0, v23, vcc_lo
	s_cmp_lg_u32 s30, s8
	s_waitcnt vmcnt(0) lgkmcnt(0)
	v_fma_f64 v[20:21], v[35:36], v[31:32], v[20:21]
	s_cbranch_scc1 .LBB263_60
.LBB263_61:                             ;   in Loop: Header=BB263_44 Depth=1
	s_or_b32 exec_lo, exec_lo, s27
	s_or_b32 exec_lo, exec_lo, s26
	s_and_saveexec_b32 s6, s2
	s_cbranch_execnz .LBB263_47
	s_branch .LBB263_48
.LBB263_62:                             ;   in Loop: Header=BB263_44 Depth=1
	ds_read_b64 v[20:21], v24
	s_or_b32 exec_lo, exec_lo, s6
	s_and_saveexec_b32 s6, s2
	s_cbranch_execz .LBB263_52
.LBB263_63:                             ;   in Loop: Header=BB263_44 Depth=1
	s_waitcnt lgkmcnt(0)
	ds_bpermute_b32 v22, v27, v20
	ds_bpermute_b32 v23, v27, v21
	s_waitcnt lgkmcnt(0)
	v_add_f64 v[20:21], v[20:21], v[22:23]
	ds_bpermute_b32 v22, v28, v20
	ds_bpermute_b32 v23, v28, v21
	s_waitcnt lgkmcnt(0)
	v_add_f64 v[20:21], v[20:21], v[22:23]
	;; [unrolled: 4-line block ×3, first 2 shown]
	s_or_b32 exec_lo, exec_lo, s6
	s_and_saveexec_b32 s6, s5
	s_cbranch_execz .LBB263_43
.LBB263_64:                             ;   in Loop: Header=BB263_44 Depth=1
	s_waitcnt lgkmcnt(0)
	v_mul_f64 v[20:21], s[10:11], v[20:21]
	s_mul_hi_u32 s9, s19, s16
	s_mul_i32 s8, s19, s16
	s_lshl_b64 s[8:9], s[8:9], 3
	s_add_u32 s8, s24, s8
	s_addc_u32 s9, s25, s9
	global_store_dwordx2 v17, v[20:21], s[8:9]
	s_branch .LBB263_43
.LBB263_65:
	s_endpgm
	.section	.rodata,"a",@progbits
	.p2align	6, 0x0
	.amdhsa_kernel _ZL23rocblas_gemvt_sn_kernelILb0ELi256ELi4EiPKdddEviiT4_lPKT3_lilS5_lilPT5_i
		.amdhsa_group_segment_fixed_size 256
		.amdhsa_private_segment_fixed_size 0
		.amdhsa_kernarg_size 360
		.amdhsa_user_sgpr_count 6
		.amdhsa_user_sgpr_private_segment_buffer 1
		.amdhsa_user_sgpr_dispatch_ptr 0
		.amdhsa_user_sgpr_queue_ptr 0
		.amdhsa_user_sgpr_kernarg_segment_ptr 1
		.amdhsa_user_sgpr_dispatch_id 0
		.amdhsa_user_sgpr_flat_scratch_init 0
		.amdhsa_user_sgpr_private_segment_size 0
		.amdhsa_wavefront_size32 1
		.amdhsa_uses_dynamic_stack 0
		.amdhsa_system_sgpr_private_segment_wavefront_offset 0
		.amdhsa_system_sgpr_workgroup_id_x 1
		.amdhsa_system_sgpr_workgroup_id_y 0
		.amdhsa_system_sgpr_workgroup_id_z 1
		.amdhsa_system_sgpr_workgroup_info 0
		.amdhsa_system_vgpr_workitem_id 0
		.amdhsa_next_free_vgpr 67
		.amdhsa_next_free_sgpr 46
		.amdhsa_reserve_vcc 1
		.amdhsa_reserve_flat_scratch 1
		.amdhsa_float_round_mode_32 0
		.amdhsa_float_round_mode_16_64 0
		.amdhsa_float_denorm_mode_32 3
		.amdhsa_float_denorm_mode_16_64 3
		.amdhsa_dx10_clamp 1
		.amdhsa_ieee_mode 1
		.amdhsa_fp16_overflow 0
		.amdhsa_workgroup_processor_mode 1
		.amdhsa_memory_ordered 1
		.amdhsa_forward_progress 1
		.amdhsa_shared_vgpr_count 0
		.amdhsa_exception_fp_ieee_invalid_op 0
		.amdhsa_exception_fp_denorm_src 0
		.amdhsa_exception_fp_ieee_div_zero 0
		.amdhsa_exception_fp_ieee_overflow 0
		.amdhsa_exception_fp_ieee_underflow 0
		.amdhsa_exception_fp_ieee_inexact 0
		.amdhsa_exception_int_div_zero 0
	.end_amdhsa_kernel
	.section	.text._ZL23rocblas_gemvt_sn_kernelILb0ELi256ELi4EiPKdddEviiT4_lPKT3_lilS5_lilPT5_i,"axG",@progbits,_ZL23rocblas_gemvt_sn_kernelILb0ELi256ELi4EiPKdddEviiT4_lPKT3_lilS5_lilPT5_i,comdat
.Lfunc_end263:
	.size	_ZL23rocblas_gemvt_sn_kernelILb0ELi256ELi4EiPKdddEviiT4_lPKT3_lilS5_lilPT5_i, .Lfunc_end263-_ZL23rocblas_gemvt_sn_kernelILb0ELi256ELi4EiPKdddEviiT4_lPKT3_lilS5_lilPT5_i
                                        ; -- End function
	.set _ZL23rocblas_gemvt_sn_kernelILb0ELi256ELi4EiPKdddEviiT4_lPKT3_lilS5_lilPT5_i.num_vgpr, 67
	.set _ZL23rocblas_gemvt_sn_kernelILb0ELi256ELi4EiPKdddEviiT4_lPKT3_lilS5_lilPT5_i.num_agpr, 0
	.set _ZL23rocblas_gemvt_sn_kernelILb0ELi256ELi4EiPKdddEviiT4_lPKT3_lilS5_lilPT5_i.numbered_sgpr, 46
	.set _ZL23rocblas_gemvt_sn_kernelILb0ELi256ELi4EiPKdddEviiT4_lPKT3_lilS5_lilPT5_i.num_named_barrier, 0
	.set _ZL23rocblas_gemvt_sn_kernelILb0ELi256ELi4EiPKdddEviiT4_lPKT3_lilS5_lilPT5_i.private_seg_size, 0
	.set _ZL23rocblas_gemvt_sn_kernelILb0ELi256ELi4EiPKdddEviiT4_lPKT3_lilS5_lilPT5_i.uses_vcc, 1
	.set _ZL23rocblas_gemvt_sn_kernelILb0ELi256ELi4EiPKdddEviiT4_lPKT3_lilS5_lilPT5_i.uses_flat_scratch, 1
	.set _ZL23rocblas_gemvt_sn_kernelILb0ELi256ELi4EiPKdddEviiT4_lPKT3_lilS5_lilPT5_i.has_dyn_sized_stack, 0
	.set _ZL23rocblas_gemvt_sn_kernelILb0ELi256ELi4EiPKdddEviiT4_lPKT3_lilS5_lilPT5_i.has_recursion, 0
	.set _ZL23rocblas_gemvt_sn_kernelILb0ELi256ELi4EiPKdddEviiT4_lPKT3_lilS5_lilPT5_i.has_indirect_call, 0
	.section	.AMDGPU.csdata,"",@progbits
; Kernel info:
; codeLenInByte = 4000
; TotalNumSgprs: 48
; NumVgprs: 67
; ScratchSize: 0
; MemoryBound: 1
; FloatMode: 240
; IeeeMode: 1
; LDSByteSize: 256 bytes/workgroup (compile time only)
; SGPRBlocks: 0
; VGPRBlocks: 8
; NumSGPRsForWavesPerEU: 48
; NumVGPRsForWavesPerEU: 67
; Occupancy: 12
; WaveLimiterHint : 0
; COMPUTE_PGM_RSRC2:SCRATCH_EN: 0
; COMPUTE_PGM_RSRC2:USER_SGPR: 6
; COMPUTE_PGM_RSRC2:TRAP_HANDLER: 0
; COMPUTE_PGM_RSRC2:TGID_X_EN: 1
; COMPUTE_PGM_RSRC2:TGID_Y_EN: 0
; COMPUTE_PGM_RSRC2:TGID_Z_EN: 1
; COMPUTE_PGM_RSRC2:TIDIG_COMP_CNT: 0
	.section	.text._ZL23rocblas_gemvt_sn_kernelILb0ELi256ELi4ElPKdddEviiT4_lPKT3_lilS5_lilPT5_i,"axG",@progbits,_ZL23rocblas_gemvt_sn_kernelILb0ELi256ELi4ElPKdddEviiT4_lPKT3_lilS5_lilPT5_i,comdat
	.globl	_ZL23rocblas_gemvt_sn_kernelILb0ELi256ELi4ElPKdddEviiT4_lPKT3_lilS5_lilPT5_i ; -- Begin function _ZL23rocblas_gemvt_sn_kernelILb0ELi256ELi4ElPKdddEviiT4_lPKT3_lilS5_lilPT5_i
	.p2align	8
	.type	_ZL23rocblas_gemvt_sn_kernelILb0ELi256ELi4ElPKdddEviiT4_lPKT3_lilS5_lilPT5_i,@function
_ZL23rocblas_gemvt_sn_kernelILb0ELi256ELi4ElPKdddEviiT4_lPKT3_lilS5_lilPT5_i: ; @_ZL23rocblas_gemvt_sn_kernelILb0ELi256ELi4ElPKdddEviiT4_lPKT3_lilS5_lilPT5_i
; %bb.0:
	s_load_dwordx2 s[12:13], s[4:5], 0x8
	s_mov_b32 s0, s7
	s_mov_b64 s[20:21], 0
	s_mov_b32 s1, 0
	s_waitcnt lgkmcnt(0)
	v_cmp_neq_f64_e64 s3, s[12:13], 0
	v_cmp_eq_f64_e64 s2, s[12:13], 0
	s_and_b32 vcc_lo, exec_lo, s3
	s_cbranch_vccnz .LBB264_2
; %bb.1:
	s_mov_b32 s7, s1
	s_andn2_b32 vcc_lo, exec_lo, s7
	s_cbranch_vccz .LBB264_3
	s_branch .LBB264_4
.LBB264_2:
.LBB264_3:
	s_load_dwordx4 s[8:11], s[4:5], 0x18
	s_lshl_b64 s[14:15], s[0:1], 3
	s_waitcnt lgkmcnt(0)
	s_add_u32 s8, s8, s14
	s_addc_u32 s9, s9, s15
	s_lshl_b64 s[10:11], s[10:11], 3
	s_load_dwordx2 s[8:9], s[8:9], 0x0
	s_waitcnt lgkmcnt(0)
	s_add_u32 s20, s8, s10
	s_addc_u32 s21, s9, s11
.LBB264_4:
	s_andn2_b32 vcc_lo, exec_lo, s3
	s_cbranch_vccnz .LBB264_6
; %bb.5:
	s_load_dwordx4 s[8:11], s[4:5], 0x38
	s_lshl_b64 s[14:15], s[0:1], 3
	s_waitcnt lgkmcnt(0)
	s_add_u32 s8, s8, s14
	s_addc_u32 s9, s9, s15
	s_lshl_b64 s[10:11], s[10:11], 3
	s_load_dwordx2 s[8:9], s[8:9], 0x0
	s_waitcnt lgkmcnt(0)
	s_add_u32 s22, s8, s10
	s_addc_u32 s23, s9, s11
	s_branch .LBB264_7
.LBB264_6:
	s_mov_b64 s[22:23], 0
.LBB264_7:
	s_clause 0x2
	s_load_dwordx2 s[14:15], s[4:5], 0x0
	s_load_dword s16, s[4:5], 0x68
	s_load_dwordx2 s[10:11], s[4:5], 0x58
	s_mov_b32 s17, 0
	s_waitcnt lgkmcnt(0)
	s_ashr_i32 s8, s15, 31
	s_mul_hi_u32 s1, s0, s15
	s_mul_i32 s3, s0, s8
	s_mul_i32 s0, s0, s15
	s_add_i32 s1, s1, s3
	s_mul_hi_u32 s3, s0, s16
	s_mul_i32 s1, s1, s16
	s_mul_i32 s0, s0, s16
	s_add_i32 s1, s3, s1
	s_lshl_b64 s[0:1], s[0:1], 3
	s_add_u32 s33, s10, s0
	s_addc_u32 s38, s11, s1
	s_andn2_b32 vcc_lo, exec_lo, s2
	s_mov_b32 s0, -1
	s_cbranch_vccnz .LBB264_12
; %bb.8:
	v_cmp_eq_u32_e32 vcc_lo, 0, v0
	s_cmp_gt_i32 s15, 0
	s_cselect_b32 s0, -1, 0
	s_and_b32 s0, vcc_lo, s0
	s_and_saveexec_b32 s9, s0
	s_cbranch_execz .LBB264_11
; %bb.9:
	v_mov_b32_e32 v1, 0
	s_mov_b32 s7, 0
	s_lshl_b64 s[0:1], s[6:7], 3
	s_mov_b32 s7, s15
	v_mov_b32_e32 v2, v1
	s_add_u32 s0, s33, s0
	s_addc_u32 s1, s38, s1
	s_lshl_b64 s[2:3], s[16:17], 3
.LBB264_10:                             ; =>This Inner Loop Header: Depth=1
	s_add_i32 s7, s7, -1
	global_store_dwordx2 v1, v[1:2], s[0:1]
	s_add_u32 s0, s0, s2
	s_addc_u32 s1, s1, s3
	s_cmp_eq_u32 s7, 0
	s_cbranch_scc0 .LBB264_10
.LBB264_11:
	s_or_b32 exec_lo, exec_lo, s9
	s_mov_b32 s0, 0
.LBB264_12:
	s_andn2_b32 vcc_lo, exec_lo, s0
	s_cbranch_vccnz .LBB264_65
; %bb.13:
	s_lshl_b32 s0, s6, 10
	s_clause 0x1
	s_load_dword s18, s[4:5], 0x28
	s_load_dword s24, s[4:5], 0x48
	v_lshl_or_b32 v23, v0, 2, s0
	s_ashr_i32 s0, s14, 31
	s_lshr_b32 s1, s8, 30
	s_lshr_b32 s0, s0, 30
	s_add_i32 s1, s15, s1
	v_ashrrev_i32_e32 v24, 31, v23
	s_add_i32 s0, s14, s0
	s_and_b32 s39, s1, -4
	s_and_b32 s0, s0, -4
	v_add_nc_u32_e32 v44, 4, v23
	v_lshlrev_b64 v[21:22], 3, v[23:24]
	s_sub_i32 s17, s14, s0
	v_and_b32_e32 v41, 31, v0
	v_add_nc_u32_e32 v45, s17, v23
	v_cmp_gt_u32_e64 s0, 32, v0
	v_mbcnt_lo_u32_b32 v43, -1, 0
	v_add_co_u32 v19, vcc_lo, s20, v21
	v_add_co_ci_u32_e64 v20, null, s21, v22, vcc_lo
	v_cmp_gt_u32_e64 s1, 8, v0
	v_lshrrev_b32_e32 v42, 2, v0
	v_cmp_eq_u32_e64 s2, 0, v0
	v_or_b32_e32 v40, 1, v23
	v_or_b32_e32 v39, 2, v23
	;; [unrolled: 1-line block ×3, first 2 shown]
	s_waitcnt lgkmcnt(0)
	s_ashr_i32 s19, s18, 31
	s_ashr_i32 s25, s24, 31
	s_cmp_lt_i32 s39, 1
	s_cbranch_scc1 .LBB264_40
; %bb.14:
	v_cmp_gt_u32_e32 vcc_lo, 24, v43
	v_mad_i64_i32 v[5:6], null, s24, v39, 0
	v_mad_i64_i32 v[7:8], null, s24, v38, 0
	v_cndmask_b32_e64 v1, 0, 8, vcc_lo
	v_cmp_gt_u32_e32 vcc_lo, 28, v43
	v_mov_b32_e32 v9, 0
	s_cmp_gt_i32 s17, 0
	s_mov_b32 s7, 0
	v_add_lshl_u32 v47, v1, v43, 2
	v_cndmask_b32_e64 v2, 0, 4, vcc_lo
	v_cmp_gt_u32_e32 vcc_lo, 30, v43
	v_mov_b32_e32 v10, v9
	v_mov_b32_e32 v11, v9
	;; [unrolled: 1-line block ×3, first 2 shown]
	v_add_lshl_u32 v48, v2, v43, 2
	v_cndmask_b32_e64 v3, 0, 2, vcc_lo
	v_cmp_ne_u32_e32 vcc_lo, 31, v43
	v_mad_i64_i32 v[1:2], null, s24, v23, 0
	v_mov_b32_e32 v13, v9
	v_add_lshl_u32 v49, v3, v43, 2
	v_add_co_ci_u32_e64 v4, null, 0, v43, vcc_lo
	v_mov_b32_e32 v14, v9
	v_mov_b32_e32 v15, v9
	v_lshlrev_b64 v[1:2], 3, v[1:2]
	v_lshlrev_b32_e32 v50, 2, v4
	v_mad_i64_i32 v[3:4], null, s24, v40, 0
	v_mov_b32_e32 v16, v9
	v_mov_b32_e32 v33, v20
	v_add_co_u32 v24, vcc_lo, s22, v1
	v_add_co_ci_u32_e64 v25, null, s23, v2, vcc_lo
	v_lshlrev_b64 v[3:4], 3, v[3:4]
	v_lshlrev_b64 v[1:2], 3, v[5:6]
	v_cmp_ge_i32_e64 s3, s14, v44
	v_cmp_ge_i32_e64 s4, s14, v45
	s_cselect_b32 s40, -1, 0
	v_lshl_or_b32 v46, v43, 2, 64
	v_add_co_u32 v26, vcc_lo, s22, v3
	v_add_co_ci_u32_e64 v27, null, s23, v4, vcc_lo
	v_lshlrev_b64 v[3:4], 3, v[7:8]
	v_add_co_u32 v28, vcc_lo, s22, v1
	v_add_co_ci_u32_e64 v29, null, s23, v2, vcc_lo
	v_cmp_eq_u32_e64 s5, 0, v41
	v_add_co_u32 v30, vcc_lo, s22, v3
	v_add_co_ci_u32_e64 v31, null, s23, v4, vcc_lo
	v_mov_b32_e32 v1, v9
	v_lshlrev_b32_e32 v51, 3, v41
	s_lshl_b64 s[8:9], s[6:7], 3
	v_and_b32_e32 v52, 56, v42
	v_mov_b32_e32 v32, v19
	v_mov_b32_e32 v2, v10
	;; [unrolled: 1-line block ×8, first 2 shown]
	s_add_u32 s41, s33, s8
	s_addc_u32 s42, s38, s9
	s_lshl_b64 s[26:27], s[24:25], 3
	s_mul_hi_i32 s43, s18, 24
	s_mul_i32 s44, s18, 24
	s_lshl_b64 s[28:29], s[18:19], 5
	s_lshl_b64 s[30:31], s[18:19], 4
	;; [unrolled: 1-line block ×3, first 2 shown]
	s_branch .LBB264_16
.LBB264_15:                             ;   in Loop: Header=BB264_16 Depth=1
	s_or_b32 exec_lo, exec_lo, s8
	v_add_co_u32 v32, vcc_lo, v32, s28
	v_add_co_ci_u32_e64 v33, null, s29, v33, vcc_lo
	s_add_i32 s7, s7, 4
	s_cmp_ge_i32 s7, s39
	s_cbranch_scc1 .LBB264_41
.LBB264_16:                             ; =>This Loop Header: Depth=1
                                        ;     Child Loop BB264_22 Depth 2
                                        ;     Child Loop BB264_25 Depth 2
	;; [unrolled: 1-line block ×3, first 2 shown]
                                        ; implicit-def: $vgpr11_vgpr12_vgpr13_vgpr14_vgpr15_vgpr16_vgpr17_vgpr18
	s_and_saveexec_b32 s8, s3
	s_xor_b32 s8, exec_lo, s8
	s_cbranch_execz .LBB264_18
; %bb.17:                               ;   in Loop: Header=BB264_16 Depth=1
	s_mul_i32 s9, s7, s19
	s_mul_hi_u32 s10, s7, s18
	s_add_i32 s11, s10, s9
	s_mul_i32 s10, s7, s18
	s_or_b32 s9, s7, 1
	s_lshl_b64 s[10:11], s[10:11], 3
	s_mul_i32 s36, s9, s19
	s_mul_hi_u32 s37, s9, s18
	v_add_co_u32 v7, vcc_lo, v19, s10
	v_add_co_ci_u32_e64 v8, null, s11, v20, vcc_lo
	s_add_i32 s11, s37, s36
	s_mul_i32 s10, s9, s18
	s_or_b32 s9, s7, 2
	s_lshl_b64 s[10:11], s[10:11], 3
	s_mul_i32 s36, s9, s19
	s_mul_hi_u32 s37, s9, s18
	v_add_co_u32 v61, vcc_lo, v19, s10
	v_add_co_ci_u32_e64 v62, null, s11, v20, vcc_lo
	s_add_i32 s11, s37, s36
	s_or_b32 s36, s7, 3
	s_mul_i32 s10, s9, s18
	s_mul_i32 s9, s36, s19
	s_mul_hi_u32 s37, s36, s18
	s_lshl_b64 s[10:11], s[10:11], 3
	s_add_i32 s37, s37, s9
	s_mul_i32 s36, s36, s18
	v_add_co_u32 v65, vcc_lo, v19, s10
	v_add_co_ci_u32_e64 v66, null, s11, v20, vcc_lo
	s_lshl_b64 s[10:11], s[36:37], 3
	v_add_co_u32 v69, vcc_lo, v19, s10
	v_add_co_ci_u32_e64 v70, null, s11, v20, vcc_lo
	flat_load_dwordx2 v[1:2], v[24:25]
	s_clause 0x3
	flat_load_dwordx4 v[10:13], v[7:8]
	flat_load_dwordx4 v[14:17], v[61:62]
	;; [unrolled: 1-line block ×4, first 2 shown]
	s_clause 0x1
	flat_load_dwordx2 v[3:4], v[26:27]
	flat_load_dwordx2 v[5:6], v[28:29]
	s_clause 0x3
	flat_load_dwordx4 v[57:60], v[7:8] offset:16
	flat_load_dwordx4 v[61:64], v[61:62] offset:16
	;; [unrolled: 1-line block ×4, first 2 shown]
	flat_load_dwordx2 v[7:8], v[30:31]
	s_waitcnt vmcnt(10) lgkmcnt(10)
	v_fma_f64 v[10:11], v[1:2], v[10:11], 0
	s_waitcnt vmcnt(9) lgkmcnt(9)
	v_fma_f64 v[14:15], v[1:2], v[14:15], 0
	;; [unrolled: 2-line block ×5, first 2 shown]
	v_fma_f64 v[12:13], v[3:4], v[16:17], v[14:15]
	v_fma_f64 v[14:15], v[3:4], v[36:37], v[34:35]
	;; [unrolled: 1-line block ×3, first 2 shown]
	s_waitcnt vmcnt(4) lgkmcnt(4)
	v_fma_f64 v[10:11], v[5:6], v[57:58], v[10:11]
	s_waitcnt vmcnt(3) lgkmcnt(3)
	v_fma_f64 v[34:35], v[5:6], v[61:62], v[12:13]
	;; [unrolled: 2-line block ×5, first 2 shown]
	v_fma_f64 v[13:14], v[7:8], v[63:64], v[34:35]
	v_fma_f64 v[15:16], v[7:8], v[67:68], v[36:37]
	;; [unrolled: 1-line block ×3, first 2 shown]
.LBB264_18:                             ;   in Loop: Header=BB264_16 Depth=1
	s_andn2_saveexec_b32 s45, s8
	s_cbranch_execz .LBB264_28
; %bb.19:                               ;   in Loop: Header=BB264_16 Depth=1
	v_mov_b32_e32 v16, v9
	v_mov_b32_e32 v10, v9
	;; [unrolled: 1-line block ×15, first 2 shown]
	s_and_saveexec_b32 s46, s4
	s_cbranch_execz .LBB264_27
; %bb.20:                               ;   in Loop: Header=BB264_16 Depth=1
	s_andn2_b32 vcc_lo, exec_lo, s40
	s_cbranch_vccnz .LBB264_23
; %bb.21:                               ;   in Loop: Header=BB264_16 Depth=1
	v_mov_b32_e32 v10, v24
	v_mov_b32_e32 v11, v25
	s_mov_b64 s[36:37], 0
	.p2align	6
.LBB264_22:                             ;   Parent Loop BB264_16 Depth=1
                                        ; =>  This Inner Loop Header: Depth=2
	flat_load_dwordx2 v[12:13], v[10:11]
	s_cmp_eq_u32 s36, 3
	v_add_co_u32 v10, vcc_lo, v10, s26
	v_add_co_ci_u32_e64 v11, null, s27, v11, vcc_lo
	s_cselect_b32 vcc_lo, -1, 0
	s_cmp_eq_u32 s36, 2
	s_cselect_b32 s8, -1, 0
	s_cmp_eq_u32 s36, 1
	s_cselect_b32 s9, -1, 0
	;; [unrolled: 2-line block ×3, first 2 shown]
	s_add_u32 s36, s36, 1
	s_addc_u32 s37, s37, 0
	s_cmp_eq_u32 s17, s36
	s_waitcnt vmcnt(0) lgkmcnt(0)
	v_cndmask_b32_e32 v8, v8, v13, vcc_lo
	v_cndmask_b32_e32 v7, v7, v12, vcc_lo
	v_cndmask_b32_e64 v6, v6, v13, s8
	v_cndmask_b32_e64 v5, v5, v12, s8
	;; [unrolled: 1-line block ×6, first 2 shown]
	s_cbranch_scc0 .LBB264_22
.LBB264_23:                             ;   in Loop: Header=BB264_16 Depth=1
	s_andn2_b32 vcc_lo, exec_lo, s40
	s_cbranch_vccnz .LBB264_26
; %bb.24:                               ;   in Loop: Header=BB264_16 Depth=1
	v_mov_b32_e32 v11, 0
	v_mov_b32_e32 v13, 0
	;; [unrolled: 1-line block ×10, first 2 shown]
	s_mov_b64 s[10:11], 0
.LBB264_25:                             ;   Parent Loop BB264_16 Depth=1
                                        ; =>  This Inner Loop Header: Depth=2
	v_add_co_u32 v36, vcc_lo, v34, s34
	v_add_co_ci_u32_e64 v37, null, s35, v35, vcc_lo
	v_add_co_u32 v53, vcc_lo, v34, s30
	v_add_co_ci_u32_e64 v54, null, s31, v35, vcc_lo
	;; [unrolled: 2-line block ×3, first 2 shown]
	s_clause 0x3
	flat_load_dwordx2 v[57:58], v[34:35]
	flat_load_dwordx2 v[36:37], v[36:37]
	;; [unrolled: 1-line block ×4, first 2 shown]
	s_cmp_eq_u32 s10, 1
	s_cselect_b32 vcc_lo, -1, 0
	s_cmp_eq_u32 s10, 2
	v_cndmask_b32_e32 v10, v2, v4, vcc_lo
	v_cndmask_b32_e32 v59, v1, v3, vcc_lo
	s_cselect_b32 vcc_lo, -1, 0
	s_cmp_eq_u32 s10, 3
	v_cndmask_b32_e32 v10, v10, v6, vcc_lo
	v_cndmask_b32_e32 v59, v59, v5, vcc_lo
	s_cselect_b32 s8, -1, 0
	v_add_co_u32 v34, vcc_lo, v34, 8
	v_cndmask_b32_e64 v60, v10, v8, s8
	v_cndmask_b32_e64 v59, v59, v7, s8
	v_add_co_ci_u32_e64 v35, null, 0, v35, vcc_lo
	s_add_u32 s10, s10, 1
	s_addc_u32 s11, s11, 0
	s_cmp_lg_u32 s17, s10
	s_waitcnt vmcnt(3) lgkmcnt(3)
	v_fma_f64 v[11:12], v[59:60], v[57:58], v[11:12]
	s_waitcnt vmcnt(2) lgkmcnt(2)
	v_fma_f64 v[13:14], v[59:60], v[36:37], v[13:14]
	s_waitcnt vmcnt(1) lgkmcnt(1)
	v_fma_f64 v[15:16], v[59:60], v[53:54], v[15:16]
	s_waitcnt vmcnt(0) lgkmcnt(0)
	v_fma_f64 v[17:18], v[59:60], v[55:56], v[17:18]
	s_cbranch_scc1 .LBB264_25
	s_branch .LBB264_27
.LBB264_26:                             ;   in Loop: Header=BB264_16 Depth=1
	v_mov_b32_e32 v16, v9
	v_mov_b32_e32 v10, v9
	;; [unrolled: 1-line block ×15, first 2 shown]
.LBB264_27:                             ;   in Loop: Header=BB264_16 Depth=1
	s_or_b32 exec_lo, exec_lo, s46
.LBB264_28:                             ;   in Loop: Header=BB264_16 Depth=1
	s_or_b32 exec_lo, exec_lo, s45
	s_mov_b64 s[8:9], 0
	s_branch .LBB264_30
.LBB264_29:                             ;   in Loop: Header=BB264_30 Depth=2
	s_or_b32 exec_lo, exec_lo, s10
	s_cmp_eq_u32 s8, 3
	s_cselect_b32 vcc_lo, -1, 0
	s_cmp_eq_u32 s8, 2
	s_waitcnt lgkmcnt(0)
	v_cndmask_b32_e32 v18, v18, v35, vcc_lo
	v_cndmask_b32_e32 v17, v17, v34, vcc_lo
	s_cselect_b32 vcc_lo, -1, 0
	s_cmp_eq_u32 s8, 1
	v_cndmask_b32_e32 v16, v16, v35, vcc_lo
	v_cndmask_b32_e32 v15, v15, v34, vcc_lo
	s_cselect_b32 vcc_lo, -1, 0
	s_cmp_eq_u32 s8, 0
	v_cndmask_b32_e32 v14, v14, v35, vcc_lo
	v_cndmask_b32_e32 v13, v13, v34, vcc_lo
	s_cselect_b32 vcc_lo, -1, 0
	s_add_u32 s8, s8, 1
	v_cndmask_b32_e32 v12, v12, v35, vcc_lo
	v_cndmask_b32_e32 v11, v11, v34, vcc_lo
	s_addc_u32 s9, s9, 0
	s_cmp_eq_u32 s8, 4
	s_cbranch_scc1 .LBB264_38
.LBB264_30:                             ;   Parent Loop BB264_16 Depth=1
                                        ; =>  This Inner Loop Header: Depth=2
	s_and_saveexec_b32 s10, s0
; %bb.31:                               ;   in Loop: Header=BB264_30 Depth=2
	v_mov_b32_e32 v10, v9
	ds_write_b64 v51, v[9:10]
; %bb.32:                               ;   in Loop: Header=BB264_30 Depth=2
	s_or_b32 exec_lo, exec_lo, s10
	s_cmp_eq_u32 s8, 1
	s_waitcnt lgkmcnt(0)
	s_waitcnt_vscnt null, 0x0
	s_cselect_b32 vcc_lo, -1, 0
	s_cmp_eq_u32 s8, 2
	v_cndmask_b32_e32 v10, v12, v14, vcc_lo
	v_cndmask_b32_e32 v34, v11, v13, vcc_lo
	s_cselect_b32 vcc_lo, -1, 0
	s_cmp_eq_u32 s8, 3
	s_barrier
	v_cndmask_b32_e32 v10, v10, v16, vcc_lo
	v_cndmask_b32_e32 v34, v34, v15, vcc_lo
	s_cselect_b32 vcc_lo, -1, 0
	buffer_gl0_inv
	v_cndmask_b32_e32 v35, v10, v18, vcc_lo
	v_cndmask_b32_e32 v34, v34, v17, vcc_lo
	ds_bpermute_b32 v37, v46, v35
	ds_bpermute_b32 v36, v46, v34
	s_waitcnt lgkmcnt(0)
	v_add_f64 v[34:35], v[34:35], v[36:37]
	ds_bpermute_b32 v36, v47, v34
	ds_bpermute_b32 v37, v47, v35
	s_waitcnt lgkmcnt(0)
	v_add_f64 v[34:35], v[34:35], v[36:37]
	;; [unrolled: 4-line block ×4, first 2 shown]
	ds_bpermute_b32 v36, v50, v34
	ds_bpermute_b32 v37, v50, v35
	s_and_saveexec_b32 s10, s5
	s_cbranch_execz .LBB264_34
; %bb.33:                               ;   in Loop: Header=BB264_30 Depth=2
	s_waitcnt lgkmcnt(0)
	v_add_f64 v[34:35], v[34:35], v[36:37]
	ds_write_b64 v52, v[34:35]
.LBB264_34:                             ;   in Loop: Header=BB264_30 Depth=2
	s_or_b32 exec_lo, exec_lo, s10
	v_mov_b32_e32 v34, 0
	v_mov_b32_e32 v35, 0
	s_waitcnt lgkmcnt(0)
	s_barrier
	buffer_gl0_inv
	s_and_saveexec_b32 s10, s1
; %bb.35:                               ;   in Loop: Header=BB264_30 Depth=2
	ds_read_b64 v[34:35], v51
; %bb.36:                               ;   in Loop: Header=BB264_30 Depth=2
	s_or_b32 exec_lo, exec_lo, s10
	s_and_saveexec_b32 s10, s0
	s_cbranch_execz .LBB264_29
; %bb.37:                               ;   in Loop: Header=BB264_30 Depth=2
	s_waitcnt lgkmcnt(0)
	ds_bpermute_b32 v36, v48, v34
	ds_bpermute_b32 v37, v48, v35
	s_waitcnt lgkmcnt(0)
	v_add_f64 v[34:35], v[34:35], v[36:37]
	ds_bpermute_b32 v36, v49, v34
	ds_bpermute_b32 v37, v49, v35
	s_waitcnt lgkmcnt(0)
	v_add_f64 v[34:35], v[34:35], v[36:37]
	;; [unrolled: 4-line block ×3, first 2 shown]
	s_branch .LBB264_29
.LBB264_38:                             ;   in Loop: Header=BB264_16 Depth=1
	s_and_saveexec_b32 s8, s2
	s_cbranch_execz .LBB264_15
; %bb.39:                               ;   in Loop: Header=BB264_16 Depth=1
	s_mul_hi_u32 s11, s7, s16
	s_mul_i32 s10, s7, s16
	v_mul_f64 v[10:11], s[12:13], v[11:12]
	s_lshl_b64 s[10:11], s[10:11], 3
	v_mul_f64 v[12:13], s[12:13], v[13:14]
	s_add_u32 s10, s41, s10
	s_addc_u32 s11, s42, s11
	s_or_b32 s9, s7, 1
	v_mul_f64 v[14:15], s[12:13], v[15:16]
	v_mul_f64 v[16:17], s[12:13], v[17:18]
	s_mul_hi_u32 s37, s9, s16
	s_mul_i32 s36, s9, s16
	s_lshl_b64 s[36:37], s[36:37], 3
	s_add_u32 s36, s41, s36
	s_addc_u32 s37, s42, s37
	s_or_b32 s9, s7, 2
	s_mul_hi_u32 s47, s9, s16
	s_mul_i32 s46, s9, s16
	s_lshl_b64 s[46:47], s[46:47], 3
	s_add_u32 s46, s41, s46
	s_addc_u32 s47, s42, s47
	s_or_b32 s9, s7, 3
	global_store_dwordx2 v9, v[10:11], s[10:11]
	s_mul_hi_u32 s49, s9, s16
	s_mul_i32 s48, s9, s16
	global_store_dwordx2 v9, v[12:13], s[36:37]
	s_lshl_b64 s[10:11], s[48:49], 3
	s_add_u32 s10, s41, s10
	s_addc_u32 s11, s42, s11
	global_store_dwordx2 v9, v[14:15], s[46:47]
	global_store_dwordx2 v9, v[16:17], s[10:11]
	s_branch .LBB264_15
.LBB264_40:
	v_mov_b32_e32 v1, 0
	s_mov_b32 s7, 0
	v_mov_b32_e32 v2, v1
	v_mov_b32_e32 v3, v1
	;; [unrolled: 1-line block ×7, first 2 shown]
.LBB264_41:
	s_cmp_ge_i32 s7, s15
	s_cbranch_scc1 .LBB264_65
; %bb.42:
	v_cmp_gt_u32_e32 vcc_lo, 24, v43
	v_mad_i64_i32 v[13:14], null, s24, v39, 0
	v_mad_i64_i32 v[15:16], null, s24, v38, 0
	v_cndmask_b32_e64 v9, 0, 8, vcc_lo
	v_cmp_gt_u32_e32 vcc_lo, 28, v43
	s_cmp_gt_i32 s17, 0
	s_mov_b32 s11, 0
	v_lshlrev_b64 v[13:14], 3, v[13:14]
	v_add_lshl_u32 v29, v9, v43, 2
	v_cndmask_b32_e64 v10, 0, 4, vcc_lo
	v_cmp_gt_u32_e32 vcc_lo, 30, v43
	s_mov_b32 s10, s6
	v_lshlrev_b64 v[15:16], 3, v[15:16]
	v_cmp_ge_i32_e64 s0, s14, v44
	v_add_lshl_u32 v30, v10, v43, 2
	v_cndmask_b32_e64 v11, 0, 2, vcc_lo
	v_cmp_ne_u32_e32 vcc_lo, 31, v43
	v_mad_i64_i32 v[9:10], null, s24, v23, 0
	v_cmp_ge_i32_e64 s1, s14, v45
	v_add_lshl_u32 v31, v11, v43, 2
	v_add_co_ci_u32_e64 v12, null, 0, v43, vcc_lo
	s_cselect_b32 s14, -1, 0
	s_lshl_b64 s[8:9], s[10:11], 3
	v_lshlrev_b64 v[9:10], 3, v[9:10]
	v_lshlrev_b32_e32 v32, 2, v12
	v_mad_i64_i32 v[11:12], null, s24, v40, 0
	s_add_u32 s10, s33, s8
	s_mul_i32 s6, s19, s7
	v_add_co_u32 v9, vcc_lo, s22, v9
	v_add_co_ci_u32_e64 v10, null, s23, v10, vcc_lo
	v_lshlrev_b64 v[11:12], 3, v[11:12]
	s_mul_hi_u32 s8, s18, s7
	s_addc_u32 s26, s38, s9
	s_add_i32 s9, s8, s6
	s_mul_i32 s8, s18, s7
	v_cmp_gt_u32_e64 s2, 32, v0
	v_add_co_u32 v11, vcc_lo, s22, v11
	v_add_co_ci_u32_e64 v12, null, s23, v12, vcc_lo
	v_add_co_u32 v13, vcc_lo, s22, v13
	v_add_co_ci_u32_e64 v14, null, s23, v14, vcc_lo
	v_add_co_u32 v15, vcc_lo, s22, v15
	s_lshl_b64 s[8:9], s[8:9], 3
	v_add_co_ci_u32_e64 v16, null, s23, v16, vcc_lo
	s_lshl_b64 s[22:23], s[24:25], 3
	s_add_u32 s6, s20, s8
	s_addc_u32 s8, s21, s9
	v_add_co_u32 v17, vcc_lo, s6, v21
	v_lshlrev_b32_e32 v27, 3, v41
	v_lshl_or_b32 v28, v43, 2, 64
	v_cmp_eq_u32_e64 s3, 0, v41
	v_and_b32_e32 v33, 56, v42
	v_cmp_gt_u32_e64 s4, 8, v0
	v_cmp_eq_u32_e64 s5, 0, v0
	v_add_co_ci_u32_e64 v18, null, s8, v22, vcc_lo
	v_mov_b32_e32 v21, 0
	s_lshl_b64 s[20:21], s[18:19], 3
	s_branch .LBB264_44
.LBB264_43:                             ;   in Loop: Header=BB264_44 Depth=1
	s_or_b32 exec_lo, exec_lo, s6
	v_add_co_u32 v17, vcc_lo, v17, s20
	v_add_co_ci_u32_e64 v18, null, s21, v18, vcc_lo
	s_add_i32 s7, s7, 1
	s_cmp_ge_i32 s7, s15
	s_cbranch_scc1 .LBB264_65
.LBB264_44:                             ; =>This Loop Header: Depth=1
                                        ;     Child Loop BB264_57 Depth 2
                                        ;     Child Loop BB264_60 Depth 2
	s_waitcnt lgkmcnt(0)
	v_mov_b32_e32 v23, s11
	v_mov_b32_e32 v24, s11
	s_and_saveexec_b32 s6, s0
	s_xor_b32 s6, exec_lo, s6
	s_cbranch_execnz .LBB264_53
; %bb.45:                               ;   in Loop: Header=BB264_44 Depth=1
	s_andn2_saveexec_b32 s27, s6
	s_cbranch_execnz .LBB264_54
.LBB264_46:                             ;   in Loop: Header=BB264_44 Depth=1
	s_or_b32 exec_lo, exec_lo, s27
	s_and_saveexec_b32 s6, s2
.LBB264_47:                             ;   in Loop: Header=BB264_44 Depth=1
	v_mov_b32_e32 v22, v21
	ds_write_b64 v27, v[21:22]
.LBB264_48:                             ;   in Loop: Header=BB264_44 Depth=1
	s_or_b32 exec_lo, exec_lo, s6
	ds_bpermute_b32 v25, v28, v23
	ds_bpermute_b32 v26, v28, v24
	s_waitcnt lgkmcnt(0)
	s_waitcnt_vscnt null, 0x0
	s_barrier
	buffer_gl0_inv
	v_add_f64 v[22:23], v[23:24], v[25:26]
	ds_bpermute_b32 v24, v29, v22
	ds_bpermute_b32 v25, v29, v23
	s_waitcnt lgkmcnt(0)
	v_add_f64 v[22:23], v[22:23], v[24:25]
	ds_bpermute_b32 v24, v30, v22
	ds_bpermute_b32 v25, v30, v23
	s_waitcnt lgkmcnt(0)
	;; [unrolled: 4-line block ×3, first 2 shown]
	v_add_f64 v[22:23], v[22:23], v[24:25]
	ds_bpermute_b32 v24, v32, v22
	ds_bpermute_b32 v25, v32, v23
	s_and_saveexec_b32 s6, s3
	s_cbranch_execz .LBB264_50
; %bb.49:                               ;   in Loop: Header=BB264_44 Depth=1
	s_waitcnt lgkmcnt(0)
	v_add_f64 v[22:23], v[22:23], v[24:25]
	ds_write_b64 v33, v[22:23]
.LBB264_50:                             ;   in Loop: Header=BB264_44 Depth=1
	s_or_b32 exec_lo, exec_lo, s6
	v_mov_b32_e32 v22, 0
	v_mov_b32_e32 v23, 0
	s_waitcnt lgkmcnt(0)
	s_barrier
	buffer_gl0_inv
	s_and_saveexec_b32 s6, s4
	s_cbranch_execnz .LBB264_62
; %bb.51:                               ;   in Loop: Header=BB264_44 Depth=1
	s_or_b32 exec_lo, exec_lo, s6
	s_and_saveexec_b32 s6, s2
	s_cbranch_execnz .LBB264_63
.LBB264_52:                             ;   in Loop: Header=BB264_44 Depth=1
	s_or_b32 exec_lo, exec_lo, s6
	s_and_saveexec_b32 s6, s5
	s_cbranch_execz .LBB264_43
	s_branch .LBB264_64
.LBB264_53:                             ;   in Loop: Header=BB264_44 Depth=1
	s_mul_i32 s9, s7, s19
	s_mul_hi_u32 s24, s7, s18
	s_mul_i32 s8, s7, s18
	s_add_i32 s9, s24, s9
	s_lshl_b64 s[8:9], s[8:9], 3
	v_add_co_u32 v5, vcc_lo, v19, s8
	v_add_co_ci_u32_e64 v6, null, s9, v20, vcc_lo
	flat_load_dwordx4 v[22:25], v[5:6]
	s_clause 0x1
	flat_load_dwordx2 v[1:2], v[9:10]
	flat_load_dwordx2 v[3:4], v[11:12]
	flat_load_dwordx4 v[34:37], v[5:6] offset:16
	s_clause 0x1
	flat_load_dwordx2 v[5:6], v[13:14]
	flat_load_dwordx2 v[7:8], v[15:16]
	s_waitcnt vmcnt(4) lgkmcnt(4)
	v_fma_f64 v[22:23], v[1:2], v[22:23], 0
	s_waitcnt vmcnt(3) lgkmcnt(3)
	v_fma_f64 v[22:23], v[3:4], v[24:25], v[22:23]
	;; [unrolled: 2-line block ×4, first 2 shown]
	s_andn2_saveexec_b32 s27, s6
	s_cbranch_execz .LBB264_46
.LBB264_54:                             ;   in Loop: Header=BB264_44 Depth=1
	s_and_saveexec_b32 s28, s1
	s_cbranch_execz .LBB264_61
; %bb.55:                               ;   in Loop: Header=BB264_44 Depth=1
	s_andn2_b32 vcc_lo, exec_lo, s14
	s_cbranch_vccnz .LBB264_58
; %bb.56:                               ;   in Loop: Header=BB264_44 Depth=1
	v_mov_b32_e32 v26, v10
	v_mov_b32_e32 v25, v9
	s_mov_b64 s[24:25], 0
	.p2align	6
.LBB264_57:                             ;   Parent Loop BB264_44 Depth=1
                                        ; =>  This Inner Loop Header: Depth=2
	flat_load_dwordx2 v[34:35], v[25:26]
	s_cmp_eq_u32 s24, 3
	v_add_co_u32 v25, vcc_lo, v25, s22
	v_add_co_ci_u32_e64 v26, null, s23, v26, vcc_lo
	s_cselect_b32 vcc_lo, -1, 0
	s_cmp_eq_u32 s24, 2
	s_cselect_b32 s6, -1, 0
	s_cmp_eq_u32 s24, 1
	s_cselect_b32 s8, -1, 0
	;; [unrolled: 2-line block ×3, first 2 shown]
	s_add_u32 s24, s24, 1
	s_addc_u32 s25, s25, 0
	s_cmp_eq_u32 s17, s24
	s_waitcnt vmcnt(0) lgkmcnt(0)
	v_cndmask_b32_e32 v8, v8, v35, vcc_lo
	v_cndmask_b32_e32 v7, v7, v34, vcc_lo
	v_cndmask_b32_e64 v6, v6, v35, s6
	v_cndmask_b32_e64 v5, v5, v34, s6
	;; [unrolled: 1-line block ×6, first 2 shown]
	s_cbranch_scc0 .LBB264_57
.LBB264_58:                             ;   in Loop: Header=BB264_44 Depth=1
	s_andn2_b32 vcc_lo, exec_lo, s14
	s_cbranch_vccnz .LBB264_61
; %bb.59:                               ;   in Loop: Header=BB264_44 Depth=1
	v_mov_b32_e32 v26, v18
	v_mov_b32_e32 v25, v17
	s_mov_b64 s[8:9], 0
	.p2align	6
.LBB264_60:                             ;   Parent Loop BB264_44 Depth=1
                                        ; =>  This Inner Loop Header: Depth=2
	flat_load_dwordx2 v[34:35], v[25:26]
	s_cmp_eq_u32 s8, 1
	s_cselect_b32 vcc_lo, -1, 0
	s_cmp_eq_u32 s8, 2
	v_cndmask_b32_e32 v0, v2, v4, vcc_lo
	v_cndmask_b32_e32 v22, v1, v3, vcc_lo
	s_cselect_b32 vcc_lo, -1, 0
	s_cmp_eq_u32 s8, 3
	v_cndmask_b32_e32 v0, v0, v6, vcc_lo
	v_cndmask_b32_e32 v22, v22, v5, vcc_lo
	s_cselect_b32 vcc_lo, -1, 0
	s_add_u32 s8, s8, 1
	s_addc_u32 s9, s9, 0
	v_cndmask_b32_e32 v37, v0, v8, vcc_lo
	v_cndmask_b32_e32 v36, v22, v7, vcc_lo
	v_add_co_u32 v25, vcc_lo, v25, 8
	v_add_co_ci_u32_e64 v26, null, 0, v26, vcc_lo
	s_cmp_lg_u32 s17, s8
	s_waitcnt vmcnt(0) lgkmcnt(0)
	v_fma_f64 v[23:24], v[36:37], v[34:35], v[23:24]
	s_cbranch_scc1 .LBB264_60
.LBB264_61:                             ;   in Loop: Header=BB264_44 Depth=1
	s_or_b32 exec_lo, exec_lo, s28
	s_or_b32 exec_lo, exec_lo, s27
	s_and_saveexec_b32 s6, s2
	s_cbranch_execnz .LBB264_47
	s_branch .LBB264_48
.LBB264_62:                             ;   in Loop: Header=BB264_44 Depth=1
	ds_read_b64 v[22:23], v27
	s_or_b32 exec_lo, exec_lo, s6
	s_and_saveexec_b32 s6, s2
	s_cbranch_execz .LBB264_52
.LBB264_63:                             ;   in Loop: Header=BB264_44 Depth=1
	s_waitcnt lgkmcnt(0)
	ds_bpermute_b32 v24, v30, v22
	ds_bpermute_b32 v25, v30, v23
	s_waitcnt lgkmcnt(0)
	v_add_f64 v[22:23], v[22:23], v[24:25]
	ds_bpermute_b32 v24, v31, v22
	ds_bpermute_b32 v25, v31, v23
	s_waitcnt lgkmcnt(0)
	v_add_f64 v[22:23], v[22:23], v[24:25]
	;; [unrolled: 4-line block ×3, first 2 shown]
	s_or_b32 exec_lo, exec_lo, s6
	s_and_saveexec_b32 s6, s5
	s_cbranch_execz .LBB264_43
.LBB264_64:                             ;   in Loop: Header=BB264_44 Depth=1
	s_waitcnt lgkmcnt(0)
	v_mul_f64 v[22:23], s[12:13], v[22:23]
	s_mul_hi_u32 s9, s7, s16
	s_mul_i32 s8, s7, s16
	s_lshl_b64 s[8:9], s[8:9], 3
	s_add_u32 s8, s10, s8
	s_addc_u32 s9, s26, s9
	global_store_dwordx2 v21, v[22:23], s[8:9]
	s_branch .LBB264_43
.LBB264_65:
	s_endpgm
	.section	.rodata,"a",@progbits
	.p2align	6, 0x0
	.amdhsa_kernel _ZL23rocblas_gemvt_sn_kernelILb0ELi256ELi4ElPKdddEviiT4_lPKT3_lilS5_lilPT5_i
		.amdhsa_group_segment_fixed_size 256
		.amdhsa_private_segment_fixed_size 0
		.amdhsa_kernarg_size 360
		.amdhsa_user_sgpr_count 6
		.amdhsa_user_sgpr_private_segment_buffer 1
		.amdhsa_user_sgpr_dispatch_ptr 0
		.amdhsa_user_sgpr_queue_ptr 0
		.amdhsa_user_sgpr_kernarg_segment_ptr 1
		.amdhsa_user_sgpr_dispatch_id 0
		.amdhsa_user_sgpr_flat_scratch_init 0
		.amdhsa_user_sgpr_private_segment_size 0
		.amdhsa_wavefront_size32 1
		.amdhsa_uses_dynamic_stack 0
		.amdhsa_system_sgpr_private_segment_wavefront_offset 0
		.amdhsa_system_sgpr_workgroup_id_x 1
		.amdhsa_system_sgpr_workgroup_id_y 0
		.amdhsa_system_sgpr_workgroup_id_z 1
		.amdhsa_system_sgpr_workgroup_info 0
		.amdhsa_system_vgpr_workitem_id 0
		.amdhsa_next_free_vgpr 73
		.amdhsa_next_free_sgpr 50
		.amdhsa_reserve_vcc 1
		.amdhsa_reserve_flat_scratch 1
		.amdhsa_float_round_mode_32 0
		.amdhsa_float_round_mode_16_64 0
		.amdhsa_float_denorm_mode_32 3
		.amdhsa_float_denorm_mode_16_64 3
		.amdhsa_dx10_clamp 1
		.amdhsa_ieee_mode 1
		.amdhsa_fp16_overflow 0
		.amdhsa_workgroup_processor_mode 1
		.amdhsa_memory_ordered 1
		.amdhsa_forward_progress 1
		.amdhsa_shared_vgpr_count 0
		.amdhsa_exception_fp_ieee_invalid_op 0
		.amdhsa_exception_fp_denorm_src 0
		.amdhsa_exception_fp_ieee_div_zero 0
		.amdhsa_exception_fp_ieee_overflow 0
		.amdhsa_exception_fp_ieee_underflow 0
		.amdhsa_exception_fp_ieee_inexact 0
		.amdhsa_exception_int_div_zero 0
	.end_amdhsa_kernel
	.section	.text._ZL23rocblas_gemvt_sn_kernelILb0ELi256ELi4ElPKdddEviiT4_lPKT3_lilS5_lilPT5_i,"axG",@progbits,_ZL23rocblas_gemvt_sn_kernelILb0ELi256ELi4ElPKdddEviiT4_lPKT3_lilS5_lilPT5_i,comdat
.Lfunc_end264:
	.size	_ZL23rocblas_gemvt_sn_kernelILb0ELi256ELi4ElPKdddEviiT4_lPKT3_lilS5_lilPT5_i, .Lfunc_end264-_ZL23rocblas_gemvt_sn_kernelILb0ELi256ELi4ElPKdddEviiT4_lPKT3_lilS5_lilPT5_i
                                        ; -- End function
	.set _ZL23rocblas_gemvt_sn_kernelILb0ELi256ELi4ElPKdddEviiT4_lPKT3_lilS5_lilPT5_i.num_vgpr, 73
	.set _ZL23rocblas_gemvt_sn_kernelILb0ELi256ELi4ElPKdddEviiT4_lPKT3_lilS5_lilPT5_i.num_agpr, 0
	.set _ZL23rocblas_gemvt_sn_kernelILb0ELi256ELi4ElPKdddEviiT4_lPKT3_lilS5_lilPT5_i.numbered_sgpr, 50
	.set _ZL23rocblas_gemvt_sn_kernelILb0ELi256ELi4ElPKdddEviiT4_lPKT3_lilS5_lilPT5_i.num_named_barrier, 0
	.set _ZL23rocblas_gemvt_sn_kernelILb0ELi256ELi4ElPKdddEviiT4_lPKT3_lilS5_lilPT5_i.private_seg_size, 0
	.set _ZL23rocblas_gemvt_sn_kernelILb0ELi256ELi4ElPKdddEviiT4_lPKT3_lilS5_lilPT5_i.uses_vcc, 1
	.set _ZL23rocblas_gemvt_sn_kernelILb0ELi256ELi4ElPKdddEviiT4_lPKT3_lilS5_lilPT5_i.uses_flat_scratch, 1
	.set _ZL23rocblas_gemvt_sn_kernelILb0ELi256ELi4ElPKdddEviiT4_lPKT3_lilS5_lilPT5_i.has_dyn_sized_stack, 0
	.set _ZL23rocblas_gemvt_sn_kernelILb0ELi256ELi4ElPKdddEviiT4_lPKT3_lilS5_lilPT5_i.has_recursion, 0
	.set _ZL23rocblas_gemvt_sn_kernelILb0ELi256ELi4ElPKdddEviiT4_lPKT3_lilS5_lilPT5_i.has_indirect_call, 0
	.section	.AMDGPU.csdata,"",@progbits
; Kernel info:
; codeLenInByte = 4064
; TotalNumSgprs: 52
; NumVgprs: 73
; ScratchSize: 0
; MemoryBound: 1
; FloatMode: 240
; IeeeMode: 1
; LDSByteSize: 256 bytes/workgroup (compile time only)
; SGPRBlocks: 0
; VGPRBlocks: 9
; NumSGPRsForWavesPerEU: 52
; NumVGPRsForWavesPerEU: 73
; Occupancy: 12
; WaveLimiterHint : 0
; COMPUTE_PGM_RSRC2:SCRATCH_EN: 0
; COMPUTE_PGM_RSRC2:USER_SGPR: 6
; COMPUTE_PGM_RSRC2:TRAP_HANDLER: 0
; COMPUTE_PGM_RSRC2:TGID_X_EN: 1
; COMPUTE_PGM_RSRC2:TGID_Y_EN: 0
; COMPUTE_PGM_RSRC2:TGID_Z_EN: 1
; COMPUTE_PGM_RSRC2:TIDIG_COMP_CNT: 0
	.section	.text._ZL23rocblas_gemvt_sn_reduceILi256ELi8EddKPdEviT2_lPT3_lilPT1_i,"axG",@progbits,_ZL23rocblas_gemvt_sn_reduceILi256ELi8EddKPdEviT2_lPT3_lilPT1_i,comdat
	.globl	_ZL23rocblas_gemvt_sn_reduceILi256ELi8EddKPdEviT2_lPT3_lilPT1_i ; -- Begin function _ZL23rocblas_gemvt_sn_reduceILi256ELi8EddKPdEviT2_lPT3_lilPT1_i
	.p2align	8
	.type	_ZL23rocblas_gemvt_sn_reduceILi256ELi8EddKPdEviT2_lPT3_lilPT1_i,@function
_ZL23rocblas_gemvt_sn_reduceILi256ELi8EddKPdEviT2_lPT3_lilPT1_i: ; @_ZL23rocblas_gemvt_sn_reduceILi256ELi8EddKPdEviT2_lPT3_lilPT1_i
; %bb.0:
	s_clause 0x2
	s_load_dword s6, s[4:5], 0x0
	s_load_dwordx4 s[0:3], s[4:5], 0x18
	s_load_dword s14, s[4:5], 0x4c
	s_mov_b32 s9, 0
	v_mov_b32_e32 v1, 0
	s_lshl_b64 s[10:11], s[8:9], 3
	v_lshlrev_b32_e32 v5, 3, v0
	v_mov_b32_e32 v2, 0
	s_waitcnt lgkmcnt(0)
	s_ashr_i32 s15, s6, 31
	s_add_u32 s0, s0, s10
	s_addc_u32 s1, s1, s11
	s_load_dwordx2 s[12:13], s[4:5], 0x38
	s_load_dwordx2 s[10:11], s[0:1], 0x0
	s_mul_i32 s8, s14, s8
	s_add_u32 s0, s4, 0x48
	s_addc_u32 s1, s5, 0
	s_add_i32 s14, s8, s7
	s_lshr_b32 s8, s15, 29
	s_mul_i32 s16, s14, s15
	s_add_i32 s8, s6, s8
	s_mul_hi_u32 s15, s14, s6
	s_and_b32 s8, s8, -8
	s_add_i32 s15, s15, s16
	s_mul_i32 s14, s14, s6
	s_mov_b32 s16, exec_lo
	v_cmpx_gt_i32_e64 s8, v5
	s_cbranch_execz .LBB265_4
; %bb.1:
	s_load_dword s0, s[0:1], 0xc
	v_lshlrev_b32_e32 v1, 6, v0
	s_lshl_b64 s[18:19], s[14:15], 3
	s_waitcnt lgkmcnt(0)
	s_and_b32 s0, s0, 0xffff
	s_lshl_b32 s1, s0, 3
	s_add_u32 s17, s12, s18
	s_addc_u32 s18, s13, s19
	v_add_co_u32 v3, s17, s17, v1
	v_add_co_ci_u32_e64 v4, null, s18, 0, s17
	v_mov_b32_e32 v1, 0
	v_add_co_u32 v3, vcc_lo, v3, 56
	v_mov_b32_e32 v2, 0
	v_add_co_ci_u32_e64 v4, null, 0, v4, vcc_lo
	s_lshl_b32 s17, s0, 6
	s_inst_prefetch 0x1
	.p2align	6
.LBB265_2:                              ; =>This Inner Loop Header: Depth=1
	s_clause 0x3
	global_load_dwordx4 v[6:9], v[3:4], off offset:-56
	global_load_dwordx4 v[10:13], v[3:4], off offset:-40
	;; [unrolled: 1-line block ×4, first 2 shown]
	v_add_nc_u32_e32 v5, s1, v5
	v_add_co_u32 v3, s0, v3, s17
	v_add_co_ci_u32_e64 v4, null, 0, v4, s0
	v_cmp_le_i32_e32 vcc_lo, s8, v5
	s_or_b32 s9, vcc_lo, s9
	s_waitcnt vmcnt(3)
	v_add_f64 v[1:2], v[1:2], v[6:7]
	v_add_f64 v[1:2], v[1:2], v[8:9]
	s_waitcnt vmcnt(2)
	v_add_f64 v[1:2], v[1:2], v[10:11]
	v_add_f64 v[1:2], v[1:2], v[12:13]
	;; [unrolled: 3-line block ×4, first 2 shown]
	s_andn2_b32 exec_lo, exec_lo, s9
	s_cbranch_execnz .LBB265_2
; %bb.3:
	s_inst_prefetch 0x2
	s_or_b32 exec_lo, exec_lo, s9
.LBB265_4:
	s_or_b32 exec_lo, exec_lo, s16
	s_sub_i32 s0, s6, s8
	v_cmp_gt_u32_e32 vcc_lo, s0, v0
	s_and_saveexec_b32 s0, vcc_lo
	s_cbranch_execz .LBB265_6
; %bb.5:
	v_xad_u32 v3, v0, -1, s6
	v_mov_b32_e32 v4, 0
	s_lshl_b64 s[8:9], s[14:15], 3
	s_waitcnt lgkmcnt(0)
	s_add_u32 s1, s12, s8
	s_addc_u32 s6, s13, s9
	v_lshlrev_b64 v[3:4], 3, v[3:4]
	v_add_co_u32 v3, vcc_lo, s1, v3
	v_add_co_ci_u32_e64 v4, null, s6, v4, vcc_lo
	global_load_dwordx2 v[3:4], v[3:4], off
	s_waitcnt vmcnt(0)
	v_add_f64 v[1:2], v[1:2], v[3:4]
.LBB265_6:
	s_or_b32 exec_lo, exec_lo, s0
	v_and_b32_e32 v9, 31, v0
	v_cmp_gt_u32_e32 vcc_lo, 32, v0
	v_lshlrev_b32_e32 v5, 3, v9
	s_and_saveexec_b32 s0, vcc_lo
; %bb.7:
	v_mov_b32_e32 v3, 0
	v_mov_b32_e32 v4, v3
	ds_write_b64 v5, v[3:4]
; %bb.8:
	s_or_b32 exec_lo, exec_lo, s0
	v_mbcnt_lo_u32_b32 v8, -1, 0
	s_mov_b32 s1, exec_lo
	s_waitcnt lgkmcnt(0)
	s_barrier
	buffer_gl0_inv
	v_lshl_or_b32 v4, v8, 2, 64
	v_cmp_gt_u32_e64 s0, 24, v8
	ds_bpermute_b32 v3, v4, v1
	ds_bpermute_b32 v4, v4, v2
	s_waitcnt lgkmcnt(0)
	v_add_f64 v[1:2], v[1:2], v[3:4]
	v_cndmask_b32_e64 v3, 0, 8, s0
	v_cmp_gt_u32_e64 s0, 28, v8
	v_add_lshl_u32 v4, v3, v8, 2
	ds_bpermute_b32 v3, v4, v1
	ds_bpermute_b32 v4, v4, v2
	s_waitcnt lgkmcnt(0)
	v_add_f64 v[1:2], v[1:2], v[3:4]
	v_cndmask_b32_e64 v3, 0, 4, s0
	v_cmp_gt_u32_e64 s0, 30, v8
	v_add_lshl_u32 v6, v3, v8, 2
	ds_bpermute_b32 v3, v6, v1
	ds_bpermute_b32 v4, v6, v2
	s_waitcnt lgkmcnt(0)
	v_add_f64 v[1:2], v[1:2], v[3:4]
	v_cndmask_b32_e64 v3, 0, 2, s0
	v_cmp_ne_u32_e64 s0, 31, v8
	v_add_lshl_u32 v7, v3, v8, 2
	ds_bpermute_b32 v3, v7, v1
	ds_bpermute_b32 v4, v7, v2
	s_waitcnt lgkmcnt(0)
	v_add_f64 v[1:2], v[1:2], v[3:4]
	v_add_co_ci_u32_e64 v3, null, 0, v8, s0
	v_lshlrev_b32_e32 v8, 2, v3
	ds_bpermute_b32 v3, v8, v1
	ds_bpermute_b32 v4, v8, v2
	v_cmpx_eq_u32_e32 0, v9
	s_cbranch_execz .LBB265_10
; %bb.9:
	s_waitcnt lgkmcnt(0)
	v_add_f64 v[1:2], v[1:2], v[3:4]
	v_lshrrev_b32_e32 v3, 2, v0
	v_and_b32_e32 v3, 56, v3
	ds_write_b64 v3, v[1:2]
.LBB265_10:
	s_or_b32 exec_lo, exec_lo, s1
	v_mov_b32_e32 v1, 0
	v_mov_b32_e32 v2, 0
	s_mov_b32 s1, exec_lo
	s_waitcnt lgkmcnt(0)
	s_barrier
	buffer_gl0_inv
	v_cmpx_gt_u32_e32 8, v0
; %bb.11:
	ds_read_b64 v[1:2], v5
; %bb.12:
	s_or_b32 exec_lo, exec_lo, s1
	s_and_saveexec_b32 s0, vcc_lo
	s_cbranch_execz .LBB265_14
; %bb.13:
	s_waitcnt lgkmcnt(0)
	ds_bpermute_b32 v3, v6, v1
	ds_bpermute_b32 v4, v6, v2
	s_waitcnt lgkmcnt(0)
	v_add_f64 v[1:2], v[1:2], v[3:4]
	ds_bpermute_b32 v3, v7, v1
	ds_bpermute_b32 v4, v7, v2
	s_waitcnt lgkmcnt(0)
	v_add_f64 v[1:2], v[1:2], v[3:4]
	;; [unrolled: 4-line block ×3, first 2 shown]
.LBB265_14:
	s_or_b32 exec_lo, exec_lo, s0
	s_mov_b32 s0, exec_lo
	v_cmpx_eq_u32_e32 0, v0
	s_cbranch_execz .LBB265_18
; %bb.15:
	s_clause 0x1
	s_load_dwordx2 s[0:1], s[4:5], 0x8
	s_load_dword s6, s[4:5], 0x28
	s_lshl_b64 s[2:3], s[2:3], 3
	s_waitcnt lgkmcnt(0)
	v_cmp_eq_f64_e64 s8, s[0:1], 0
	s_ashr_i32 s5, s6, 31
	s_add_u32 s4, s10, s2
	s_mul_hi_u32 s2, s6, s7
	s_mul_i32 s9, s5, s7
	s_addc_u32 s5, s11, s3
	s_add_i32 s3, s2, s9
	s_mul_i32 s2, s6, s7
	s_and_b32 vcc_lo, exec_lo, s8
	s_cbranch_vccnz .LBB265_17
; %bb.16:
	s_lshl_b64 s[6:7], s[2:3], 3
	s_add_u32 s6, s4, s6
	s_addc_u32 s7, s5, s7
	v_mov_b32_e32 v3, s6
	v_mov_b32_e32 v4, s7
	flat_load_dwordx2 v[3:4], v[3:4]
	s_waitcnt vmcnt(0) lgkmcnt(0)
	v_fma_f64 v[1:2], s[0:1], v[3:4], v[1:2]
.LBB265_17:
	s_lshl_b64 s[0:1], s[2:3], 3
	s_add_u32 s0, s4, s0
	s_addc_u32 s1, s5, s1
	v_mov_b32_e32 v4, s1
	v_mov_b32_e32 v3, s0
	flat_store_dwordx2 v[3:4], v[1:2]
.LBB265_18:
	s_endpgm
	.section	.rodata,"a",@progbits
	.p2align	6, 0x0
	.amdhsa_kernel _ZL23rocblas_gemvt_sn_reduceILi256ELi8EddKPdEviT2_lPT3_lilPT1_i
		.amdhsa_group_segment_fixed_size 256
		.amdhsa_private_segment_fixed_size 0
		.amdhsa_kernarg_size 328
		.amdhsa_user_sgpr_count 6
		.amdhsa_user_sgpr_private_segment_buffer 1
		.amdhsa_user_sgpr_dispatch_ptr 0
		.amdhsa_user_sgpr_queue_ptr 0
		.amdhsa_user_sgpr_kernarg_segment_ptr 1
		.amdhsa_user_sgpr_dispatch_id 0
		.amdhsa_user_sgpr_flat_scratch_init 0
		.amdhsa_user_sgpr_private_segment_size 0
		.amdhsa_wavefront_size32 1
		.amdhsa_uses_dynamic_stack 0
		.amdhsa_system_sgpr_private_segment_wavefront_offset 0
		.amdhsa_system_sgpr_workgroup_id_x 1
		.amdhsa_system_sgpr_workgroup_id_y 1
		.amdhsa_system_sgpr_workgroup_id_z 1
		.amdhsa_system_sgpr_workgroup_info 0
		.amdhsa_system_vgpr_workitem_id 0
		.amdhsa_next_free_vgpr 22
		.amdhsa_next_free_sgpr 20
		.amdhsa_reserve_vcc 1
		.amdhsa_reserve_flat_scratch 0
		.amdhsa_float_round_mode_32 0
		.amdhsa_float_round_mode_16_64 0
		.amdhsa_float_denorm_mode_32 3
		.amdhsa_float_denorm_mode_16_64 3
		.amdhsa_dx10_clamp 1
		.amdhsa_ieee_mode 1
		.amdhsa_fp16_overflow 0
		.amdhsa_workgroup_processor_mode 1
		.amdhsa_memory_ordered 1
		.amdhsa_forward_progress 1
		.amdhsa_shared_vgpr_count 0
		.amdhsa_exception_fp_ieee_invalid_op 0
		.amdhsa_exception_fp_denorm_src 0
		.amdhsa_exception_fp_ieee_div_zero 0
		.amdhsa_exception_fp_ieee_overflow 0
		.amdhsa_exception_fp_ieee_underflow 0
		.amdhsa_exception_fp_ieee_inexact 0
		.amdhsa_exception_int_div_zero 0
	.end_amdhsa_kernel
	.section	.text._ZL23rocblas_gemvt_sn_reduceILi256ELi8EddKPdEviT2_lPT3_lilPT1_i,"axG",@progbits,_ZL23rocblas_gemvt_sn_reduceILi256ELi8EddKPdEviT2_lPT3_lilPT1_i,comdat
.Lfunc_end265:
	.size	_ZL23rocblas_gemvt_sn_reduceILi256ELi8EddKPdEviT2_lPT3_lilPT1_i, .Lfunc_end265-_ZL23rocblas_gemvt_sn_reduceILi256ELi8EddKPdEviT2_lPT3_lilPT1_i
                                        ; -- End function
	.set _ZL23rocblas_gemvt_sn_reduceILi256ELi8EddKPdEviT2_lPT3_lilPT1_i.num_vgpr, 22
	.set _ZL23rocblas_gemvt_sn_reduceILi256ELi8EddKPdEviT2_lPT3_lilPT1_i.num_agpr, 0
	.set _ZL23rocblas_gemvt_sn_reduceILi256ELi8EddKPdEviT2_lPT3_lilPT1_i.numbered_sgpr, 20
	.set _ZL23rocblas_gemvt_sn_reduceILi256ELi8EddKPdEviT2_lPT3_lilPT1_i.num_named_barrier, 0
	.set _ZL23rocblas_gemvt_sn_reduceILi256ELi8EddKPdEviT2_lPT3_lilPT1_i.private_seg_size, 0
	.set _ZL23rocblas_gemvt_sn_reduceILi256ELi8EddKPdEviT2_lPT3_lilPT1_i.uses_vcc, 1
	.set _ZL23rocblas_gemvt_sn_reduceILi256ELi8EddKPdEviT2_lPT3_lilPT1_i.uses_flat_scratch, 0
	.set _ZL23rocblas_gemvt_sn_reduceILi256ELi8EddKPdEviT2_lPT3_lilPT1_i.has_dyn_sized_stack, 0
	.set _ZL23rocblas_gemvt_sn_reduceILi256ELi8EddKPdEviT2_lPT3_lilPT1_i.has_recursion, 0
	.set _ZL23rocblas_gemvt_sn_reduceILi256ELi8EddKPdEviT2_lPT3_lilPT1_i.has_indirect_call, 0
	.section	.AMDGPU.csdata,"",@progbits
; Kernel info:
; codeLenInByte = 1144
; TotalNumSgprs: 22
; NumVgprs: 22
; ScratchSize: 0
; MemoryBound: 1
; FloatMode: 240
; IeeeMode: 1
; LDSByteSize: 256 bytes/workgroup (compile time only)
; SGPRBlocks: 0
; VGPRBlocks: 2
; NumSGPRsForWavesPerEU: 22
; NumVGPRsForWavesPerEU: 22
; Occupancy: 16
; WaveLimiterHint : 1
; COMPUTE_PGM_RSRC2:SCRATCH_EN: 0
; COMPUTE_PGM_RSRC2:USER_SGPR: 6
; COMPUTE_PGM_RSRC2:TRAP_HANDLER: 0
; COMPUTE_PGM_RSRC2:TGID_X_EN: 1
; COMPUTE_PGM_RSRC2:TGID_Y_EN: 1
; COMPUTE_PGM_RSRC2:TGID_Z_EN: 1
; COMPUTE_PGM_RSRC2:TIDIG_COMP_CNT: 0
	.section	.text._ZL36rocblas_gemvt_double_buffered_kernelILb0ELi128ELi4ELi16EPKdS1_KPdEviiT4_lPKT3_lilS7_lilPT5_lili,"axG",@progbits,_ZL36rocblas_gemvt_double_buffered_kernelILb0ELi128ELi4ELi16EPKdS1_KPdEviiT4_lPKT3_lilS7_lilPT5_lili,comdat
	.globl	_ZL36rocblas_gemvt_double_buffered_kernelILb0ELi128ELi4ELi16EPKdS1_KPdEviiT4_lPKT3_lilS7_lilPT5_lili ; -- Begin function _ZL36rocblas_gemvt_double_buffered_kernelILb0ELi128ELi4ELi16EPKdS1_KPdEviiT4_lPKT3_lilS7_lilPT5_lili
	.p2align	8
	.type	_ZL36rocblas_gemvt_double_buffered_kernelILb0ELi128ELi4ELi16EPKdS1_KPdEviiT4_lPKT3_lilS7_lilPT5_lili,@function
_ZL36rocblas_gemvt_double_buffered_kernelILb0ELi128ELi4ELi16EPKdS1_KPdEviiT4_lPKT3_lilS7_lilPT5_lili: ; @_ZL36rocblas_gemvt_double_buffered_kernelILb0ELi128ELi4ELi16EPKdS1_KPdEviiT4_lPKT3_lilS7_lilPT5_lili
; %bb.0:
	s_load_dwordx8 s[12:19], s[4:5], 0x8
	s_waitcnt lgkmcnt(0)
	s_mul_i32 s0, s15, s8
	s_mul_hi_u32 s1, s14, s8
	s_add_i32 s1, s1, s0
	s_mul_i32 s0, s14, s8
	s_lshl_b64 s[0:1], s[0:1], 3
	s_add_u32 s0, s12, s0
	s_addc_u32 s1, s13, s1
	s_load_dwordx2 s[10:11], s[0:1], 0x0
	s_waitcnt lgkmcnt(0)
	v_cmp_eq_f64_e64 s0, s[10:11], 0
	s_and_b32 vcc_lo, exec_lo, s0
	s_cbranch_vccnz .LBB266_12
; %bb.1:
	s_clause 0x1
	s_load_dword s0, s[4:5], 0x84
	s_load_dword s1, s[4:5], 0x0
	s_waitcnt lgkmcnt(0)
	v_cvt_f32_u32_e32 v2, s0
	s_ashr_i32 s3, s1, 31
	s_sub_i32 s9, 0, s0
	s_lshr_b32 s3, s3, 25
	s_add_i32 s1, s1, s3
	v_rcp_iflag_f32_e32 v2, v2
	s_ashr_i32 s1, s1, 7
	v_mul_f32_e32 v2, 0x4f7ffffe, v2
	v_cvt_u32_f32_e32 v2, v2
	v_readfirstlane_b32 s2, v2
	s_mul_i32 s9, s9, s2
	s_mul_hi_u32 s3, s2, s9
	s_add_i32 s2, s2, s3
	s_mul_hi_u32 s2, s1, s2
	s_mul_i32 s3, s2, s0
	s_add_i32 s9, s2, 1
	s_sub_i32 s3, s1, s3
	s_sub_i32 s12, s3, s0
	s_cmp_ge_u32 s3, s0
	s_cselect_b32 s2, s9, s2
	s_cselect_b32 s3, s12, s3
	s_add_i32 s9, s2, 1
	s_cmp_ge_u32 s3, s0
	s_cselect_b32 s20, s9, s2
	s_mov_b32 s9, 0
	s_mul_i32 s0, s20, s0
	s_sub_i32 s21, s1, s0
	s_cmp_lt_u32 s7, s21
	s_cselect_b32 s0, -1, 0
	s_cmp_lg_u32 s0, 0
	s_addc_u32 s24, s20, 0
	s_cmp_eq_u32 s24, 0
	s_cbranch_scc1 .LBB266_12
; %bb.2:
	s_load_dwordx4 s[0:3], s[4:5], 0x58
	s_lshl_b64 s[14:15], s[8:9], 3
	v_lshl_add_u32 v35, v1, 7, v0
	v_and_b32_e32 v2, 63, v0
	v_lshrrev_b32_e32 v141, 2, v35
	v_lshlrev_b32_e32 v142, 3, v2
	v_and_b32_e32 v143, 0x7ff0, v141
	s_waitcnt lgkmcnt(0)
	s_add_u32 s0, s0, s14
	s_addc_u32 s1, s1, s15
	s_lshl_b32 s12, s6, 7
	s_load_dwordx2 s[8:9], s[0:1], 0x0
	s_ashr_i32 s13, s12, 31
	s_cmp_lt_i32 s24, 1
	s_cbranch_scc1 .LBB266_8
; %bb.3:
	v_cvt_f64_i32_e32 v[3:4], s7
	v_cvt_f64_u32_e32 v[5:6], s21
	s_mul_i32 s20, s20, s7
	s_clause 0x1
	s_load_dword s0, s[4:5], 0x28
	s_load_dwordx4 s[28:31], s[4:5], 0x38
	v_cvt_f64_u32_e32 v[7:8], s20
	s_load_dword s20, s[4:5], 0x48
	v_lshlrev_b32_e32 v67, 1, v35
	v_mov_b32_e32 v35, 0
	v_mov_b32_e32 v63, 0
	;; [unrolled: 1-line block ×4, first 2 shown]
	v_and_b32_e32 v69, 0x3ff80, v67
	v_mov_b32_e32 v55, 0
	v_mov_b32_e32 v57, 0
	v_mov_b32_e32 v51, 0
	v_mov_b32_e32 v53, 0
	v_mov_b32_e32 v47, 0
	v_mov_b32_e32 v49, 0
	v_mov_b32_e32 v43, 0
	v_mov_b32_e32 v45, 0
	v_mov_b32_e32 v39, 0
	v_mov_b32_e32 v41, 0
	s_waitcnt lgkmcnt(0)
	s_ashr_i32 s1, s0, 31
	v_min_f64 v[3:4], v[3:4], v[5:6]
	s_add_u32 s6, s16, s14
	s_addc_u32 s7, s17, s15
	s_add_u32 s14, s28, s14
	s_load_dwordx2 s[16:17], s[6:7], 0x0
	s_addc_u32 s15, s29, s15
	s_lshl_b64 s[18:19], s[18:19], 3
	s_load_dwordx2 s[6:7], s[14:15], 0x0
	s_ashr_i32 s21, s20, 31
	s_mul_hi_i32 s15, s0, s12
	s_mul_i32 s14, s0, s12
	v_mov_b32_e32 v37, 0
	v_mov_b32_e32 v65, 0
	;; [unrolled: 1-line block ×11, first 2 shown]
	v_add_f64 v[3:4], v[3:4], v[7:8]
	v_mov_b32_e32 v50, 0
	s_waitcnt lgkmcnt(0)
	s_add_u32 s27, s16, s18
	s_addc_u32 s28, s17, s19
	s_lshl_b64 s[22:23], s[30:31], 3
	v_mov_b32_e32 v44, 0
	s_add_u32 s25, s6, s22
	s_addc_u32 s26, s7, s23
	s_lshl_b64 s[6:7], s[14:15], 3
	v_mov_b32_e32 v46, 0
	s_add_u32 s14, s27, s6
	s_addc_u32 s15, s28, s7
	v_mov_b32_e32 v40, 0
	v_mov_b32_e32 v42, 0
	v_mov_b32_e32 v38, 0
	v_mov_b32_e32 v66, 0
	v_cvt_i32_f64_e32 v5, v[3:4]
	v_mov_b32_e32 v3, 0
	v_mad_i64_i32 v[3:4], null, s0, v143, v[2:3]
	v_lshlrev_b64 v[3:4], 3, v[3:4]
	v_readfirstlane_b32 s22, v5
	s_lshl_b32 s6, s22, 7
	s_ashr_i32 s7, s6, 31
	s_lshl_b64 s[22:23], s[6:7], 3
	s_add_u32 s6, s14, s22
	s_addc_u32 s7, s15, s23
	v_add_co_u32 v3, vcc_lo, s6, v3
	v_add_co_ci_u32_e64 v4, null, s7, v4, vcc_lo
	s_lshl_b64 s[6:7], s[0:1], 3
	v_or_b32_e32 v67, s22, v142
	s_sub_u32 s14, 0, s6
	v_mad_i64_i32 v[33:34], null, 0x78, s0, v[3:4]
	s_subb_u32 s15, 0, s7
	s_lshl_b64 s[28:29], s[12:13], 3
	s_add_i32 s27, s24, -1
	v_or_b32_e32 v70, 0x200, v67
	v_mul_lo_u32 v73, v67, s21
	v_mad_u64_u32 v[67:68], null, v67, s20, 0
	v_add_co_u32 v5, vcc_lo, v33, s14
	v_add_co_ci_u32_e64 v6, null, s15, v34, vcc_lo
	s_mul_i32 s30, s23, s20
	v_add_co_u32 v7, vcc_lo, v5, s14
	v_add_co_ci_u32_e64 v8, null, s15, v6, vcc_lo
	v_add3_u32 v68, v68, v73, s30
	v_add_co_u32 v9, vcc_lo, v7, s14
	v_add_co_ci_u32_e64 v10, null, s15, v8, vcc_lo
	s_clause 0x2
	flat_load_dwordx2 v[3:4], v[3:4]
	flat_load_dwordx2 v[5:6], v[5:6]
	;; [unrolled: 1-line block ×3, first 2 shown]
	v_add_co_u32 v11, vcc_lo, v9, s14
	v_add_co_ci_u32_e64 v12, null, s15, v10, vcc_lo
	v_mul_lo_u32 v103, v70, s21
	v_add_co_u32 v13, vcc_lo, v11, s14
	v_add_co_ci_u32_e64 v14, null, s15, v12, vcc_lo
	v_add_co_u32 v15, vcc_lo, v13, s14
	v_add_co_ci_u32_e64 v16, null, s15, v14, vcc_lo
	s_clause 0x2
	flat_load_dwordx2 v[9:10], v[9:10]
	flat_load_dwordx2 v[11:12], v[11:12]
	;; [unrolled: 1-line block ×3, first 2 shown]
	v_add_co_u32 v17, vcc_lo, v15, s14
	v_add_co_ci_u32_e64 v18, null, s15, v16, vcc_lo
	flat_load_dwordx2 v[15:16], v[15:16]
	v_add_co_u32 v19, vcc_lo, v17, s14
	v_add_co_ci_u32_e64 v20, null, s15, v18, vcc_lo
	flat_load_dwordx2 v[17:18], v[17:18]
	;; [unrolled: 3-line block ×4, first 2 shown]
	v_add_co_u32 v25, vcc_lo, v23, s14
	v_add_co_ci_u32_e64 v26, null, s15, v24, vcc_lo
	v_add_co_u32 v27, vcc_lo, v25, s14
	v_add_co_ci_u32_e64 v28, null, s15, v26, vcc_lo
	;; [unrolled: 2-line block ×4, first 2 shown]
	flat_load_dwordx2 v[23:24], v[23:24]
	flat_load_dwordx2 v[25:26], v[25:26]
	;; [unrolled: 1-line block ×6, first 2 shown]
	s_lshl_b64 s[14:15], s[20:21], 10
	s_add_u32 s13, s16, s22
	v_add_co_u32 v74, s16, v69, s28
	v_add_co_ci_u32_e64 v75, null, 0, s29, s16
	s_addc_u32 s17, s17, s23
	v_add_co_u32 v76, vcc_lo, v74, 8
	v_add_co_ci_u32_e64 v77, null, 0, v75, vcc_lo
	v_add_co_u32 v78, vcc_lo, v74, 16
	v_add_co_ci_u32_e64 v79, null, 0, v75, vcc_lo
	;; [unrolled: 2-line block ×12, first 2 shown]
	v_add_co_u32 v100, vcc_lo, 0x68, v74
	s_add_u32 s16, s13, s18
	s_addc_u32 s17, s17, s19
	v_add_co_ci_u32_e64 v101, null, 0, v75, vcc_lo
	v_add_co_u32 v102, vcc_lo, 0x70, v74
	v_mad_u64_u32 v[71:72], null, v74, s0, s[16:17]
	v_mul_lo_u32 v104, v74, s1
	v_add_co_ci_u32_e64 v106, null, 0, v75, vcc_lo
	v_add_co_u32 v107, vcc_lo, 0x78, v74
	v_mad_u64_u32 v[73:74], null, v76, s0, s[16:17]
	v_mul_lo_u32 v109, v76, s1
	v_mul_lo_u32 v110, v77, s0
	;; [unrolled: 1-line block ×3, first 2 shown]
	v_add_co_ci_u32_e64 v108, null, 0, v75, vcc_lo
	v_mad_u64_u32 v[75:76], null, v78, s0, s[16:17]
	v_mul_lo_u32 v111, v78, s1
	v_mul_lo_u32 v112, v79, s0
	v_mad_u64_u32 v[77:78], null, v80, s0, s[16:17]
	v_mul_lo_u32 v113, v80, s1
	v_mul_lo_u32 v114, v81, s0
	;; [unrolled: 3-line block ×4, first 2 shown]
	v_add3_u32 v74, v110, v74, v109
	v_mad_u64_u32 v[83:84], null, v86, s0, s[16:17]
	v_mul_lo_u32 v119, v86, s1
	v_mul_lo_u32 v120, v87, s0
	v_add3_u32 v76, v112, v76, v111
	v_add_co_u32 v144, vcc_lo, 0x400, v73
	v_mad_u64_u32 v[85:86], null, v88, s0, s[16:17]
	v_mul_lo_u32 v121, v88, s1
	v_mul_lo_u32 v122, v89, s0
	v_add3_u32 v78, v114, v78, v113
	v_add_co_ci_u32_e64 v145, null, 0, v74, vcc_lo
	v_add_co_u32 v146, vcc_lo, 0x400, v75
	v_mad_u64_u32 v[87:88], null, v90, s0, s[16:17]
	v_mul_lo_u32 v123, v90, s1
	v_mul_lo_u32 v124, v91, s0
	v_add3_u32 v80, v116, v80, v115
	v_add_co_ci_u32_e64 v147, null, 0, v76, vcc_lo
	;; [unrolled: 6-line block ×9, first 2 shown]
	v_add_co_u32 v162, vcc_lo, 0x400, v91
	v_add3_u32 v96, v132, v96, v131
	v_add_co_ci_u32_e64 v163, null, 0, v92, vcc_lo
	v_add_co_u32 v164, vcc_lo, 0x400, v93
	v_add3_u32 v98, v134, v98, v133
	v_mad_u64_u32 v[69:70], null, v70, s20, 0
	v_add_co_ci_u32_e64 v165, null, 0, v94, vcc_lo
	v_add_co_u32 v166, vcc_lo, 0x400, v95
	v_add3_u32 v100, v106, v100, v135
	v_add_co_ci_u32_e64 v167, null, 0, v96, vcc_lo
	v_add_co_u32 v168, vcc_lo, 0x400, v97
	v_add3_u32 v102, v108, v102, v107
	v_add_co_ci_u32_e64 v169, null, 0, v98, vcc_lo
	v_add_co_u32 v170, vcc_lo, 0x400, v99
	v_add_co_ci_u32_e64 v171, null, 0, v100, vcc_lo
	v_add_co_u32 v172, vcc_lo, 0x400, v101
	v_add3_u32 v70, v70, v103, s30
	v_add3_u32 v72, v105, v72, v104
	v_add_co_ci_u32_e64 v173, null, 0, v102, vcc_lo
	s_mov_b32 s1, 0
	s_waitcnt vmcnt(15) lgkmcnt(15)
	v_mov_b32_e32 v74, v4
	s_waitcnt vmcnt(14) lgkmcnt(14)
	v_mov_b32_e32 v102, v6
	;; [unrolled: 2-line block ×3, first 2 shown]
	v_mov_b32_e32 v73, v3
	v_mov_b32_e32 v101, v5
	;; [unrolled: 1-line block ×3, first 2 shown]
	s_waitcnt vmcnt(12) lgkmcnt(12)
	v_mov_b32_e32 v98, v10
	s_waitcnt vmcnt(11) lgkmcnt(11)
	v_mov_b32_e32 v96, v12
	;; [unrolled: 2-line block ×3, first 2 shown]
	v_mov_b32_e32 v97, v9
	v_mov_b32_e32 v95, v11
	;; [unrolled: 1-line block ×3, first 2 shown]
	s_waitcnt vmcnt(9) lgkmcnt(9)
	v_mov_b32_e32 v92, v16
	v_mov_b32_e32 v91, v15
	s_waitcnt vmcnt(8) lgkmcnt(8)
	v_mov_b32_e32 v90, v18
	v_mov_b32_e32 v89, v17
	;; [unrolled: 3-line block ×4, first 2 shown]
	s_waitcnt vmcnt(5) lgkmcnt(5)
	v_mov_b32_e32 v84, v24
	s_waitcnt vmcnt(4) lgkmcnt(4)
	v_mov_b32_e32 v82, v26
	;; [unrolled: 2-line block ×6, first 2 shown]
	v_mov_b32_e32 v83, v23
	v_mov_b32_e32 v81, v25
	;; [unrolled: 1-line block ×6, first 2 shown]
.LBB266_4:                              ; =>This Inner Loop Header: Depth=1
	v_add_co_u32 v139, vcc_lo, v71, v142
	v_add_co_ci_u32_e64 v140, null, 0, v72, vcc_lo
	s_cmp_lg_u32 s27, s1
	v_add_co_u32 v105, vcc_lo, 0x200, v139
	v_add_co_ci_u32_e64 v106, null, 0, v140, vcc_lo
	v_add_co_u32 v107, vcc_lo, v105, s6
	v_add_co_ci_u32_e64 v108, null, s7, v106, vcc_lo
	flat_load_dwordx2 v[105:106], v[139:140] offset:512
	v_add_co_u32 v109, vcc_lo, v107, s6
	v_add_co_ci_u32_e64 v110, null, s7, v108, vcc_lo
	v_add_co_u32 v137, vcc_lo, s25, v67
	v_add_co_u32 v111, s0, v109, s6
	v_add_co_ci_u32_e64 v112, null, s7, v110, s0
	v_add_co_ci_u32_e64 v138, null, s26, v68, vcc_lo
	v_add_co_u32 v113, vcc_lo, v111, s6
	v_add_co_ci_u32_e64 v114, null, s7, v112, vcc_lo
	s_clause 0x2
	flat_load_dwordx2 v[107:108], v[107:108]
	flat_load_dwordx2 v[109:110], v[109:110]
	;; [unrolled: 1-line block ×3, first 2 shown]
	v_add_co_u32 v115, vcc_lo, v113, s6
	v_add_co_ci_u32_e64 v116, null, s7, v114, vcc_lo
	flat_load_dwordx2 v[113:114], v[113:114]
	v_add_co_u32 v117, vcc_lo, v115, s6
	v_add_co_ci_u32_e64 v118, null, s7, v116, vcc_lo
	flat_load_dwordx2 v[115:116], v[115:116]
	;; [unrolled: 3-line block ×7, first 2 shown]
	v_add_co_u32 v129, vcc_lo, v127, s6
	v_add_co_ci_u32_e64 v130, null, s7, v128, vcc_lo
	v_add_co_u32 v131, vcc_lo, v129, s6
	v_add_co_ci_u32_e64 v132, null, s7, v130, vcc_lo
	;; [unrolled: 2-line block ×4, first 2 shown]
	flat_load_dwordx2 v[127:128], v[127:128]
	flat_load_dwordx2 v[129:130], v[129:130]
	;; [unrolled: 1-line block ×6, first 2 shown]
	s_cbranch_scc0 .LBB266_6
; %bb.5:                                ;   in Loop: Header=BB266_4 Depth=1
	v_add_co_u32 v75, vcc_lo, v144, v142
	v_add_co_ci_u32_e64 v76, null, 0, v145, vcc_lo
	v_add_co_u32 v77, vcc_lo, v146, v142
	v_add_co_ci_u32_e64 v78, null, 0, v147, vcc_lo
	;; [unrolled: 2-line block ×15, first 2 shown]
	flat_load_dwordx2 v[73:74], v[139:140] offset:1024
	flat_load_dwordx2 v[75:76], v[75:76]
	flat_load_dwordx2 v[77:78], v[77:78]
	;; [unrolled: 1-line block ×15, first 2 shown]
.LBB266_6:                              ;   in Loop: Header=BB266_4 Depth=1
	v_add_co_u32 v139, vcc_lo, s25, v69
	v_add_co_ci_u32_e64 v140, null, s26, v70, vcc_lo
	s_waitcnt vmcnt(0) lgkmcnt(0)
	v_fma_f64 v[3:4], v[3:4], v[137:138], v[35:36]
	v_fma_f64 v[31:32], v[31:32], v[137:138], v[63:64]
	;; [unrolled: 1-line block ×3, first 2 shown]
	flat_load_dwordx2 v[139:140], v[139:140]
	v_fma_f64 v[27:28], v[27:28], v[137:138], v[61:62]
	v_fma_f64 v[25:26], v[25:26], v[137:138], v[55:56]
	;; [unrolled: 1-line block ×13, first 2 shown]
	v_add_co_u32 v71, vcc_lo, 0x400, v71
	v_add_co_ci_u32_e64 v72, null, 0, v72, vcc_lo
	v_add_co_u32 v144, vcc_lo, 0x400, v144
	v_add_co_ci_u32_e64 v145, null, 0, v145, vcc_lo
	;; [unrolled: 2-line block ×15, first 2 shown]
	v_add_co_u32 v172, vcc_lo, 0x400, v172
	s_add_i32 s1, s1, 1
	v_add_co_ci_u32_e64 v173, null, 0, v173, vcc_lo
	s_add_u32 s25, s25, s14
	s_addc_u32 s26, s26, s15
	s_cmp_ge_i32 s1, s24
	s_waitcnt vmcnt(0) lgkmcnt(0)
	v_fma_f64 v[35:36], v[105:106], v[139:140], v[3:4]
	v_fma_f64 v[63:64], v[107:108], v[139:140], v[31:32]
	;; [unrolled: 1-line block ×16, first 2 shown]
	s_cbranch_scc1 .LBB266_9
; %bb.7:                                ;   in Loop: Header=BB266_4 Depth=1
	v_mov_b32_e32 v3, v73
	v_mov_b32_e32 v31, v75
	v_mov_b32_e32 v29, v77
	v_mov_b32_e32 v27, v79
	v_mov_b32_e32 v25, v81
	v_mov_b32_e32 v23, v83
	v_mov_b32_e32 v21, v85
	v_mov_b32_e32 v19, v87
	v_mov_b32_e32 v17, v89
	v_mov_b32_e32 v15, v91
	v_mov_b32_e32 v13, v93
	v_mov_b32_e32 v11, v95
	v_mov_b32_e32 v9, v97
	v_mov_b32_e32 v7, v99
	v_mov_b32_e32 v5, v101
	v_mov_b32_e32 v33, v103
	v_mov_b32_e32 v4, v74
	v_mov_b32_e32 v32, v76
	v_mov_b32_e32 v30, v78
	v_mov_b32_e32 v28, v80
	v_mov_b32_e32 v26, v82
	v_mov_b32_e32 v24, v84
	v_mov_b32_e32 v22, v86
	v_mov_b32_e32 v20, v88
	v_mov_b32_e32 v18, v90
	v_mov_b32_e32 v16, v92
	v_mov_b32_e32 v14, v94
	v_mov_b32_e32 v12, v96
	v_mov_b32_e32 v10, v98
	v_mov_b32_e32 v8, v100
	v_mov_b32_e32 v6, v102
	v_mov_b32_e32 v34, v104
	s_branch .LBB266_4
.LBB266_8:
	v_mov_b32_e32 v65, 0
	v_mov_b32_e32 v37, 0
	;; [unrolled: 1-line block ×32, first 2 shown]
.LBB266_9:
	v_lshlrev_b32_e32 v4, 9, v141
	v_lshl_or_b32 v3, v143, 9, v142
	s_mov_b32 s0, 0
	s_mov_b32 s1, exec_lo
	ds_write2st64_b64 v3, v[35:36], v[63:64] offset1:1
	ds_write2st64_b64 v3, v[59:60], v[61:62] offset0:2 offset1:3
	ds_write2st64_b64 v3, v[55:56], v[57:58] offset0:4 offset1:5
	;; [unrolled: 1-line block ×3, first 2 shown]
	v_or3_b32 v4, v4, v142, 0x1e00
	ds_write2st64_b64 v3, v[47:48], v[49:50] offset0:8 offset1:9
	ds_write2st64_b64 v3, v[43:44], v[45:46] offset0:10 offset1:11
	;; [unrolled: 1-line block ×3, first 2 shown]
	ds_write_b64 v3, v[37:38] offset:7168
	ds_write_b64 v4, v[65:66]
	s_waitcnt lgkmcnt(0)
	s_barrier
	buffer_gl0_inv
	v_cmpx_eq_u32_e32 0, v1
	s_cbranch_execz .LBB266_12
; %bb.10:
	v_lshlrev_b32_e32 v1, 9, v0
	v_add_nc_u32_e32 v5, 1, v0
	v_add_nc_u32_e32 v6, 2, v0
	v_add_nc_u32_e32 v7, 3, v0
	s_load_dword s1, s[4:5], 0x68
	v_lshl_or_b32 v3, v2, 3, v1
	v_and_b32_e32 v5, 63, v5
	v_and_b32_e32 v6, 63, v6
	;; [unrolled: 1-line block ×3, first 2 shown]
	v_xor_b32_e32 v2, 32, v2
	ds_read_b64 v[3:4], v3
	v_lshl_or_b32 v5, v5, 3, v1
	v_lshl_or_b32 v8, v6, 3, v1
	;; [unrolled: 1-line block ×3, first 2 shown]
	s_lshl_b64 s[2:3], s[2:3], 3
	ds_read_b64 v[5:6], v5
	ds_read_b64 v[7:8], v8
	;; [unrolled: 1-line block ×3, first 2 shown]
	s_add_u32 s6, s8, s2
	s_waitcnt lgkmcnt(0)
	s_mul_hi_i32 s5, s1, s12
	s_mul_i32 s4, s1, s12
	v_add_f64 v[3:4], v[3:4], 0
	v_add_f64 v[3:4], v[3:4], v[5:6]
	v_add_nc_u32_e32 v5, 4, v0
	v_and_b32_e32 v5, 63, v5
	v_lshl_or_b32 v5, v5, 3, v1
	ds_read_b64 v[5:6], v5
	v_add_f64 v[3:4], v[3:4], v[7:8]
	v_add_nc_u32_e32 v7, 5, v0
	v_add_nc_u32_e32 v8, 6, v0
	v_and_b32_e32 v7, 63, v7
	v_and_b32_e32 v8, 63, v8
	v_lshl_or_b32 v7, v7, 3, v1
	v_add_f64 v[3:4], v[3:4], v[9:10]
	v_add_nc_u32_e32 v9, 7, v0
	v_lshl_or_b32 v10, v8, 3, v1
	v_and_b32_e32 v9, 63, v9
	v_lshl_or_b32 v11, v9, 3, v1
	ds_read_b64 v[7:8], v7
	ds_read_b64 v[9:10], v10
	ds_read_b64 v[11:12], v11
	s_waitcnt lgkmcnt(3)
	v_add_f64 v[3:4], v[3:4], v[5:6]
	v_add_nc_u32_e32 v5, 8, v0
	v_and_b32_e32 v5, 63, v5
	v_lshl_or_b32 v5, v5, 3, v1
	ds_read_b64 v[5:6], v5
	s_waitcnt lgkmcnt(3)
	v_add_f64 v[3:4], v[3:4], v[7:8]
	v_add_nc_u32_e32 v7, 9, v0
	v_add_nc_u32_e32 v8, 10, v0
	v_and_b32_e32 v7, 63, v7
	v_and_b32_e32 v8, 63, v8
	v_lshl_or_b32 v7, v7, 3, v1
	s_waitcnt lgkmcnt(2)
	v_add_f64 v[3:4], v[3:4], v[9:10]
	v_add_nc_u32_e32 v9, 11, v0
	v_lshl_or_b32 v10, v8, 3, v1
	v_and_b32_e32 v9, 63, v9
	s_waitcnt lgkmcnt(1)
	v_add_f64 v[3:4], v[3:4], v[11:12]
	v_lshl_or_b32 v11, v9, 3, v1
	ds_read_b64 v[7:8], v7
	ds_read_b64 v[9:10], v10
	ds_read_b64 v[11:12], v11
	s_waitcnt lgkmcnt(3)
	v_add_f64 v[3:4], v[3:4], v[5:6]
	v_add_nc_u32_e32 v5, 12, v0
	v_and_b32_e32 v5, 63, v5
	v_lshl_or_b32 v5, v5, 3, v1
	ds_read_b64 v[5:6], v5
	s_waitcnt lgkmcnt(3)
	v_add_f64 v[3:4], v[3:4], v[7:8]
	v_add_nc_u32_e32 v7, 13, v0
	v_add_nc_u32_e32 v8, 14, v0
	v_and_b32_e32 v7, 63, v7
	v_and_b32_e32 v8, 63, v8
	v_lshl_or_b32 v7, v7, 3, v1
	s_waitcnt lgkmcnt(2)
	v_add_f64 v[3:4], v[3:4], v[9:10]
	v_add_nc_u32_e32 v9, 15, v0
	v_lshl_or_b32 v10, v8, 3, v1
	v_and_b32_e32 v9, 63, v9
	s_waitcnt lgkmcnt(1)
	v_add_f64 v[3:4], v[3:4], v[11:12]
	;; [unrolled: 24-line block ×6, first 2 shown]
	v_lshl_or_b32 v11, v9, 3, v1
	ds_read_b64 v[7:8], v7
	ds_read_b64 v[9:10], v10
	;; [unrolled: 1-line block ×3, first 2 shown]
	s_waitcnt lgkmcnt(3)
	v_add_f64 v[3:4], v[3:4], v[5:6]
	v_lshl_or_b32 v5, v2, 3, v1
	v_add_nc_u32_e32 v6, 33, v0
	v_and_b32_e32 v6, 63, v6
	v_lshl_or_b32 v6, v6, 3, v1
	s_waitcnt lgkmcnt(2)
	v_add_f64 v[3:4], v[3:4], v[7:8]
	v_add_nc_u32_e32 v7, 34, v0
	v_add_nc_u32_e32 v8, 35, v0
	v_and_b32_e32 v7, 63, v7
	v_and_b32_e32 v8, 63, v8
	s_waitcnt lgkmcnt(1)
	v_add_f64 v[3:4], v[3:4], v[9:10]
	v_lshl_or_b32 v9, v7, 3, v1
	v_lshl_or_b32 v10, v8, 3, v1
	s_waitcnt lgkmcnt(0)
	v_add_f64 v[2:3], v[3:4], v[11:12]
	ds_read_b64 v[4:5], v5
	ds_read_b64 v[6:7], v6
	;; [unrolled: 1-line block ×4, first 2 shown]
	v_add_nc_u32_e32 v12, 55, v0
	v_and_b32_e32 v12, 63, v12
	v_lshl_or_b32 v14, v12, 3, v1
	s_waitcnt lgkmcnt(3)
	v_add_f64 v[2:3], v[2:3], v[4:5]
	v_add_nc_u32_e32 v4, 36, v0
	v_and_b32_e32 v4, 63, v4
	v_lshl_or_b32 v4, v4, 3, v1
	ds_read_b64 v[4:5], v4
	s_waitcnt lgkmcnt(3)
	v_add_f64 v[2:3], v[2:3], v[6:7]
	v_add_nc_u32_e32 v6, 37, v0
	v_add_nc_u32_e32 v7, 38, v0
	v_and_b32_e32 v6, 63, v6
	v_and_b32_e32 v7, 63, v7
	v_lshl_or_b32 v6, v6, 3, v1
	s_waitcnt lgkmcnt(2)
	v_add_f64 v[2:3], v[2:3], v[8:9]
	v_add_nc_u32_e32 v8, 39, v0
	v_lshl_or_b32 v9, v7, 3, v1
	v_and_b32_e32 v8, 63, v8
	s_waitcnt lgkmcnt(1)
	v_add_f64 v[2:3], v[2:3], v[10:11]
	v_lshl_or_b32 v10, v8, 3, v1
	ds_read_b64 v[6:7], v6
	ds_read_b64 v[8:9], v9
	ds_read_b64 v[10:11], v10
	s_waitcnt lgkmcnt(3)
	v_add_f64 v[2:3], v[2:3], v[4:5]
	v_add_nc_u32_e32 v4, 40, v0
	v_and_b32_e32 v4, 63, v4
	v_lshl_or_b32 v4, v4, 3, v1
	ds_read_b64 v[4:5], v4
	s_waitcnt lgkmcnt(3)
	v_add_f64 v[2:3], v[2:3], v[6:7]
	v_add_nc_u32_e32 v6, 41, v0
	v_add_nc_u32_e32 v7, 42, v0
	v_and_b32_e32 v6, 63, v6
	v_and_b32_e32 v7, 63, v7
	v_lshl_or_b32 v6, v6, 3, v1
	s_waitcnt lgkmcnt(2)
	v_add_f64 v[2:3], v[2:3], v[8:9]
	v_add_nc_u32_e32 v8, 43, v0
	v_lshl_or_b32 v9, v7, 3, v1
	v_and_b32_e32 v8, 63, v8
	s_waitcnt lgkmcnt(1)
	v_add_f64 v[2:3], v[2:3], v[10:11]
	v_lshl_or_b32 v10, v8, 3, v1
	ds_read_b64 v[6:7], v6
	ds_read_b64 v[8:9], v9
	ds_read_b64 v[10:11], v10
	s_waitcnt lgkmcnt(3)
	v_add_f64 v[2:3], v[2:3], v[4:5]
	v_add_nc_u32_e32 v4, 44, v0
	v_and_b32_e32 v4, 63, v4
	v_lshl_or_b32 v4, v4, 3, v1
	ds_read_b64 v[4:5], v4
	s_waitcnt lgkmcnt(3)
	v_add_f64 v[2:3], v[2:3], v[6:7]
	v_add_nc_u32_e32 v6, 45, v0
	v_add_nc_u32_e32 v7, 46, v0
	v_and_b32_e32 v6, 63, v6
	v_and_b32_e32 v7, 63, v7
	v_lshl_or_b32 v6, v6, 3, v1
	s_waitcnt lgkmcnt(2)
	v_add_f64 v[2:3], v[2:3], v[8:9]
	v_add_nc_u32_e32 v8, 47, v0
	v_lshl_or_b32 v9, v7, 3, v1
	v_and_b32_e32 v8, 63, v8
	s_waitcnt lgkmcnt(1)
	v_add_f64 v[2:3], v[2:3], v[10:11]
	v_lshl_or_b32 v10, v8, 3, v1
	ds_read_b64 v[6:7], v6
	ds_read_b64 v[8:9], v9
	ds_read_b64 v[10:11], v10
	s_waitcnt lgkmcnt(3)
	v_add_f64 v[2:3], v[2:3], v[4:5]
	v_add_nc_u32_e32 v4, 48, v0
	v_and_b32_e32 v4, 63, v4
	v_lshl_or_b32 v4, v4, 3, v1
	ds_read_b64 v[4:5], v4
	s_waitcnt lgkmcnt(3)
	v_add_f64 v[2:3], v[2:3], v[6:7]
	v_add_nc_u32_e32 v6, 49, v0
	v_add_nc_u32_e32 v7, 50, v0
	v_and_b32_e32 v6, 63, v6
	v_and_b32_e32 v7, 63, v7
	v_lshl_or_b32 v6, v6, 3, v1
	s_waitcnt lgkmcnt(2)
	v_add_f64 v[2:3], v[2:3], v[8:9]
	v_add_nc_u32_e32 v8, 51, v0
	v_lshl_or_b32 v9, v7, 3, v1
	v_and_b32_e32 v8, 63, v8
	s_waitcnt lgkmcnt(1)
	v_add_f64 v[2:3], v[2:3], v[10:11]
	v_lshl_or_b32 v10, v8, 3, v1
	ds_read_b64 v[6:7], v6
	ds_read_b64 v[8:9], v9
	ds_read_b64 v[10:11], v10
	s_waitcnt lgkmcnt(3)
	v_add_f64 v[2:3], v[2:3], v[4:5]
	v_mad_i64_i32 v[4:5], null, s1, v0, 0
	s_addc_u32 s1, s9, s3
	s_lshl_b64 s[2:3], s[4:5], 3
	s_add_u32 s2, s6, s2
	s_addc_u32 s1, s1, s3
	v_lshlrev_b64 v[4:5], 3, v[4:5]
	v_add_co_u32 v4, vcc_lo, s2, v4
	v_add_co_ci_u32_e64 v5, null, s1, v5, vcc_lo
	s_waitcnt lgkmcnt(2)
	v_add_f64 v[2:3], v[2:3], v[6:7]
	s_waitcnt lgkmcnt(1)
	v_add_f64 v[6:7], v[2:3], v[8:9]
	v_add_nc_u32_e32 v8, 52, v0
	flat_load_dwordx2 v[2:3], v[4:5]
	v_and_b32_e32 v8, 63, v8
	v_lshl_or_b32 v8, v8, 3, v1
	ds_read_b64 v[8:9], v8
	s_waitcnt lgkmcnt(2)
	v_add_f64 v[6:7], v[6:7], v[10:11]
	v_add_nc_u32_e32 v10, 53, v0
	v_add_nc_u32_e32 v11, 54, v0
	v_and_b32_e32 v10, 63, v10
	v_and_b32_e32 v11, 63, v11
	v_lshl_or_b32 v10, v10, 3, v1
	v_lshl_or_b32 v13, v11, 3, v1
	ds_read_b64 v[10:11], v10
	ds_read_b64 v[12:13], v13
	;; [unrolled: 1-line block ×3, first 2 shown]
	s_waitcnt lgkmcnt(3)
	v_add_f64 v[6:7], v[6:7], v[8:9]
	v_add_nc_u32_e32 v8, 56, v0
	v_and_b32_e32 v8, 63, v8
	v_lshl_or_b32 v8, v8, 3, v1
	ds_read_b64 v[8:9], v8
	s_waitcnt lgkmcnt(3)
	v_add_f64 v[6:7], v[6:7], v[10:11]
	v_add_nc_u32_e32 v10, 57, v0
	v_add_nc_u32_e32 v11, 58, v0
	v_and_b32_e32 v10, 63, v10
	v_and_b32_e32 v11, 63, v11
	v_lshl_or_b32 v10, v10, 3, v1
	s_waitcnt lgkmcnt(2)
	v_add_f64 v[6:7], v[6:7], v[12:13]
	v_add_nc_u32_e32 v12, 59, v0
	v_lshl_or_b32 v13, v11, 3, v1
	v_and_b32_e32 v12, 63, v12
	s_waitcnt lgkmcnt(1)
	v_add_f64 v[6:7], v[6:7], v[14:15]
	v_lshl_or_b32 v14, v12, 3, v1
	ds_read_b64 v[10:11], v10
	ds_read_b64 v[12:13], v13
	;; [unrolled: 1-line block ×3, first 2 shown]
	s_waitcnt lgkmcnt(3)
	v_add_f64 v[6:7], v[6:7], v[8:9]
	v_add_nc_u32_e32 v8, 60, v0
	v_and_b32_e32 v8, 63, v8
	v_lshl_or_b32 v8, v8, 3, v1
	ds_read_b64 v[8:9], v8
	s_waitcnt lgkmcnt(3)
	v_add_f64 v[6:7], v[6:7], v[10:11]
	v_add_nc_u32_e32 v10, 61, v0
	v_add_nc_u32_e32 v11, 62, v0
	v_add_nc_u32_e32 v0, -1, v0
	v_and_b32_e32 v10, 63, v10
	v_and_b32_e32 v11, 63, v11
	;; [unrolled: 1-line block ×3, first 2 shown]
	v_lshl_or_b32 v10, v10, 3, v1
	v_lshl_or_b32 v11, v11, 3, v1
	s_waitcnt lgkmcnt(2)
	v_add_f64 v[6:7], v[6:7], v[12:13]
	v_lshl_or_b32 v12, v0, 3, v1
	ds_read_b64 v[0:1], v10
	ds_read_b64 v[10:11], v11
	ds_read_b64 v[12:13], v12
	s_waitcnt lgkmcnt(4)
	v_add_f64 v[6:7], v[6:7], v[14:15]
	s_waitcnt lgkmcnt(3)
	v_add_f64 v[6:7], v[6:7], v[8:9]
	;; [unrolled: 2-line block ×5, first 2 shown]
	v_mul_f64 v[6:7], s[10:11], v[0:1]
.LBB266_11:                             ; =>This Inner Loop Header: Depth=1
	s_waitcnt vmcnt(0)
	v_add_f64 v[0:1], v[2:3], v[6:7]
	flat_atomic_cmpswap_x2 v[0:1], v[4:5], v[0:3] glc
	s_waitcnt vmcnt(0) lgkmcnt(0)
	v_cmp_eq_u64_e32 vcc_lo, v[0:1], v[2:3]
	v_mov_b32_e32 v3, v1
	v_mov_b32_e32 v2, v0
	s_or_b32 s0, vcc_lo, s0
	s_andn2_b32 exec_lo, exec_lo, s0
	s_cbranch_execnz .LBB266_11
.LBB266_12:
	s_endpgm
	.section	.rodata,"a",@progbits
	.p2align	6, 0x0
	.amdhsa_kernel _ZL36rocblas_gemvt_double_buffered_kernelILb0ELi128ELi4ELi16EPKdS1_KPdEviiT4_lPKT3_lilS7_lilPT5_lili
		.amdhsa_group_segment_fixed_size 65536
		.amdhsa_private_segment_fixed_size 0
		.amdhsa_kernarg_size 384
		.amdhsa_user_sgpr_count 6
		.amdhsa_user_sgpr_private_segment_buffer 1
		.amdhsa_user_sgpr_dispatch_ptr 0
		.amdhsa_user_sgpr_queue_ptr 0
		.amdhsa_user_sgpr_kernarg_segment_ptr 1
		.amdhsa_user_sgpr_dispatch_id 0
		.amdhsa_user_sgpr_flat_scratch_init 0
		.amdhsa_user_sgpr_private_segment_size 0
		.amdhsa_wavefront_size32 1
		.amdhsa_uses_dynamic_stack 0
		.amdhsa_system_sgpr_private_segment_wavefront_offset 0
		.amdhsa_system_sgpr_workgroup_id_x 1
		.amdhsa_system_sgpr_workgroup_id_y 1
		.amdhsa_system_sgpr_workgroup_id_z 1
		.amdhsa_system_sgpr_workgroup_info 0
		.amdhsa_system_vgpr_workitem_id 1
		.amdhsa_next_free_vgpr 174
		.amdhsa_next_free_sgpr 32
		.amdhsa_reserve_vcc 1
		.amdhsa_reserve_flat_scratch 1
		.amdhsa_float_round_mode_32 0
		.amdhsa_float_round_mode_16_64 0
		.amdhsa_float_denorm_mode_32 3
		.amdhsa_float_denorm_mode_16_64 3
		.amdhsa_dx10_clamp 1
		.amdhsa_ieee_mode 1
		.amdhsa_fp16_overflow 0
		.amdhsa_workgroup_processor_mode 1
		.amdhsa_memory_ordered 1
		.amdhsa_forward_progress 1
		.amdhsa_shared_vgpr_count 0
		.amdhsa_exception_fp_ieee_invalid_op 0
		.amdhsa_exception_fp_denorm_src 0
		.amdhsa_exception_fp_ieee_div_zero 0
		.amdhsa_exception_fp_ieee_overflow 0
		.amdhsa_exception_fp_ieee_underflow 0
		.amdhsa_exception_fp_ieee_inexact 0
		.amdhsa_exception_int_div_zero 0
	.end_amdhsa_kernel
	.section	.text._ZL36rocblas_gemvt_double_buffered_kernelILb0ELi128ELi4ELi16EPKdS1_KPdEviiT4_lPKT3_lilS7_lilPT5_lili,"axG",@progbits,_ZL36rocblas_gemvt_double_buffered_kernelILb0ELi128ELi4ELi16EPKdS1_KPdEviiT4_lPKT3_lilS7_lilPT5_lili,comdat
.Lfunc_end266:
	.size	_ZL36rocblas_gemvt_double_buffered_kernelILb0ELi128ELi4ELi16EPKdS1_KPdEviiT4_lPKT3_lilS7_lilPT5_lili, .Lfunc_end266-_ZL36rocblas_gemvt_double_buffered_kernelILb0ELi128ELi4ELi16EPKdS1_KPdEviiT4_lPKT3_lilS7_lilPT5_lili
                                        ; -- End function
	.set _ZL36rocblas_gemvt_double_buffered_kernelILb0ELi128ELi4ELi16EPKdS1_KPdEviiT4_lPKT3_lilS7_lilPT5_lili.num_vgpr, 174
	.set _ZL36rocblas_gemvt_double_buffered_kernelILb0ELi128ELi4ELi16EPKdS1_KPdEviiT4_lPKT3_lilS7_lilPT5_lili.num_agpr, 0
	.set _ZL36rocblas_gemvt_double_buffered_kernelILb0ELi128ELi4ELi16EPKdS1_KPdEviiT4_lPKT3_lilS7_lilPT5_lili.numbered_sgpr, 32
	.set _ZL36rocblas_gemvt_double_buffered_kernelILb0ELi128ELi4ELi16EPKdS1_KPdEviiT4_lPKT3_lilS7_lilPT5_lili.num_named_barrier, 0
	.set _ZL36rocblas_gemvt_double_buffered_kernelILb0ELi128ELi4ELi16EPKdS1_KPdEviiT4_lPKT3_lilS7_lilPT5_lili.private_seg_size, 0
	.set _ZL36rocblas_gemvt_double_buffered_kernelILb0ELi128ELi4ELi16EPKdS1_KPdEviiT4_lPKT3_lilS7_lilPT5_lili.uses_vcc, 1
	.set _ZL36rocblas_gemvt_double_buffered_kernelILb0ELi128ELi4ELi16EPKdS1_KPdEviiT4_lPKT3_lilS7_lilPT5_lili.uses_flat_scratch, 1
	.set _ZL36rocblas_gemvt_double_buffered_kernelILb0ELi128ELi4ELi16EPKdS1_KPdEviiT4_lPKT3_lilS7_lilPT5_lili.has_dyn_sized_stack, 0
	.set _ZL36rocblas_gemvt_double_buffered_kernelILb0ELi128ELi4ELi16EPKdS1_KPdEviiT4_lPKT3_lilS7_lilPT5_lili.has_recursion, 0
	.set _ZL36rocblas_gemvt_double_buffered_kernelILb0ELi128ELi4ELi16EPKdS1_KPdEviiT4_lPKT3_lilS7_lilPT5_lili.has_indirect_call, 0
	.section	.AMDGPU.csdata,"",@progbits
; Kernel info:
; codeLenInByte = 6676
; TotalNumSgprs: 34
; NumVgprs: 174
; ScratchSize: 0
; MemoryBound: 0
; FloatMode: 240
; IeeeMode: 1
; LDSByteSize: 65536 bytes/workgroup (compile time only)
; SGPRBlocks: 0
; VGPRBlocks: 21
; NumSGPRsForWavesPerEU: 34
; NumVGPRsForWavesPerEU: 174
; Occupancy: 5
; WaveLimiterHint : 1
; COMPUTE_PGM_RSRC2:SCRATCH_EN: 0
; COMPUTE_PGM_RSRC2:USER_SGPR: 6
; COMPUTE_PGM_RSRC2:TRAP_HANDLER: 0
; COMPUTE_PGM_RSRC2:TGID_X_EN: 1
; COMPUTE_PGM_RSRC2:TGID_Y_EN: 1
; COMPUTE_PGM_RSRC2:TGID_Z_EN: 1
; COMPUTE_PGM_RSRC2:TIDIG_COMP_CNT: 1
	.section	.text._ZL36rocblas_gemvt_double_buffered_kernelILb0ELi128ELi4ELi16EPKddKPdEviiT4_lPKT3_lilS7_lilPT5_lili,"axG",@progbits,_ZL36rocblas_gemvt_double_buffered_kernelILb0ELi128ELi4ELi16EPKddKPdEviiT4_lPKT3_lilS7_lilPT5_lili,comdat
	.globl	_ZL36rocblas_gemvt_double_buffered_kernelILb0ELi128ELi4ELi16EPKddKPdEviiT4_lPKT3_lilS7_lilPT5_lili ; -- Begin function _ZL36rocblas_gemvt_double_buffered_kernelILb0ELi128ELi4ELi16EPKddKPdEviiT4_lPKT3_lilS7_lilPT5_lili
	.p2align	8
	.type	_ZL36rocblas_gemvt_double_buffered_kernelILb0ELi128ELi4ELi16EPKddKPdEviiT4_lPKT3_lilS7_lilPT5_lili,@function
_ZL36rocblas_gemvt_double_buffered_kernelILb0ELi128ELi4ELi16EPKddKPdEviiT4_lPKT3_lilS7_lilPT5_lili: ; @_ZL36rocblas_gemvt_double_buffered_kernelILb0ELi128ELi4ELi16EPKddKPdEviiT4_lPKT3_lilS7_lilPT5_lili
; %bb.0:
	s_load_dwordx2 s[10:11], s[4:5], 0x8
	s_waitcnt lgkmcnt(0)
	v_cmp_eq_f64_e64 s0, s[10:11], 0
	s_and_b32 vcc_lo, exec_lo, s0
	s_cbranch_vccnz .LBB267_12
; %bb.1:
	s_clause 0x1
	s_load_dword s0, s[4:5], 0x84
	s_load_dword s1, s[4:5], 0x0
	s_waitcnt lgkmcnt(0)
	v_cvt_f32_u32_e32 v2, s0
	s_ashr_i32 s3, s1, 31
	s_sub_i32 s9, 0, s0
	s_lshr_b32 s3, s3, 25
	s_add_i32 s1, s1, s3
	v_rcp_iflag_f32_e32 v2, v2
	s_ashr_i32 s1, s1, 7
	v_mul_f32_e32 v2, 0x4f7ffffe, v2
	v_cvt_u32_f32_e32 v2, v2
	v_readfirstlane_b32 s2, v2
	s_mul_i32 s9, s9, s2
	s_mul_hi_u32 s3, s2, s9
	s_add_i32 s2, s2, s3
	s_mul_hi_u32 s2, s1, s2
	s_mul_i32 s3, s2, s0
	s_add_i32 s9, s2, 1
	s_sub_i32 s3, s1, s3
	s_sub_i32 s12, s3, s0
	s_cmp_ge_u32 s3, s0
	s_cselect_b32 s2, s9, s2
	s_cselect_b32 s3, s12, s3
	s_add_i32 s9, s2, 1
	s_cmp_ge_u32 s3, s0
	s_cselect_b32 s16, s9, s2
	s_mov_b32 s9, 0
	s_mul_i32 s0, s16, s0
	s_sub_i32 s17, s1, s0
	s_cmp_lt_u32 s7, s17
	s_cselect_b32 s0, -1, 0
	s_cmp_lg_u32 s0, 0
	s_addc_u32 s24, s16, 0
	s_cmp_eq_u32 s24, 0
	s_cbranch_scc1 .LBB267_12
; %bb.2:
	s_load_dwordx4 s[0:3], s[4:5], 0x58
	s_lshl_b64 s[14:15], s[8:9], 3
	v_lshl_add_u32 v35, v1, 7, v0
	v_and_b32_e32 v2, 63, v0
	v_lshrrev_b32_e32 v141, 2, v35
	v_lshlrev_b32_e32 v142, 3, v2
	v_and_b32_e32 v143, 0x7ff0, v141
	s_waitcnt lgkmcnt(0)
	s_add_u32 s0, s0, s14
	s_addc_u32 s1, s1, s15
	s_lshl_b32 s12, s6, 7
	s_load_dwordx2 s[8:9], s[0:1], 0x0
	s_ashr_i32 s13, s12, 31
	s_cmp_lt_i32 s24, 1
	s_cbranch_scc1 .LBB267_8
; %bb.3:
	v_cvt_f64_i32_e32 v[3:4], s7
	v_cvt_f64_u32_e32 v[5:6], s17
	s_mul_i32 s16, s16, s7
	s_clause 0x2
	s_load_dword s0, s[4:5], 0x28
	s_load_dwordx4 s[20:23], s[4:5], 0x18
	s_load_dwordx4 s[28:31], s[4:5], 0x38
	v_cvt_f64_u32_e32 v[7:8], s16
	s_load_dword s16, s[4:5], 0x48
	v_lshlrev_b32_e32 v67, 1, v35
	v_mov_b32_e32 v35, 0
	v_mov_b32_e32 v63, 0
	;; [unrolled: 1-line block ×4, first 2 shown]
	v_and_b32_e32 v69, 0x3ff80, v67
	v_mov_b32_e32 v55, 0
	v_mov_b32_e32 v57, 0
	;; [unrolled: 1-line block ×9, first 2 shown]
	s_waitcnt lgkmcnt(0)
	s_ashr_i32 s1, s0, 31
	s_add_u32 s6, s20, s14
	v_min_f64 v[3:4], v[3:4], v[5:6]
	s_addc_u32 s7, s21, s15
	s_add_u32 s14, s28, s14
	s_load_dwordx2 s[18:19], s[6:7], 0x0
	s_addc_u32 s15, s29, s15
	s_lshl_b64 s[20:21], s[22:23], 3
	s_load_dwordx2 s[6:7], s[14:15], 0x0
	s_ashr_i32 s17, s16, 31
	s_mul_hi_i32 s15, s0, s12
	s_mul_i32 s14, s0, s12
	v_mov_b32_e32 v41, 0
	v_mov_b32_e32 v37, 0
	;; [unrolled: 1-line block ×12, first 2 shown]
	v_add_f64 v[3:4], v[3:4], v[7:8]
	s_waitcnt lgkmcnt(0)
	s_add_u32 s27, s18, s20
	s_addc_u32 s28, s19, s21
	s_lshl_b64 s[22:23], s[30:31], 3
	v_mov_b32_e32 v50, 0
	s_add_u32 s25, s6, s22
	s_addc_u32 s26, s7, s23
	s_lshl_b64 s[6:7], s[14:15], 3
	v_mov_b32_e32 v44, 0
	s_add_u32 s14, s27, s6
	s_addc_u32 s15, s28, s7
	v_mov_b32_e32 v46, 0
	v_mov_b32_e32 v40, 0
	;; [unrolled: 1-line block ×5, first 2 shown]
	v_cvt_i32_f64_e32 v5, v[3:4]
	v_mov_b32_e32 v3, 0
	v_mad_i64_i32 v[3:4], null, s0, v143, v[2:3]
	v_lshlrev_b64 v[3:4], 3, v[3:4]
	v_readfirstlane_b32 s22, v5
	s_lshl_b32 s6, s22, 7
	s_ashr_i32 s7, s6, 31
	s_lshl_b64 s[22:23], s[6:7], 3
	s_add_u32 s6, s14, s22
	s_addc_u32 s7, s15, s23
	v_add_co_u32 v3, vcc_lo, s6, v3
	v_add_co_ci_u32_e64 v4, null, s7, v4, vcc_lo
	s_lshl_b64 s[6:7], s[0:1], 3
	v_or_b32_e32 v67, s22, v142
	s_sub_u32 s14, 0, s6
	v_mad_i64_i32 v[33:34], null, 0x78, s0, v[3:4]
	s_subb_u32 s15, 0, s7
	s_lshl_b64 s[28:29], s[12:13], 3
	s_add_i32 s27, s24, -1
	v_or_b32_e32 v70, 0x200, v67
	v_mul_lo_u32 v73, v67, s17
	v_mad_u64_u32 v[67:68], null, v67, s16, 0
	v_add_co_u32 v5, vcc_lo, v33, s14
	v_add_co_ci_u32_e64 v6, null, s15, v34, vcc_lo
	s_mul_i32 s30, s23, s16
	v_add_co_u32 v7, vcc_lo, v5, s14
	v_add_co_ci_u32_e64 v8, null, s15, v6, vcc_lo
	v_add3_u32 v68, v68, v73, s30
	v_add_co_u32 v9, vcc_lo, v7, s14
	v_add_co_ci_u32_e64 v10, null, s15, v8, vcc_lo
	s_clause 0x2
	flat_load_dwordx2 v[3:4], v[3:4]
	flat_load_dwordx2 v[5:6], v[5:6]
	;; [unrolled: 1-line block ×3, first 2 shown]
	v_add_co_u32 v11, vcc_lo, v9, s14
	v_add_co_ci_u32_e64 v12, null, s15, v10, vcc_lo
	v_mul_lo_u32 v103, v70, s17
	v_add_co_u32 v13, vcc_lo, v11, s14
	v_add_co_ci_u32_e64 v14, null, s15, v12, vcc_lo
	v_add_co_u32 v15, vcc_lo, v13, s14
	v_add_co_ci_u32_e64 v16, null, s15, v14, vcc_lo
	s_clause 0x2
	flat_load_dwordx2 v[9:10], v[9:10]
	flat_load_dwordx2 v[11:12], v[11:12]
	;; [unrolled: 1-line block ×3, first 2 shown]
	v_add_co_u32 v17, vcc_lo, v15, s14
	v_add_co_ci_u32_e64 v18, null, s15, v16, vcc_lo
	flat_load_dwordx2 v[15:16], v[15:16]
	v_add_co_u32 v19, vcc_lo, v17, s14
	v_add_co_ci_u32_e64 v20, null, s15, v18, vcc_lo
	flat_load_dwordx2 v[17:18], v[17:18]
	;; [unrolled: 3-line block ×4, first 2 shown]
	v_add_co_u32 v25, vcc_lo, v23, s14
	v_add_co_ci_u32_e64 v26, null, s15, v24, vcc_lo
	v_add_co_u32 v27, vcc_lo, v25, s14
	v_add_co_ci_u32_e64 v28, null, s15, v26, vcc_lo
	;; [unrolled: 2-line block ×4, first 2 shown]
	flat_load_dwordx2 v[23:24], v[23:24]
	flat_load_dwordx2 v[25:26], v[25:26]
	;; [unrolled: 1-line block ×6, first 2 shown]
	s_lshl_b64 s[14:15], s[16:17], 10
	s_add_u32 s13, s18, s22
	v_add_co_u32 v74, s18, v69, s28
	v_add_co_ci_u32_e64 v75, null, 0, s29, s18
	s_addc_u32 s19, s19, s23
	v_add_co_u32 v76, vcc_lo, v74, 8
	v_add_co_ci_u32_e64 v77, null, 0, v75, vcc_lo
	v_add_co_u32 v78, vcc_lo, v74, 16
	v_add_co_ci_u32_e64 v79, null, 0, v75, vcc_lo
	;; [unrolled: 2-line block ×12, first 2 shown]
	v_add_co_u32 v100, vcc_lo, 0x68, v74
	s_add_u32 s18, s13, s20
	s_addc_u32 s19, s19, s21
	v_add_co_ci_u32_e64 v101, null, 0, v75, vcc_lo
	v_add_co_u32 v102, vcc_lo, 0x70, v74
	v_mad_u64_u32 v[71:72], null, v74, s0, s[18:19]
	v_mul_lo_u32 v104, v74, s1
	v_add_co_ci_u32_e64 v106, null, 0, v75, vcc_lo
	v_add_co_u32 v107, vcc_lo, 0x78, v74
	v_mad_u64_u32 v[73:74], null, v76, s0, s[18:19]
	v_mul_lo_u32 v109, v76, s1
	v_mul_lo_u32 v110, v77, s0
	;; [unrolled: 1-line block ×3, first 2 shown]
	v_add_co_ci_u32_e64 v108, null, 0, v75, vcc_lo
	v_mad_u64_u32 v[75:76], null, v78, s0, s[18:19]
	v_mul_lo_u32 v111, v78, s1
	v_mul_lo_u32 v112, v79, s0
	v_mad_u64_u32 v[77:78], null, v80, s0, s[18:19]
	v_mul_lo_u32 v113, v80, s1
	v_mul_lo_u32 v114, v81, s0
	;; [unrolled: 3-line block ×4, first 2 shown]
	v_add3_u32 v74, v110, v74, v109
	v_mad_u64_u32 v[83:84], null, v86, s0, s[18:19]
	v_mul_lo_u32 v119, v86, s1
	v_mul_lo_u32 v120, v87, s0
	v_add3_u32 v76, v112, v76, v111
	v_add_co_u32 v144, vcc_lo, 0x400, v73
	v_mad_u64_u32 v[85:86], null, v88, s0, s[18:19]
	v_mul_lo_u32 v121, v88, s1
	v_mul_lo_u32 v122, v89, s0
	v_add3_u32 v78, v114, v78, v113
	v_add_co_ci_u32_e64 v145, null, 0, v74, vcc_lo
	v_add_co_u32 v146, vcc_lo, 0x400, v75
	v_mad_u64_u32 v[87:88], null, v90, s0, s[18:19]
	v_mul_lo_u32 v123, v90, s1
	v_mul_lo_u32 v124, v91, s0
	v_add3_u32 v80, v116, v80, v115
	v_add_co_ci_u32_e64 v147, null, 0, v76, vcc_lo
	;; [unrolled: 6-line block ×9, first 2 shown]
	v_add_co_u32 v162, vcc_lo, 0x400, v91
	v_add3_u32 v96, v132, v96, v131
	v_add_co_ci_u32_e64 v163, null, 0, v92, vcc_lo
	v_add_co_u32 v164, vcc_lo, 0x400, v93
	v_add3_u32 v98, v134, v98, v133
	v_mad_u64_u32 v[69:70], null, v70, s16, 0
	v_add_co_ci_u32_e64 v165, null, 0, v94, vcc_lo
	v_add_co_u32 v166, vcc_lo, 0x400, v95
	v_add3_u32 v100, v106, v100, v135
	v_add_co_ci_u32_e64 v167, null, 0, v96, vcc_lo
	v_add_co_u32 v168, vcc_lo, 0x400, v97
	v_add3_u32 v102, v108, v102, v107
	v_add_co_ci_u32_e64 v169, null, 0, v98, vcc_lo
	v_add_co_u32 v170, vcc_lo, 0x400, v99
	v_add_co_ci_u32_e64 v171, null, 0, v100, vcc_lo
	v_add_co_u32 v172, vcc_lo, 0x400, v101
	v_add3_u32 v70, v70, v103, s30
	v_add3_u32 v72, v105, v72, v104
	v_add_co_ci_u32_e64 v173, null, 0, v102, vcc_lo
	s_mov_b32 s1, 0
	s_waitcnt vmcnt(15) lgkmcnt(15)
	v_mov_b32_e32 v74, v4
	s_waitcnt vmcnt(14) lgkmcnt(14)
	v_mov_b32_e32 v102, v6
	;; [unrolled: 2-line block ×3, first 2 shown]
	v_mov_b32_e32 v73, v3
	v_mov_b32_e32 v101, v5
	;; [unrolled: 1-line block ×3, first 2 shown]
	s_waitcnt vmcnt(12) lgkmcnt(12)
	v_mov_b32_e32 v98, v10
	s_waitcnt vmcnt(11) lgkmcnt(11)
	v_mov_b32_e32 v96, v12
	;; [unrolled: 2-line block ×3, first 2 shown]
	v_mov_b32_e32 v97, v9
	v_mov_b32_e32 v95, v11
	;; [unrolled: 1-line block ×3, first 2 shown]
	s_waitcnt vmcnt(9) lgkmcnt(9)
	v_mov_b32_e32 v92, v16
	v_mov_b32_e32 v91, v15
	s_waitcnt vmcnt(8) lgkmcnt(8)
	v_mov_b32_e32 v90, v18
	v_mov_b32_e32 v89, v17
	;; [unrolled: 3-line block ×4, first 2 shown]
	s_waitcnt vmcnt(5) lgkmcnt(5)
	v_mov_b32_e32 v84, v24
	s_waitcnt vmcnt(4) lgkmcnt(4)
	v_mov_b32_e32 v82, v26
	;; [unrolled: 2-line block ×6, first 2 shown]
	v_mov_b32_e32 v83, v23
	v_mov_b32_e32 v81, v25
	;; [unrolled: 1-line block ×6, first 2 shown]
.LBB267_4:                              ; =>This Inner Loop Header: Depth=1
	v_add_co_u32 v139, vcc_lo, v71, v142
	v_add_co_ci_u32_e64 v140, null, 0, v72, vcc_lo
	s_cmp_lg_u32 s27, s1
	v_add_co_u32 v105, vcc_lo, 0x200, v139
	v_add_co_ci_u32_e64 v106, null, 0, v140, vcc_lo
	v_add_co_u32 v107, vcc_lo, v105, s6
	v_add_co_ci_u32_e64 v108, null, s7, v106, vcc_lo
	flat_load_dwordx2 v[105:106], v[139:140] offset:512
	v_add_co_u32 v109, vcc_lo, v107, s6
	v_add_co_ci_u32_e64 v110, null, s7, v108, vcc_lo
	v_add_co_u32 v137, vcc_lo, s25, v67
	v_add_co_u32 v111, s0, v109, s6
	v_add_co_ci_u32_e64 v112, null, s7, v110, s0
	v_add_co_ci_u32_e64 v138, null, s26, v68, vcc_lo
	v_add_co_u32 v113, vcc_lo, v111, s6
	v_add_co_ci_u32_e64 v114, null, s7, v112, vcc_lo
	s_clause 0x2
	flat_load_dwordx2 v[107:108], v[107:108]
	flat_load_dwordx2 v[109:110], v[109:110]
	;; [unrolled: 1-line block ×3, first 2 shown]
	v_add_co_u32 v115, vcc_lo, v113, s6
	v_add_co_ci_u32_e64 v116, null, s7, v114, vcc_lo
	flat_load_dwordx2 v[113:114], v[113:114]
	v_add_co_u32 v117, vcc_lo, v115, s6
	v_add_co_ci_u32_e64 v118, null, s7, v116, vcc_lo
	flat_load_dwordx2 v[115:116], v[115:116]
	;; [unrolled: 3-line block ×7, first 2 shown]
	v_add_co_u32 v129, vcc_lo, v127, s6
	v_add_co_ci_u32_e64 v130, null, s7, v128, vcc_lo
	v_add_co_u32 v131, vcc_lo, v129, s6
	v_add_co_ci_u32_e64 v132, null, s7, v130, vcc_lo
	;; [unrolled: 2-line block ×4, first 2 shown]
	flat_load_dwordx2 v[127:128], v[127:128]
	flat_load_dwordx2 v[129:130], v[129:130]
	;; [unrolled: 1-line block ×6, first 2 shown]
	s_cbranch_scc0 .LBB267_6
; %bb.5:                                ;   in Loop: Header=BB267_4 Depth=1
	v_add_co_u32 v75, vcc_lo, v144, v142
	v_add_co_ci_u32_e64 v76, null, 0, v145, vcc_lo
	v_add_co_u32 v77, vcc_lo, v146, v142
	v_add_co_ci_u32_e64 v78, null, 0, v147, vcc_lo
	;; [unrolled: 2-line block ×15, first 2 shown]
	flat_load_dwordx2 v[73:74], v[139:140] offset:1024
	flat_load_dwordx2 v[75:76], v[75:76]
	flat_load_dwordx2 v[77:78], v[77:78]
	;; [unrolled: 1-line block ×15, first 2 shown]
.LBB267_6:                              ;   in Loop: Header=BB267_4 Depth=1
	v_add_co_u32 v139, vcc_lo, s25, v69
	v_add_co_ci_u32_e64 v140, null, s26, v70, vcc_lo
	s_waitcnt vmcnt(0) lgkmcnt(0)
	v_fma_f64 v[3:4], v[3:4], v[137:138], v[35:36]
	v_fma_f64 v[31:32], v[31:32], v[137:138], v[63:64]
	;; [unrolled: 1-line block ×3, first 2 shown]
	flat_load_dwordx2 v[139:140], v[139:140]
	v_fma_f64 v[27:28], v[27:28], v[137:138], v[61:62]
	v_fma_f64 v[25:26], v[25:26], v[137:138], v[55:56]
	;; [unrolled: 1-line block ×13, first 2 shown]
	v_add_co_u32 v71, vcc_lo, 0x400, v71
	v_add_co_ci_u32_e64 v72, null, 0, v72, vcc_lo
	v_add_co_u32 v144, vcc_lo, 0x400, v144
	v_add_co_ci_u32_e64 v145, null, 0, v145, vcc_lo
	;; [unrolled: 2-line block ×15, first 2 shown]
	v_add_co_u32 v172, vcc_lo, 0x400, v172
	s_add_i32 s1, s1, 1
	v_add_co_ci_u32_e64 v173, null, 0, v173, vcc_lo
	s_add_u32 s25, s25, s14
	s_addc_u32 s26, s26, s15
	s_cmp_ge_i32 s1, s24
	s_waitcnt vmcnt(0) lgkmcnt(0)
	v_fma_f64 v[35:36], v[105:106], v[139:140], v[3:4]
	v_fma_f64 v[63:64], v[107:108], v[139:140], v[31:32]
	;; [unrolled: 1-line block ×16, first 2 shown]
	s_cbranch_scc1 .LBB267_9
; %bb.7:                                ;   in Loop: Header=BB267_4 Depth=1
	v_mov_b32_e32 v3, v73
	v_mov_b32_e32 v31, v75
	;; [unrolled: 1-line block ×32, first 2 shown]
	s_branch .LBB267_4
.LBB267_8:
	v_mov_b32_e32 v65, 0
	v_mov_b32_e32 v37, 0
	;; [unrolled: 1-line block ×32, first 2 shown]
.LBB267_9:
	v_lshlrev_b32_e32 v4, 9, v141
	v_lshl_or_b32 v3, v143, 9, v142
	s_mov_b32 s0, 0
	s_mov_b32 s1, exec_lo
	ds_write2st64_b64 v3, v[35:36], v[63:64] offset1:1
	ds_write2st64_b64 v3, v[59:60], v[61:62] offset0:2 offset1:3
	ds_write2st64_b64 v3, v[55:56], v[57:58] offset0:4 offset1:5
	;; [unrolled: 1-line block ×3, first 2 shown]
	v_or3_b32 v4, v4, v142, 0x1e00
	ds_write2st64_b64 v3, v[47:48], v[49:50] offset0:8 offset1:9
	ds_write2st64_b64 v3, v[43:44], v[45:46] offset0:10 offset1:11
	;; [unrolled: 1-line block ×3, first 2 shown]
	ds_write_b64 v3, v[37:38] offset:7168
	ds_write_b64 v4, v[65:66]
	s_waitcnt lgkmcnt(0)
	s_barrier
	buffer_gl0_inv
	v_cmpx_eq_u32_e32 0, v1
	s_cbranch_execz .LBB267_12
; %bb.10:
	v_lshlrev_b32_e32 v1, 9, v0
	v_add_nc_u32_e32 v5, 1, v0
	v_add_nc_u32_e32 v6, 2, v0
	;; [unrolled: 1-line block ×3, first 2 shown]
	s_load_dword s1, s[4:5], 0x68
	v_lshl_or_b32 v3, v2, 3, v1
	v_and_b32_e32 v5, 63, v5
	v_and_b32_e32 v6, 63, v6
	v_and_b32_e32 v7, 63, v7
	v_xor_b32_e32 v2, 32, v2
	ds_read_b64 v[3:4], v3
	v_lshl_or_b32 v5, v5, 3, v1
	v_lshl_or_b32 v8, v6, 3, v1
	;; [unrolled: 1-line block ×3, first 2 shown]
	s_lshl_b64 s[2:3], s[2:3], 3
	ds_read_b64 v[5:6], v5
	ds_read_b64 v[7:8], v8
	;; [unrolled: 1-line block ×3, first 2 shown]
	s_add_u32 s6, s8, s2
	s_waitcnt lgkmcnt(0)
	s_mul_hi_i32 s5, s1, s12
	s_mul_i32 s4, s1, s12
	v_add_f64 v[3:4], v[3:4], 0
	v_add_f64 v[3:4], v[3:4], v[5:6]
	v_add_nc_u32_e32 v5, 4, v0
	v_and_b32_e32 v5, 63, v5
	v_lshl_or_b32 v5, v5, 3, v1
	ds_read_b64 v[5:6], v5
	v_add_f64 v[3:4], v[3:4], v[7:8]
	v_add_nc_u32_e32 v7, 5, v0
	v_add_nc_u32_e32 v8, 6, v0
	v_and_b32_e32 v7, 63, v7
	v_and_b32_e32 v8, 63, v8
	v_lshl_or_b32 v7, v7, 3, v1
	v_add_f64 v[3:4], v[3:4], v[9:10]
	v_add_nc_u32_e32 v9, 7, v0
	v_lshl_or_b32 v10, v8, 3, v1
	v_and_b32_e32 v9, 63, v9
	v_lshl_or_b32 v11, v9, 3, v1
	ds_read_b64 v[7:8], v7
	ds_read_b64 v[9:10], v10
	ds_read_b64 v[11:12], v11
	s_waitcnt lgkmcnt(3)
	v_add_f64 v[3:4], v[3:4], v[5:6]
	v_add_nc_u32_e32 v5, 8, v0
	v_and_b32_e32 v5, 63, v5
	v_lshl_or_b32 v5, v5, 3, v1
	ds_read_b64 v[5:6], v5
	s_waitcnt lgkmcnt(3)
	v_add_f64 v[3:4], v[3:4], v[7:8]
	v_add_nc_u32_e32 v7, 9, v0
	v_add_nc_u32_e32 v8, 10, v0
	v_and_b32_e32 v7, 63, v7
	v_and_b32_e32 v8, 63, v8
	v_lshl_or_b32 v7, v7, 3, v1
	s_waitcnt lgkmcnt(2)
	v_add_f64 v[3:4], v[3:4], v[9:10]
	v_add_nc_u32_e32 v9, 11, v0
	v_lshl_or_b32 v10, v8, 3, v1
	v_and_b32_e32 v9, 63, v9
	s_waitcnt lgkmcnt(1)
	v_add_f64 v[3:4], v[3:4], v[11:12]
	v_lshl_or_b32 v11, v9, 3, v1
	ds_read_b64 v[7:8], v7
	ds_read_b64 v[9:10], v10
	ds_read_b64 v[11:12], v11
	s_waitcnt lgkmcnt(3)
	v_add_f64 v[3:4], v[3:4], v[5:6]
	v_add_nc_u32_e32 v5, 12, v0
	v_and_b32_e32 v5, 63, v5
	v_lshl_or_b32 v5, v5, 3, v1
	ds_read_b64 v[5:6], v5
	s_waitcnt lgkmcnt(3)
	v_add_f64 v[3:4], v[3:4], v[7:8]
	v_add_nc_u32_e32 v7, 13, v0
	v_add_nc_u32_e32 v8, 14, v0
	v_and_b32_e32 v7, 63, v7
	v_and_b32_e32 v8, 63, v8
	v_lshl_or_b32 v7, v7, 3, v1
	s_waitcnt lgkmcnt(2)
	v_add_f64 v[3:4], v[3:4], v[9:10]
	v_add_nc_u32_e32 v9, 15, v0
	v_lshl_or_b32 v10, v8, 3, v1
	v_and_b32_e32 v9, 63, v9
	s_waitcnt lgkmcnt(1)
	v_add_f64 v[3:4], v[3:4], v[11:12]
	;; [unrolled: 24-line block ×6, first 2 shown]
	v_lshl_or_b32 v11, v9, 3, v1
	ds_read_b64 v[7:8], v7
	ds_read_b64 v[9:10], v10
	;; [unrolled: 1-line block ×3, first 2 shown]
	s_waitcnt lgkmcnt(3)
	v_add_f64 v[3:4], v[3:4], v[5:6]
	v_lshl_or_b32 v5, v2, 3, v1
	v_add_nc_u32_e32 v6, 33, v0
	v_and_b32_e32 v6, 63, v6
	v_lshl_or_b32 v6, v6, 3, v1
	s_waitcnt lgkmcnt(2)
	v_add_f64 v[3:4], v[3:4], v[7:8]
	v_add_nc_u32_e32 v7, 34, v0
	v_add_nc_u32_e32 v8, 35, v0
	v_and_b32_e32 v7, 63, v7
	v_and_b32_e32 v8, 63, v8
	s_waitcnt lgkmcnt(1)
	v_add_f64 v[3:4], v[3:4], v[9:10]
	v_lshl_or_b32 v9, v7, 3, v1
	v_lshl_or_b32 v10, v8, 3, v1
	s_waitcnt lgkmcnt(0)
	v_add_f64 v[2:3], v[3:4], v[11:12]
	ds_read_b64 v[4:5], v5
	ds_read_b64 v[6:7], v6
	ds_read_b64 v[8:9], v9
	ds_read_b64 v[10:11], v10
	v_add_nc_u32_e32 v12, 55, v0
	v_and_b32_e32 v12, 63, v12
	v_lshl_or_b32 v14, v12, 3, v1
	s_waitcnt lgkmcnt(3)
	v_add_f64 v[2:3], v[2:3], v[4:5]
	v_add_nc_u32_e32 v4, 36, v0
	v_and_b32_e32 v4, 63, v4
	v_lshl_or_b32 v4, v4, 3, v1
	ds_read_b64 v[4:5], v4
	s_waitcnt lgkmcnt(3)
	v_add_f64 v[2:3], v[2:3], v[6:7]
	v_add_nc_u32_e32 v6, 37, v0
	v_add_nc_u32_e32 v7, 38, v0
	v_and_b32_e32 v6, 63, v6
	v_and_b32_e32 v7, 63, v7
	v_lshl_or_b32 v6, v6, 3, v1
	s_waitcnt lgkmcnt(2)
	v_add_f64 v[2:3], v[2:3], v[8:9]
	v_add_nc_u32_e32 v8, 39, v0
	v_lshl_or_b32 v9, v7, 3, v1
	v_and_b32_e32 v8, 63, v8
	s_waitcnt lgkmcnt(1)
	v_add_f64 v[2:3], v[2:3], v[10:11]
	v_lshl_or_b32 v10, v8, 3, v1
	ds_read_b64 v[6:7], v6
	ds_read_b64 v[8:9], v9
	ds_read_b64 v[10:11], v10
	s_waitcnt lgkmcnt(3)
	v_add_f64 v[2:3], v[2:3], v[4:5]
	v_add_nc_u32_e32 v4, 40, v0
	v_and_b32_e32 v4, 63, v4
	v_lshl_or_b32 v4, v4, 3, v1
	ds_read_b64 v[4:5], v4
	s_waitcnt lgkmcnt(3)
	v_add_f64 v[2:3], v[2:3], v[6:7]
	v_add_nc_u32_e32 v6, 41, v0
	v_add_nc_u32_e32 v7, 42, v0
	v_and_b32_e32 v6, 63, v6
	v_and_b32_e32 v7, 63, v7
	v_lshl_or_b32 v6, v6, 3, v1
	s_waitcnt lgkmcnt(2)
	v_add_f64 v[2:3], v[2:3], v[8:9]
	v_add_nc_u32_e32 v8, 43, v0
	v_lshl_or_b32 v9, v7, 3, v1
	v_and_b32_e32 v8, 63, v8
	s_waitcnt lgkmcnt(1)
	v_add_f64 v[2:3], v[2:3], v[10:11]
	v_lshl_or_b32 v10, v8, 3, v1
	ds_read_b64 v[6:7], v6
	ds_read_b64 v[8:9], v9
	ds_read_b64 v[10:11], v10
	;; [unrolled: 24-line block ×4, first 2 shown]
	s_waitcnt lgkmcnt(3)
	v_add_f64 v[2:3], v[2:3], v[4:5]
	v_mad_i64_i32 v[4:5], null, s1, v0, 0
	s_addc_u32 s1, s9, s3
	s_lshl_b64 s[2:3], s[4:5], 3
	s_add_u32 s2, s6, s2
	s_addc_u32 s1, s1, s3
	v_lshlrev_b64 v[4:5], 3, v[4:5]
	v_add_co_u32 v4, vcc_lo, s2, v4
	v_add_co_ci_u32_e64 v5, null, s1, v5, vcc_lo
	s_waitcnt lgkmcnt(2)
	v_add_f64 v[2:3], v[2:3], v[6:7]
	s_waitcnt lgkmcnt(1)
	v_add_f64 v[6:7], v[2:3], v[8:9]
	v_add_nc_u32_e32 v8, 52, v0
	flat_load_dwordx2 v[2:3], v[4:5]
	v_and_b32_e32 v8, 63, v8
	v_lshl_or_b32 v8, v8, 3, v1
	ds_read_b64 v[8:9], v8
	s_waitcnt lgkmcnt(2)
	v_add_f64 v[6:7], v[6:7], v[10:11]
	v_add_nc_u32_e32 v10, 53, v0
	v_add_nc_u32_e32 v11, 54, v0
	v_and_b32_e32 v10, 63, v10
	v_and_b32_e32 v11, 63, v11
	v_lshl_or_b32 v10, v10, 3, v1
	v_lshl_or_b32 v13, v11, 3, v1
	ds_read_b64 v[10:11], v10
	ds_read_b64 v[12:13], v13
	;; [unrolled: 1-line block ×3, first 2 shown]
	s_waitcnt lgkmcnt(3)
	v_add_f64 v[6:7], v[6:7], v[8:9]
	v_add_nc_u32_e32 v8, 56, v0
	v_and_b32_e32 v8, 63, v8
	v_lshl_or_b32 v8, v8, 3, v1
	ds_read_b64 v[8:9], v8
	s_waitcnt lgkmcnt(3)
	v_add_f64 v[6:7], v[6:7], v[10:11]
	v_add_nc_u32_e32 v10, 57, v0
	v_add_nc_u32_e32 v11, 58, v0
	v_and_b32_e32 v10, 63, v10
	v_and_b32_e32 v11, 63, v11
	v_lshl_or_b32 v10, v10, 3, v1
	s_waitcnt lgkmcnt(2)
	v_add_f64 v[6:7], v[6:7], v[12:13]
	v_add_nc_u32_e32 v12, 59, v0
	v_lshl_or_b32 v13, v11, 3, v1
	v_and_b32_e32 v12, 63, v12
	s_waitcnt lgkmcnt(1)
	v_add_f64 v[6:7], v[6:7], v[14:15]
	v_lshl_or_b32 v14, v12, 3, v1
	ds_read_b64 v[10:11], v10
	ds_read_b64 v[12:13], v13
	;; [unrolled: 1-line block ×3, first 2 shown]
	s_waitcnt lgkmcnt(3)
	v_add_f64 v[6:7], v[6:7], v[8:9]
	v_add_nc_u32_e32 v8, 60, v0
	v_and_b32_e32 v8, 63, v8
	v_lshl_or_b32 v8, v8, 3, v1
	ds_read_b64 v[8:9], v8
	s_waitcnt lgkmcnt(3)
	v_add_f64 v[6:7], v[6:7], v[10:11]
	v_add_nc_u32_e32 v10, 61, v0
	v_add_nc_u32_e32 v11, 62, v0
	v_add_nc_u32_e32 v0, -1, v0
	v_and_b32_e32 v10, 63, v10
	v_and_b32_e32 v11, 63, v11
	;; [unrolled: 1-line block ×3, first 2 shown]
	v_lshl_or_b32 v10, v10, 3, v1
	v_lshl_or_b32 v11, v11, 3, v1
	s_waitcnt lgkmcnt(2)
	v_add_f64 v[6:7], v[6:7], v[12:13]
	v_lshl_or_b32 v12, v0, 3, v1
	ds_read_b64 v[0:1], v10
	ds_read_b64 v[10:11], v11
	;; [unrolled: 1-line block ×3, first 2 shown]
	s_waitcnt lgkmcnt(4)
	v_add_f64 v[6:7], v[6:7], v[14:15]
	s_waitcnt lgkmcnt(3)
	v_add_f64 v[6:7], v[6:7], v[8:9]
	;; [unrolled: 2-line block ×5, first 2 shown]
	v_mul_f64 v[6:7], s[10:11], v[0:1]
.LBB267_11:                             ; =>This Inner Loop Header: Depth=1
	s_waitcnt vmcnt(0)
	v_add_f64 v[0:1], v[2:3], v[6:7]
	flat_atomic_cmpswap_x2 v[0:1], v[4:5], v[0:3] glc
	s_waitcnt vmcnt(0) lgkmcnt(0)
	v_cmp_eq_u64_e32 vcc_lo, v[0:1], v[2:3]
	v_mov_b32_e32 v3, v1
	v_mov_b32_e32 v2, v0
	s_or_b32 s0, vcc_lo, s0
	s_andn2_b32 exec_lo, exec_lo, s0
	s_cbranch_execnz .LBB267_11
.LBB267_12:
	s_endpgm
	.section	.rodata,"a",@progbits
	.p2align	6, 0x0
	.amdhsa_kernel _ZL36rocblas_gemvt_double_buffered_kernelILb0ELi128ELi4ELi16EPKddKPdEviiT4_lPKT3_lilS7_lilPT5_lili
		.amdhsa_group_segment_fixed_size 65536
		.amdhsa_private_segment_fixed_size 0
		.amdhsa_kernarg_size 384
		.amdhsa_user_sgpr_count 6
		.amdhsa_user_sgpr_private_segment_buffer 1
		.amdhsa_user_sgpr_dispatch_ptr 0
		.amdhsa_user_sgpr_queue_ptr 0
		.amdhsa_user_sgpr_kernarg_segment_ptr 1
		.amdhsa_user_sgpr_dispatch_id 0
		.amdhsa_user_sgpr_flat_scratch_init 0
		.amdhsa_user_sgpr_private_segment_size 0
		.amdhsa_wavefront_size32 1
		.amdhsa_uses_dynamic_stack 0
		.amdhsa_system_sgpr_private_segment_wavefront_offset 0
		.amdhsa_system_sgpr_workgroup_id_x 1
		.amdhsa_system_sgpr_workgroup_id_y 1
		.amdhsa_system_sgpr_workgroup_id_z 1
		.amdhsa_system_sgpr_workgroup_info 0
		.amdhsa_system_vgpr_workitem_id 1
		.amdhsa_next_free_vgpr 174
		.amdhsa_next_free_sgpr 32
		.amdhsa_reserve_vcc 1
		.amdhsa_reserve_flat_scratch 1
		.amdhsa_float_round_mode_32 0
		.amdhsa_float_round_mode_16_64 0
		.amdhsa_float_denorm_mode_32 3
		.amdhsa_float_denorm_mode_16_64 3
		.amdhsa_dx10_clamp 1
		.amdhsa_ieee_mode 1
		.amdhsa_fp16_overflow 0
		.amdhsa_workgroup_processor_mode 1
		.amdhsa_memory_ordered 1
		.amdhsa_forward_progress 1
		.amdhsa_shared_vgpr_count 0
		.amdhsa_exception_fp_ieee_invalid_op 0
		.amdhsa_exception_fp_denorm_src 0
		.amdhsa_exception_fp_ieee_div_zero 0
		.amdhsa_exception_fp_ieee_overflow 0
		.amdhsa_exception_fp_ieee_underflow 0
		.amdhsa_exception_fp_ieee_inexact 0
		.amdhsa_exception_int_div_zero 0
	.end_amdhsa_kernel
	.section	.text._ZL36rocblas_gemvt_double_buffered_kernelILb0ELi128ELi4ELi16EPKddKPdEviiT4_lPKT3_lilS7_lilPT5_lili,"axG",@progbits,_ZL36rocblas_gemvt_double_buffered_kernelILb0ELi128ELi4ELi16EPKddKPdEviiT4_lPKT3_lilS7_lilPT5_lili,comdat
.Lfunc_end267:
	.size	_ZL36rocblas_gemvt_double_buffered_kernelILb0ELi128ELi4ELi16EPKddKPdEviiT4_lPKT3_lilS7_lilPT5_lili, .Lfunc_end267-_ZL36rocblas_gemvt_double_buffered_kernelILb0ELi128ELi4ELi16EPKddKPdEviiT4_lPKT3_lilS7_lilPT5_lili
                                        ; -- End function
	.set _ZL36rocblas_gemvt_double_buffered_kernelILb0ELi128ELi4ELi16EPKddKPdEviiT4_lPKT3_lilS7_lilPT5_lili.num_vgpr, 174
	.set _ZL36rocblas_gemvt_double_buffered_kernelILb0ELi128ELi4ELi16EPKddKPdEviiT4_lPKT3_lilS7_lilPT5_lili.num_agpr, 0
	.set _ZL36rocblas_gemvt_double_buffered_kernelILb0ELi128ELi4ELi16EPKddKPdEviiT4_lPKT3_lilS7_lilPT5_lili.numbered_sgpr, 32
	.set _ZL36rocblas_gemvt_double_buffered_kernelILb0ELi128ELi4ELi16EPKddKPdEviiT4_lPKT3_lilS7_lilPT5_lili.num_named_barrier, 0
	.set _ZL36rocblas_gemvt_double_buffered_kernelILb0ELi128ELi4ELi16EPKddKPdEviiT4_lPKT3_lilS7_lilPT5_lili.private_seg_size, 0
	.set _ZL36rocblas_gemvt_double_buffered_kernelILb0ELi128ELi4ELi16EPKddKPdEviiT4_lPKT3_lilS7_lilPT5_lili.uses_vcc, 1
	.set _ZL36rocblas_gemvt_double_buffered_kernelILb0ELi128ELi4ELi16EPKddKPdEviiT4_lPKT3_lilS7_lilPT5_lili.uses_flat_scratch, 1
	.set _ZL36rocblas_gemvt_double_buffered_kernelILb0ELi128ELi4ELi16EPKddKPdEviiT4_lPKT3_lilS7_lilPT5_lili.has_dyn_sized_stack, 0
	.set _ZL36rocblas_gemvt_double_buffered_kernelILb0ELi128ELi4ELi16EPKddKPdEviiT4_lPKT3_lilS7_lilPT5_lili.has_recursion, 0
	.set _ZL36rocblas_gemvt_double_buffered_kernelILb0ELi128ELi4ELi16EPKddKPdEviiT4_lPKT3_lilS7_lilPT5_lili.has_indirect_call, 0
	.section	.AMDGPU.csdata,"",@progbits
; Kernel info:
; codeLenInByte = 6644
; TotalNumSgprs: 34
; NumVgprs: 174
; ScratchSize: 0
; MemoryBound: 0
; FloatMode: 240
; IeeeMode: 1
; LDSByteSize: 65536 bytes/workgroup (compile time only)
; SGPRBlocks: 0
; VGPRBlocks: 21
; NumSGPRsForWavesPerEU: 34
; NumVGPRsForWavesPerEU: 174
; Occupancy: 5
; WaveLimiterHint : 1
; COMPUTE_PGM_RSRC2:SCRATCH_EN: 0
; COMPUTE_PGM_RSRC2:USER_SGPR: 6
; COMPUTE_PGM_RSRC2:TRAP_HANDLER: 0
; COMPUTE_PGM_RSRC2:TGID_X_EN: 1
; COMPUTE_PGM_RSRC2:TGID_Y_EN: 1
; COMPUTE_PGM_RSRC2:TGID_Z_EN: 1
; COMPUTE_PGM_RSRC2:TIDIG_COMP_CNT: 1
	.section	.text._ZL32rocblas_gemvt_warp_reduce_kernelILb0ELi256EiPKdS1_KPdEviiT3_lPKT2_lT1_lS7_lS8_lS4_lPT4_lS8_li,"axG",@progbits,_ZL32rocblas_gemvt_warp_reduce_kernelILb0ELi256EiPKdS1_KPdEviiT3_lPKT2_lT1_lS7_lS8_lS4_lPT4_lS8_li,comdat
	.globl	_ZL32rocblas_gemvt_warp_reduce_kernelILb0ELi256EiPKdS1_KPdEviiT3_lPKT2_lT1_lS7_lS8_lS4_lPT4_lS8_li ; -- Begin function _ZL32rocblas_gemvt_warp_reduce_kernelILb0ELi256EiPKdS1_KPdEviiT3_lPKT2_lT1_lS7_lS8_lS4_lPT4_lS8_li
	.p2align	8
	.type	_ZL32rocblas_gemvt_warp_reduce_kernelILb0ELi256EiPKdS1_KPdEviiT3_lPKT2_lT1_lS7_lS8_lS4_lPT4_lS8_li,@function
_ZL32rocblas_gemvt_warp_reduce_kernelILb0ELi256EiPKdS1_KPdEviiT3_lPKT2_lT1_lS7_lS8_lS4_lPT4_lS8_li: ; @_ZL32rocblas_gemvt_warp_reduce_kernelILb0ELi256EiPKdS1_KPdEviiT3_lPKT2_lT1_lS7_lS8_lS4_lPT4_lS8_li
; %bb.0:
	s_clause 0x1
	s_load_dwordx8 s[16:23], s[4:5], 0x8
	s_load_dwordx8 s[8:15], s[4:5], 0x58
	s_mov_b32 s0, s7
	s_waitcnt lgkmcnt(0)
	s_mul_i32 s1, s19, s7
	s_mul_hi_u32 s3, s18, s7
	s_mul_i32 s2, s18, s7
	s_add_i32 s3, s3, s1
	s_mul_i32 s1, s11, s7
	s_lshl_b64 s[2:3], s[2:3], 3
	s_mul_hi_u32 s7, s10, s7
	s_add_u32 s2, s16, s2
	s_addc_u32 s3, s17, s3
	s_add_i32 s11, s7, s1
	s_mul_i32 s10, s10, s0
	s_mov_b64 s[16:17], 0
	s_lshl_b64 s[10:11], s[10:11], 3
	s_add_u32 s10, s8, s10
	s_addc_u32 s11, s9, s11
	s_load_dwordx2 s[8:9], s[2:3], 0x0
	s_load_dwordx2 s[2:3], s[10:11], 0x0
	s_waitcnt lgkmcnt(0)
	v_cmp_eq_f64_e64 s19, s[8:9], 0
	v_cmp_eq_f64_e64 s1, s[2:3], 1.0
	s_and_b32 s1, s19, s1
	s_and_b32 vcc_lo, exec_lo, s1
	s_cbranch_vccnz .LBB268_34
; %bb.1:
	v_cmp_neq_f64_e64 s7, s[8:9], 0
	s_and_b32 vcc_lo, exec_lo, s19
	s_mov_b32 s1, 0
	s_cbranch_vccnz .LBB268_3
; %bb.2:
	s_lshl_b64 s[10:11], s[0:1], 3
	s_add_u32 s10, s20, s10
	s_addc_u32 s11, s21, s11
	s_lshl_b64 s[16:17], s[22:23], 3
	s_load_dwordx2 s[10:11], s[10:11], 0x0
	s_waitcnt lgkmcnt(0)
	s_add_u32 s16, s10, s16
	s_addc_u32 s17, s11, s17
.LBB268_3:
	s_andn2_b32 vcc_lo, exec_lo, s7
	s_cbranch_vccnz .LBB268_5
; %bb.4:
	s_load_dwordx4 s[20:23], s[4:5], 0x38
	s_lshl_b64 s[10:11], s[0:1], 3
	s_waitcnt lgkmcnt(0)
	s_add_u32 s10, s20, s10
	s_addc_u32 s11, s21, s11
	s_lshl_b64 s[20:21], s[22:23], 3
	s_load_dwordx2 s[10:11], s[10:11], 0x0
	s_waitcnt lgkmcnt(0)
	s_add_u32 s10, s10, s20
	s_addc_u32 s11, s11, s21
	s_branch .LBB268_6
.LBB268_5:
	s_mov_b64 s[10:11], 0
.LBB268_6:
	s_lshl_b64 s[0:1], s[0:1], 3
	s_add_u32 s0, s12, s0
	s_addc_u32 s1, s13, s1
	s_lshl_b64 s[14:15], s[14:15], 3
	s_load_dwordx2 s[12:13], s[0:1], 0x0
	s_load_dword s18, s[4:5], 0x78
	v_cmp_eq_u32_e64 s0, 0, v0
	s_waitcnt lgkmcnt(0)
	s_add_u32 s1, s12, s14
	s_addc_u32 s7, s13, s15
	s_andn2_b32 vcc_lo, exec_lo, s19
	s_cbranch_vccnz .LBB268_11
; %bb.7:
	s_mov_b32 s15, 0
	s_mov_b32 s14, 0
                                        ; implicit-def: $vgpr1_vgpr2
                                        ; implicit-def: $sgpr12_sgpr13
	s_and_saveexec_b32 s19, s0
	s_cbranch_execz .LBB268_12
; %bb.8:
	v_cmp_eq_f64_e64 s0, s[2:3], 0
	v_mov_b32_e32 v1, 0
	v_mov_b32_e32 v2, 0
	s_mul_i32 s12, s18, s6
	s_ashr_i32 s13, s12, 31
	s_and_b32 vcc_lo, exec_lo, s0
	s_cbranch_vccnz .LBB268_10
; %bb.9:
	s_lshl_b64 s[20:21], s[12:13], 3
	s_add_u32 s20, s1, s20
	s_addc_u32 s21, s7, s21
	v_mov_b32_e32 v1, s20
	v_mov_b32_e32 v2, s21
	flat_load_dwordx2 v[1:2], v[1:2]
	s_waitcnt vmcnt(0) lgkmcnt(0)
	v_mul_f64 v[1:2], s[2:3], v[1:2]
.LBB268_10:
	s_mov_b32 s14, exec_lo
	s_or_b32 exec_lo, exec_lo, s19
	s_and_b32 vcc_lo, exec_lo, s15
	s_cbranch_vccnz .LBB268_13
	s_branch .LBB268_32
.LBB268_11:
	s_mov_b32 s14, 0
                                        ; implicit-def: $vgpr1_vgpr2
                                        ; implicit-def: $sgpr12_sgpr13
	s_cbranch_execnz .LBB268_13
	s_branch .LBB268_32
.LBB268_12:
	s_or_b32 exec_lo, exec_lo, s19
	s_and_b32 vcc_lo, exec_lo, s15
	s_cbranch_vccz .LBB268_32
.LBB268_13:
	s_clause 0x2
	s_load_dword s12, s[4:5], 0x0
	s_load_dword s0, s[4:5], 0x28
	;; [unrolled: 1-line block ×3, first 2 shown]
	v_mov_b32_e32 v1, 0
	v_mov_b32_e32 v2, 0
	s_mov_b32 s15, 0
	s_mov_b32 s13, exec_lo
	s_waitcnt lgkmcnt(0)
	v_cmp_gt_i32_e32 vcc_lo, s12, v0
	s_mul_i32 s20, s0, s6
	s_ashr_i32 s0, s12, 31
	s_ashr_i32 s21, s20, 31
	s_lshr_b32 s0, s0, 24
	v_cndmask_b32_e32 v3, 0, v0, vcc_lo
	s_lshl_b64 s[20:21], s[20:21], 3
	s_add_i32 s0, s12, s0
	v_lshlrev_b32_e32 v3, 3, v3
	v_add_co_u32 v3, s4, s16, v3
	v_add_co_ci_u32_e64 v4, null, s17, 0, s4
	s_and_b32 s4, s0, 0xffffff00
	v_add_co_u32 v3, vcc_lo, v3, s20
	v_add_co_ci_u32_e64 v4, null, s21, v4, vcc_lo
	v_cmpx_gt_i32_e64 s4, v0
	s_cbranch_execz .LBB268_17
; %bb.14:
	v_mul_lo_u32 v5, v0, s5
	v_mov_b32_e32 v1, 0
	v_mov_b32_e32 v8, v4
	;; [unrolled: 1-line block ×5, first 2 shown]
	s_lshl_b32 s16, s5, 8
	.p2align	6
.LBB268_15:                             ; =>This Inner Loop Header: Depth=1
	v_ashrrev_i32_e32 v6, 31, v5
	v_add_nc_u32_e32 v9, 0x100, v9
	v_lshlrev_b64 v[10:11], 3, v[5:6]
	v_cmp_le_i32_e64 s0, s4, v9
	v_add_nc_u32_e32 v5, s16, v5
	s_or_b32 s15, s0, s15
	v_add_co_u32 v10, vcc_lo, s10, v10
	v_add_co_ci_u32_e64 v11, null, s11, v11, vcc_lo
	flat_load_dwordx2 v[12:13], v[7:8]
	flat_load_dwordx2 v[10:11], v[10:11]
	v_add_co_u32 v7, vcc_lo, 0x800, v7
	v_add_co_ci_u32_e64 v8, null, 0, v8, vcc_lo
	s_waitcnt vmcnt(0) lgkmcnt(0)
	v_fma_f64 v[1:2], v[12:13], v[10:11], v[1:2]
	s_andn2_b32 exec_lo, exec_lo, s15
	s_cbranch_execnz .LBB268_15
; %bb.16:
	s_or_b32 exec_lo, exec_lo, s15
.LBB268_17:
	s_or_b32 exec_lo, exec_lo, s13
	v_add_nc_u32_e32 v5, s4, v0
	s_mov_b32 s0, exec_lo
	v_cmpx_gt_i32_e64 s12, v5
	s_cbranch_execz .LBB268_19
; %bb.18:
	v_mul_lo_u32 v5, s5, v5
	s_ashr_i32 s5, s4, 31
	s_lshl_b64 s[4:5], s[4:5], 3
	v_add_co_u32 v3, vcc_lo, v3, s4
	v_add_co_ci_u32_e64 v4, null, s5, v4, vcc_lo
	v_ashrrev_i32_e32 v6, 31, v5
	v_lshlrev_b64 v[5:6], 3, v[5:6]
	v_add_co_u32 v5, vcc_lo, s10, v5
	v_add_co_ci_u32_e64 v6, null, s11, v6, vcc_lo
	flat_load_dwordx2 v[3:4], v[3:4]
	flat_load_dwordx2 v[5:6], v[5:6]
	s_waitcnt vmcnt(0) lgkmcnt(0)
	v_fma_f64 v[1:2], v[3:4], v[5:6], v[1:2]
.LBB268_19:
	s_or_b32 exec_lo, exec_lo, s0
	v_and_b32_e32 v9, 31, v0
	v_cmp_gt_u32_e32 vcc_lo, 32, v0
	v_lshlrev_b32_e32 v5, 3, v9
	s_and_saveexec_b32 s0, vcc_lo
; %bb.20:
	v_mov_b32_e32 v3, 0
	v_mov_b32_e32 v4, v3
	ds_write_b64 v5, v[3:4]
; %bb.21:
	s_or_b32 exec_lo, exec_lo, s0
	v_mbcnt_lo_u32_b32 v8, -1, 0
	s_mov_b32 s4, exec_lo
	s_waitcnt lgkmcnt(0)
	s_barrier
	buffer_gl0_inv
	v_lshl_or_b32 v4, v8, 2, 64
	v_cmp_gt_u32_e64 s0, 24, v8
	ds_bpermute_b32 v3, v4, v1
	ds_bpermute_b32 v4, v4, v2
	s_waitcnt lgkmcnt(0)
	v_add_f64 v[1:2], v[1:2], v[3:4]
	v_cndmask_b32_e64 v3, 0, 8, s0
	v_cmp_gt_u32_e64 s0, 28, v8
	v_add_lshl_u32 v4, v3, v8, 2
	ds_bpermute_b32 v3, v4, v1
	ds_bpermute_b32 v4, v4, v2
	s_waitcnt lgkmcnt(0)
	v_add_f64 v[1:2], v[1:2], v[3:4]
	v_cndmask_b32_e64 v3, 0, 4, s0
	v_cmp_gt_u32_e64 s0, 30, v8
	v_add_lshl_u32 v6, v3, v8, 2
	ds_bpermute_b32 v3, v6, v1
	ds_bpermute_b32 v4, v6, v2
	s_waitcnt lgkmcnt(0)
	v_add_f64 v[1:2], v[1:2], v[3:4]
	v_cndmask_b32_e64 v3, 0, 2, s0
	v_cmp_ne_u32_e64 s0, 31, v8
	v_add_lshl_u32 v7, v3, v8, 2
	ds_bpermute_b32 v3, v7, v1
	ds_bpermute_b32 v4, v7, v2
	s_waitcnt lgkmcnt(0)
	v_add_f64 v[1:2], v[1:2], v[3:4]
	v_add_co_ci_u32_e64 v3, null, 0, v8, s0
	v_lshlrev_b32_e32 v8, 2, v3
	ds_bpermute_b32 v3, v8, v1
	ds_bpermute_b32 v4, v8, v2
	v_cmpx_eq_u32_e32 0, v9
	s_cbranch_execz .LBB268_23
; %bb.22:
	s_waitcnt lgkmcnt(0)
	v_add_f64 v[1:2], v[1:2], v[3:4]
	v_lshrrev_b32_e32 v3, 2, v0
	v_and_b32_e32 v3, 56, v3
	ds_write_b64 v3, v[1:2]
.LBB268_23:
	s_or_b32 exec_lo, exec_lo, s4
	s_waitcnt lgkmcnt(0)
	v_mov_b32_e32 v3, 0
	v_mov_b32_e32 v4, 0
	s_mov_b32 s4, exec_lo
	s_barrier
	buffer_gl0_inv
	v_cmpx_gt_u32_e32 8, v0
; %bb.24:
	ds_read_b64 v[3:4], v5
; %bb.25:
	s_or_b32 exec_lo, exec_lo, s4
	s_and_saveexec_b32 s0, vcc_lo
	s_cbranch_execz .LBB268_27
; %bb.26:
	s_waitcnt lgkmcnt(0)
	ds_bpermute_b32 v1, v6, v3
	ds_bpermute_b32 v2, v6, v4
	s_waitcnt lgkmcnt(0)
	v_add_f64 v[1:2], v[3:4], v[1:2]
	ds_bpermute_b32 v3, v7, v1
	ds_bpermute_b32 v4, v7, v2
	s_waitcnt lgkmcnt(0)
	v_add_f64 v[1:2], v[1:2], v[3:4]
	;; [unrolled: 4-line block ×3, first 2 shown]
.LBB268_27:
	s_or_b32 exec_lo, exec_lo, s0
	s_mov_b32 s0, exec_lo
                                        ; implicit-def: $vgpr1_vgpr2
                                        ; implicit-def: $sgpr12_sgpr13
	v_cmpx_eq_u32_e32 0, v0
	s_cbranch_execz .LBB268_31
; %bb.28:
	v_cmp_eq_f64_e64 s4, s[2:3], 0
	s_waitcnt lgkmcnt(0)
	v_mul_f64 v[1:2], s[8:9], v[3:4]
	s_mul_i32 s12, s18, s6
	s_ashr_i32 s13, s12, 31
	s_and_b32 vcc_lo, exec_lo, s4
	s_cbranch_vccnz .LBB268_30
; %bb.29:
	s_lshl_b64 s[4:5], s[12:13], 3
	s_add_u32 s4, s1, s4
	s_addc_u32 s5, s7, s5
	v_mov_b32_e32 v3, s4
	v_mov_b32_e32 v4, s5
	flat_load_dwordx2 v[3:4], v[3:4]
	s_waitcnt vmcnt(0) lgkmcnt(0)
	v_fma_f64 v[1:2], s[2:3], v[3:4], v[1:2]
.LBB268_30:
	s_or_b32 s14, s14, exec_lo
.LBB268_31:
	s_or_b32 exec_lo, exec_lo, s0
.LBB268_32:
	s_and_saveexec_b32 s0, s14
	s_cbranch_execz .LBB268_34
; %bb.33:
	s_lshl_b64 s[2:3], s[12:13], 3
	s_add_u32 s0, s1, s2
	s_addc_u32 s1, s7, s3
	s_waitcnt lgkmcnt(0)
	v_mov_b32_e32 v4, s1
	v_mov_b32_e32 v3, s0
	flat_store_dwordx2 v[3:4], v[1:2]
.LBB268_34:
	s_endpgm
	.section	.rodata,"a",@progbits
	.p2align	6, 0x0
	.amdhsa_kernel _ZL32rocblas_gemvt_warp_reduce_kernelILb0ELi256EiPKdS1_KPdEviiT3_lPKT2_lT1_lS7_lS8_lS4_lPT4_lS8_li
		.amdhsa_group_segment_fixed_size 256
		.amdhsa_private_segment_fixed_size 0
		.amdhsa_kernarg_size 140
		.amdhsa_user_sgpr_count 6
		.amdhsa_user_sgpr_private_segment_buffer 1
		.amdhsa_user_sgpr_dispatch_ptr 0
		.amdhsa_user_sgpr_queue_ptr 0
		.amdhsa_user_sgpr_kernarg_segment_ptr 1
		.amdhsa_user_sgpr_dispatch_id 0
		.amdhsa_user_sgpr_flat_scratch_init 0
		.amdhsa_user_sgpr_private_segment_size 0
		.amdhsa_wavefront_size32 1
		.amdhsa_uses_dynamic_stack 0
		.amdhsa_system_sgpr_private_segment_wavefront_offset 0
		.amdhsa_system_sgpr_workgroup_id_x 1
		.amdhsa_system_sgpr_workgroup_id_y 0
		.amdhsa_system_sgpr_workgroup_id_z 1
		.amdhsa_system_sgpr_workgroup_info 0
		.amdhsa_system_vgpr_workitem_id 0
		.amdhsa_next_free_vgpr 14
		.amdhsa_next_free_sgpr 24
		.amdhsa_reserve_vcc 1
		.amdhsa_reserve_flat_scratch 0
		.amdhsa_float_round_mode_32 0
		.amdhsa_float_round_mode_16_64 0
		.amdhsa_float_denorm_mode_32 3
		.amdhsa_float_denorm_mode_16_64 3
		.amdhsa_dx10_clamp 1
		.amdhsa_ieee_mode 1
		.amdhsa_fp16_overflow 0
		.amdhsa_workgroup_processor_mode 1
		.amdhsa_memory_ordered 1
		.amdhsa_forward_progress 1
		.amdhsa_shared_vgpr_count 0
		.amdhsa_exception_fp_ieee_invalid_op 0
		.amdhsa_exception_fp_denorm_src 0
		.amdhsa_exception_fp_ieee_div_zero 0
		.amdhsa_exception_fp_ieee_overflow 0
		.amdhsa_exception_fp_ieee_underflow 0
		.amdhsa_exception_fp_ieee_inexact 0
		.amdhsa_exception_int_div_zero 0
	.end_amdhsa_kernel
	.section	.text._ZL32rocblas_gemvt_warp_reduce_kernelILb0ELi256EiPKdS1_KPdEviiT3_lPKT2_lT1_lS7_lS8_lS4_lPT4_lS8_li,"axG",@progbits,_ZL32rocblas_gemvt_warp_reduce_kernelILb0ELi256EiPKdS1_KPdEviiT3_lPKT2_lT1_lS7_lS8_lS4_lPT4_lS8_li,comdat
.Lfunc_end268:
	.size	_ZL32rocblas_gemvt_warp_reduce_kernelILb0ELi256EiPKdS1_KPdEviiT3_lPKT2_lT1_lS7_lS8_lS4_lPT4_lS8_li, .Lfunc_end268-_ZL32rocblas_gemvt_warp_reduce_kernelILb0ELi256EiPKdS1_KPdEviiT3_lPKT2_lT1_lS7_lS8_lS4_lPT4_lS8_li
                                        ; -- End function
	.set _ZL32rocblas_gemvt_warp_reduce_kernelILb0ELi256EiPKdS1_KPdEviiT3_lPKT2_lT1_lS7_lS8_lS4_lPT4_lS8_li.num_vgpr, 14
	.set _ZL32rocblas_gemvt_warp_reduce_kernelILb0ELi256EiPKdS1_KPdEviiT3_lPKT2_lT1_lS7_lS8_lS4_lPT4_lS8_li.num_agpr, 0
	.set _ZL32rocblas_gemvt_warp_reduce_kernelILb0ELi256EiPKdS1_KPdEviiT3_lPKT2_lT1_lS7_lS8_lS4_lPT4_lS8_li.numbered_sgpr, 24
	.set _ZL32rocblas_gemvt_warp_reduce_kernelILb0ELi256EiPKdS1_KPdEviiT3_lPKT2_lT1_lS7_lS8_lS4_lPT4_lS8_li.num_named_barrier, 0
	.set _ZL32rocblas_gemvt_warp_reduce_kernelILb0ELi256EiPKdS1_KPdEviiT3_lPKT2_lT1_lS7_lS8_lS4_lPT4_lS8_li.private_seg_size, 0
	.set _ZL32rocblas_gemvt_warp_reduce_kernelILb0ELi256EiPKdS1_KPdEviiT3_lPKT2_lT1_lS7_lS8_lS4_lPT4_lS8_li.uses_vcc, 1
	.set _ZL32rocblas_gemvt_warp_reduce_kernelILb0ELi256EiPKdS1_KPdEviiT3_lPKT2_lT1_lS7_lS8_lS4_lPT4_lS8_li.uses_flat_scratch, 0
	.set _ZL32rocblas_gemvt_warp_reduce_kernelILb0ELi256EiPKdS1_KPdEviiT3_lPKT2_lT1_lS7_lS8_lS4_lPT4_lS8_li.has_dyn_sized_stack, 0
	.set _ZL32rocblas_gemvt_warp_reduce_kernelILb0ELi256EiPKdS1_KPdEviiT3_lPKT2_lT1_lS7_lS8_lS4_lPT4_lS8_li.has_recursion, 0
	.set _ZL32rocblas_gemvt_warp_reduce_kernelILb0ELi256EiPKdS1_KPdEviiT3_lPKT2_lT1_lS7_lS8_lS4_lPT4_lS8_li.has_indirect_call, 0
	.section	.AMDGPU.csdata,"",@progbits
; Kernel info:
; codeLenInByte = 1484
; TotalNumSgprs: 26
; NumVgprs: 14
; ScratchSize: 0
; MemoryBound: 0
; FloatMode: 240
; IeeeMode: 1
; LDSByteSize: 256 bytes/workgroup (compile time only)
; SGPRBlocks: 0
; VGPRBlocks: 1
; NumSGPRsForWavesPerEU: 26
; NumVGPRsForWavesPerEU: 14
; Occupancy: 16
; WaveLimiterHint : 1
; COMPUTE_PGM_RSRC2:SCRATCH_EN: 0
; COMPUTE_PGM_RSRC2:USER_SGPR: 6
; COMPUTE_PGM_RSRC2:TRAP_HANDLER: 0
; COMPUTE_PGM_RSRC2:TGID_X_EN: 1
; COMPUTE_PGM_RSRC2:TGID_Y_EN: 0
; COMPUTE_PGM_RSRC2:TGID_Z_EN: 1
; COMPUTE_PGM_RSRC2:TIDIG_COMP_CNT: 0
	.section	.text._ZL32rocblas_gemvt_warp_reduce_kernelILb0ELi256ElPKdS1_KPdEviiT3_lPKT2_lT1_lS7_lS8_lS4_lPT4_lS8_li,"axG",@progbits,_ZL32rocblas_gemvt_warp_reduce_kernelILb0ELi256ElPKdS1_KPdEviiT3_lPKT2_lT1_lS7_lS8_lS4_lPT4_lS8_li,comdat
	.globl	_ZL32rocblas_gemvt_warp_reduce_kernelILb0ELi256ElPKdS1_KPdEviiT3_lPKT2_lT1_lS7_lS8_lS4_lPT4_lS8_li ; -- Begin function _ZL32rocblas_gemvt_warp_reduce_kernelILb0ELi256ElPKdS1_KPdEviiT3_lPKT2_lT1_lS7_lS8_lS4_lPT4_lS8_li
	.p2align	8
	.type	_ZL32rocblas_gemvt_warp_reduce_kernelILb0ELi256ElPKdS1_KPdEviiT3_lPKT2_lT1_lS7_lS8_lS4_lPT4_lS8_li,@function
_ZL32rocblas_gemvt_warp_reduce_kernelILb0ELi256ElPKdS1_KPdEviiT3_lPKT2_lT1_lS7_lS8_lS4_lPT4_lS8_li: ; @_ZL32rocblas_gemvt_warp_reduce_kernelILb0ELi256ElPKdS1_KPdEviiT3_lPKT2_lT1_lS7_lS8_lS4_lPT4_lS8_li
; %bb.0:
	s_clause 0x1
	s_load_dwordx8 s[16:23], s[4:5], 0x8
	s_load_dwordx8 s[8:15], s[4:5], 0x58
	s_mov_b64 s[24:25], 0
	s_waitcnt lgkmcnt(0)
	s_mul_i32 s1, s19, s7
	s_mul_hi_u32 s2, s18, s7
	s_mul_i32 s0, s18, s7
	s_add_i32 s1, s2, s1
	s_mul_i32 s2, s11, s7
	s_lshl_b64 s[0:1], s[0:1], 3
	s_mul_hi_u32 s3, s10, s7
	s_add_u32 s0, s16, s0
	s_addc_u32 s1, s17, s1
	s_add_i32 s3, s3, s2
	s_mul_i32 s2, s10, s7
	s_lshl_b64 s[2:3], s[2:3], 3
	s_add_u32 s2, s8, s2
	s_addc_u32 s3, s9, s3
	s_load_dwordx2 s[10:11], s[0:1], 0x0
	s_load_dwordx2 s[8:9], s[2:3], 0x0
	s_waitcnt lgkmcnt(0)
	v_cmp_eq_f64_e64 s30, s[10:11], 0
	v_cmp_eq_f64_e64 s0, s[8:9], 1.0
	s_and_b32 s0, s30, s0
	s_and_b32 vcc_lo, exec_lo, s0
	s_cbranch_vccnz .LBB269_34
; %bb.1:
	s_mov_b32 s28, s7
	v_cmp_neq_f64_e64 s7, s[10:11], 0
	s_clause 0x1
	s_load_dwordx2 s[26:27], s[4:5], 0x28
	s_load_dwordx2 s[16:17], s[4:5], 0x78
	s_and_b32 vcc_lo, exec_lo, s30
	s_mov_b32 s29, 0
	s_cbranch_vccnz .LBB269_3
; %bb.2:
	s_lshl_b64 s[0:1], s[28:29], 3
	s_add_u32 s0, s20, s0
	s_addc_u32 s1, s21, s1
	s_lshl_b64 s[2:3], s[22:23], 3
	s_load_dwordx2 s[0:1], s[0:1], 0x0
	s_waitcnt lgkmcnt(0)
	s_add_u32 s24, s0, s2
	s_addc_u32 s25, s1, s3
.LBB269_3:
	s_clause 0x1
	s_load_dwordx4 s[0:3], s[4:5], 0x38
	s_load_dwordx2 s[18:19], s[4:5], 0x48
	s_andn2_b32 vcc_lo, exec_lo, s7
	s_cbranch_vccnz .LBB269_5
; %bb.4:
	s_lshl_b64 s[20:21], s[28:29], 3
	s_waitcnt lgkmcnt(0)
	s_add_u32 s0, s0, s20
	s_addc_u32 s1, s1, s21
	s_lshl_b64 s[2:3], s[2:3], 3
	s_load_dwordx2 s[0:1], s[0:1], 0x0
	s_waitcnt lgkmcnt(0)
	s_add_u32 s2, s0, s2
	s_addc_u32 s3, s1, s3
	s_branch .LBB269_6
.LBB269_5:
	s_waitcnt lgkmcnt(0)
	s_mov_b64 s[2:3], 0
.LBB269_6:
	s_lshl_b64 s[0:1], s[28:29], 3
	s_add_u32 s0, s12, s0
	s_addc_u32 s1, s13, s1
	s_lshl_b64 s[14:15], s[14:15], 3
	s_load_dwordx2 s[12:13], s[0:1], 0x0
	v_cmp_eq_u32_e64 s0, 0, v0
	s_waitcnt lgkmcnt(0)
	s_add_u32 s1, s12, s14
	s_addc_u32 s7, s13, s15
	s_andn2_b32 vcc_lo, exec_lo, s30
	s_cbranch_vccnz .LBB269_11
; %bb.7:
	s_mov_b32 s15, 0
	s_mov_b32 s14, 0
                                        ; implicit-def: $vgpr1_vgpr2
                                        ; implicit-def: $sgpr12_sgpr13
	s_and_saveexec_b32 s20, s0
	s_cbranch_execz .LBB269_12
; %bb.8:
	v_cmp_eq_f64_e64 s0, s[8:9], 0
	s_ashr_i32 s12, s6, 31
	s_mul_hi_u32 s13, s16, s6
	s_mul_i32 s12, s16, s12
	v_mov_b32_e32 v1, 0
	v_mov_b32_e32 v2, 0
	s_add_i32 s12, s13, s12
	s_mul_i32 s13, s17, s6
	s_add_i32 s13, s12, s13
	s_mul_i32 s12, s16, s6
	s_and_b32 vcc_lo, exec_lo, s0
	s_cbranch_vccnz .LBB269_10
; %bb.9:
	s_lshl_b64 s[22:23], s[12:13], 3
	s_add_u32 s22, s1, s22
	s_addc_u32 s23, s7, s23
	v_mov_b32_e32 v1, s22
	v_mov_b32_e32 v2, s23
	flat_load_dwordx2 v[1:2], v[1:2]
	s_waitcnt vmcnt(0) lgkmcnt(0)
	v_mul_f64 v[1:2], s[8:9], v[1:2]
.LBB269_10:
	s_mov_b32 s14, exec_lo
	s_or_b32 exec_lo, exec_lo, s20
	s_and_b32 vcc_lo, exec_lo, s15
	s_cbranch_vccnz .LBB269_13
	s_branch .LBB269_32
.LBB269_11:
	s_mov_b32 s14, 0
                                        ; implicit-def: $vgpr1_vgpr2
                                        ; implicit-def: $sgpr12_sgpr13
	s_cbranch_execnz .LBB269_13
	s_branch .LBB269_32
.LBB269_12:
	s_or_b32 exec_lo, exec_lo, s20
	s_and_b32 vcc_lo, exec_lo, s15
	s_cbranch_vccz .LBB269_32
.LBB269_13:
	s_load_dword s5, s[4:5], 0x0
	s_ashr_i32 s15, s6, 31
	s_mul_hi_u32 s0, s26, s6
	s_mul_i32 s13, s26, s15
	s_mul_i32 s4, s27, s6
	s_add_i32 s0, s0, s13
	s_mul_i32 s12, s26, s6
	s_add_i32 s13, s0, s4
	v_mov_b32_e32 v1, 0
	s_lshl_b64 s[12:13], s[12:13], 3
	v_mov_b32_e32 v2, 0
	s_mov_b32 s21, 0
	s_mov_b32 s20, exec_lo
	s_waitcnt lgkmcnt(0)
	v_cmp_gt_i32_e32 vcc_lo, s5, v0
	s_ashr_i32 s0, s5, 31
	s_lshr_b32 s0, s0, 24
	s_add_i32 s0, s5, s0
	v_cndmask_b32_e32 v3, 0, v0, vcc_lo
	v_lshlrev_b32_e32 v3, 3, v3
	v_add_co_u32 v3, s4, s24, v3
	v_add_co_ci_u32_e64 v4, null, s25, 0, s4
	s_and_b32 s4, s0, 0xffffff00
	v_add_co_u32 v3, vcc_lo, v3, s12
	v_add_co_ci_u32_e64 v4, null, s13, v4, vcc_lo
	v_cmpx_gt_i32_e64 s4, v0
	s_cbranch_execz .LBB269_17
; %bb.14:
	v_mad_u64_u32 v[1:2], null, s18, v0, 0
	v_mov_b32_e32 v9, v0
	s_lshl_b64 s[12:13], s[18:19], 11
	v_mad_u64_u32 v[5:6], null, s19, v0, v[2:3]
	v_mov_b32_e32 v2, v5
	v_mov_b32_e32 v6, v4
	v_mov_b32_e32 v5, v3
	v_lshlrev_b64 v[7:8], 3, v[1:2]
	v_mov_b32_e32 v1, 0
	v_mov_b32_e32 v2, 0
	v_add_co_u32 v7, vcc_lo, s2, v7
	v_add_co_ci_u32_e64 v8, null, s3, v8, vcc_lo
	.p2align	6
.LBB269_15:                             ; =>This Inner Loop Header: Depth=1
	flat_load_dwordx2 v[10:11], v[5:6]
	flat_load_dwordx2 v[12:13], v[7:8]
	v_add_nc_u32_e32 v9, 0x100, v9
	v_add_co_u32 v5, vcc_lo, 0x800, v5
	v_add_co_ci_u32_e64 v6, null, 0, v6, vcc_lo
	v_cmp_le_i32_e32 vcc_lo, s4, v9
	v_add_co_u32 v7, s0, v7, s12
	v_add_co_ci_u32_e64 v8, null, s13, v8, s0
	s_or_b32 s21, vcc_lo, s21
	s_waitcnt vmcnt(0) lgkmcnt(0)
	v_fma_f64 v[1:2], v[10:11], v[12:13], v[1:2]
	s_andn2_b32 exec_lo, exec_lo, s21
	s_cbranch_execnz .LBB269_15
; %bb.16:
	s_or_b32 exec_lo, exec_lo, s21
.LBB269_17:
	s_or_b32 exec_lo, exec_lo, s20
	v_add_nc_u32_e32 v5, s4, v0
	s_mov_b32 s0, exec_lo
	v_cmpx_gt_i32_e64 s5, v5
	s_cbranch_execz .LBB269_19
; %bb.18:
	v_ashrrev_i32_e32 v7, 31, v5
	v_mul_lo_u32 v8, s19, v5
	v_mad_u64_u32 v[5:6], null, s18, v5, 0
	s_ashr_i32 s5, s4, 31
	v_mul_lo_u32 v7, s18, v7
	s_lshl_b64 s[4:5], s[4:5], 3
	v_add_co_u32 v3, vcc_lo, v3, s4
	v_add_co_ci_u32_e64 v4, null, s5, v4, vcc_lo
	v_add3_u32 v6, v6, v7, v8
	v_lshlrev_b64 v[5:6], 3, v[5:6]
	v_add_co_u32 v5, vcc_lo, s2, v5
	v_add_co_ci_u32_e64 v6, null, s3, v6, vcc_lo
	flat_load_dwordx2 v[3:4], v[3:4]
	flat_load_dwordx2 v[5:6], v[5:6]
	s_waitcnt vmcnt(0) lgkmcnt(0)
	v_fma_f64 v[1:2], v[3:4], v[5:6], v[1:2]
.LBB269_19:
	s_or_b32 exec_lo, exec_lo, s0
	v_and_b32_e32 v9, 31, v0
	v_cmp_gt_u32_e32 vcc_lo, 32, v0
	v_lshlrev_b32_e32 v5, 3, v9
	s_and_saveexec_b32 s0, vcc_lo
; %bb.20:
	v_mov_b32_e32 v3, 0
	v_mov_b32_e32 v4, v3
	ds_write_b64 v5, v[3:4]
; %bb.21:
	s_or_b32 exec_lo, exec_lo, s0
	v_mbcnt_lo_u32_b32 v8, -1, 0
	s_mov_b32 s2, exec_lo
	s_waitcnt lgkmcnt(0)
	s_barrier
	buffer_gl0_inv
	v_lshl_or_b32 v4, v8, 2, 64
	v_cmp_gt_u32_e64 s0, 24, v8
	ds_bpermute_b32 v3, v4, v1
	ds_bpermute_b32 v4, v4, v2
	s_waitcnt lgkmcnt(0)
	v_add_f64 v[1:2], v[1:2], v[3:4]
	v_cndmask_b32_e64 v3, 0, 8, s0
	v_cmp_gt_u32_e64 s0, 28, v8
	v_add_lshl_u32 v4, v3, v8, 2
	ds_bpermute_b32 v3, v4, v1
	ds_bpermute_b32 v4, v4, v2
	s_waitcnt lgkmcnt(0)
	v_add_f64 v[1:2], v[1:2], v[3:4]
	v_cndmask_b32_e64 v3, 0, 4, s0
	v_cmp_gt_u32_e64 s0, 30, v8
	v_add_lshl_u32 v6, v3, v8, 2
	ds_bpermute_b32 v3, v6, v1
	ds_bpermute_b32 v4, v6, v2
	s_waitcnt lgkmcnt(0)
	v_add_f64 v[1:2], v[1:2], v[3:4]
	v_cndmask_b32_e64 v3, 0, 2, s0
	v_cmp_ne_u32_e64 s0, 31, v8
	v_add_lshl_u32 v7, v3, v8, 2
	ds_bpermute_b32 v3, v7, v1
	ds_bpermute_b32 v4, v7, v2
	s_waitcnt lgkmcnt(0)
	v_add_f64 v[1:2], v[1:2], v[3:4]
	v_add_co_ci_u32_e64 v3, null, 0, v8, s0
	v_lshlrev_b32_e32 v8, 2, v3
	ds_bpermute_b32 v3, v8, v1
	ds_bpermute_b32 v4, v8, v2
	v_cmpx_eq_u32_e32 0, v9
	s_cbranch_execz .LBB269_23
; %bb.22:
	s_waitcnt lgkmcnt(0)
	v_add_f64 v[1:2], v[1:2], v[3:4]
	v_lshrrev_b32_e32 v3, 2, v0
	v_and_b32_e32 v3, 56, v3
	ds_write_b64 v3, v[1:2]
.LBB269_23:
	s_or_b32 exec_lo, exec_lo, s2
	s_waitcnt lgkmcnt(0)
	v_mov_b32_e32 v3, 0
	v_mov_b32_e32 v4, 0
	s_mov_b32 s2, exec_lo
	s_barrier
	buffer_gl0_inv
	v_cmpx_gt_u32_e32 8, v0
; %bb.24:
	ds_read_b64 v[3:4], v5
; %bb.25:
	s_or_b32 exec_lo, exec_lo, s2
	s_and_saveexec_b32 s0, vcc_lo
	s_cbranch_execz .LBB269_27
; %bb.26:
	s_waitcnt lgkmcnt(0)
	ds_bpermute_b32 v1, v6, v3
	ds_bpermute_b32 v2, v6, v4
	s_waitcnt lgkmcnt(0)
	v_add_f64 v[1:2], v[3:4], v[1:2]
	ds_bpermute_b32 v3, v7, v1
	ds_bpermute_b32 v4, v7, v2
	s_waitcnt lgkmcnt(0)
	v_add_f64 v[1:2], v[1:2], v[3:4]
	;; [unrolled: 4-line block ×3, first 2 shown]
.LBB269_27:
	s_or_b32 exec_lo, exec_lo, s0
	s_mov_b32 s0, exec_lo
                                        ; implicit-def: $vgpr1_vgpr2
                                        ; implicit-def: $sgpr12_sgpr13
	v_cmpx_eq_u32_e32 0, v0
	s_cbranch_execz .LBB269_31
; %bb.28:
	v_cmp_eq_f64_e64 s2, s[8:9], 0
	s_waitcnt lgkmcnt(0)
	v_mul_f64 v[1:2], s[10:11], v[3:4]
	s_mul_i32 s3, s16, s15
	s_mul_hi_u32 s4, s16, s6
	s_mul_i32 s12, s16, s6
	s_add_i32 s3, s4, s3
	s_mul_i32 s4, s17, s6
	s_add_i32 s13, s3, s4
	s_and_b32 vcc_lo, exec_lo, s2
	s_cbranch_vccnz .LBB269_30
; %bb.29:
	s_lshl_b64 s[2:3], s[12:13], 3
	s_add_u32 s2, s1, s2
	s_addc_u32 s3, s7, s3
	v_mov_b32_e32 v4, s3
	v_mov_b32_e32 v3, s2
	flat_load_dwordx2 v[3:4], v[3:4]
	s_waitcnt vmcnt(0) lgkmcnt(0)
	v_fma_f64 v[1:2], s[8:9], v[3:4], v[1:2]
.LBB269_30:
	s_or_b32 s14, s14, exec_lo
.LBB269_31:
	s_or_b32 exec_lo, exec_lo, s0
.LBB269_32:
	s_and_saveexec_b32 s0, s14
	s_cbranch_execz .LBB269_34
; %bb.33:
	s_lshl_b64 s[2:3], s[12:13], 3
	s_add_u32 s0, s1, s2
	s_addc_u32 s1, s7, s3
	s_waitcnt lgkmcnt(0)
	v_mov_b32_e32 v4, s1
	v_mov_b32_e32 v3, s0
	flat_store_dwordx2 v[3:4], v[1:2]
.LBB269_34:
	s_endpgm
	.section	.rodata,"a",@progbits
	.p2align	6, 0x0
	.amdhsa_kernel _ZL32rocblas_gemvt_warp_reduce_kernelILb0ELi256ElPKdS1_KPdEviiT3_lPKT2_lT1_lS7_lS8_lS4_lPT4_lS8_li
		.amdhsa_group_segment_fixed_size 256
		.amdhsa_private_segment_fixed_size 0
		.amdhsa_kernarg_size 140
		.amdhsa_user_sgpr_count 6
		.amdhsa_user_sgpr_private_segment_buffer 1
		.amdhsa_user_sgpr_dispatch_ptr 0
		.amdhsa_user_sgpr_queue_ptr 0
		.amdhsa_user_sgpr_kernarg_segment_ptr 1
		.amdhsa_user_sgpr_dispatch_id 0
		.amdhsa_user_sgpr_flat_scratch_init 0
		.amdhsa_user_sgpr_private_segment_size 0
		.amdhsa_wavefront_size32 1
		.amdhsa_uses_dynamic_stack 0
		.amdhsa_system_sgpr_private_segment_wavefront_offset 0
		.amdhsa_system_sgpr_workgroup_id_x 1
		.amdhsa_system_sgpr_workgroup_id_y 0
		.amdhsa_system_sgpr_workgroup_id_z 1
		.amdhsa_system_sgpr_workgroup_info 0
		.amdhsa_system_vgpr_workitem_id 0
		.amdhsa_next_free_vgpr 14
		.amdhsa_next_free_sgpr 31
		.amdhsa_reserve_vcc 1
		.amdhsa_reserve_flat_scratch 0
		.amdhsa_float_round_mode_32 0
		.amdhsa_float_round_mode_16_64 0
		.amdhsa_float_denorm_mode_32 3
		.amdhsa_float_denorm_mode_16_64 3
		.amdhsa_dx10_clamp 1
		.amdhsa_ieee_mode 1
		.amdhsa_fp16_overflow 0
		.amdhsa_workgroup_processor_mode 1
		.amdhsa_memory_ordered 1
		.amdhsa_forward_progress 1
		.amdhsa_shared_vgpr_count 0
		.amdhsa_exception_fp_ieee_invalid_op 0
		.amdhsa_exception_fp_denorm_src 0
		.amdhsa_exception_fp_ieee_div_zero 0
		.amdhsa_exception_fp_ieee_overflow 0
		.amdhsa_exception_fp_ieee_underflow 0
		.amdhsa_exception_fp_ieee_inexact 0
		.amdhsa_exception_int_div_zero 0
	.end_amdhsa_kernel
	.section	.text._ZL32rocblas_gemvt_warp_reduce_kernelILb0ELi256ElPKdS1_KPdEviiT3_lPKT2_lT1_lS7_lS8_lS4_lPT4_lS8_li,"axG",@progbits,_ZL32rocblas_gemvt_warp_reduce_kernelILb0ELi256ElPKdS1_KPdEviiT3_lPKT2_lT1_lS7_lS8_lS4_lPT4_lS8_li,comdat
.Lfunc_end269:
	.size	_ZL32rocblas_gemvt_warp_reduce_kernelILb0ELi256ElPKdS1_KPdEviiT3_lPKT2_lT1_lS7_lS8_lS4_lPT4_lS8_li, .Lfunc_end269-_ZL32rocblas_gemvt_warp_reduce_kernelILb0ELi256ElPKdS1_KPdEviiT3_lPKT2_lT1_lS7_lS8_lS4_lPT4_lS8_li
                                        ; -- End function
	.set _ZL32rocblas_gemvt_warp_reduce_kernelILb0ELi256ElPKdS1_KPdEviiT3_lPKT2_lT1_lS7_lS8_lS4_lPT4_lS8_li.num_vgpr, 14
	.set _ZL32rocblas_gemvt_warp_reduce_kernelILb0ELi256ElPKdS1_KPdEviiT3_lPKT2_lT1_lS7_lS8_lS4_lPT4_lS8_li.num_agpr, 0
	.set _ZL32rocblas_gemvt_warp_reduce_kernelILb0ELi256ElPKdS1_KPdEviiT3_lPKT2_lT1_lS7_lS8_lS4_lPT4_lS8_li.numbered_sgpr, 31
	.set _ZL32rocblas_gemvt_warp_reduce_kernelILb0ELi256ElPKdS1_KPdEviiT3_lPKT2_lT1_lS7_lS8_lS4_lPT4_lS8_li.num_named_barrier, 0
	.set _ZL32rocblas_gemvt_warp_reduce_kernelILb0ELi256ElPKdS1_KPdEviiT3_lPKT2_lT1_lS7_lS8_lS4_lPT4_lS8_li.private_seg_size, 0
	.set _ZL32rocblas_gemvt_warp_reduce_kernelILb0ELi256ElPKdS1_KPdEviiT3_lPKT2_lT1_lS7_lS8_lS4_lPT4_lS8_li.uses_vcc, 1
	.set _ZL32rocblas_gemvt_warp_reduce_kernelILb0ELi256ElPKdS1_KPdEviiT3_lPKT2_lT1_lS7_lS8_lS4_lPT4_lS8_li.uses_flat_scratch, 0
	.set _ZL32rocblas_gemvt_warp_reduce_kernelILb0ELi256ElPKdS1_KPdEviiT3_lPKT2_lT1_lS7_lS8_lS4_lPT4_lS8_li.has_dyn_sized_stack, 0
	.set _ZL32rocblas_gemvt_warp_reduce_kernelILb0ELi256ElPKdS1_KPdEviiT3_lPKT2_lT1_lS7_lS8_lS4_lPT4_lS8_li.has_recursion, 0
	.set _ZL32rocblas_gemvt_warp_reduce_kernelILb0ELi256ElPKdS1_KPdEviiT3_lPKT2_lT1_lS7_lS8_lS4_lPT4_lS8_li.has_indirect_call, 0
	.section	.AMDGPU.csdata,"",@progbits
; Kernel info:
; codeLenInByte = 1568
; TotalNumSgprs: 33
; NumVgprs: 14
; ScratchSize: 0
; MemoryBound: 0
; FloatMode: 240
; IeeeMode: 1
; LDSByteSize: 256 bytes/workgroup (compile time only)
; SGPRBlocks: 0
; VGPRBlocks: 1
; NumSGPRsForWavesPerEU: 33
; NumVGPRsForWavesPerEU: 14
; Occupancy: 16
; WaveLimiterHint : 1
; COMPUTE_PGM_RSRC2:SCRATCH_EN: 0
; COMPUTE_PGM_RSRC2:USER_SGPR: 6
; COMPUTE_PGM_RSRC2:TRAP_HANDLER: 0
; COMPUTE_PGM_RSRC2:TGID_X_EN: 1
; COMPUTE_PGM_RSRC2:TGID_Y_EN: 0
; COMPUTE_PGM_RSRC2:TGID_Z_EN: 1
; COMPUTE_PGM_RSRC2:TIDIG_COMP_CNT: 0
	.section	.text._ZL32rocblas_gemvt_warp_reduce_kernelILb0ELi256EiPKddKPdEviiT3_lPKT2_lT1_lS7_lS8_lS4_lPT4_lS8_li,"axG",@progbits,_ZL32rocblas_gemvt_warp_reduce_kernelILb0ELi256EiPKddKPdEviiT3_lPKT2_lT1_lS7_lS8_lS4_lPT4_lS8_li,comdat
	.globl	_ZL32rocblas_gemvt_warp_reduce_kernelILb0ELi256EiPKddKPdEviiT3_lPKT2_lT1_lS7_lS8_lS4_lPT4_lS8_li ; -- Begin function _ZL32rocblas_gemvt_warp_reduce_kernelILb0ELi256EiPKddKPdEviiT3_lPKT2_lT1_lS7_lS8_lS4_lPT4_lS8_li
	.p2align	8
	.type	_ZL32rocblas_gemvt_warp_reduce_kernelILb0ELi256EiPKddKPdEviiT3_lPKT2_lT1_lS7_lS8_lS4_lPT4_lS8_li,@function
_ZL32rocblas_gemvt_warp_reduce_kernelILb0ELi256EiPKddKPdEviiT3_lPKT2_lT1_lS7_lS8_lS4_lPT4_lS8_li: ; @_ZL32rocblas_gemvt_warp_reduce_kernelILb0ELi256EiPKddKPdEviiT3_lPKT2_lT1_lS7_lS8_lS4_lPT4_lS8_li
; %bb.0:
	s_clause 0x1
	s_load_dwordx2 s[8:9], s[4:5], 0x8
	s_load_dwordx2 s[2:3], s[4:5], 0x58
	s_waitcnt lgkmcnt(0)
	v_cmp_eq_f64_e64 s14, s[8:9], 0
	v_cmp_eq_f64_e64 s1, s[2:3], 1.0
	s_and_b32 s1, s14, s1
	s_and_b32 vcc_lo, exec_lo, s1
	s_cbranch_vccnz .LBB270_35
; %bb.1:
	s_mov_b32 s0, s7
	v_cmp_neq_f64_e64 s7, s[8:9], 0
	s_mov_b32 s1, 0
	s_and_b32 vcc_lo, exec_lo, s7
	s_cbranch_vccnz .LBB270_3
; %bb.2:
	s_mov_b32 s12, s1
	s_mov_b64 s[10:11], 0
	s_andn2_b32 vcc_lo, exec_lo, s12
	s_mov_b64 s[12:13], 0
	s_cbranch_vccz .LBB270_4
	s_branch .LBB270_5
.LBB270_3:
	s_mov_b64 s[10:11], 0
	s_mov_b64 s[12:13], 0
.LBB270_4:
	s_load_dwordx4 s[16:19], s[4:5], 0x18
	s_lshl_b64 s[12:13], s[0:1], 3
	s_waitcnt lgkmcnt(0)
	s_add_u32 s12, s16, s12
	s_addc_u32 s13, s17, s13
	s_lshl_b64 s[16:17], s[18:19], 3
	s_load_dwordx2 s[12:13], s[12:13], 0x0
	s_waitcnt lgkmcnt(0)
	s_add_u32 s12, s12, s16
	s_addc_u32 s13, s13, s17
.LBB270_5:
	s_andn2_b32 vcc_lo, exec_lo, s7
	s_cbranch_vccnz .LBB270_7
; %bb.6:
	s_load_dwordx4 s[16:19], s[4:5], 0x38
	s_lshl_b64 s[10:11], s[0:1], 3
	s_waitcnt lgkmcnt(0)
	s_add_u32 s10, s16, s10
	s_addc_u32 s11, s17, s11
	s_lshl_b64 s[16:17], s[18:19], 3
	s_load_dwordx2 s[10:11], s[10:11], 0x0
	s_waitcnt lgkmcnt(0)
	s_add_u32 s10, s10, s16
	s_addc_u32 s11, s11, s17
.LBB270_7:
	s_clause 0x1
	s_load_dwordx4 s[20:23], s[4:5], 0x68
	s_load_dword s16, s[4:5], 0x78
	s_lshl_b64 s[0:1], s[0:1], 3
	s_waitcnt lgkmcnt(0)
	s_add_u32 s0, s20, s0
	s_addc_u32 s1, s21, s1
	s_lshl_b64 s[20:21], s[22:23], 3
	s_load_dwordx2 s[18:19], s[0:1], 0x0
	v_cmp_eq_u32_e64 s0, 0, v0
	s_waitcnt lgkmcnt(0)
	s_add_u32 s1, s18, s20
	s_addc_u32 s7, s19, s21
	s_andn2_b32 vcc_lo, exec_lo, s14
	s_cbranch_vccnz .LBB270_12
; %bb.8:
	s_mov_b32 s18, 0
	s_mov_b32 s17, 0
                                        ; implicit-def: $vgpr1_vgpr2
                                        ; implicit-def: $sgpr14_sgpr15
	s_and_saveexec_b32 s19, s0
	s_cbranch_execz .LBB270_13
; %bb.9:
	v_cmp_eq_f64_e64 s0, s[2:3], 0
	v_mov_b32_e32 v1, 0
	v_mov_b32_e32 v2, 0
	s_mul_i32 s14, s16, s6
	s_ashr_i32 s15, s14, 31
	s_and_b32 vcc_lo, exec_lo, s0
	s_cbranch_vccnz .LBB270_11
; %bb.10:
	s_lshl_b64 s[20:21], s[14:15], 3
	s_add_u32 s20, s1, s20
	s_addc_u32 s21, s7, s21
	v_mov_b32_e32 v1, s20
	v_mov_b32_e32 v2, s21
	flat_load_dwordx2 v[1:2], v[1:2]
	s_waitcnt vmcnt(0) lgkmcnt(0)
	v_mul_f64 v[1:2], s[2:3], v[1:2]
.LBB270_11:
	s_mov_b32 s17, exec_lo
	s_or_b32 exec_lo, exec_lo, s19
	s_and_b32 vcc_lo, exec_lo, s18
	s_cbranch_vccnz .LBB270_14
	s_branch .LBB270_33
.LBB270_12:
	s_mov_b32 s17, 0
                                        ; implicit-def: $vgpr1_vgpr2
                                        ; implicit-def: $sgpr14_sgpr15
	s_cbranch_execnz .LBB270_14
	s_branch .LBB270_33
.LBB270_13:
	s_or_b32 exec_lo, exec_lo, s19
	s_and_b32 vcc_lo, exec_lo, s18
	s_cbranch_vccz .LBB270_33
.LBB270_14:
	s_clause 0x2
	s_load_dword s14, s[4:5], 0x0
	s_load_dword s0, s[4:5], 0x28
	;; [unrolled: 1-line block ×3, first 2 shown]
	v_mov_b32_e32 v1, 0
	v_mov_b32_e32 v2, 0
	s_waitcnt lgkmcnt(0)
	v_cmp_gt_i32_e32 vcc_lo, s14, v0
	s_mul_i32 s18, s0, s6
	s_ashr_i32 s0, s14, 31
	s_ashr_i32 s19, s18, 31
	s_lshr_b32 s0, s0, 24
	v_cndmask_b32_e32 v3, 0, v0, vcc_lo
	s_lshl_b64 s[18:19], s[18:19], 3
	s_add_i32 s0, s14, s0
	v_lshlrev_b32_e32 v3, 3, v3
	v_add_co_u32 v3, s4, s12, v3
	v_add_co_ci_u32_e64 v4, null, s13, 0, s4
	s_and_b32 s4, s0, 0xffffff00
	v_add_co_u32 v3, vcc_lo, v3, s18
	v_add_co_ci_u32_e64 v4, null, s19, v4, vcc_lo
	s_mov_b32 s13, 0
	s_mov_b32 s12, exec_lo
	v_cmpx_gt_i32_e64 s4, v0
	s_cbranch_execz .LBB270_18
; %bb.15:
	v_mul_lo_u32 v5, v0, s5
	v_mov_b32_e32 v1, 0
	v_mov_b32_e32 v8, v4
	;; [unrolled: 1-line block ×5, first 2 shown]
	s_lshl_b32 s15, s5, 8
	.p2align	6
.LBB270_16:                             ; =>This Inner Loop Header: Depth=1
	v_ashrrev_i32_e32 v6, 31, v5
	v_add_nc_u32_e32 v9, 0x100, v9
	v_lshlrev_b64 v[10:11], 3, v[5:6]
	v_cmp_le_i32_e64 s0, s4, v9
	v_add_nc_u32_e32 v5, s15, v5
	s_or_b32 s13, s0, s13
	v_add_co_u32 v10, vcc_lo, s10, v10
	v_add_co_ci_u32_e64 v11, null, s11, v11, vcc_lo
	flat_load_dwordx2 v[12:13], v[7:8]
	flat_load_dwordx2 v[10:11], v[10:11]
	v_add_co_u32 v7, vcc_lo, 0x800, v7
	v_add_co_ci_u32_e64 v8, null, 0, v8, vcc_lo
	s_waitcnt vmcnt(0) lgkmcnt(0)
	v_fma_f64 v[1:2], v[12:13], v[10:11], v[1:2]
	s_andn2_b32 exec_lo, exec_lo, s13
	s_cbranch_execnz .LBB270_16
; %bb.17:
	s_or_b32 exec_lo, exec_lo, s13
.LBB270_18:
	s_or_b32 exec_lo, exec_lo, s12
	v_add_nc_u32_e32 v5, s4, v0
	s_mov_b32 s0, exec_lo
	v_cmpx_gt_i32_e64 s14, v5
	s_cbranch_execz .LBB270_20
; %bb.19:
	v_mul_lo_u32 v5, s5, v5
	s_ashr_i32 s5, s4, 31
	s_lshl_b64 s[4:5], s[4:5], 3
	v_add_co_u32 v3, vcc_lo, v3, s4
	v_add_co_ci_u32_e64 v4, null, s5, v4, vcc_lo
	v_ashrrev_i32_e32 v6, 31, v5
	v_lshlrev_b64 v[5:6], 3, v[5:6]
	v_add_co_u32 v5, vcc_lo, s10, v5
	v_add_co_ci_u32_e64 v6, null, s11, v6, vcc_lo
	flat_load_dwordx2 v[3:4], v[3:4]
	flat_load_dwordx2 v[5:6], v[5:6]
	s_waitcnt vmcnt(0) lgkmcnt(0)
	v_fma_f64 v[1:2], v[3:4], v[5:6], v[1:2]
.LBB270_20:
	s_or_b32 exec_lo, exec_lo, s0
	v_and_b32_e32 v9, 31, v0
	v_cmp_gt_u32_e32 vcc_lo, 32, v0
	v_lshlrev_b32_e32 v5, 3, v9
	s_and_saveexec_b32 s0, vcc_lo
; %bb.21:
	v_mov_b32_e32 v3, 0
	v_mov_b32_e32 v4, v3
	ds_write_b64 v5, v[3:4]
; %bb.22:
	s_or_b32 exec_lo, exec_lo, s0
	v_mbcnt_lo_u32_b32 v8, -1, 0
	s_mov_b32 s4, exec_lo
	s_waitcnt lgkmcnt(0)
	s_barrier
	buffer_gl0_inv
	v_lshl_or_b32 v4, v8, 2, 64
	v_cmp_gt_u32_e64 s0, 24, v8
	ds_bpermute_b32 v3, v4, v1
	ds_bpermute_b32 v4, v4, v2
	s_waitcnt lgkmcnt(0)
	v_add_f64 v[1:2], v[1:2], v[3:4]
	v_cndmask_b32_e64 v3, 0, 8, s0
	v_cmp_gt_u32_e64 s0, 28, v8
	v_add_lshl_u32 v4, v3, v8, 2
	ds_bpermute_b32 v3, v4, v1
	ds_bpermute_b32 v4, v4, v2
	s_waitcnt lgkmcnt(0)
	v_add_f64 v[1:2], v[1:2], v[3:4]
	v_cndmask_b32_e64 v3, 0, 4, s0
	v_cmp_gt_u32_e64 s0, 30, v8
	v_add_lshl_u32 v6, v3, v8, 2
	ds_bpermute_b32 v3, v6, v1
	ds_bpermute_b32 v4, v6, v2
	s_waitcnt lgkmcnt(0)
	v_add_f64 v[1:2], v[1:2], v[3:4]
	v_cndmask_b32_e64 v3, 0, 2, s0
	v_cmp_ne_u32_e64 s0, 31, v8
	v_add_lshl_u32 v7, v3, v8, 2
	ds_bpermute_b32 v3, v7, v1
	ds_bpermute_b32 v4, v7, v2
	s_waitcnt lgkmcnt(0)
	v_add_f64 v[1:2], v[1:2], v[3:4]
	v_add_co_ci_u32_e64 v3, null, 0, v8, s0
	v_lshlrev_b32_e32 v8, 2, v3
	ds_bpermute_b32 v3, v8, v1
	ds_bpermute_b32 v4, v8, v2
	v_cmpx_eq_u32_e32 0, v9
	s_cbranch_execz .LBB270_24
; %bb.23:
	s_waitcnt lgkmcnt(0)
	v_add_f64 v[1:2], v[1:2], v[3:4]
	v_lshrrev_b32_e32 v3, 2, v0
	v_and_b32_e32 v3, 56, v3
	ds_write_b64 v3, v[1:2]
.LBB270_24:
	s_or_b32 exec_lo, exec_lo, s4
	s_waitcnt lgkmcnt(0)
	v_mov_b32_e32 v3, 0
	v_mov_b32_e32 v4, 0
	s_mov_b32 s4, exec_lo
	s_barrier
	buffer_gl0_inv
	v_cmpx_gt_u32_e32 8, v0
; %bb.25:
	ds_read_b64 v[3:4], v5
; %bb.26:
	s_or_b32 exec_lo, exec_lo, s4
	s_and_saveexec_b32 s0, vcc_lo
	s_cbranch_execz .LBB270_28
; %bb.27:
	s_waitcnt lgkmcnt(0)
	ds_bpermute_b32 v1, v6, v3
	ds_bpermute_b32 v2, v6, v4
	s_waitcnt lgkmcnt(0)
	v_add_f64 v[1:2], v[3:4], v[1:2]
	ds_bpermute_b32 v3, v7, v1
	ds_bpermute_b32 v4, v7, v2
	s_waitcnt lgkmcnt(0)
	v_add_f64 v[1:2], v[1:2], v[3:4]
	;; [unrolled: 4-line block ×3, first 2 shown]
.LBB270_28:
	s_or_b32 exec_lo, exec_lo, s0
	s_mov_b32 s0, exec_lo
                                        ; implicit-def: $vgpr1_vgpr2
                                        ; implicit-def: $sgpr14_sgpr15
	v_cmpx_eq_u32_e32 0, v0
	s_cbranch_execz .LBB270_32
; %bb.29:
	v_cmp_eq_f64_e64 s4, s[2:3], 0
	s_waitcnt lgkmcnt(0)
	v_mul_f64 v[1:2], s[8:9], v[3:4]
	s_mul_i32 s14, s16, s6
	s_ashr_i32 s15, s14, 31
	s_and_b32 vcc_lo, exec_lo, s4
	s_cbranch_vccnz .LBB270_31
; %bb.30:
	s_lshl_b64 s[4:5], s[14:15], 3
	s_add_u32 s4, s1, s4
	s_addc_u32 s5, s7, s5
	v_mov_b32_e32 v3, s4
	v_mov_b32_e32 v4, s5
	flat_load_dwordx2 v[3:4], v[3:4]
	s_waitcnt vmcnt(0) lgkmcnt(0)
	v_fma_f64 v[1:2], s[2:3], v[3:4], v[1:2]
.LBB270_31:
	s_or_b32 s17, s17, exec_lo
.LBB270_32:
	s_or_b32 exec_lo, exec_lo, s0
.LBB270_33:
	s_and_saveexec_b32 s0, s17
	s_cbranch_execz .LBB270_35
; %bb.34:
	s_lshl_b64 s[2:3], s[14:15], 3
	s_add_u32 s0, s1, s2
	s_addc_u32 s1, s7, s3
	s_waitcnt lgkmcnt(0)
	v_mov_b32_e32 v4, s1
	v_mov_b32_e32 v3, s0
	flat_store_dwordx2 v[3:4], v[1:2]
.LBB270_35:
	s_endpgm
	.section	.rodata,"a",@progbits
	.p2align	6, 0x0
	.amdhsa_kernel _ZL32rocblas_gemvt_warp_reduce_kernelILb0ELi256EiPKddKPdEviiT3_lPKT2_lT1_lS7_lS8_lS4_lPT4_lS8_li
		.amdhsa_group_segment_fixed_size 256
		.amdhsa_private_segment_fixed_size 0
		.amdhsa_kernarg_size 140
		.amdhsa_user_sgpr_count 6
		.amdhsa_user_sgpr_private_segment_buffer 1
		.amdhsa_user_sgpr_dispatch_ptr 0
		.amdhsa_user_sgpr_queue_ptr 0
		.amdhsa_user_sgpr_kernarg_segment_ptr 1
		.amdhsa_user_sgpr_dispatch_id 0
		.amdhsa_user_sgpr_flat_scratch_init 0
		.amdhsa_user_sgpr_private_segment_size 0
		.amdhsa_wavefront_size32 1
		.amdhsa_uses_dynamic_stack 0
		.amdhsa_system_sgpr_private_segment_wavefront_offset 0
		.amdhsa_system_sgpr_workgroup_id_x 1
		.amdhsa_system_sgpr_workgroup_id_y 0
		.amdhsa_system_sgpr_workgroup_id_z 1
		.amdhsa_system_sgpr_workgroup_info 0
		.amdhsa_system_vgpr_workitem_id 0
		.amdhsa_next_free_vgpr 14
		.amdhsa_next_free_sgpr 24
		.amdhsa_reserve_vcc 1
		.amdhsa_reserve_flat_scratch 0
		.amdhsa_float_round_mode_32 0
		.amdhsa_float_round_mode_16_64 0
		.amdhsa_float_denorm_mode_32 3
		.amdhsa_float_denorm_mode_16_64 3
		.amdhsa_dx10_clamp 1
		.amdhsa_ieee_mode 1
		.amdhsa_fp16_overflow 0
		.amdhsa_workgroup_processor_mode 1
		.amdhsa_memory_ordered 1
		.amdhsa_forward_progress 1
		.amdhsa_shared_vgpr_count 0
		.amdhsa_exception_fp_ieee_invalid_op 0
		.amdhsa_exception_fp_denorm_src 0
		.amdhsa_exception_fp_ieee_div_zero 0
		.amdhsa_exception_fp_ieee_overflow 0
		.amdhsa_exception_fp_ieee_underflow 0
		.amdhsa_exception_fp_ieee_inexact 0
		.amdhsa_exception_int_div_zero 0
	.end_amdhsa_kernel
	.section	.text._ZL32rocblas_gemvt_warp_reduce_kernelILb0ELi256EiPKddKPdEviiT3_lPKT2_lT1_lS7_lS8_lS4_lPT4_lS8_li,"axG",@progbits,_ZL32rocblas_gemvt_warp_reduce_kernelILb0ELi256EiPKddKPdEviiT3_lPKT2_lT1_lS7_lS8_lS4_lPT4_lS8_li,comdat
.Lfunc_end270:
	.size	_ZL32rocblas_gemvt_warp_reduce_kernelILb0ELi256EiPKddKPdEviiT3_lPKT2_lT1_lS7_lS8_lS4_lPT4_lS8_li, .Lfunc_end270-_ZL32rocblas_gemvt_warp_reduce_kernelILb0ELi256EiPKddKPdEviiT3_lPKT2_lT1_lS7_lS8_lS4_lPT4_lS8_li
                                        ; -- End function
	.set _ZL32rocblas_gemvt_warp_reduce_kernelILb0ELi256EiPKddKPdEviiT3_lPKT2_lT1_lS7_lS8_lS4_lPT4_lS8_li.num_vgpr, 14
	.set _ZL32rocblas_gemvt_warp_reduce_kernelILb0ELi256EiPKddKPdEviiT3_lPKT2_lT1_lS7_lS8_lS4_lPT4_lS8_li.num_agpr, 0
	.set _ZL32rocblas_gemvt_warp_reduce_kernelILb0ELi256EiPKddKPdEviiT3_lPKT2_lT1_lS7_lS8_lS4_lPT4_lS8_li.numbered_sgpr, 24
	.set _ZL32rocblas_gemvt_warp_reduce_kernelILb0ELi256EiPKddKPdEviiT3_lPKT2_lT1_lS7_lS8_lS4_lPT4_lS8_li.num_named_barrier, 0
	.set _ZL32rocblas_gemvt_warp_reduce_kernelILb0ELi256EiPKddKPdEviiT3_lPKT2_lT1_lS7_lS8_lS4_lPT4_lS8_li.private_seg_size, 0
	.set _ZL32rocblas_gemvt_warp_reduce_kernelILb0ELi256EiPKddKPdEviiT3_lPKT2_lT1_lS7_lS8_lS4_lPT4_lS8_li.uses_vcc, 1
	.set _ZL32rocblas_gemvt_warp_reduce_kernelILb0ELi256EiPKddKPdEviiT3_lPKT2_lT1_lS7_lS8_lS4_lPT4_lS8_li.uses_flat_scratch, 0
	.set _ZL32rocblas_gemvt_warp_reduce_kernelILb0ELi256EiPKddKPdEviiT3_lPKT2_lT1_lS7_lS8_lS4_lPT4_lS8_li.has_dyn_sized_stack, 0
	.set _ZL32rocblas_gemvt_warp_reduce_kernelILb0ELi256EiPKddKPdEviiT3_lPKT2_lT1_lS7_lS8_lS4_lPT4_lS8_li.has_recursion, 0
	.set _ZL32rocblas_gemvt_warp_reduce_kernelILb0ELi256EiPKddKPdEviiT3_lPKT2_lT1_lS7_lS8_lS4_lPT4_lS8_li.has_indirect_call, 0
	.section	.AMDGPU.csdata,"",@progbits
; Kernel info:
; codeLenInByte = 1484
; TotalNumSgprs: 26
; NumVgprs: 14
; ScratchSize: 0
; MemoryBound: 0
; FloatMode: 240
; IeeeMode: 1
; LDSByteSize: 256 bytes/workgroup (compile time only)
; SGPRBlocks: 0
; VGPRBlocks: 1
; NumSGPRsForWavesPerEU: 26
; NumVGPRsForWavesPerEU: 14
; Occupancy: 16
; WaveLimiterHint : 1
; COMPUTE_PGM_RSRC2:SCRATCH_EN: 0
; COMPUTE_PGM_RSRC2:USER_SGPR: 6
; COMPUTE_PGM_RSRC2:TRAP_HANDLER: 0
; COMPUTE_PGM_RSRC2:TGID_X_EN: 1
; COMPUTE_PGM_RSRC2:TGID_Y_EN: 0
; COMPUTE_PGM_RSRC2:TGID_Z_EN: 1
; COMPUTE_PGM_RSRC2:TIDIG_COMP_CNT: 0
	.section	.text._ZL32rocblas_gemvt_warp_reduce_kernelILb0ELi256ElPKddKPdEviiT3_lPKT2_lT1_lS7_lS8_lS4_lPT4_lS8_li,"axG",@progbits,_ZL32rocblas_gemvt_warp_reduce_kernelILb0ELi256ElPKddKPdEviiT3_lPKT2_lT1_lS7_lS8_lS4_lPT4_lS8_li,comdat
	.globl	_ZL32rocblas_gemvt_warp_reduce_kernelILb0ELi256ElPKddKPdEviiT3_lPKT2_lT1_lS7_lS8_lS4_lPT4_lS8_li ; -- Begin function _ZL32rocblas_gemvt_warp_reduce_kernelILb0ELi256ElPKddKPdEviiT3_lPKT2_lT1_lS7_lS8_lS4_lPT4_lS8_li
	.p2align	8
	.type	_ZL32rocblas_gemvt_warp_reduce_kernelILb0ELi256ElPKddKPdEviiT3_lPKT2_lT1_lS7_lS8_lS4_lPT4_lS8_li,@function
_ZL32rocblas_gemvt_warp_reduce_kernelILb0ELi256ElPKddKPdEviiT3_lPKT2_lT1_lS7_lS8_lS4_lPT4_lS8_li: ; @_ZL32rocblas_gemvt_warp_reduce_kernelILb0ELi256ElPKddKPdEviiT3_lPKT2_lT1_lS7_lS8_lS4_lPT4_lS8_li
; %bb.0:
	s_clause 0x1
	s_load_dwordx2 s[10:11], s[4:5], 0x8
	s_load_dwordx2 s[8:9], s[4:5], 0x58
	s_waitcnt lgkmcnt(0)
	v_cmp_eq_f64_e64 s22, s[10:11], 0
	v_cmp_eq_f64_e64 s0, s[8:9], 1.0
	s_and_b32 s0, s22, s0
	s_and_b32 vcc_lo, exec_lo, s0
	s_cbranch_vccnz .LBB271_35
; %bb.1:
	s_mov_b32 s20, s7
	v_cmp_neq_f64_e64 s7, s[10:11], 0
	s_clause 0x1
	s_load_dwordx4 s[0:3], s[4:5], 0x18
	s_load_dwordx2 s[16:17], s[4:5], 0x28
	s_mov_b32 s21, 0
	s_and_b32 vcc_lo, exec_lo, s7
	s_cbranch_vccnz .LBB271_3
; %bb.2:
	s_mov_b32 s14, s21
	s_mov_b64 s[12:13], 0
	s_andn2_b32 vcc_lo, exec_lo, s14
	s_mov_b64 s[18:19], 0
	s_cbranch_vccz .LBB271_4
	s_branch .LBB271_5
.LBB271_3:
	s_mov_b64 s[12:13], 0
	s_mov_b64 s[18:19], 0
.LBB271_4:
	s_lshl_b64 s[14:15], s[20:21], 3
	s_waitcnt lgkmcnt(0)
	s_add_u32 s0, s0, s14
	s_addc_u32 s1, s1, s15
	s_lshl_b64 s[2:3], s[2:3], 3
	s_load_dwordx2 s[0:1], s[0:1], 0x0
	s_waitcnt lgkmcnt(0)
	s_add_u32 s18, s0, s2
	s_addc_u32 s19, s1, s3
.LBB271_5:
	s_waitcnt lgkmcnt(0)
	s_clause 0x1
	s_load_dwordx4 s[0:3], s[4:5], 0x38
	s_load_dwordx2 s[14:15], s[4:5], 0x48
	s_andn2_b32 vcc_lo, exec_lo, s7
	s_cbranch_vccnz .LBB271_7
; %bb.6:
	s_lshl_b64 s[12:13], s[20:21], 3
	s_waitcnt lgkmcnt(0)
	s_add_u32 s0, s0, s12
	s_addc_u32 s1, s1, s13
	s_lshl_b64 s[2:3], s[2:3], 3
	s_load_dwordx2 s[0:1], s[0:1], 0x0
	s_waitcnt lgkmcnt(0)
	s_add_u32 s12, s0, s2
	s_addc_u32 s13, s1, s3
.LBB271_7:
	s_load_dwordx4 s[24:27], s[4:5], 0x68
	s_waitcnt lgkmcnt(0)
	s_load_dwordx2 s[2:3], s[4:5], 0x78
	s_lshl_b64 s[0:1], s[20:21], 3
	s_add_u32 s0, s24, s0
	s_addc_u32 s1, s25, s1
	s_lshl_b64 s[24:25], s[26:27], 3
	s_load_dwordx2 s[20:21], s[0:1], 0x0
	v_cmp_eq_u32_e64 s0, 0, v0
	s_waitcnt lgkmcnt(0)
	s_add_u32 s1, s20, s24
	s_addc_u32 s7, s21, s25
	s_andn2_b32 vcc_lo, exec_lo, s22
	s_cbranch_vccnz .LBB271_12
; %bb.8:
	s_mov_b32 s23, 0
	s_mov_b32 s22, 0
                                        ; implicit-def: $vgpr1_vgpr2
                                        ; implicit-def: $sgpr20_sgpr21
	s_and_saveexec_b32 s24, s0
	s_cbranch_execz .LBB271_13
; %bb.9:
	v_cmp_eq_f64_e64 s0, s[8:9], 0
	s_ashr_i32 s20, s6, 31
	s_mul_hi_u32 s21, s2, s6
	s_mul_i32 s20, s2, s20
	v_mov_b32_e32 v1, 0
	v_mov_b32_e32 v2, 0
	s_add_i32 s20, s21, s20
	s_mul_i32 s21, s3, s6
	s_add_i32 s21, s20, s21
	s_mul_i32 s20, s2, s6
	s_and_b32 vcc_lo, exec_lo, s0
	s_cbranch_vccnz .LBB271_11
; %bb.10:
	s_lshl_b64 s[26:27], s[20:21], 3
	s_add_u32 s26, s1, s26
	s_addc_u32 s27, s7, s27
	v_mov_b32_e32 v1, s26
	v_mov_b32_e32 v2, s27
	flat_load_dwordx2 v[1:2], v[1:2]
	s_waitcnt vmcnt(0) lgkmcnt(0)
	v_mul_f64 v[1:2], s[8:9], v[1:2]
.LBB271_11:
	s_mov_b32 s22, exec_lo
	s_or_b32 exec_lo, exec_lo, s24
	s_and_b32 vcc_lo, exec_lo, s23
	s_cbranch_vccnz .LBB271_14
	s_branch .LBB271_33
.LBB271_12:
	s_mov_b32 s22, 0
                                        ; implicit-def: $vgpr1_vgpr2
                                        ; implicit-def: $sgpr20_sgpr21
	s_cbranch_execnz .LBB271_14
	s_branch .LBB271_33
.LBB271_13:
	s_or_b32 exec_lo, exec_lo, s24
	s_and_b32 vcc_lo, exec_lo, s23
	s_cbranch_vccz .LBB271_33
.LBB271_14:
	s_load_dword s5, s[4:5], 0x0
	s_ashr_i32 s23, s6, 31
	s_mul_hi_u32 s0, s16, s6
	s_mul_i32 s20, s16, s6
	s_mul_i32 s16, s16, s23
	;; [unrolled: 1-line block ×3, first 2 shown]
	s_add_i32 s0, s0, s16
	v_mov_b32_e32 v1, 0
	s_add_i32 s21, s0, s4
	v_mov_b32_e32 v2, 0
	s_lshl_b64 s[16:17], s[20:21], 3
	s_waitcnt lgkmcnt(0)
	v_cmp_gt_i32_e32 vcc_lo, s5, v0
	s_ashr_i32 s0, s5, 31
	s_lshr_b32 s0, s0, 24
	s_add_i32 s0, s5, s0
	v_cndmask_b32_e32 v3, 0, v0, vcc_lo
	v_lshlrev_b32_e32 v3, 3, v3
	v_add_co_u32 v3, s4, s18, v3
	v_add_co_ci_u32_e64 v4, null, s19, 0, s4
	s_and_b32 s4, s0, 0xffffff00
	v_add_co_u32 v3, vcc_lo, v3, s16
	v_add_co_ci_u32_e64 v4, null, s17, v4, vcc_lo
	s_mov_b32 s19, 0
	s_mov_b32 s18, exec_lo
	v_cmpx_gt_i32_e64 s4, v0
	s_cbranch_execz .LBB271_18
; %bb.15:
	v_mad_u64_u32 v[1:2], null, s14, v0, 0
	v_mov_b32_e32 v9, v0
	s_lshl_b64 s[16:17], s[14:15], 11
	v_mad_u64_u32 v[5:6], null, s15, v0, v[2:3]
	v_mov_b32_e32 v2, v5
	v_mov_b32_e32 v6, v4
	;; [unrolled: 1-line block ×3, first 2 shown]
	v_lshlrev_b64 v[7:8], 3, v[1:2]
	v_mov_b32_e32 v1, 0
	v_mov_b32_e32 v2, 0
	v_add_co_u32 v7, vcc_lo, s12, v7
	v_add_co_ci_u32_e64 v8, null, s13, v8, vcc_lo
	.p2align	6
.LBB271_16:                             ; =>This Inner Loop Header: Depth=1
	flat_load_dwordx2 v[10:11], v[5:6]
	flat_load_dwordx2 v[12:13], v[7:8]
	v_add_nc_u32_e32 v9, 0x100, v9
	v_add_co_u32 v5, vcc_lo, 0x800, v5
	v_add_co_ci_u32_e64 v6, null, 0, v6, vcc_lo
	v_cmp_le_i32_e32 vcc_lo, s4, v9
	v_add_co_u32 v7, s0, v7, s16
	v_add_co_ci_u32_e64 v8, null, s17, v8, s0
	s_or_b32 s19, vcc_lo, s19
	s_waitcnt vmcnt(0) lgkmcnt(0)
	v_fma_f64 v[1:2], v[10:11], v[12:13], v[1:2]
	s_andn2_b32 exec_lo, exec_lo, s19
	s_cbranch_execnz .LBB271_16
; %bb.17:
	s_or_b32 exec_lo, exec_lo, s19
.LBB271_18:
	s_or_b32 exec_lo, exec_lo, s18
	v_add_nc_u32_e32 v5, s4, v0
	s_mov_b32 s0, exec_lo
	v_cmpx_gt_i32_e64 s5, v5
	s_cbranch_execz .LBB271_20
; %bb.19:
	v_ashrrev_i32_e32 v7, 31, v5
	v_mul_lo_u32 v8, s15, v5
	v_mad_u64_u32 v[5:6], null, s14, v5, 0
	s_ashr_i32 s5, s4, 31
	v_mul_lo_u32 v7, s14, v7
	s_lshl_b64 s[4:5], s[4:5], 3
	v_add_co_u32 v3, vcc_lo, v3, s4
	v_add_co_ci_u32_e64 v4, null, s5, v4, vcc_lo
	v_add3_u32 v6, v6, v7, v8
	v_lshlrev_b64 v[5:6], 3, v[5:6]
	v_add_co_u32 v5, vcc_lo, s12, v5
	v_add_co_ci_u32_e64 v6, null, s13, v6, vcc_lo
	flat_load_dwordx2 v[3:4], v[3:4]
	flat_load_dwordx2 v[5:6], v[5:6]
	s_waitcnt vmcnt(0) lgkmcnt(0)
	v_fma_f64 v[1:2], v[3:4], v[5:6], v[1:2]
.LBB271_20:
	s_or_b32 exec_lo, exec_lo, s0
	v_and_b32_e32 v9, 31, v0
	v_cmp_gt_u32_e32 vcc_lo, 32, v0
	v_lshlrev_b32_e32 v5, 3, v9
	s_and_saveexec_b32 s0, vcc_lo
; %bb.21:
	v_mov_b32_e32 v3, 0
	v_mov_b32_e32 v4, v3
	ds_write_b64 v5, v[3:4]
; %bb.22:
	s_or_b32 exec_lo, exec_lo, s0
	v_mbcnt_lo_u32_b32 v8, -1, 0
	s_mov_b32 s4, exec_lo
	s_waitcnt lgkmcnt(0)
	s_barrier
	buffer_gl0_inv
	v_lshl_or_b32 v4, v8, 2, 64
	v_cmp_gt_u32_e64 s0, 24, v8
	ds_bpermute_b32 v3, v4, v1
	ds_bpermute_b32 v4, v4, v2
	s_waitcnt lgkmcnt(0)
	v_add_f64 v[1:2], v[1:2], v[3:4]
	v_cndmask_b32_e64 v3, 0, 8, s0
	v_cmp_gt_u32_e64 s0, 28, v8
	v_add_lshl_u32 v4, v3, v8, 2
	ds_bpermute_b32 v3, v4, v1
	ds_bpermute_b32 v4, v4, v2
	s_waitcnt lgkmcnt(0)
	v_add_f64 v[1:2], v[1:2], v[3:4]
	v_cndmask_b32_e64 v3, 0, 4, s0
	v_cmp_gt_u32_e64 s0, 30, v8
	v_add_lshl_u32 v6, v3, v8, 2
	ds_bpermute_b32 v3, v6, v1
	ds_bpermute_b32 v4, v6, v2
	s_waitcnt lgkmcnt(0)
	v_add_f64 v[1:2], v[1:2], v[3:4]
	v_cndmask_b32_e64 v3, 0, 2, s0
	v_cmp_ne_u32_e64 s0, 31, v8
	v_add_lshl_u32 v7, v3, v8, 2
	ds_bpermute_b32 v3, v7, v1
	ds_bpermute_b32 v4, v7, v2
	s_waitcnt lgkmcnt(0)
	v_add_f64 v[1:2], v[1:2], v[3:4]
	v_add_co_ci_u32_e64 v3, null, 0, v8, s0
	v_lshlrev_b32_e32 v8, 2, v3
	ds_bpermute_b32 v3, v8, v1
	ds_bpermute_b32 v4, v8, v2
	v_cmpx_eq_u32_e32 0, v9
	s_cbranch_execz .LBB271_24
; %bb.23:
	s_waitcnt lgkmcnt(0)
	v_add_f64 v[1:2], v[1:2], v[3:4]
	v_lshrrev_b32_e32 v3, 2, v0
	v_and_b32_e32 v3, 56, v3
	ds_write_b64 v3, v[1:2]
.LBB271_24:
	s_or_b32 exec_lo, exec_lo, s4
	s_waitcnt lgkmcnt(0)
	v_mov_b32_e32 v3, 0
	v_mov_b32_e32 v4, 0
	s_mov_b32 s4, exec_lo
	s_barrier
	buffer_gl0_inv
	v_cmpx_gt_u32_e32 8, v0
; %bb.25:
	ds_read_b64 v[3:4], v5
; %bb.26:
	s_or_b32 exec_lo, exec_lo, s4
	s_and_saveexec_b32 s0, vcc_lo
	s_cbranch_execz .LBB271_28
; %bb.27:
	s_waitcnt lgkmcnt(0)
	ds_bpermute_b32 v1, v6, v3
	ds_bpermute_b32 v2, v6, v4
	s_waitcnt lgkmcnt(0)
	v_add_f64 v[1:2], v[3:4], v[1:2]
	ds_bpermute_b32 v3, v7, v1
	ds_bpermute_b32 v4, v7, v2
	s_waitcnt lgkmcnt(0)
	v_add_f64 v[1:2], v[1:2], v[3:4]
	;; [unrolled: 4-line block ×3, first 2 shown]
.LBB271_28:
	s_or_b32 exec_lo, exec_lo, s0
	s_mov_b32 s0, exec_lo
                                        ; implicit-def: $vgpr1_vgpr2
                                        ; implicit-def: $sgpr20_sgpr21
	v_cmpx_eq_u32_e32 0, v0
	s_cbranch_execz .LBB271_32
; %bb.29:
	v_cmp_eq_f64_e64 s4, s[8:9], 0
	s_waitcnt lgkmcnt(0)
	v_mul_f64 v[1:2], s[10:11], v[3:4]
	s_mul_i32 s5, s2, s23
	s_mul_hi_u32 s10, s2, s6
	s_mul_i32 s3, s3, s6
	s_add_i32 s5, s10, s5
	s_mul_i32 s20, s2, s6
	s_add_i32 s21, s5, s3
	s_and_b32 vcc_lo, exec_lo, s4
	s_cbranch_vccnz .LBB271_31
; %bb.30:
	s_lshl_b64 s[2:3], s[20:21], 3
	s_add_u32 s2, s1, s2
	s_addc_u32 s3, s7, s3
	v_mov_b32_e32 v4, s3
	v_mov_b32_e32 v3, s2
	flat_load_dwordx2 v[3:4], v[3:4]
	s_waitcnt vmcnt(0) lgkmcnt(0)
	v_fma_f64 v[1:2], s[8:9], v[3:4], v[1:2]
.LBB271_31:
	s_or_b32 s22, s22, exec_lo
.LBB271_32:
	s_or_b32 exec_lo, exec_lo, s0
.LBB271_33:
	s_and_saveexec_b32 s0, s22
	s_cbranch_execz .LBB271_35
; %bb.34:
	s_lshl_b64 s[2:3], s[20:21], 3
	s_add_u32 s0, s1, s2
	s_addc_u32 s1, s7, s3
	s_waitcnt lgkmcnt(0)
	v_mov_b32_e32 v4, s1
	v_mov_b32_e32 v3, s0
	flat_store_dwordx2 v[3:4], v[1:2]
.LBB271_35:
	s_endpgm
	.section	.rodata,"a",@progbits
	.p2align	6, 0x0
	.amdhsa_kernel _ZL32rocblas_gemvt_warp_reduce_kernelILb0ELi256ElPKddKPdEviiT3_lPKT2_lT1_lS7_lS8_lS4_lPT4_lS8_li
		.amdhsa_group_segment_fixed_size 256
		.amdhsa_private_segment_fixed_size 0
		.amdhsa_kernarg_size 140
		.amdhsa_user_sgpr_count 6
		.amdhsa_user_sgpr_private_segment_buffer 1
		.amdhsa_user_sgpr_dispatch_ptr 0
		.amdhsa_user_sgpr_queue_ptr 0
		.amdhsa_user_sgpr_kernarg_segment_ptr 1
		.amdhsa_user_sgpr_dispatch_id 0
		.amdhsa_user_sgpr_flat_scratch_init 0
		.amdhsa_user_sgpr_private_segment_size 0
		.amdhsa_wavefront_size32 1
		.amdhsa_uses_dynamic_stack 0
		.amdhsa_system_sgpr_private_segment_wavefront_offset 0
		.amdhsa_system_sgpr_workgroup_id_x 1
		.amdhsa_system_sgpr_workgroup_id_y 0
		.amdhsa_system_sgpr_workgroup_id_z 1
		.amdhsa_system_sgpr_workgroup_info 0
		.amdhsa_system_vgpr_workitem_id 0
		.amdhsa_next_free_vgpr 14
		.amdhsa_next_free_sgpr 28
		.amdhsa_reserve_vcc 1
		.amdhsa_reserve_flat_scratch 0
		.amdhsa_float_round_mode_32 0
		.amdhsa_float_round_mode_16_64 0
		.amdhsa_float_denorm_mode_32 3
		.amdhsa_float_denorm_mode_16_64 3
		.amdhsa_dx10_clamp 1
		.amdhsa_ieee_mode 1
		.amdhsa_fp16_overflow 0
		.amdhsa_workgroup_processor_mode 1
		.amdhsa_memory_ordered 1
		.amdhsa_forward_progress 1
		.amdhsa_shared_vgpr_count 0
		.amdhsa_exception_fp_ieee_invalid_op 0
		.amdhsa_exception_fp_denorm_src 0
		.amdhsa_exception_fp_ieee_div_zero 0
		.amdhsa_exception_fp_ieee_overflow 0
		.amdhsa_exception_fp_ieee_underflow 0
		.amdhsa_exception_fp_ieee_inexact 0
		.amdhsa_exception_int_div_zero 0
	.end_amdhsa_kernel
	.section	.text._ZL32rocblas_gemvt_warp_reduce_kernelILb0ELi256ElPKddKPdEviiT3_lPKT2_lT1_lS7_lS8_lS4_lPT4_lS8_li,"axG",@progbits,_ZL32rocblas_gemvt_warp_reduce_kernelILb0ELi256ElPKddKPdEviiT3_lPKT2_lT1_lS7_lS8_lS4_lPT4_lS8_li,comdat
.Lfunc_end271:
	.size	_ZL32rocblas_gemvt_warp_reduce_kernelILb0ELi256ElPKddKPdEviiT3_lPKT2_lT1_lS7_lS8_lS4_lPT4_lS8_li, .Lfunc_end271-_ZL32rocblas_gemvt_warp_reduce_kernelILb0ELi256ElPKddKPdEviiT3_lPKT2_lT1_lS7_lS8_lS4_lPT4_lS8_li
                                        ; -- End function
	.set _ZL32rocblas_gemvt_warp_reduce_kernelILb0ELi256ElPKddKPdEviiT3_lPKT2_lT1_lS7_lS8_lS4_lPT4_lS8_li.num_vgpr, 14
	.set _ZL32rocblas_gemvt_warp_reduce_kernelILb0ELi256ElPKddKPdEviiT3_lPKT2_lT1_lS7_lS8_lS4_lPT4_lS8_li.num_agpr, 0
	.set _ZL32rocblas_gemvt_warp_reduce_kernelILb0ELi256ElPKddKPdEviiT3_lPKT2_lT1_lS7_lS8_lS4_lPT4_lS8_li.numbered_sgpr, 28
	.set _ZL32rocblas_gemvt_warp_reduce_kernelILb0ELi256ElPKddKPdEviiT3_lPKT2_lT1_lS7_lS8_lS4_lPT4_lS8_li.num_named_barrier, 0
	.set _ZL32rocblas_gemvt_warp_reduce_kernelILb0ELi256ElPKddKPdEviiT3_lPKT2_lT1_lS7_lS8_lS4_lPT4_lS8_li.private_seg_size, 0
	.set _ZL32rocblas_gemvt_warp_reduce_kernelILb0ELi256ElPKddKPdEviiT3_lPKT2_lT1_lS7_lS8_lS4_lPT4_lS8_li.uses_vcc, 1
	.set _ZL32rocblas_gemvt_warp_reduce_kernelILb0ELi256ElPKddKPdEviiT3_lPKT2_lT1_lS7_lS8_lS4_lPT4_lS8_li.uses_flat_scratch, 0
	.set _ZL32rocblas_gemvt_warp_reduce_kernelILb0ELi256ElPKddKPdEviiT3_lPKT2_lT1_lS7_lS8_lS4_lPT4_lS8_li.has_dyn_sized_stack, 0
	.set _ZL32rocblas_gemvt_warp_reduce_kernelILb0ELi256ElPKddKPdEviiT3_lPKT2_lT1_lS7_lS8_lS4_lPT4_lS8_li.has_recursion, 0
	.set _ZL32rocblas_gemvt_warp_reduce_kernelILb0ELi256ElPKddKPdEviiT3_lPKT2_lT1_lS7_lS8_lS4_lPT4_lS8_li.has_indirect_call, 0
	.section	.AMDGPU.csdata,"",@progbits
; Kernel info:
; codeLenInByte = 1568
; TotalNumSgprs: 30
; NumVgprs: 14
; ScratchSize: 0
; MemoryBound: 0
; FloatMode: 240
; IeeeMode: 1
; LDSByteSize: 256 bytes/workgroup (compile time only)
; SGPRBlocks: 0
; VGPRBlocks: 1
; NumSGPRsForWavesPerEU: 30
; NumVGPRsForWavesPerEU: 14
; Occupancy: 16
; WaveLimiterHint : 1
; COMPUTE_PGM_RSRC2:SCRATCH_EN: 0
; COMPUTE_PGM_RSRC2:USER_SGPR: 6
; COMPUTE_PGM_RSRC2:TRAP_HANDLER: 0
; COMPUTE_PGM_RSRC2:TGID_X_EN: 1
; COMPUTE_PGM_RSRC2:TGID_Y_EN: 0
; COMPUTE_PGM_RSRC2:TGID_Z_EN: 1
; COMPUTE_PGM_RSRC2:TIDIG_COMP_CNT: 0
	.section	.text._ZL20rocblas_gemvt_kernelILb0ELi256EPKdS1_KPdEviiT2_lPKT1_lilS7_lilS4_lPT3_lili,"axG",@progbits,_ZL20rocblas_gemvt_kernelILb0ELi256EPKdS1_KPdEviiT2_lPKT1_lilS7_lilS4_lPT3_lili,comdat
	.globl	_ZL20rocblas_gemvt_kernelILb0ELi256EPKdS1_KPdEviiT2_lPKT1_lilS7_lilS4_lPT3_lili ; -- Begin function _ZL20rocblas_gemvt_kernelILb0ELi256EPKdS1_KPdEviiT2_lPKT1_lilS7_lilS4_lPT3_lili
	.p2align	8
	.type	_ZL20rocblas_gemvt_kernelILb0ELi256EPKdS1_KPdEviiT2_lPKT1_lilS7_lilS4_lPT3_lili,@function
_ZL20rocblas_gemvt_kernelILb0ELi256EPKdS1_KPdEviiT2_lPKT1_lilS7_lilS4_lPT3_lili: ; @_ZL20rocblas_gemvt_kernelILb0ELi256EPKdS1_KPdEviiT2_lPKT1_lilS7_lilS4_lPT3_lili
; %bb.0:
	s_clause 0x1
	s_load_dwordx8 s[16:23], s[4:5], 0x8
	s_load_dwordx8 s[8:15], s[4:5], 0x58
	s_mov_b32 s0, s7
	s_waitcnt lgkmcnt(0)
	s_mul_i32 s1, s19, s7
	s_mul_hi_u32 s3, s18, s7
	s_mul_i32 s2, s18, s7
	s_add_i32 s3, s3, s1
	s_mul_i32 s1, s11, s7
	s_lshl_b64 s[2:3], s[2:3], 3
	s_mul_hi_u32 s7, s10, s7
	s_add_u32 s2, s16, s2
	s_addc_u32 s3, s17, s3
	s_add_i32 s11, s7, s1
	s_mul_i32 s10, s10, s0
	s_mov_b64 s[16:17], 0
	s_lshl_b64 s[10:11], s[10:11], 3
	s_add_u32 s10, s8, s10
	s_addc_u32 s11, s9, s11
	s_load_dwordx2 s[8:9], s[2:3], 0x0
	s_load_dwordx2 s[2:3], s[10:11], 0x0
	s_waitcnt lgkmcnt(0)
	v_cmp_eq_f64_e64 s19, s[8:9], 0
	v_cmp_eq_f64_e64 s1, s[2:3], 1.0
	s_and_b32 s1, s19, s1
	s_and_b32 vcc_lo, exec_lo, s1
	s_cbranch_vccnz .LBB272_41
; %bb.1:
	v_cmp_neq_f64_e64 s7, s[8:9], 0
	s_and_b32 vcc_lo, exec_lo, s19
	s_mov_b32 s1, 0
	s_cbranch_vccnz .LBB272_3
; %bb.2:
	s_lshl_b64 s[10:11], s[0:1], 3
	s_add_u32 s10, s20, s10
	s_addc_u32 s11, s21, s11
	s_lshl_b64 s[16:17], s[22:23], 3
	s_load_dwordx2 s[10:11], s[10:11], 0x0
	s_waitcnt lgkmcnt(0)
	s_add_u32 s16, s10, s16
	s_addc_u32 s17, s11, s17
.LBB272_3:
	s_andn2_b32 vcc_lo, exec_lo, s7
	s_cbranch_vccnz .LBB272_5
; %bb.4:
	s_load_dwordx4 s[20:23], s[4:5], 0x38
	s_lshl_b64 s[10:11], s[0:1], 3
	s_waitcnt lgkmcnt(0)
	s_add_u32 s10, s20, s10
	s_addc_u32 s11, s21, s11
	s_lshl_b64 s[20:21], s[22:23], 3
	s_load_dwordx2 s[10:11], s[10:11], 0x0
	s_waitcnt lgkmcnt(0)
	s_add_u32 s10, s10, s20
	s_addc_u32 s11, s11, s21
	s_branch .LBB272_6
.LBB272_5:
	s_mov_b64 s[10:11], 0
.LBB272_6:
	s_lshl_b64 s[0:1], s[0:1], 3
	s_add_u32 s0, s12, s0
	s_addc_u32 s1, s13, s1
	s_lshl_b64 s[14:15], s[14:15], 3
	s_load_dwordx2 s[12:13], s[0:1], 0x0
	s_load_dword s18, s[4:5], 0x78
	v_cmp_eq_u32_e64 s0, 0, v0
	s_waitcnt lgkmcnt(0)
	s_add_u32 s7, s12, s14
	s_addc_u32 s14, s13, s15
	s_andn2_b32 vcc_lo, exec_lo, s19
	s_cbranch_vccnz .LBB272_11
; %bb.7:
	s_mov_b32 s1, 0
	s_mov_b32 s15, 0
                                        ; implicit-def: $vgpr1_vgpr2
                                        ; implicit-def: $sgpr12_sgpr13
	s_and_saveexec_b32 s19, s0
	s_cbranch_execz .LBB272_12
; %bb.8:
	v_cmp_eq_f64_e64 s0, s[2:3], 0
	v_mov_b32_e32 v1, 0
	v_mov_b32_e32 v2, 0
	s_mul_hi_i32 s13, s18, s6
	s_mul_i32 s12, s18, s6
	s_and_b32 vcc_lo, exec_lo, s0
	s_cbranch_vccnz .LBB272_10
; %bb.9:
	s_lshl_b64 s[20:21], s[12:13], 3
	s_add_u32 s20, s7, s20
	s_addc_u32 s21, s14, s21
	v_mov_b32_e32 v1, s20
	v_mov_b32_e32 v2, s21
	flat_load_dwordx2 v[1:2], v[1:2]
	s_waitcnt vmcnt(0) lgkmcnt(0)
	v_mul_f64 v[1:2], s[2:3], v[1:2]
.LBB272_10:
	s_mov_b32 s15, exec_lo
	s_or_b32 exec_lo, exec_lo, s19
	s_and_b32 vcc_lo, exec_lo, s1
	s_cbranch_vccnz .LBB272_13
	s_branch .LBB272_39
.LBB272_11:
	s_mov_b32 s15, 0
                                        ; implicit-def: $vgpr1_vgpr2
                                        ; implicit-def: $sgpr12_sgpr13
	s_cbranch_execnz .LBB272_13
	s_branch .LBB272_39
.LBB272_12:
	s_or_b32 exec_lo, exec_lo, s19
	s_and_b32 vcc_lo, exec_lo, s1
	s_cbranch_vccz .LBB272_39
.LBB272_13:
	s_clause 0x2
	s_load_dword s19, s[4:5], 0x0
	s_load_dword s1, s[4:5], 0x28
	;; [unrolled: 1-line block ×3, first 2 shown]
	v_mov_b32_e32 v1, 0
	v_mov_b32_e32 v2, 0
	s_waitcnt lgkmcnt(0)
	v_cmp_gt_i32_e32 vcc_lo, s19, v0
	s_mul_hi_i32 s5, s1, s6
	s_mul_i32 s4, s1, s6
	s_ashr_i32 s1, s19, 31
	s_lshl_b64 s[4:5], s[4:5], 3
	v_cndmask_b32_e32 v3, 0, v0, vcc_lo
	s_lshr_b32 s1, s1, 24
	s_add_i32 s1, s19, s1
	v_lshlrev_b32_e32 v3, 3, v3
	v_add_co_u32 v3, s12, s16, v3
	v_add_co_ci_u32_e64 v4, null, s17, 0, s12
	v_add_co_u32 v3, vcc_lo, v3, s4
	v_add_co_ci_u32_e64 v4, null, s5, v4, vcc_lo
	s_and_b32 s4, s1, 0xffffff00
	s_cmpk_lt_i32 s19, 0x100
	s_mov_b32 s5, 0
	s_cbranch_scc1 .LBB272_16
; %bb.14:
	v_mad_i64_i32 v[1:2], null, s0, v0, 0
	v_mov_b32_e32 v8, v4
	v_mov_b32_e32 v7, v3
	s_ashr_i32 s1, s0, 31
	s_lshl_b64 s[12:13], s[0:1], 11
	v_lshlrev_b64 v[5:6], 3, v[1:2]
	v_mov_b32_e32 v1, 0
	v_mov_b32_e32 v2, 0
	v_add_co_u32 v5, vcc_lo, s10, v5
	v_add_co_ci_u32_e64 v6, null, s11, v6, vcc_lo
	.p2align	6
.LBB272_15:                             ; =>This Inner Loop Header: Depth=1
	flat_load_dwordx2 v[9:10], v[7:8]
	flat_load_dwordx2 v[11:12], v[5:6]
	v_add_co_u32 v5, vcc_lo, v5, s12
	v_add_co_ci_u32_e64 v6, null, s13, v6, vcc_lo
	v_add_co_u32 v7, vcc_lo, 0x800, v7
	v_add_co_ci_u32_e64 v8, null, 0, v8, vcc_lo
	s_addk_i32 s5, 0x100
	s_cmp_ge_i32 s5, s4
	s_waitcnt vmcnt(0) lgkmcnt(0)
	v_fma_f64 v[1:2], v[9:10], v[11:12], v[1:2]
	s_cbranch_scc0 .LBB272_15
.LBB272_16:
	v_add_nc_u32_e32 v5, s4, v0
	s_mov_b32 s1, exec_lo
	v_cmpx_gt_i32_e64 s19, v5
	s_cbranch_execz .LBB272_18
; %bb.17:
	v_mad_i64_i32 v[5:6], null, s0, v5, 0
	s_ashr_i32 s5, s4, 31
	s_lshl_b64 s[4:5], s[4:5], 3
	v_add_co_u32 v3, vcc_lo, v3, s4
	v_lshlrev_b64 v[5:6], 3, v[5:6]
	v_add_co_ci_u32_e64 v4, null, s5, v4, vcc_lo
	v_add_co_u32 v5, vcc_lo, s10, v5
	v_add_co_ci_u32_e64 v6, null, s11, v6, vcc_lo
	flat_load_dwordx2 v[3:4], v[3:4]
	flat_load_dwordx2 v[5:6], v[5:6]
	s_waitcnt vmcnt(0) lgkmcnt(0)
	v_fma_f64 v[1:2], v[3:4], v[5:6], v[1:2]
.LBB272_18:
	s_or_b32 exec_lo, exec_lo, s1
	v_lshlrev_b32_e32 v3, 3, v0
	s_mov_b32 s0, exec_lo
	ds_write_b64 v3, v[1:2]
	s_waitcnt lgkmcnt(0)
	s_barrier
	buffer_gl0_inv
	v_cmpx_gt_u32_e32 0x80, v0
	s_cbranch_execz .LBB272_20
; %bb.19:
	ds_read2st64_b64 v[4:7], v3 offset1:2
	s_waitcnt lgkmcnt(0)
	v_add_f64 v[1:2], v[6:7], v[4:5]
	ds_write_b64 v3, v[1:2]
.LBB272_20:
	s_or_b32 exec_lo, exec_lo, s0
	s_mov_b32 s0, exec_lo
	s_waitcnt lgkmcnt(0)
	s_barrier
	buffer_gl0_inv
	v_cmpx_gt_u32_e32 64, v0
	s_cbranch_execz .LBB272_22
; %bb.21:
	ds_read2st64_b64 v[4:7], v3 offset1:1
	s_waitcnt lgkmcnt(0)
	v_add_f64 v[1:2], v[6:7], v[4:5]
	ds_write_b64 v3, v[1:2]
.LBB272_22:
	s_or_b32 exec_lo, exec_lo, s0
	s_mov_b32 s0, exec_lo
	s_waitcnt lgkmcnt(0)
	s_barrier
	buffer_gl0_inv
	v_cmpx_gt_u32_e32 32, v0
	s_cbranch_execz .LBB272_24
; %bb.23:
	ds_read2_b64 v[4:7], v3 offset1:32
	s_waitcnt lgkmcnt(0)
	v_add_f64 v[1:2], v[6:7], v[4:5]
	ds_write_b64 v3, v[1:2]
.LBB272_24:
	s_or_b32 exec_lo, exec_lo, s0
	s_mov_b32 s0, exec_lo
	s_waitcnt lgkmcnt(0)
	s_barrier
	buffer_gl0_inv
	v_cmpx_gt_u32_e32 16, v0
	s_cbranch_execz .LBB272_26
; %bb.25:
	ds_read2_b64 v[4:7], v3 offset1:16
	s_waitcnt lgkmcnt(0)
	v_add_f64 v[1:2], v[6:7], v[4:5]
	ds_write_b64 v3, v[1:2]
.LBB272_26:
	;; [unrolled: 13-line block ×5, first 2 shown]
	s_or_b32 exec_lo, exec_lo, s0
	v_cmp_eq_u32_e32 vcc_lo, 0, v0
	s_waitcnt lgkmcnt(0)
	s_barrier
	buffer_gl0_inv
	s_and_saveexec_b32 s0, vcc_lo
	s_cbranch_execz .LBB272_34
; %bb.33:
	v_mov_b32_e32 v4, 0
	ds_read_b128 v[0:3], v4
	s_waitcnt lgkmcnt(0)
	v_add_f64 v[0:1], v[2:3], v[0:1]
	ds_write_b64 v4, v[0:1]
.LBB272_34:
	s_or_b32 exec_lo, exec_lo, s0
	s_waitcnt lgkmcnt(0)
	s_barrier
	buffer_gl0_inv
                                        ; implicit-def: $vgpr1_vgpr2
                                        ; implicit-def: $sgpr12_sgpr13
	s_and_saveexec_b32 s0, vcc_lo
	s_cbranch_execz .LBB272_38
; %bb.35:
	v_mov_b32_e32 v0, 0
	v_cmp_eq_f64_e64 s1, s[2:3], 0
	s_mul_hi_i32 s13, s18, s6
	s_mul_i32 s12, s18, s6
	ds_read_b64 v[0:1], v0
	s_and_b32 vcc_lo, exec_lo, s1
	s_waitcnt lgkmcnt(0)
	v_mul_f64 v[1:2], s[8:9], v[0:1]
	s_cbranch_vccnz .LBB272_37
; %bb.36:
	s_lshl_b64 s[4:5], s[12:13], 3
	s_add_u32 s4, s7, s4
	s_addc_u32 s5, s14, s5
	v_mov_b32_e32 v3, s4
	v_mov_b32_e32 v4, s5
	flat_load_dwordx2 v[3:4], v[3:4]
	s_waitcnt vmcnt(0) lgkmcnt(0)
	v_fma_f64 v[1:2], s[2:3], v[3:4], v[1:2]
.LBB272_37:
	s_or_b32 s15, s15, exec_lo
.LBB272_38:
	s_or_b32 exec_lo, exec_lo, s0
.LBB272_39:
	s_and_saveexec_b32 s0, s15
	s_cbranch_execz .LBB272_41
; %bb.40:
	s_lshl_b64 s[0:1], s[12:13], 3
	s_add_u32 s0, s7, s0
	s_addc_u32 s1, s14, s1
	v_mov_b32_e32 v4, s1
	v_mov_b32_e32 v3, s0
	flat_store_dwordx2 v[3:4], v[1:2]
.LBB272_41:
	s_endpgm
	.section	.rodata,"a",@progbits
	.p2align	6, 0x0
	.amdhsa_kernel _ZL20rocblas_gemvt_kernelILb0ELi256EPKdS1_KPdEviiT2_lPKT1_lilS7_lilS4_lPT3_lili
		.amdhsa_group_segment_fixed_size 2048
		.amdhsa_private_segment_fixed_size 0
		.amdhsa_kernarg_size 140
		.amdhsa_user_sgpr_count 6
		.amdhsa_user_sgpr_private_segment_buffer 1
		.amdhsa_user_sgpr_dispatch_ptr 0
		.amdhsa_user_sgpr_queue_ptr 0
		.amdhsa_user_sgpr_kernarg_segment_ptr 1
		.amdhsa_user_sgpr_dispatch_id 0
		.amdhsa_user_sgpr_flat_scratch_init 0
		.amdhsa_user_sgpr_private_segment_size 0
		.amdhsa_wavefront_size32 1
		.amdhsa_uses_dynamic_stack 0
		.amdhsa_system_sgpr_private_segment_wavefront_offset 0
		.amdhsa_system_sgpr_workgroup_id_x 1
		.amdhsa_system_sgpr_workgroup_id_y 0
		.amdhsa_system_sgpr_workgroup_id_z 1
		.amdhsa_system_sgpr_workgroup_info 0
		.amdhsa_system_vgpr_workitem_id 0
		.amdhsa_next_free_vgpr 13
		.amdhsa_next_free_sgpr 24
		.amdhsa_reserve_vcc 1
		.amdhsa_reserve_flat_scratch 0
		.amdhsa_float_round_mode_32 0
		.amdhsa_float_round_mode_16_64 0
		.amdhsa_float_denorm_mode_32 3
		.amdhsa_float_denorm_mode_16_64 3
		.amdhsa_dx10_clamp 1
		.amdhsa_ieee_mode 1
		.amdhsa_fp16_overflow 0
		.amdhsa_workgroup_processor_mode 1
		.amdhsa_memory_ordered 1
		.amdhsa_forward_progress 1
		.amdhsa_shared_vgpr_count 0
		.amdhsa_exception_fp_ieee_invalid_op 0
		.amdhsa_exception_fp_denorm_src 0
		.amdhsa_exception_fp_ieee_div_zero 0
		.amdhsa_exception_fp_ieee_overflow 0
		.amdhsa_exception_fp_ieee_underflow 0
		.amdhsa_exception_fp_ieee_inexact 0
		.amdhsa_exception_int_div_zero 0
	.end_amdhsa_kernel
	.section	.text._ZL20rocblas_gemvt_kernelILb0ELi256EPKdS1_KPdEviiT2_lPKT1_lilS7_lilS4_lPT3_lili,"axG",@progbits,_ZL20rocblas_gemvt_kernelILb0ELi256EPKdS1_KPdEviiT2_lPKT1_lilS7_lilS4_lPT3_lili,comdat
.Lfunc_end272:
	.size	_ZL20rocblas_gemvt_kernelILb0ELi256EPKdS1_KPdEviiT2_lPKT1_lilS7_lilS4_lPT3_lili, .Lfunc_end272-_ZL20rocblas_gemvt_kernelILb0ELi256EPKdS1_KPdEviiT2_lPKT1_lilS7_lilS4_lPT3_lili
                                        ; -- End function
	.set _ZL20rocblas_gemvt_kernelILb0ELi256EPKdS1_KPdEviiT2_lPKT1_lilS7_lilS4_lPT3_lili.num_vgpr, 13
	.set _ZL20rocblas_gemvt_kernelILb0ELi256EPKdS1_KPdEviiT2_lPKT1_lilS7_lilS4_lPT3_lili.num_agpr, 0
	.set _ZL20rocblas_gemvt_kernelILb0ELi256EPKdS1_KPdEviiT2_lPKT1_lilS7_lilS4_lPT3_lili.numbered_sgpr, 24
	.set _ZL20rocblas_gemvt_kernelILb0ELi256EPKdS1_KPdEviiT2_lPKT1_lilS7_lilS4_lPT3_lili.num_named_barrier, 0
	.set _ZL20rocblas_gemvt_kernelILb0ELi256EPKdS1_KPdEviiT2_lPKT1_lilS7_lilS4_lPT3_lili.private_seg_size, 0
	.set _ZL20rocblas_gemvt_kernelILb0ELi256EPKdS1_KPdEviiT2_lPKT1_lilS7_lilS4_lPT3_lili.uses_vcc, 1
	.set _ZL20rocblas_gemvt_kernelILb0ELi256EPKdS1_KPdEviiT2_lPKT1_lilS7_lilS4_lPT3_lili.uses_flat_scratch, 0
	.set _ZL20rocblas_gemvt_kernelILb0ELi256EPKdS1_KPdEviiT2_lPKT1_lilS7_lilS4_lPT3_lili.has_dyn_sized_stack, 0
	.set _ZL20rocblas_gemvt_kernelILb0ELi256EPKdS1_KPdEviiT2_lPKT1_lilS7_lilS4_lPT3_lili.has_recursion, 0
	.set _ZL20rocblas_gemvt_kernelILb0ELi256EPKdS1_KPdEviiT2_lPKT1_lilS7_lilS4_lPT3_lili.has_indirect_call, 0
	.section	.AMDGPU.csdata,"",@progbits
; Kernel info:
; codeLenInByte = 1484
; TotalNumSgprs: 26
; NumVgprs: 13
; ScratchSize: 0
; MemoryBound: 0
; FloatMode: 240
; IeeeMode: 1
; LDSByteSize: 2048 bytes/workgroup (compile time only)
; SGPRBlocks: 0
; VGPRBlocks: 1
; NumSGPRsForWavesPerEU: 26
; NumVGPRsForWavesPerEU: 13
; Occupancy: 16
; WaveLimiterHint : 1
; COMPUTE_PGM_RSRC2:SCRATCH_EN: 0
; COMPUTE_PGM_RSRC2:USER_SGPR: 6
; COMPUTE_PGM_RSRC2:TRAP_HANDLER: 0
; COMPUTE_PGM_RSRC2:TGID_X_EN: 1
; COMPUTE_PGM_RSRC2:TGID_Y_EN: 0
; COMPUTE_PGM_RSRC2:TGID_Z_EN: 1
; COMPUTE_PGM_RSRC2:TIDIG_COMP_CNT: 0
	.section	.text._ZL20rocblas_gemvt_kernelILb0ELi256EPKddKPdEviiT2_lPKT1_lilS7_lilS4_lPT3_lili,"axG",@progbits,_ZL20rocblas_gemvt_kernelILb0ELi256EPKddKPdEviiT2_lPKT1_lilS7_lilS4_lPT3_lili,comdat
	.globl	_ZL20rocblas_gemvt_kernelILb0ELi256EPKddKPdEviiT2_lPKT1_lilS7_lilS4_lPT3_lili ; -- Begin function _ZL20rocblas_gemvt_kernelILb0ELi256EPKddKPdEviiT2_lPKT1_lilS7_lilS4_lPT3_lili
	.p2align	8
	.type	_ZL20rocblas_gemvt_kernelILb0ELi256EPKddKPdEviiT2_lPKT1_lilS7_lilS4_lPT3_lili,@function
_ZL20rocblas_gemvt_kernelILb0ELi256EPKddKPdEviiT2_lPKT1_lilS7_lilS4_lPT3_lili: ; @_ZL20rocblas_gemvt_kernelILb0ELi256EPKddKPdEviiT2_lPKT1_lilS7_lilS4_lPT3_lili
; %bb.0:
	s_clause 0x1
	s_load_dwordx2 s[8:9], s[4:5], 0x8
	s_load_dwordx2 s[2:3], s[4:5], 0x58
	s_waitcnt lgkmcnt(0)
	v_cmp_eq_f64_e64 s14, s[8:9], 0
	v_cmp_eq_f64_e64 s1, s[2:3], 1.0
	s_and_b32 s1, s14, s1
	s_and_b32 vcc_lo, exec_lo, s1
	s_cbranch_vccnz .LBB273_42
; %bb.1:
	s_mov_b32 s0, s7
	v_cmp_neq_f64_e64 s7, s[8:9], 0
	s_mov_b32 s1, 0
	s_and_b32 vcc_lo, exec_lo, s7
	s_cbranch_vccnz .LBB273_3
; %bb.2:
	s_mov_b32 s12, s1
	s_mov_b64 s[10:11], 0
	s_andn2_b32 vcc_lo, exec_lo, s12
	s_mov_b64 s[12:13], 0
	s_cbranch_vccz .LBB273_4
	s_branch .LBB273_5
.LBB273_3:
	s_mov_b64 s[10:11], 0
	s_mov_b64 s[12:13], 0
.LBB273_4:
	s_load_dwordx4 s[16:19], s[4:5], 0x18
	s_lshl_b64 s[12:13], s[0:1], 3
	s_waitcnt lgkmcnt(0)
	s_add_u32 s12, s16, s12
	s_addc_u32 s13, s17, s13
	s_lshl_b64 s[16:17], s[18:19], 3
	s_load_dwordx2 s[12:13], s[12:13], 0x0
	s_waitcnt lgkmcnt(0)
	s_add_u32 s12, s12, s16
	s_addc_u32 s13, s13, s17
.LBB273_5:
	s_andn2_b32 vcc_lo, exec_lo, s7
	s_cbranch_vccnz .LBB273_7
; %bb.6:
	s_load_dwordx4 s[16:19], s[4:5], 0x38
	s_lshl_b64 s[10:11], s[0:1], 3
	s_waitcnt lgkmcnt(0)
	s_add_u32 s10, s16, s10
	s_addc_u32 s11, s17, s11
	s_lshl_b64 s[16:17], s[18:19], 3
	s_load_dwordx2 s[10:11], s[10:11], 0x0
	s_waitcnt lgkmcnt(0)
	s_add_u32 s10, s10, s16
	s_addc_u32 s11, s11, s17
.LBB273_7:
	s_clause 0x1
	s_load_dwordx4 s[20:23], s[4:5], 0x68
	s_load_dword s17, s[4:5], 0x78
	s_lshl_b64 s[0:1], s[0:1], 3
	s_waitcnt lgkmcnt(0)
	s_add_u32 s0, s20, s0
	s_addc_u32 s1, s21, s1
	s_lshl_b64 s[20:21], s[22:23], 3
	s_load_dwordx2 s[18:19], s[0:1], 0x0
	v_cmp_eq_u32_e64 s0, 0, v0
	s_waitcnt lgkmcnt(0)
	s_add_u32 s7, s18, s20
	s_addc_u32 s16, s19, s21
	s_andn2_b32 vcc_lo, exec_lo, s14
	s_cbranch_vccnz .LBB273_12
; %bb.8:
	s_mov_b32 s1, 0
	s_mov_b32 s18, 0
                                        ; implicit-def: $vgpr1_vgpr2
                                        ; implicit-def: $sgpr14_sgpr15
	s_and_saveexec_b32 s19, s0
	s_cbranch_execz .LBB273_13
; %bb.9:
	v_cmp_eq_f64_e64 s0, s[2:3], 0
	v_mov_b32_e32 v1, 0
	v_mov_b32_e32 v2, 0
	s_mul_hi_i32 s15, s17, s6
	s_mul_i32 s14, s17, s6
	s_and_b32 vcc_lo, exec_lo, s0
	s_cbranch_vccnz .LBB273_11
; %bb.10:
	s_lshl_b64 s[20:21], s[14:15], 3
	s_add_u32 s20, s7, s20
	s_addc_u32 s21, s16, s21
	v_mov_b32_e32 v1, s20
	v_mov_b32_e32 v2, s21
	flat_load_dwordx2 v[1:2], v[1:2]
	s_waitcnt vmcnt(0) lgkmcnt(0)
	v_mul_f64 v[1:2], s[2:3], v[1:2]
.LBB273_11:
	s_mov_b32 s18, exec_lo
	s_or_b32 exec_lo, exec_lo, s19
	s_and_b32 vcc_lo, exec_lo, s1
	s_cbranch_vccnz .LBB273_14
	s_branch .LBB273_40
.LBB273_12:
	s_mov_b32 s18, 0
                                        ; implicit-def: $vgpr1_vgpr2
                                        ; implicit-def: $sgpr14_sgpr15
	s_cbranch_execnz .LBB273_14
	s_branch .LBB273_40
.LBB273_13:
	s_or_b32 exec_lo, exec_lo, s19
	s_and_b32 vcc_lo, exec_lo, s1
	s_cbranch_vccz .LBB273_40
.LBB273_14:
	s_clause 0x2
	s_load_dword s14, s[4:5], 0x0
	s_load_dword s1, s[4:5], 0x28
	;; [unrolled: 1-line block ×3, first 2 shown]
	v_mov_b32_e32 v1, 0
	v_mov_b32_e32 v2, 0
	s_waitcnt lgkmcnt(0)
	v_cmp_gt_i32_e32 vcc_lo, s14, v0
	s_mul_hi_i32 s5, s1, s6
	s_mul_i32 s4, s1, s6
	s_ashr_i32 s1, s14, 31
	s_lshl_b64 s[4:5], s[4:5], 3
	v_cndmask_b32_e32 v3, 0, v0, vcc_lo
	s_lshr_b32 s1, s1, 24
	s_add_i32 s1, s14, s1
	v_lshlrev_b32_e32 v3, 3, v3
	v_add_co_u32 v3, s12, s12, v3
	v_add_co_ci_u32_e64 v4, null, s13, 0, s12
	v_add_co_u32 v3, vcc_lo, v3, s4
	v_add_co_ci_u32_e64 v4, null, s5, v4, vcc_lo
	s_and_b32 s4, s1, 0xffffff00
	s_cmpk_lt_i32 s14, 0x100
	s_mov_b32 s5, 0
	s_cbranch_scc1 .LBB273_17
; %bb.15:
	v_mad_i64_i32 v[1:2], null, s0, v0, 0
	v_mov_b32_e32 v8, v4
	v_mov_b32_e32 v7, v3
	s_ashr_i32 s1, s0, 31
	s_lshl_b64 s[12:13], s[0:1], 11
	v_lshlrev_b64 v[5:6], 3, v[1:2]
	v_mov_b32_e32 v1, 0
	v_mov_b32_e32 v2, 0
	v_add_co_u32 v5, vcc_lo, s10, v5
	v_add_co_ci_u32_e64 v6, null, s11, v6, vcc_lo
	.p2align	6
.LBB273_16:                             ; =>This Inner Loop Header: Depth=1
	flat_load_dwordx2 v[9:10], v[7:8]
	flat_load_dwordx2 v[11:12], v[5:6]
	v_add_co_u32 v5, vcc_lo, v5, s12
	v_add_co_ci_u32_e64 v6, null, s13, v6, vcc_lo
	v_add_co_u32 v7, vcc_lo, 0x800, v7
	v_add_co_ci_u32_e64 v8, null, 0, v8, vcc_lo
	s_addk_i32 s5, 0x100
	s_cmp_ge_i32 s5, s4
	s_waitcnt vmcnt(0) lgkmcnt(0)
	v_fma_f64 v[1:2], v[9:10], v[11:12], v[1:2]
	s_cbranch_scc0 .LBB273_16
.LBB273_17:
	v_add_nc_u32_e32 v5, s4, v0
	s_mov_b32 s1, exec_lo
	v_cmpx_gt_i32_e64 s14, v5
	s_cbranch_execz .LBB273_19
; %bb.18:
	v_mad_i64_i32 v[5:6], null, s0, v5, 0
	s_ashr_i32 s5, s4, 31
	s_lshl_b64 s[4:5], s[4:5], 3
	v_add_co_u32 v3, vcc_lo, v3, s4
	v_lshlrev_b64 v[5:6], 3, v[5:6]
	v_add_co_ci_u32_e64 v4, null, s5, v4, vcc_lo
	v_add_co_u32 v5, vcc_lo, s10, v5
	v_add_co_ci_u32_e64 v6, null, s11, v6, vcc_lo
	flat_load_dwordx2 v[3:4], v[3:4]
	flat_load_dwordx2 v[5:6], v[5:6]
	s_waitcnt vmcnt(0) lgkmcnt(0)
	v_fma_f64 v[1:2], v[3:4], v[5:6], v[1:2]
.LBB273_19:
	s_or_b32 exec_lo, exec_lo, s1
	v_lshlrev_b32_e32 v3, 3, v0
	s_mov_b32 s0, exec_lo
	ds_write_b64 v3, v[1:2]
	s_waitcnt lgkmcnt(0)
	s_barrier
	buffer_gl0_inv
	v_cmpx_gt_u32_e32 0x80, v0
	s_cbranch_execz .LBB273_21
; %bb.20:
	ds_read2st64_b64 v[4:7], v3 offset1:2
	s_waitcnt lgkmcnt(0)
	v_add_f64 v[1:2], v[6:7], v[4:5]
	ds_write_b64 v3, v[1:2]
.LBB273_21:
	s_or_b32 exec_lo, exec_lo, s0
	s_mov_b32 s0, exec_lo
	s_waitcnt lgkmcnt(0)
	s_barrier
	buffer_gl0_inv
	v_cmpx_gt_u32_e32 64, v0
	s_cbranch_execz .LBB273_23
; %bb.22:
	ds_read2st64_b64 v[4:7], v3 offset1:1
	s_waitcnt lgkmcnt(0)
	v_add_f64 v[1:2], v[6:7], v[4:5]
	ds_write_b64 v3, v[1:2]
.LBB273_23:
	s_or_b32 exec_lo, exec_lo, s0
	s_mov_b32 s0, exec_lo
	s_waitcnt lgkmcnt(0)
	s_barrier
	buffer_gl0_inv
	v_cmpx_gt_u32_e32 32, v0
	s_cbranch_execz .LBB273_25
; %bb.24:
	ds_read2_b64 v[4:7], v3 offset1:32
	s_waitcnt lgkmcnt(0)
	v_add_f64 v[1:2], v[6:7], v[4:5]
	ds_write_b64 v3, v[1:2]
.LBB273_25:
	s_or_b32 exec_lo, exec_lo, s0
	s_mov_b32 s0, exec_lo
	s_waitcnt lgkmcnt(0)
	s_barrier
	buffer_gl0_inv
	v_cmpx_gt_u32_e32 16, v0
	s_cbranch_execz .LBB273_27
; %bb.26:
	ds_read2_b64 v[4:7], v3 offset1:16
	s_waitcnt lgkmcnt(0)
	v_add_f64 v[1:2], v[6:7], v[4:5]
	ds_write_b64 v3, v[1:2]
.LBB273_27:
	;; [unrolled: 13-line block ×5, first 2 shown]
	s_or_b32 exec_lo, exec_lo, s0
	v_cmp_eq_u32_e32 vcc_lo, 0, v0
	s_waitcnt lgkmcnt(0)
	s_barrier
	buffer_gl0_inv
	s_and_saveexec_b32 s0, vcc_lo
	s_cbranch_execz .LBB273_35
; %bb.34:
	v_mov_b32_e32 v4, 0
	ds_read_b128 v[0:3], v4
	s_waitcnt lgkmcnt(0)
	v_add_f64 v[0:1], v[2:3], v[0:1]
	ds_write_b64 v4, v[0:1]
.LBB273_35:
	s_or_b32 exec_lo, exec_lo, s0
	s_waitcnt lgkmcnt(0)
	s_barrier
	buffer_gl0_inv
                                        ; implicit-def: $vgpr1_vgpr2
                                        ; implicit-def: $sgpr14_sgpr15
	s_and_saveexec_b32 s0, vcc_lo
	s_cbranch_execz .LBB273_39
; %bb.36:
	v_mov_b32_e32 v0, 0
	v_cmp_eq_f64_e64 s1, s[2:3], 0
	s_mul_hi_i32 s15, s17, s6
	s_mul_i32 s14, s17, s6
	ds_read_b64 v[0:1], v0
	s_and_b32 vcc_lo, exec_lo, s1
	s_waitcnt lgkmcnt(0)
	v_mul_f64 v[1:2], s[8:9], v[0:1]
	s_cbranch_vccnz .LBB273_38
; %bb.37:
	s_lshl_b64 s[4:5], s[14:15], 3
	s_add_u32 s4, s7, s4
	s_addc_u32 s5, s16, s5
	v_mov_b32_e32 v3, s4
	v_mov_b32_e32 v4, s5
	flat_load_dwordx2 v[3:4], v[3:4]
	s_waitcnt vmcnt(0) lgkmcnt(0)
	v_fma_f64 v[1:2], s[2:3], v[3:4], v[1:2]
.LBB273_38:
	s_or_b32 s18, s18, exec_lo
.LBB273_39:
	s_or_b32 exec_lo, exec_lo, s0
.LBB273_40:
	s_and_saveexec_b32 s0, s18
	s_cbranch_execz .LBB273_42
; %bb.41:
	s_lshl_b64 s[0:1], s[14:15], 3
	s_add_u32 s0, s7, s0
	s_addc_u32 s1, s16, s1
	v_mov_b32_e32 v4, s1
	v_mov_b32_e32 v3, s0
	flat_store_dwordx2 v[3:4], v[1:2]
.LBB273_42:
	s_endpgm
	.section	.rodata,"a",@progbits
	.p2align	6, 0x0
	.amdhsa_kernel _ZL20rocblas_gemvt_kernelILb0ELi256EPKddKPdEviiT2_lPKT1_lilS7_lilS4_lPT3_lili
		.amdhsa_group_segment_fixed_size 2048
		.amdhsa_private_segment_fixed_size 0
		.amdhsa_kernarg_size 140
		.amdhsa_user_sgpr_count 6
		.amdhsa_user_sgpr_private_segment_buffer 1
		.amdhsa_user_sgpr_dispatch_ptr 0
		.amdhsa_user_sgpr_queue_ptr 0
		.amdhsa_user_sgpr_kernarg_segment_ptr 1
		.amdhsa_user_sgpr_dispatch_id 0
		.amdhsa_user_sgpr_flat_scratch_init 0
		.amdhsa_user_sgpr_private_segment_size 0
		.amdhsa_wavefront_size32 1
		.amdhsa_uses_dynamic_stack 0
		.amdhsa_system_sgpr_private_segment_wavefront_offset 0
		.amdhsa_system_sgpr_workgroup_id_x 1
		.amdhsa_system_sgpr_workgroup_id_y 0
		.amdhsa_system_sgpr_workgroup_id_z 1
		.amdhsa_system_sgpr_workgroup_info 0
		.amdhsa_system_vgpr_workitem_id 0
		.amdhsa_next_free_vgpr 13
		.amdhsa_next_free_sgpr 24
		.amdhsa_reserve_vcc 1
		.amdhsa_reserve_flat_scratch 0
		.amdhsa_float_round_mode_32 0
		.amdhsa_float_round_mode_16_64 0
		.amdhsa_float_denorm_mode_32 3
		.amdhsa_float_denorm_mode_16_64 3
		.amdhsa_dx10_clamp 1
		.amdhsa_ieee_mode 1
		.amdhsa_fp16_overflow 0
		.amdhsa_workgroup_processor_mode 1
		.amdhsa_memory_ordered 1
		.amdhsa_forward_progress 1
		.amdhsa_shared_vgpr_count 0
		.amdhsa_exception_fp_ieee_invalid_op 0
		.amdhsa_exception_fp_denorm_src 0
		.amdhsa_exception_fp_ieee_div_zero 0
		.amdhsa_exception_fp_ieee_overflow 0
		.amdhsa_exception_fp_ieee_underflow 0
		.amdhsa_exception_fp_ieee_inexact 0
		.amdhsa_exception_int_div_zero 0
	.end_amdhsa_kernel
	.section	.text._ZL20rocblas_gemvt_kernelILb0ELi256EPKddKPdEviiT2_lPKT1_lilS7_lilS4_lPT3_lili,"axG",@progbits,_ZL20rocblas_gemvt_kernelILb0ELi256EPKddKPdEviiT2_lPKT1_lilS7_lilS4_lPT3_lili,comdat
.Lfunc_end273:
	.size	_ZL20rocblas_gemvt_kernelILb0ELi256EPKddKPdEviiT2_lPKT1_lilS7_lilS4_lPT3_lili, .Lfunc_end273-_ZL20rocblas_gemvt_kernelILb0ELi256EPKddKPdEviiT2_lPKT1_lilS7_lilS4_lPT3_lili
                                        ; -- End function
	.set _ZL20rocblas_gemvt_kernelILb0ELi256EPKddKPdEviiT2_lPKT1_lilS7_lilS4_lPT3_lili.num_vgpr, 13
	.set _ZL20rocblas_gemvt_kernelILb0ELi256EPKddKPdEviiT2_lPKT1_lilS7_lilS4_lPT3_lili.num_agpr, 0
	.set _ZL20rocblas_gemvt_kernelILb0ELi256EPKddKPdEviiT2_lPKT1_lilS7_lilS4_lPT3_lili.numbered_sgpr, 24
	.set _ZL20rocblas_gemvt_kernelILb0ELi256EPKddKPdEviiT2_lPKT1_lilS7_lilS4_lPT3_lili.num_named_barrier, 0
	.set _ZL20rocblas_gemvt_kernelILb0ELi256EPKddKPdEviiT2_lPKT1_lilS7_lilS4_lPT3_lili.private_seg_size, 0
	.set _ZL20rocblas_gemvt_kernelILb0ELi256EPKddKPdEviiT2_lPKT1_lilS7_lilS4_lPT3_lili.uses_vcc, 1
	.set _ZL20rocblas_gemvt_kernelILb0ELi256EPKddKPdEviiT2_lPKT1_lilS7_lilS4_lPT3_lili.uses_flat_scratch, 0
	.set _ZL20rocblas_gemvt_kernelILb0ELi256EPKddKPdEviiT2_lPKT1_lilS7_lilS4_lPT3_lili.has_dyn_sized_stack, 0
	.set _ZL20rocblas_gemvt_kernelILb0ELi256EPKddKPdEviiT2_lPKT1_lilS7_lilS4_lPT3_lili.has_recursion, 0
	.set _ZL20rocblas_gemvt_kernelILb0ELi256EPKddKPdEviiT2_lPKT1_lilS7_lilS4_lPT3_lili.has_indirect_call, 0
	.section	.AMDGPU.csdata,"",@progbits
; Kernel info:
; codeLenInByte = 1484
; TotalNumSgprs: 26
; NumVgprs: 13
; ScratchSize: 0
; MemoryBound: 0
; FloatMode: 240
; IeeeMode: 1
; LDSByteSize: 2048 bytes/workgroup (compile time only)
; SGPRBlocks: 0
; VGPRBlocks: 1
; NumSGPRsForWavesPerEU: 26
; NumVGPRsForWavesPerEU: 13
; Occupancy: 16
; WaveLimiterHint : 1
; COMPUTE_PGM_RSRC2:SCRATCH_EN: 0
; COMPUTE_PGM_RSRC2:USER_SGPR: 6
; COMPUTE_PGM_RSRC2:TRAP_HANDLER: 0
; COMPUTE_PGM_RSRC2:TGID_X_EN: 1
; COMPUTE_PGM_RSRC2:TGID_Y_EN: 0
; COMPUTE_PGM_RSRC2:TGID_Z_EN: 1
; COMPUTE_PGM_RSRC2:TIDIG_COMP_CNT: 0
	.section	.text._ZL32rocblas_gemvt_warp_reduce_kernelILb0ELi1024EiPKdS1_KPdEviiT3_lPKT2_lT1_lS7_lS8_lS4_lPT4_lS8_li,"axG",@progbits,_ZL32rocblas_gemvt_warp_reduce_kernelILb0ELi1024EiPKdS1_KPdEviiT3_lPKT2_lT1_lS7_lS8_lS4_lPT4_lS8_li,comdat
	.globl	_ZL32rocblas_gemvt_warp_reduce_kernelILb0ELi1024EiPKdS1_KPdEviiT3_lPKT2_lT1_lS7_lS8_lS4_lPT4_lS8_li ; -- Begin function _ZL32rocblas_gemvt_warp_reduce_kernelILb0ELi1024EiPKdS1_KPdEviiT3_lPKT2_lT1_lS7_lS8_lS4_lPT4_lS8_li
	.p2align	8
	.type	_ZL32rocblas_gemvt_warp_reduce_kernelILb0ELi1024EiPKdS1_KPdEviiT3_lPKT2_lT1_lS7_lS8_lS4_lPT4_lS8_li,@function
_ZL32rocblas_gemvt_warp_reduce_kernelILb0ELi1024EiPKdS1_KPdEviiT3_lPKT2_lT1_lS7_lS8_lS4_lPT4_lS8_li: ; @_ZL32rocblas_gemvt_warp_reduce_kernelILb0ELi1024EiPKdS1_KPdEviiT3_lPKT2_lT1_lS7_lS8_lS4_lPT4_lS8_li
; %bb.0:
	s_clause 0x1
	s_load_dwordx8 s[16:23], s[4:5], 0x8
	s_load_dwordx8 s[8:15], s[4:5], 0x58
	s_mov_b32 s0, s7
	s_waitcnt lgkmcnt(0)
	s_mul_i32 s1, s19, s7
	s_mul_hi_u32 s3, s18, s7
	s_mul_i32 s2, s18, s7
	s_add_i32 s3, s3, s1
	s_mul_i32 s1, s11, s7
	s_lshl_b64 s[2:3], s[2:3], 3
	s_mul_hi_u32 s7, s10, s7
	s_add_u32 s2, s16, s2
	s_addc_u32 s3, s17, s3
	s_add_i32 s11, s7, s1
	s_mul_i32 s10, s10, s0
	s_mov_b64 s[16:17], 0
	s_lshl_b64 s[10:11], s[10:11], 3
	s_add_u32 s10, s8, s10
	s_addc_u32 s11, s9, s11
	s_load_dwordx2 s[8:9], s[2:3], 0x0
	s_load_dwordx2 s[2:3], s[10:11], 0x0
	s_waitcnt lgkmcnt(0)
	v_cmp_eq_f64_e64 s19, s[8:9], 0
	v_cmp_eq_f64_e64 s1, s[2:3], 1.0
	s_and_b32 s1, s19, s1
	s_and_b32 vcc_lo, exec_lo, s1
	s_cbranch_vccnz .LBB274_34
; %bb.1:
	v_cmp_neq_f64_e64 s7, s[8:9], 0
	s_and_b32 vcc_lo, exec_lo, s19
	s_mov_b32 s1, 0
	s_cbranch_vccnz .LBB274_3
; %bb.2:
	s_lshl_b64 s[10:11], s[0:1], 3
	s_add_u32 s10, s20, s10
	s_addc_u32 s11, s21, s11
	s_lshl_b64 s[16:17], s[22:23], 3
	s_load_dwordx2 s[10:11], s[10:11], 0x0
	s_waitcnt lgkmcnt(0)
	s_add_u32 s16, s10, s16
	s_addc_u32 s17, s11, s17
.LBB274_3:
	s_andn2_b32 vcc_lo, exec_lo, s7
	s_cbranch_vccnz .LBB274_5
; %bb.4:
	s_load_dwordx4 s[20:23], s[4:5], 0x38
	s_lshl_b64 s[10:11], s[0:1], 3
	s_waitcnt lgkmcnt(0)
	s_add_u32 s10, s20, s10
	s_addc_u32 s11, s21, s11
	s_lshl_b64 s[20:21], s[22:23], 3
	s_load_dwordx2 s[10:11], s[10:11], 0x0
	s_waitcnt lgkmcnt(0)
	s_add_u32 s10, s10, s20
	s_addc_u32 s11, s11, s21
	s_branch .LBB274_6
.LBB274_5:
	s_mov_b64 s[10:11], 0
.LBB274_6:
	s_lshl_b64 s[0:1], s[0:1], 3
	s_add_u32 s0, s12, s0
	s_addc_u32 s1, s13, s1
	s_lshl_b64 s[14:15], s[14:15], 3
	s_load_dwordx2 s[12:13], s[0:1], 0x0
	s_load_dword s18, s[4:5], 0x78
	v_cmp_eq_u32_e64 s0, 0, v0
	s_waitcnt lgkmcnt(0)
	s_add_u32 s1, s12, s14
	s_addc_u32 s7, s13, s15
	s_andn2_b32 vcc_lo, exec_lo, s19
	s_cbranch_vccnz .LBB274_11
; %bb.7:
	s_mov_b32 s15, 0
	s_mov_b32 s14, 0
                                        ; implicit-def: $vgpr1_vgpr2
                                        ; implicit-def: $sgpr12_sgpr13
	s_and_saveexec_b32 s19, s0
	s_cbranch_execz .LBB274_12
; %bb.8:
	v_cmp_eq_f64_e64 s0, s[2:3], 0
	v_mov_b32_e32 v1, 0
	v_mov_b32_e32 v2, 0
	s_mul_i32 s12, s18, s6
	s_ashr_i32 s13, s12, 31
	s_and_b32 vcc_lo, exec_lo, s0
	s_cbranch_vccnz .LBB274_10
; %bb.9:
	s_lshl_b64 s[20:21], s[12:13], 3
	s_add_u32 s20, s1, s20
	s_addc_u32 s21, s7, s21
	v_mov_b32_e32 v1, s20
	v_mov_b32_e32 v2, s21
	flat_load_dwordx2 v[1:2], v[1:2]
	s_waitcnt vmcnt(0) lgkmcnt(0)
	v_mul_f64 v[1:2], s[2:3], v[1:2]
.LBB274_10:
	s_mov_b32 s14, exec_lo
	s_or_b32 exec_lo, exec_lo, s19
	s_and_b32 vcc_lo, exec_lo, s15
	s_cbranch_vccnz .LBB274_13
	s_branch .LBB274_32
.LBB274_11:
	s_mov_b32 s14, 0
                                        ; implicit-def: $vgpr1_vgpr2
                                        ; implicit-def: $sgpr12_sgpr13
	s_cbranch_execnz .LBB274_13
	s_branch .LBB274_32
.LBB274_12:
	s_or_b32 exec_lo, exec_lo, s19
	s_and_b32 vcc_lo, exec_lo, s15
	s_cbranch_vccz .LBB274_32
.LBB274_13:
	s_clause 0x2
	s_load_dword s12, s[4:5], 0x0
	s_load_dword s0, s[4:5], 0x28
	;; [unrolled: 1-line block ×3, first 2 shown]
	v_mov_b32_e32 v1, 0
	v_mov_b32_e32 v2, 0
	s_mov_b32 s15, 0
	s_mov_b32 s13, exec_lo
	s_waitcnt lgkmcnt(0)
	v_cmp_gt_i32_e32 vcc_lo, s12, v0
	s_mul_i32 s20, s0, s6
	s_ashr_i32 s0, s12, 31
	s_ashr_i32 s21, s20, 31
	s_lshr_b32 s0, s0, 22
	v_cndmask_b32_e32 v3, 0, v0, vcc_lo
	s_lshl_b64 s[20:21], s[20:21], 3
	s_add_i32 s0, s12, s0
	v_lshlrev_b32_e32 v3, 3, v3
	v_add_co_u32 v3, s4, s16, v3
	v_add_co_ci_u32_e64 v4, null, s17, 0, s4
	s_and_b32 s4, s0, 0xfffffc00
	v_add_co_u32 v3, vcc_lo, v3, s20
	v_add_co_ci_u32_e64 v4, null, s21, v4, vcc_lo
	v_cmpx_gt_i32_e64 s4, v0
	s_cbranch_execz .LBB274_17
; %bb.14:
	v_mul_lo_u32 v5, v0, s5
	v_mov_b32_e32 v1, 0
	v_mov_b32_e32 v8, v4
	;; [unrolled: 1-line block ×5, first 2 shown]
	s_lshl_b32 s16, s5, 10
	.p2align	6
.LBB274_15:                             ; =>This Inner Loop Header: Depth=1
	v_ashrrev_i32_e32 v6, 31, v5
	v_add_nc_u32_e32 v9, 0x400, v9
	v_lshlrev_b64 v[10:11], 3, v[5:6]
	v_cmp_le_i32_e64 s0, s4, v9
	v_add_nc_u32_e32 v5, s16, v5
	s_or_b32 s15, s0, s15
	v_add_co_u32 v10, vcc_lo, s10, v10
	v_add_co_ci_u32_e64 v11, null, s11, v11, vcc_lo
	flat_load_dwordx2 v[12:13], v[7:8]
	flat_load_dwordx2 v[10:11], v[10:11]
	v_add_co_u32 v7, vcc_lo, 0x2000, v7
	v_add_co_ci_u32_e64 v8, null, 0, v8, vcc_lo
	s_waitcnt vmcnt(0) lgkmcnt(0)
	v_fma_f64 v[1:2], v[12:13], v[10:11], v[1:2]
	s_andn2_b32 exec_lo, exec_lo, s15
	s_cbranch_execnz .LBB274_15
; %bb.16:
	s_or_b32 exec_lo, exec_lo, s15
.LBB274_17:
	s_or_b32 exec_lo, exec_lo, s13
	v_or_b32_e32 v5, s4, v0
	s_mov_b32 s0, exec_lo
	v_cmpx_gt_i32_e64 s12, v5
	s_cbranch_execz .LBB274_19
; %bb.18:
	v_mul_lo_u32 v5, s5, v5
	s_ashr_i32 s5, s4, 31
	s_lshl_b64 s[4:5], s[4:5], 3
	v_add_co_u32 v3, vcc_lo, v3, s4
	v_add_co_ci_u32_e64 v4, null, s5, v4, vcc_lo
	v_ashrrev_i32_e32 v6, 31, v5
	v_lshlrev_b64 v[5:6], 3, v[5:6]
	v_add_co_u32 v5, vcc_lo, s10, v5
	v_add_co_ci_u32_e64 v6, null, s11, v6, vcc_lo
	flat_load_dwordx2 v[3:4], v[3:4]
	flat_load_dwordx2 v[5:6], v[5:6]
	s_waitcnt vmcnt(0) lgkmcnt(0)
	v_fma_f64 v[1:2], v[3:4], v[5:6], v[1:2]
.LBB274_19:
	s_or_b32 exec_lo, exec_lo, s0
	v_and_b32_e32 v11, 31, v0
	v_cmp_gt_u32_e32 vcc_lo, 32, v0
	v_lshlrev_b32_e32 v5, 3, v11
	s_and_saveexec_b32 s0, vcc_lo
; %bb.20:
	v_mov_b32_e32 v3, 0
	v_mov_b32_e32 v4, v3
	ds_write_b64 v5, v[3:4]
; %bb.21:
	s_or_b32 exec_lo, exec_lo, s0
	v_mbcnt_lo_u32_b32 v10, -1, 0
	s_mov_b32 s4, exec_lo
	s_waitcnt lgkmcnt(0)
	s_barrier
	buffer_gl0_inv
	v_lshl_or_b32 v6, v10, 2, 64
	v_cmp_gt_u32_e64 s0, 24, v10
	ds_bpermute_b32 v3, v6, v1
	ds_bpermute_b32 v4, v6, v2
	s_waitcnt lgkmcnt(0)
	v_add_f64 v[1:2], v[1:2], v[3:4]
	v_cndmask_b32_e64 v3, 0, 8, s0
	v_cmp_gt_u32_e64 s0, 28, v10
	v_add_lshl_u32 v7, v3, v10, 2
	ds_bpermute_b32 v3, v7, v1
	ds_bpermute_b32 v4, v7, v2
	s_waitcnt lgkmcnt(0)
	v_add_f64 v[1:2], v[1:2], v[3:4]
	v_cndmask_b32_e64 v3, 0, 4, s0
	v_cmp_gt_u32_e64 s0, 30, v10
	v_add_lshl_u32 v8, v3, v10, 2
	ds_bpermute_b32 v3, v8, v1
	ds_bpermute_b32 v4, v8, v2
	s_waitcnt lgkmcnt(0)
	v_add_f64 v[1:2], v[1:2], v[3:4]
	v_cndmask_b32_e64 v3, 0, 2, s0
	v_cmp_ne_u32_e64 s0, 31, v10
	v_add_lshl_u32 v9, v3, v10, 2
	ds_bpermute_b32 v3, v9, v1
	ds_bpermute_b32 v4, v9, v2
	s_waitcnt lgkmcnt(0)
	v_add_f64 v[1:2], v[1:2], v[3:4]
	v_add_co_ci_u32_e64 v3, null, 0, v10, s0
	v_lshlrev_b32_e32 v10, 2, v3
	ds_bpermute_b32 v3, v10, v1
	ds_bpermute_b32 v4, v10, v2
	v_cmpx_eq_u32_e32 0, v11
	s_cbranch_execz .LBB274_23
; %bb.22:
	s_waitcnt lgkmcnt(0)
	v_add_f64 v[1:2], v[1:2], v[3:4]
	v_lshrrev_b32_e32 v3, 2, v0
	v_and_b32_e32 v3, 0xf8, v3
	ds_write_b64 v3, v[1:2]
.LBB274_23:
	s_or_b32 exec_lo, exec_lo, s4
	s_waitcnt lgkmcnt(0)
	v_mov_b32_e32 v3, 0
	v_mov_b32_e32 v4, 0
	s_barrier
	buffer_gl0_inv
	s_and_saveexec_b32 s0, vcc_lo
; %bb.24:
	ds_read_b64 v[3:4], v5
; %bb.25:
	s_or_b32 exec_lo, exec_lo, s0
	s_and_saveexec_b32 s0, vcc_lo
	s_cbranch_execz .LBB274_27
; %bb.26:
	s_waitcnt lgkmcnt(0)
	ds_bpermute_b32 v1, v6, v3
	ds_bpermute_b32 v2, v6, v4
	s_waitcnt lgkmcnt(0)
	v_add_f64 v[1:2], v[3:4], v[1:2]
	ds_bpermute_b32 v3, v7, v1
	ds_bpermute_b32 v4, v7, v2
	s_waitcnt lgkmcnt(0)
	v_add_f64 v[1:2], v[1:2], v[3:4]
	;; [unrolled: 4-line block ×5, first 2 shown]
.LBB274_27:
	s_or_b32 exec_lo, exec_lo, s0
	s_mov_b32 s0, exec_lo
                                        ; implicit-def: $vgpr1_vgpr2
                                        ; implicit-def: $sgpr12_sgpr13
	v_cmpx_eq_u32_e32 0, v0
	s_cbranch_execz .LBB274_31
; %bb.28:
	v_cmp_eq_f64_e64 s4, s[2:3], 0
	s_waitcnt lgkmcnt(0)
	v_mul_f64 v[1:2], s[8:9], v[3:4]
	s_mul_i32 s12, s18, s6
	s_ashr_i32 s13, s12, 31
	s_and_b32 vcc_lo, exec_lo, s4
	s_cbranch_vccnz .LBB274_30
; %bb.29:
	s_lshl_b64 s[4:5], s[12:13], 3
	s_add_u32 s4, s1, s4
	s_addc_u32 s5, s7, s5
	v_mov_b32_e32 v3, s4
	v_mov_b32_e32 v4, s5
	flat_load_dwordx2 v[3:4], v[3:4]
	s_waitcnt vmcnt(0) lgkmcnt(0)
	v_fma_f64 v[1:2], s[2:3], v[3:4], v[1:2]
.LBB274_30:
	s_or_b32 s14, s14, exec_lo
.LBB274_31:
	s_or_b32 exec_lo, exec_lo, s0
.LBB274_32:
	s_and_saveexec_b32 s0, s14
	s_cbranch_execz .LBB274_34
; %bb.33:
	s_lshl_b64 s[2:3], s[12:13], 3
	s_add_u32 s0, s1, s2
	s_addc_u32 s1, s7, s3
	s_waitcnt lgkmcnt(0)
	v_mov_b32_e32 v4, s1
	v_mov_b32_e32 v3, s0
	flat_store_dwordx2 v[3:4], v[1:2]
.LBB274_34:
	s_endpgm
	.section	.rodata,"a",@progbits
	.p2align	6, 0x0
	.amdhsa_kernel _ZL32rocblas_gemvt_warp_reduce_kernelILb0ELi1024EiPKdS1_KPdEviiT3_lPKT2_lT1_lS7_lS8_lS4_lPT4_lS8_li
		.amdhsa_group_segment_fixed_size 256
		.amdhsa_private_segment_fixed_size 0
		.amdhsa_kernarg_size 140
		.amdhsa_user_sgpr_count 6
		.amdhsa_user_sgpr_private_segment_buffer 1
		.amdhsa_user_sgpr_dispatch_ptr 0
		.amdhsa_user_sgpr_queue_ptr 0
		.amdhsa_user_sgpr_kernarg_segment_ptr 1
		.amdhsa_user_sgpr_dispatch_id 0
		.amdhsa_user_sgpr_flat_scratch_init 0
		.amdhsa_user_sgpr_private_segment_size 0
		.amdhsa_wavefront_size32 1
		.amdhsa_uses_dynamic_stack 0
		.amdhsa_system_sgpr_private_segment_wavefront_offset 0
		.amdhsa_system_sgpr_workgroup_id_x 1
		.amdhsa_system_sgpr_workgroup_id_y 0
		.amdhsa_system_sgpr_workgroup_id_z 1
		.amdhsa_system_sgpr_workgroup_info 0
		.amdhsa_system_vgpr_workitem_id 0
		.amdhsa_next_free_vgpr 14
		.amdhsa_next_free_sgpr 24
		.amdhsa_reserve_vcc 1
		.amdhsa_reserve_flat_scratch 0
		.amdhsa_float_round_mode_32 0
		.amdhsa_float_round_mode_16_64 0
		.amdhsa_float_denorm_mode_32 3
		.amdhsa_float_denorm_mode_16_64 3
		.amdhsa_dx10_clamp 1
		.amdhsa_ieee_mode 1
		.amdhsa_fp16_overflow 0
		.amdhsa_workgroup_processor_mode 1
		.amdhsa_memory_ordered 1
		.amdhsa_forward_progress 1
		.amdhsa_shared_vgpr_count 0
		.amdhsa_exception_fp_ieee_invalid_op 0
		.amdhsa_exception_fp_denorm_src 0
		.amdhsa_exception_fp_ieee_div_zero 0
		.amdhsa_exception_fp_ieee_overflow 0
		.amdhsa_exception_fp_ieee_underflow 0
		.amdhsa_exception_fp_ieee_inexact 0
		.amdhsa_exception_int_div_zero 0
	.end_amdhsa_kernel
	.section	.text._ZL32rocblas_gemvt_warp_reduce_kernelILb0ELi1024EiPKdS1_KPdEviiT3_lPKT2_lT1_lS7_lS8_lS4_lPT4_lS8_li,"axG",@progbits,_ZL32rocblas_gemvt_warp_reduce_kernelILb0ELi1024EiPKdS1_KPdEviiT3_lPKT2_lT1_lS7_lS8_lS4_lPT4_lS8_li,comdat
.Lfunc_end274:
	.size	_ZL32rocblas_gemvt_warp_reduce_kernelILb0ELi1024EiPKdS1_KPdEviiT3_lPKT2_lT1_lS7_lS8_lS4_lPT4_lS8_li, .Lfunc_end274-_ZL32rocblas_gemvt_warp_reduce_kernelILb0ELi1024EiPKdS1_KPdEviiT3_lPKT2_lT1_lS7_lS8_lS4_lPT4_lS8_li
                                        ; -- End function
	.set _ZL32rocblas_gemvt_warp_reduce_kernelILb0ELi1024EiPKdS1_KPdEviiT3_lPKT2_lT1_lS7_lS8_lS4_lPT4_lS8_li.num_vgpr, 14
	.set _ZL32rocblas_gemvt_warp_reduce_kernelILb0ELi1024EiPKdS1_KPdEviiT3_lPKT2_lT1_lS7_lS8_lS4_lPT4_lS8_li.num_agpr, 0
	.set _ZL32rocblas_gemvt_warp_reduce_kernelILb0ELi1024EiPKdS1_KPdEviiT3_lPKT2_lT1_lS7_lS8_lS4_lPT4_lS8_li.numbered_sgpr, 24
	.set _ZL32rocblas_gemvt_warp_reduce_kernelILb0ELi1024EiPKdS1_KPdEviiT3_lPKT2_lT1_lS7_lS8_lS4_lPT4_lS8_li.num_named_barrier, 0
	.set _ZL32rocblas_gemvt_warp_reduce_kernelILb0ELi1024EiPKdS1_KPdEviiT3_lPKT2_lT1_lS7_lS8_lS4_lPT4_lS8_li.private_seg_size, 0
	.set _ZL32rocblas_gemvt_warp_reduce_kernelILb0ELi1024EiPKdS1_KPdEviiT3_lPKT2_lT1_lS7_lS8_lS4_lPT4_lS8_li.uses_vcc, 1
	.set _ZL32rocblas_gemvt_warp_reduce_kernelILb0ELi1024EiPKdS1_KPdEviiT3_lPKT2_lT1_lS7_lS8_lS4_lPT4_lS8_li.uses_flat_scratch, 0
	.set _ZL32rocblas_gemvt_warp_reduce_kernelILb0ELi1024EiPKdS1_KPdEviiT3_lPKT2_lT1_lS7_lS8_lS4_lPT4_lS8_li.has_dyn_sized_stack, 0
	.set _ZL32rocblas_gemvt_warp_reduce_kernelILb0ELi1024EiPKdS1_KPdEviiT3_lPKT2_lT1_lS7_lS8_lS4_lPT4_lS8_li.has_recursion, 0
	.set _ZL32rocblas_gemvt_warp_reduce_kernelILb0ELi1024EiPKdS1_KPdEviiT3_lPKT2_lT1_lS7_lS8_lS4_lPT4_lS8_li.has_indirect_call, 0
	.section	.AMDGPU.csdata,"",@progbits
; Kernel info:
; codeLenInByte = 1540
; TotalNumSgprs: 26
; NumVgprs: 14
; ScratchSize: 0
; MemoryBound: 0
; FloatMode: 240
; IeeeMode: 1
; LDSByteSize: 256 bytes/workgroup (compile time only)
; SGPRBlocks: 0
; VGPRBlocks: 1
; NumSGPRsForWavesPerEU: 26
; NumVGPRsForWavesPerEU: 14
; Occupancy: 16
; WaveLimiterHint : 1
; COMPUTE_PGM_RSRC2:SCRATCH_EN: 0
; COMPUTE_PGM_RSRC2:USER_SGPR: 6
; COMPUTE_PGM_RSRC2:TRAP_HANDLER: 0
; COMPUTE_PGM_RSRC2:TGID_X_EN: 1
; COMPUTE_PGM_RSRC2:TGID_Y_EN: 0
; COMPUTE_PGM_RSRC2:TGID_Z_EN: 1
; COMPUTE_PGM_RSRC2:TIDIG_COMP_CNT: 0
	.section	.text._ZL32rocblas_gemvt_warp_reduce_kernelILb0ELi1024ElPKdS1_KPdEviiT3_lPKT2_lT1_lS7_lS8_lS4_lPT4_lS8_li,"axG",@progbits,_ZL32rocblas_gemvt_warp_reduce_kernelILb0ELi1024ElPKdS1_KPdEviiT3_lPKT2_lT1_lS7_lS8_lS4_lPT4_lS8_li,comdat
	.globl	_ZL32rocblas_gemvt_warp_reduce_kernelILb0ELi1024ElPKdS1_KPdEviiT3_lPKT2_lT1_lS7_lS8_lS4_lPT4_lS8_li ; -- Begin function _ZL32rocblas_gemvt_warp_reduce_kernelILb0ELi1024ElPKdS1_KPdEviiT3_lPKT2_lT1_lS7_lS8_lS4_lPT4_lS8_li
	.p2align	8
	.type	_ZL32rocblas_gemvt_warp_reduce_kernelILb0ELi1024ElPKdS1_KPdEviiT3_lPKT2_lT1_lS7_lS8_lS4_lPT4_lS8_li,@function
_ZL32rocblas_gemvt_warp_reduce_kernelILb0ELi1024ElPKdS1_KPdEviiT3_lPKT2_lT1_lS7_lS8_lS4_lPT4_lS8_li: ; @_ZL32rocblas_gemvt_warp_reduce_kernelILb0ELi1024ElPKdS1_KPdEviiT3_lPKT2_lT1_lS7_lS8_lS4_lPT4_lS8_li
; %bb.0:
	s_clause 0x1
	s_load_dwordx8 s[16:23], s[4:5], 0x8
	s_load_dwordx8 s[8:15], s[4:5], 0x58
	s_mov_b64 s[24:25], 0
	s_waitcnt lgkmcnt(0)
	s_mul_i32 s1, s19, s7
	s_mul_hi_u32 s2, s18, s7
	s_mul_i32 s0, s18, s7
	s_add_i32 s1, s2, s1
	s_mul_i32 s2, s11, s7
	s_lshl_b64 s[0:1], s[0:1], 3
	s_mul_hi_u32 s3, s10, s7
	s_add_u32 s0, s16, s0
	s_addc_u32 s1, s17, s1
	s_add_i32 s3, s3, s2
	s_mul_i32 s2, s10, s7
	s_lshl_b64 s[2:3], s[2:3], 3
	s_add_u32 s2, s8, s2
	s_addc_u32 s3, s9, s3
	s_load_dwordx2 s[10:11], s[0:1], 0x0
	s_load_dwordx2 s[8:9], s[2:3], 0x0
	s_waitcnt lgkmcnt(0)
	v_cmp_eq_f64_e64 s30, s[10:11], 0
	v_cmp_eq_f64_e64 s0, s[8:9], 1.0
	s_and_b32 s0, s30, s0
	s_and_b32 vcc_lo, exec_lo, s0
	s_cbranch_vccnz .LBB275_34
; %bb.1:
	s_mov_b32 s28, s7
	v_cmp_neq_f64_e64 s7, s[10:11], 0
	s_clause 0x1
	s_load_dwordx2 s[26:27], s[4:5], 0x28
	s_load_dwordx2 s[16:17], s[4:5], 0x78
	s_and_b32 vcc_lo, exec_lo, s30
	s_mov_b32 s29, 0
	s_cbranch_vccnz .LBB275_3
; %bb.2:
	s_lshl_b64 s[0:1], s[28:29], 3
	s_add_u32 s0, s20, s0
	s_addc_u32 s1, s21, s1
	s_lshl_b64 s[2:3], s[22:23], 3
	s_load_dwordx2 s[0:1], s[0:1], 0x0
	s_waitcnt lgkmcnt(0)
	s_add_u32 s24, s0, s2
	s_addc_u32 s25, s1, s3
.LBB275_3:
	s_clause 0x1
	s_load_dwordx4 s[0:3], s[4:5], 0x38
	s_load_dwordx2 s[18:19], s[4:5], 0x48
	s_andn2_b32 vcc_lo, exec_lo, s7
	s_cbranch_vccnz .LBB275_5
; %bb.4:
	s_lshl_b64 s[20:21], s[28:29], 3
	s_waitcnt lgkmcnt(0)
	s_add_u32 s0, s0, s20
	s_addc_u32 s1, s1, s21
	s_lshl_b64 s[2:3], s[2:3], 3
	s_load_dwordx2 s[0:1], s[0:1], 0x0
	s_waitcnt lgkmcnt(0)
	s_add_u32 s2, s0, s2
	s_addc_u32 s3, s1, s3
	s_branch .LBB275_6
.LBB275_5:
	s_waitcnt lgkmcnt(0)
	s_mov_b64 s[2:3], 0
.LBB275_6:
	s_lshl_b64 s[0:1], s[28:29], 3
	s_add_u32 s0, s12, s0
	s_addc_u32 s1, s13, s1
	s_lshl_b64 s[14:15], s[14:15], 3
	s_load_dwordx2 s[12:13], s[0:1], 0x0
	v_cmp_eq_u32_e64 s0, 0, v0
	s_waitcnt lgkmcnt(0)
	s_add_u32 s1, s12, s14
	s_addc_u32 s7, s13, s15
	s_andn2_b32 vcc_lo, exec_lo, s30
	s_cbranch_vccnz .LBB275_11
; %bb.7:
	s_mov_b32 s15, 0
	s_mov_b32 s14, 0
                                        ; implicit-def: $vgpr1_vgpr2
                                        ; implicit-def: $sgpr12_sgpr13
	s_and_saveexec_b32 s20, s0
	s_cbranch_execz .LBB275_12
; %bb.8:
	v_cmp_eq_f64_e64 s0, s[8:9], 0
	s_ashr_i32 s12, s6, 31
	s_mul_hi_u32 s13, s16, s6
	s_mul_i32 s12, s16, s12
	v_mov_b32_e32 v1, 0
	v_mov_b32_e32 v2, 0
	s_add_i32 s12, s13, s12
	s_mul_i32 s13, s17, s6
	s_add_i32 s13, s12, s13
	s_mul_i32 s12, s16, s6
	s_and_b32 vcc_lo, exec_lo, s0
	s_cbranch_vccnz .LBB275_10
; %bb.9:
	s_lshl_b64 s[22:23], s[12:13], 3
	s_add_u32 s22, s1, s22
	s_addc_u32 s23, s7, s23
	v_mov_b32_e32 v1, s22
	v_mov_b32_e32 v2, s23
	flat_load_dwordx2 v[1:2], v[1:2]
	s_waitcnt vmcnt(0) lgkmcnt(0)
	v_mul_f64 v[1:2], s[8:9], v[1:2]
.LBB275_10:
	s_mov_b32 s14, exec_lo
	s_or_b32 exec_lo, exec_lo, s20
	s_and_b32 vcc_lo, exec_lo, s15
	s_cbranch_vccnz .LBB275_13
	s_branch .LBB275_32
.LBB275_11:
	s_mov_b32 s14, 0
                                        ; implicit-def: $vgpr1_vgpr2
                                        ; implicit-def: $sgpr12_sgpr13
	s_cbranch_execnz .LBB275_13
	s_branch .LBB275_32
.LBB275_12:
	s_or_b32 exec_lo, exec_lo, s20
	s_and_b32 vcc_lo, exec_lo, s15
	s_cbranch_vccz .LBB275_32
.LBB275_13:
	s_load_dword s5, s[4:5], 0x0
	s_ashr_i32 s15, s6, 31
	s_mul_hi_u32 s0, s26, s6
	s_mul_i32 s13, s26, s15
	s_mul_i32 s4, s27, s6
	s_add_i32 s0, s0, s13
	s_mul_i32 s12, s26, s6
	s_add_i32 s13, s0, s4
	v_mov_b32_e32 v1, 0
	s_lshl_b64 s[12:13], s[12:13], 3
	v_mov_b32_e32 v2, 0
	s_mov_b32 s21, 0
	s_mov_b32 s20, exec_lo
	s_waitcnt lgkmcnt(0)
	v_cmp_gt_i32_e32 vcc_lo, s5, v0
	s_ashr_i32 s0, s5, 31
	s_lshr_b32 s0, s0, 22
	s_add_i32 s0, s5, s0
	v_cndmask_b32_e32 v3, 0, v0, vcc_lo
	v_lshlrev_b32_e32 v3, 3, v3
	v_add_co_u32 v3, s4, s24, v3
	v_add_co_ci_u32_e64 v4, null, s25, 0, s4
	s_and_b32 s4, s0, 0xfffffc00
	v_add_co_u32 v3, vcc_lo, v3, s12
	v_add_co_ci_u32_e64 v4, null, s13, v4, vcc_lo
	v_cmpx_gt_i32_e64 s4, v0
	s_cbranch_execz .LBB275_17
; %bb.14:
	v_mad_u64_u32 v[1:2], null, s18, v0, 0
	v_mov_b32_e32 v9, v0
	s_lshl_b64 s[12:13], s[18:19], 13
	v_mad_u64_u32 v[5:6], null, s19, v0, v[2:3]
	v_mov_b32_e32 v2, v5
	v_mov_b32_e32 v6, v4
	;; [unrolled: 1-line block ×3, first 2 shown]
	v_lshlrev_b64 v[7:8], 3, v[1:2]
	v_mov_b32_e32 v1, 0
	v_mov_b32_e32 v2, 0
	v_add_co_u32 v7, vcc_lo, s2, v7
	v_add_co_ci_u32_e64 v8, null, s3, v8, vcc_lo
	.p2align	6
.LBB275_15:                             ; =>This Inner Loop Header: Depth=1
	flat_load_dwordx2 v[10:11], v[5:6]
	flat_load_dwordx2 v[12:13], v[7:8]
	v_add_nc_u32_e32 v9, 0x400, v9
	v_add_co_u32 v5, vcc_lo, 0x2000, v5
	v_add_co_ci_u32_e64 v6, null, 0, v6, vcc_lo
	v_cmp_le_i32_e32 vcc_lo, s4, v9
	v_add_co_u32 v7, s0, v7, s12
	v_add_co_ci_u32_e64 v8, null, s13, v8, s0
	s_or_b32 s21, vcc_lo, s21
	s_waitcnt vmcnt(0) lgkmcnt(0)
	v_fma_f64 v[1:2], v[10:11], v[12:13], v[1:2]
	s_andn2_b32 exec_lo, exec_lo, s21
	s_cbranch_execnz .LBB275_15
; %bb.16:
	s_or_b32 exec_lo, exec_lo, s21
.LBB275_17:
	s_or_b32 exec_lo, exec_lo, s20
	v_or_b32_e32 v5, s4, v0
	s_mov_b32 s0, exec_lo
	v_cmpx_gt_i32_e64 s5, v5
	s_cbranch_execz .LBB275_19
; %bb.18:
	v_ashrrev_i32_e32 v7, 31, v5
	v_mul_lo_u32 v8, s19, v5
	v_mad_u64_u32 v[5:6], null, s18, v5, 0
	s_ashr_i32 s5, s4, 31
	v_mul_lo_u32 v7, s18, v7
	s_lshl_b64 s[4:5], s[4:5], 3
	v_add_co_u32 v3, vcc_lo, v3, s4
	v_add_co_ci_u32_e64 v4, null, s5, v4, vcc_lo
	v_add3_u32 v6, v6, v7, v8
	v_lshlrev_b64 v[5:6], 3, v[5:6]
	v_add_co_u32 v5, vcc_lo, s2, v5
	v_add_co_ci_u32_e64 v6, null, s3, v6, vcc_lo
	flat_load_dwordx2 v[3:4], v[3:4]
	flat_load_dwordx2 v[5:6], v[5:6]
	s_waitcnt vmcnt(0) lgkmcnt(0)
	v_fma_f64 v[1:2], v[3:4], v[5:6], v[1:2]
.LBB275_19:
	s_or_b32 exec_lo, exec_lo, s0
	v_and_b32_e32 v11, 31, v0
	v_cmp_gt_u32_e32 vcc_lo, 32, v0
	v_lshlrev_b32_e32 v5, 3, v11
	s_and_saveexec_b32 s0, vcc_lo
; %bb.20:
	v_mov_b32_e32 v3, 0
	v_mov_b32_e32 v4, v3
	ds_write_b64 v5, v[3:4]
; %bb.21:
	s_or_b32 exec_lo, exec_lo, s0
	v_mbcnt_lo_u32_b32 v10, -1, 0
	s_mov_b32 s2, exec_lo
	s_waitcnt lgkmcnt(0)
	s_barrier
	buffer_gl0_inv
	v_lshl_or_b32 v6, v10, 2, 64
	v_cmp_gt_u32_e64 s0, 24, v10
	ds_bpermute_b32 v3, v6, v1
	ds_bpermute_b32 v4, v6, v2
	s_waitcnt lgkmcnt(0)
	v_add_f64 v[1:2], v[1:2], v[3:4]
	v_cndmask_b32_e64 v3, 0, 8, s0
	v_cmp_gt_u32_e64 s0, 28, v10
	v_add_lshl_u32 v7, v3, v10, 2
	ds_bpermute_b32 v3, v7, v1
	ds_bpermute_b32 v4, v7, v2
	s_waitcnt lgkmcnt(0)
	v_add_f64 v[1:2], v[1:2], v[3:4]
	v_cndmask_b32_e64 v3, 0, 4, s0
	v_cmp_gt_u32_e64 s0, 30, v10
	v_add_lshl_u32 v8, v3, v10, 2
	ds_bpermute_b32 v3, v8, v1
	ds_bpermute_b32 v4, v8, v2
	s_waitcnt lgkmcnt(0)
	v_add_f64 v[1:2], v[1:2], v[3:4]
	v_cndmask_b32_e64 v3, 0, 2, s0
	v_cmp_ne_u32_e64 s0, 31, v10
	v_add_lshl_u32 v9, v3, v10, 2
	ds_bpermute_b32 v3, v9, v1
	ds_bpermute_b32 v4, v9, v2
	s_waitcnt lgkmcnt(0)
	v_add_f64 v[1:2], v[1:2], v[3:4]
	v_add_co_ci_u32_e64 v3, null, 0, v10, s0
	v_lshlrev_b32_e32 v10, 2, v3
	ds_bpermute_b32 v3, v10, v1
	ds_bpermute_b32 v4, v10, v2
	v_cmpx_eq_u32_e32 0, v11
	s_cbranch_execz .LBB275_23
; %bb.22:
	s_waitcnt lgkmcnt(0)
	v_add_f64 v[1:2], v[1:2], v[3:4]
	v_lshrrev_b32_e32 v3, 2, v0
	v_and_b32_e32 v3, 0xf8, v3
	ds_write_b64 v3, v[1:2]
.LBB275_23:
	s_or_b32 exec_lo, exec_lo, s2
	s_waitcnt lgkmcnt(0)
	v_mov_b32_e32 v3, 0
	v_mov_b32_e32 v4, 0
	s_barrier
	buffer_gl0_inv
	s_and_saveexec_b32 s0, vcc_lo
; %bb.24:
	ds_read_b64 v[3:4], v5
; %bb.25:
	s_or_b32 exec_lo, exec_lo, s0
	s_and_saveexec_b32 s0, vcc_lo
	s_cbranch_execz .LBB275_27
; %bb.26:
	s_waitcnt lgkmcnt(0)
	ds_bpermute_b32 v1, v6, v3
	ds_bpermute_b32 v2, v6, v4
	s_waitcnt lgkmcnt(0)
	v_add_f64 v[1:2], v[3:4], v[1:2]
	ds_bpermute_b32 v3, v7, v1
	ds_bpermute_b32 v4, v7, v2
	s_waitcnt lgkmcnt(0)
	v_add_f64 v[1:2], v[1:2], v[3:4]
	;; [unrolled: 4-line block ×5, first 2 shown]
.LBB275_27:
	s_or_b32 exec_lo, exec_lo, s0
	s_mov_b32 s0, exec_lo
                                        ; implicit-def: $vgpr1_vgpr2
                                        ; implicit-def: $sgpr12_sgpr13
	v_cmpx_eq_u32_e32 0, v0
	s_cbranch_execz .LBB275_31
; %bb.28:
	v_cmp_eq_f64_e64 s2, s[8:9], 0
	s_waitcnt lgkmcnt(0)
	v_mul_f64 v[1:2], s[10:11], v[3:4]
	s_mul_i32 s3, s16, s15
	s_mul_hi_u32 s4, s16, s6
	s_mul_i32 s12, s16, s6
	s_add_i32 s3, s4, s3
	s_mul_i32 s4, s17, s6
	s_add_i32 s13, s3, s4
	s_and_b32 vcc_lo, exec_lo, s2
	s_cbranch_vccnz .LBB275_30
; %bb.29:
	s_lshl_b64 s[2:3], s[12:13], 3
	s_add_u32 s2, s1, s2
	s_addc_u32 s3, s7, s3
	v_mov_b32_e32 v4, s3
	v_mov_b32_e32 v3, s2
	flat_load_dwordx2 v[3:4], v[3:4]
	s_waitcnt vmcnt(0) lgkmcnt(0)
	v_fma_f64 v[1:2], s[8:9], v[3:4], v[1:2]
.LBB275_30:
	s_or_b32 s14, s14, exec_lo
.LBB275_31:
	s_or_b32 exec_lo, exec_lo, s0
.LBB275_32:
	s_and_saveexec_b32 s0, s14
	s_cbranch_execz .LBB275_34
; %bb.33:
	s_lshl_b64 s[2:3], s[12:13], 3
	s_add_u32 s0, s1, s2
	s_addc_u32 s1, s7, s3
	s_waitcnt lgkmcnt(0)
	v_mov_b32_e32 v4, s1
	v_mov_b32_e32 v3, s0
	flat_store_dwordx2 v[3:4], v[1:2]
.LBB275_34:
	s_endpgm
	.section	.rodata,"a",@progbits
	.p2align	6, 0x0
	.amdhsa_kernel _ZL32rocblas_gemvt_warp_reduce_kernelILb0ELi1024ElPKdS1_KPdEviiT3_lPKT2_lT1_lS7_lS8_lS4_lPT4_lS8_li
		.amdhsa_group_segment_fixed_size 256
		.amdhsa_private_segment_fixed_size 0
		.amdhsa_kernarg_size 140
		.amdhsa_user_sgpr_count 6
		.amdhsa_user_sgpr_private_segment_buffer 1
		.amdhsa_user_sgpr_dispatch_ptr 0
		.amdhsa_user_sgpr_queue_ptr 0
		.amdhsa_user_sgpr_kernarg_segment_ptr 1
		.amdhsa_user_sgpr_dispatch_id 0
		.amdhsa_user_sgpr_flat_scratch_init 0
		.amdhsa_user_sgpr_private_segment_size 0
		.amdhsa_wavefront_size32 1
		.amdhsa_uses_dynamic_stack 0
		.amdhsa_system_sgpr_private_segment_wavefront_offset 0
		.amdhsa_system_sgpr_workgroup_id_x 1
		.amdhsa_system_sgpr_workgroup_id_y 0
		.amdhsa_system_sgpr_workgroup_id_z 1
		.amdhsa_system_sgpr_workgroup_info 0
		.amdhsa_system_vgpr_workitem_id 0
		.amdhsa_next_free_vgpr 14
		.amdhsa_next_free_sgpr 31
		.amdhsa_reserve_vcc 1
		.amdhsa_reserve_flat_scratch 0
		.amdhsa_float_round_mode_32 0
		.amdhsa_float_round_mode_16_64 0
		.amdhsa_float_denorm_mode_32 3
		.amdhsa_float_denorm_mode_16_64 3
		.amdhsa_dx10_clamp 1
		.amdhsa_ieee_mode 1
		.amdhsa_fp16_overflow 0
		.amdhsa_workgroup_processor_mode 1
		.amdhsa_memory_ordered 1
		.amdhsa_forward_progress 1
		.amdhsa_shared_vgpr_count 0
		.amdhsa_exception_fp_ieee_invalid_op 0
		.amdhsa_exception_fp_denorm_src 0
		.amdhsa_exception_fp_ieee_div_zero 0
		.amdhsa_exception_fp_ieee_overflow 0
		.amdhsa_exception_fp_ieee_underflow 0
		.amdhsa_exception_fp_ieee_inexact 0
		.amdhsa_exception_int_div_zero 0
	.end_amdhsa_kernel
	.section	.text._ZL32rocblas_gemvt_warp_reduce_kernelILb0ELi1024ElPKdS1_KPdEviiT3_lPKT2_lT1_lS7_lS8_lS4_lPT4_lS8_li,"axG",@progbits,_ZL32rocblas_gemvt_warp_reduce_kernelILb0ELi1024ElPKdS1_KPdEviiT3_lPKT2_lT1_lS7_lS8_lS4_lPT4_lS8_li,comdat
.Lfunc_end275:
	.size	_ZL32rocblas_gemvt_warp_reduce_kernelILb0ELi1024ElPKdS1_KPdEviiT3_lPKT2_lT1_lS7_lS8_lS4_lPT4_lS8_li, .Lfunc_end275-_ZL32rocblas_gemvt_warp_reduce_kernelILb0ELi1024ElPKdS1_KPdEviiT3_lPKT2_lT1_lS7_lS8_lS4_lPT4_lS8_li
                                        ; -- End function
	.set _ZL32rocblas_gemvt_warp_reduce_kernelILb0ELi1024ElPKdS1_KPdEviiT3_lPKT2_lT1_lS7_lS8_lS4_lPT4_lS8_li.num_vgpr, 14
	.set _ZL32rocblas_gemvt_warp_reduce_kernelILb0ELi1024ElPKdS1_KPdEviiT3_lPKT2_lT1_lS7_lS8_lS4_lPT4_lS8_li.num_agpr, 0
	.set _ZL32rocblas_gemvt_warp_reduce_kernelILb0ELi1024ElPKdS1_KPdEviiT3_lPKT2_lT1_lS7_lS8_lS4_lPT4_lS8_li.numbered_sgpr, 31
	.set _ZL32rocblas_gemvt_warp_reduce_kernelILb0ELi1024ElPKdS1_KPdEviiT3_lPKT2_lT1_lS7_lS8_lS4_lPT4_lS8_li.num_named_barrier, 0
	.set _ZL32rocblas_gemvt_warp_reduce_kernelILb0ELi1024ElPKdS1_KPdEviiT3_lPKT2_lT1_lS7_lS8_lS4_lPT4_lS8_li.private_seg_size, 0
	.set _ZL32rocblas_gemvt_warp_reduce_kernelILb0ELi1024ElPKdS1_KPdEviiT3_lPKT2_lT1_lS7_lS8_lS4_lPT4_lS8_li.uses_vcc, 1
	.set _ZL32rocblas_gemvt_warp_reduce_kernelILb0ELi1024ElPKdS1_KPdEviiT3_lPKT2_lT1_lS7_lS8_lS4_lPT4_lS8_li.uses_flat_scratch, 0
	.set _ZL32rocblas_gemvt_warp_reduce_kernelILb0ELi1024ElPKdS1_KPdEviiT3_lPKT2_lT1_lS7_lS8_lS4_lPT4_lS8_li.has_dyn_sized_stack, 0
	.set _ZL32rocblas_gemvt_warp_reduce_kernelILb0ELi1024ElPKdS1_KPdEviiT3_lPKT2_lT1_lS7_lS8_lS4_lPT4_lS8_li.has_recursion, 0
	.set _ZL32rocblas_gemvt_warp_reduce_kernelILb0ELi1024ElPKdS1_KPdEviiT3_lPKT2_lT1_lS7_lS8_lS4_lPT4_lS8_li.has_indirect_call, 0
	.section	.AMDGPU.csdata,"",@progbits
; Kernel info:
; codeLenInByte = 1624
; TotalNumSgprs: 33
; NumVgprs: 14
; ScratchSize: 0
; MemoryBound: 0
; FloatMode: 240
; IeeeMode: 1
; LDSByteSize: 256 bytes/workgroup (compile time only)
; SGPRBlocks: 0
; VGPRBlocks: 1
; NumSGPRsForWavesPerEU: 33
; NumVGPRsForWavesPerEU: 14
; Occupancy: 16
; WaveLimiterHint : 1
; COMPUTE_PGM_RSRC2:SCRATCH_EN: 0
; COMPUTE_PGM_RSRC2:USER_SGPR: 6
; COMPUTE_PGM_RSRC2:TRAP_HANDLER: 0
; COMPUTE_PGM_RSRC2:TGID_X_EN: 1
; COMPUTE_PGM_RSRC2:TGID_Y_EN: 0
; COMPUTE_PGM_RSRC2:TGID_Z_EN: 1
; COMPUTE_PGM_RSRC2:TIDIG_COMP_CNT: 0
	.section	.text._ZL32rocblas_gemvt_warp_reduce_kernelILb0ELi1024EiPKddKPdEviiT3_lPKT2_lT1_lS7_lS8_lS4_lPT4_lS8_li,"axG",@progbits,_ZL32rocblas_gemvt_warp_reduce_kernelILb0ELi1024EiPKddKPdEviiT3_lPKT2_lT1_lS7_lS8_lS4_lPT4_lS8_li,comdat
	.globl	_ZL32rocblas_gemvt_warp_reduce_kernelILb0ELi1024EiPKddKPdEviiT3_lPKT2_lT1_lS7_lS8_lS4_lPT4_lS8_li ; -- Begin function _ZL32rocblas_gemvt_warp_reduce_kernelILb0ELi1024EiPKddKPdEviiT3_lPKT2_lT1_lS7_lS8_lS4_lPT4_lS8_li
	.p2align	8
	.type	_ZL32rocblas_gemvt_warp_reduce_kernelILb0ELi1024EiPKddKPdEviiT3_lPKT2_lT1_lS7_lS8_lS4_lPT4_lS8_li,@function
_ZL32rocblas_gemvt_warp_reduce_kernelILb0ELi1024EiPKddKPdEviiT3_lPKT2_lT1_lS7_lS8_lS4_lPT4_lS8_li: ; @_ZL32rocblas_gemvt_warp_reduce_kernelILb0ELi1024EiPKddKPdEviiT3_lPKT2_lT1_lS7_lS8_lS4_lPT4_lS8_li
; %bb.0:
	s_clause 0x1
	s_load_dwordx2 s[8:9], s[4:5], 0x8
	s_load_dwordx2 s[2:3], s[4:5], 0x58
	s_waitcnt lgkmcnt(0)
	v_cmp_eq_f64_e64 s14, s[8:9], 0
	v_cmp_eq_f64_e64 s1, s[2:3], 1.0
	s_and_b32 s1, s14, s1
	s_and_b32 vcc_lo, exec_lo, s1
	s_cbranch_vccnz .LBB276_35
; %bb.1:
	s_mov_b32 s0, s7
	v_cmp_neq_f64_e64 s7, s[8:9], 0
	s_mov_b32 s1, 0
	s_and_b32 vcc_lo, exec_lo, s7
	s_cbranch_vccnz .LBB276_3
; %bb.2:
	s_mov_b32 s12, s1
	s_mov_b64 s[10:11], 0
	s_andn2_b32 vcc_lo, exec_lo, s12
	s_mov_b64 s[12:13], 0
	s_cbranch_vccz .LBB276_4
	s_branch .LBB276_5
.LBB276_3:
	s_mov_b64 s[10:11], 0
	s_mov_b64 s[12:13], 0
.LBB276_4:
	s_load_dwordx4 s[16:19], s[4:5], 0x18
	s_lshl_b64 s[12:13], s[0:1], 3
	s_waitcnt lgkmcnt(0)
	s_add_u32 s12, s16, s12
	s_addc_u32 s13, s17, s13
	s_lshl_b64 s[16:17], s[18:19], 3
	s_load_dwordx2 s[12:13], s[12:13], 0x0
	s_waitcnt lgkmcnt(0)
	s_add_u32 s12, s12, s16
	s_addc_u32 s13, s13, s17
.LBB276_5:
	s_andn2_b32 vcc_lo, exec_lo, s7
	s_cbranch_vccnz .LBB276_7
; %bb.6:
	s_load_dwordx4 s[16:19], s[4:5], 0x38
	s_lshl_b64 s[10:11], s[0:1], 3
	s_waitcnt lgkmcnt(0)
	s_add_u32 s10, s16, s10
	s_addc_u32 s11, s17, s11
	s_lshl_b64 s[16:17], s[18:19], 3
	s_load_dwordx2 s[10:11], s[10:11], 0x0
	s_waitcnt lgkmcnt(0)
	s_add_u32 s10, s10, s16
	s_addc_u32 s11, s11, s17
.LBB276_7:
	s_clause 0x1
	s_load_dwordx4 s[20:23], s[4:5], 0x68
	s_load_dword s16, s[4:5], 0x78
	s_lshl_b64 s[0:1], s[0:1], 3
	s_waitcnt lgkmcnt(0)
	s_add_u32 s0, s20, s0
	s_addc_u32 s1, s21, s1
	s_lshl_b64 s[20:21], s[22:23], 3
	s_load_dwordx2 s[18:19], s[0:1], 0x0
	v_cmp_eq_u32_e64 s0, 0, v0
	s_waitcnt lgkmcnt(0)
	s_add_u32 s1, s18, s20
	s_addc_u32 s7, s19, s21
	s_andn2_b32 vcc_lo, exec_lo, s14
	s_cbranch_vccnz .LBB276_12
; %bb.8:
	s_mov_b32 s18, 0
	s_mov_b32 s17, 0
                                        ; implicit-def: $vgpr1_vgpr2
                                        ; implicit-def: $sgpr14_sgpr15
	s_and_saveexec_b32 s19, s0
	s_cbranch_execz .LBB276_13
; %bb.9:
	v_cmp_eq_f64_e64 s0, s[2:3], 0
	v_mov_b32_e32 v1, 0
	v_mov_b32_e32 v2, 0
	s_mul_i32 s14, s16, s6
	s_ashr_i32 s15, s14, 31
	s_and_b32 vcc_lo, exec_lo, s0
	s_cbranch_vccnz .LBB276_11
; %bb.10:
	s_lshl_b64 s[20:21], s[14:15], 3
	s_add_u32 s20, s1, s20
	s_addc_u32 s21, s7, s21
	v_mov_b32_e32 v1, s20
	v_mov_b32_e32 v2, s21
	flat_load_dwordx2 v[1:2], v[1:2]
	s_waitcnt vmcnt(0) lgkmcnt(0)
	v_mul_f64 v[1:2], s[2:3], v[1:2]
.LBB276_11:
	s_mov_b32 s17, exec_lo
	s_or_b32 exec_lo, exec_lo, s19
	s_and_b32 vcc_lo, exec_lo, s18
	s_cbranch_vccnz .LBB276_14
	s_branch .LBB276_33
.LBB276_12:
	s_mov_b32 s17, 0
                                        ; implicit-def: $vgpr1_vgpr2
                                        ; implicit-def: $sgpr14_sgpr15
	s_cbranch_execnz .LBB276_14
	s_branch .LBB276_33
.LBB276_13:
	s_or_b32 exec_lo, exec_lo, s19
	s_and_b32 vcc_lo, exec_lo, s18
	s_cbranch_vccz .LBB276_33
.LBB276_14:
	s_clause 0x2
	s_load_dword s14, s[4:5], 0x0
	s_load_dword s0, s[4:5], 0x28
	s_load_dword s5, s[4:5], 0x48
	v_mov_b32_e32 v1, 0
	v_mov_b32_e32 v2, 0
	s_waitcnt lgkmcnt(0)
	v_cmp_gt_i32_e32 vcc_lo, s14, v0
	s_mul_i32 s18, s0, s6
	s_ashr_i32 s0, s14, 31
	s_ashr_i32 s19, s18, 31
	s_lshr_b32 s0, s0, 22
	v_cndmask_b32_e32 v3, 0, v0, vcc_lo
	s_lshl_b64 s[18:19], s[18:19], 3
	s_add_i32 s0, s14, s0
	v_lshlrev_b32_e32 v3, 3, v3
	v_add_co_u32 v3, s4, s12, v3
	v_add_co_ci_u32_e64 v4, null, s13, 0, s4
	s_and_b32 s4, s0, 0xfffffc00
	v_add_co_u32 v3, vcc_lo, v3, s18
	v_add_co_ci_u32_e64 v4, null, s19, v4, vcc_lo
	s_mov_b32 s13, 0
	s_mov_b32 s12, exec_lo
	v_cmpx_gt_i32_e64 s4, v0
	s_cbranch_execz .LBB276_18
; %bb.15:
	v_mul_lo_u32 v5, v0, s5
	v_mov_b32_e32 v1, 0
	v_mov_b32_e32 v8, v4
	v_mov_b32_e32 v2, 0
	v_mov_b32_e32 v7, v3
	v_mov_b32_e32 v9, v0
	s_lshl_b32 s15, s5, 10
	.p2align	6
.LBB276_16:                             ; =>This Inner Loop Header: Depth=1
	v_ashrrev_i32_e32 v6, 31, v5
	v_add_nc_u32_e32 v9, 0x400, v9
	v_lshlrev_b64 v[10:11], 3, v[5:6]
	v_cmp_le_i32_e64 s0, s4, v9
	v_add_nc_u32_e32 v5, s15, v5
	s_or_b32 s13, s0, s13
	v_add_co_u32 v10, vcc_lo, s10, v10
	v_add_co_ci_u32_e64 v11, null, s11, v11, vcc_lo
	flat_load_dwordx2 v[12:13], v[7:8]
	flat_load_dwordx2 v[10:11], v[10:11]
	v_add_co_u32 v7, vcc_lo, 0x2000, v7
	v_add_co_ci_u32_e64 v8, null, 0, v8, vcc_lo
	s_waitcnt vmcnt(0) lgkmcnt(0)
	v_fma_f64 v[1:2], v[12:13], v[10:11], v[1:2]
	s_andn2_b32 exec_lo, exec_lo, s13
	s_cbranch_execnz .LBB276_16
; %bb.17:
	s_or_b32 exec_lo, exec_lo, s13
.LBB276_18:
	s_or_b32 exec_lo, exec_lo, s12
	v_or_b32_e32 v5, s4, v0
	s_mov_b32 s0, exec_lo
	v_cmpx_gt_i32_e64 s14, v5
	s_cbranch_execz .LBB276_20
; %bb.19:
	v_mul_lo_u32 v5, s5, v5
	s_ashr_i32 s5, s4, 31
	s_lshl_b64 s[4:5], s[4:5], 3
	v_add_co_u32 v3, vcc_lo, v3, s4
	v_add_co_ci_u32_e64 v4, null, s5, v4, vcc_lo
	v_ashrrev_i32_e32 v6, 31, v5
	v_lshlrev_b64 v[5:6], 3, v[5:6]
	v_add_co_u32 v5, vcc_lo, s10, v5
	v_add_co_ci_u32_e64 v6, null, s11, v6, vcc_lo
	flat_load_dwordx2 v[3:4], v[3:4]
	flat_load_dwordx2 v[5:6], v[5:6]
	s_waitcnt vmcnt(0) lgkmcnt(0)
	v_fma_f64 v[1:2], v[3:4], v[5:6], v[1:2]
.LBB276_20:
	s_or_b32 exec_lo, exec_lo, s0
	v_and_b32_e32 v11, 31, v0
	v_cmp_gt_u32_e32 vcc_lo, 32, v0
	v_lshlrev_b32_e32 v5, 3, v11
	s_and_saveexec_b32 s0, vcc_lo
; %bb.21:
	v_mov_b32_e32 v3, 0
	v_mov_b32_e32 v4, v3
	ds_write_b64 v5, v[3:4]
; %bb.22:
	s_or_b32 exec_lo, exec_lo, s0
	v_mbcnt_lo_u32_b32 v10, -1, 0
	s_mov_b32 s4, exec_lo
	s_waitcnt lgkmcnt(0)
	s_barrier
	buffer_gl0_inv
	v_lshl_or_b32 v6, v10, 2, 64
	v_cmp_gt_u32_e64 s0, 24, v10
	ds_bpermute_b32 v3, v6, v1
	ds_bpermute_b32 v4, v6, v2
	s_waitcnt lgkmcnt(0)
	v_add_f64 v[1:2], v[1:2], v[3:4]
	v_cndmask_b32_e64 v3, 0, 8, s0
	v_cmp_gt_u32_e64 s0, 28, v10
	v_add_lshl_u32 v7, v3, v10, 2
	ds_bpermute_b32 v3, v7, v1
	ds_bpermute_b32 v4, v7, v2
	s_waitcnt lgkmcnt(0)
	v_add_f64 v[1:2], v[1:2], v[3:4]
	v_cndmask_b32_e64 v3, 0, 4, s0
	v_cmp_gt_u32_e64 s0, 30, v10
	v_add_lshl_u32 v8, v3, v10, 2
	ds_bpermute_b32 v3, v8, v1
	ds_bpermute_b32 v4, v8, v2
	s_waitcnt lgkmcnt(0)
	v_add_f64 v[1:2], v[1:2], v[3:4]
	v_cndmask_b32_e64 v3, 0, 2, s0
	v_cmp_ne_u32_e64 s0, 31, v10
	v_add_lshl_u32 v9, v3, v10, 2
	ds_bpermute_b32 v3, v9, v1
	ds_bpermute_b32 v4, v9, v2
	s_waitcnt lgkmcnt(0)
	v_add_f64 v[1:2], v[1:2], v[3:4]
	v_add_co_ci_u32_e64 v3, null, 0, v10, s0
	v_lshlrev_b32_e32 v10, 2, v3
	ds_bpermute_b32 v3, v10, v1
	ds_bpermute_b32 v4, v10, v2
	v_cmpx_eq_u32_e32 0, v11
	s_cbranch_execz .LBB276_24
; %bb.23:
	s_waitcnt lgkmcnt(0)
	v_add_f64 v[1:2], v[1:2], v[3:4]
	v_lshrrev_b32_e32 v3, 2, v0
	v_and_b32_e32 v3, 0xf8, v3
	ds_write_b64 v3, v[1:2]
.LBB276_24:
	s_or_b32 exec_lo, exec_lo, s4
	s_waitcnt lgkmcnt(0)
	v_mov_b32_e32 v3, 0
	v_mov_b32_e32 v4, 0
	s_barrier
	buffer_gl0_inv
	s_and_saveexec_b32 s0, vcc_lo
; %bb.25:
	ds_read_b64 v[3:4], v5
; %bb.26:
	s_or_b32 exec_lo, exec_lo, s0
	s_and_saveexec_b32 s0, vcc_lo
	s_cbranch_execz .LBB276_28
; %bb.27:
	s_waitcnt lgkmcnt(0)
	ds_bpermute_b32 v1, v6, v3
	ds_bpermute_b32 v2, v6, v4
	s_waitcnt lgkmcnt(0)
	v_add_f64 v[1:2], v[3:4], v[1:2]
	ds_bpermute_b32 v3, v7, v1
	ds_bpermute_b32 v4, v7, v2
	s_waitcnt lgkmcnt(0)
	v_add_f64 v[1:2], v[1:2], v[3:4]
	;; [unrolled: 4-line block ×5, first 2 shown]
.LBB276_28:
	s_or_b32 exec_lo, exec_lo, s0
	s_mov_b32 s0, exec_lo
                                        ; implicit-def: $vgpr1_vgpr2
                                        ; implicit-def: $sgpr14_sgpr15
	v_cmpx_eq_u32_e32 0, v0
	s_cbranch_execz .LBB276_32
; %bb.29:
	v_cmp_eq_f64_e64 s4, s[2:3], 0
	s_waitcnt lgkmcnt(0)
	v_mul_f64 v[1:2], s[8:9], v[3:4]
	s_mul_i32 s14, s16, s6
	s_ashr_i32 s15, s14, 31
	s_and_b32 vcc_lo, exec_lo, s4
	s_cbranch_vccnz .LBB276_31
; %bb.30:
	s_lshl_b64 s[4:5], s[14:15], 3
	s_add_u32 s4, s1, s4
	s_addc_u32 s5, s7, s5
	v_mov_b32_e32 v3, s4
	v_mov_b32_e32 v4, s5
	flat_load_dwordx2 v[3:4], v[3:4]
	s_waitcnt vmcnt(0) lgkmcnt(0)
	v_fma_f64 v[1:2], s[2:3], v[3:4], v[1:2]
.LBB276_31:
	s_or_b32 s17, s17, exec_lo
.LBB276_32:
	s_or_b32 exec_lo, exec_lo, s0
.LBB276_33:
	s_and_saveexec_b32 s0, s17
	s_cbranch_execz .LBB276_35
; %bb.34:
	s_lshl_b64 s[2:3], s[14:15], 3
	s_add_u32 s0, s1, s2
	s_addc_u32 s1, s7, s3
	s_waitcnt lgkmcnt(0)
	v_mov_b32_e32 v4, s1
	v_mov_b32_e32 v3, s0
	flat_store_dwordx2 v[3:4], v[1:2]
.LBB276_35:
	s_endpgm
	.section	.rodata,"a",@progbits
	.p2align	6, 0x0
	.amdhsa_kernel _ZL32rocblas_gemvt_warp_reduce_kernelILb0ELi1024EiPKddKPdEviiT3_lPKT2_lT1_lS7_lS8_lS4_lPT4_lS8_li
		.amdhsa_group_segment_fixed_size 256
		.amdhsa_private_segment_fixed_size 0
		.amdhsa_kernarg_size 140
		.amdhsa_user_sgpr_count 6
		.amdhsa_user_sgpr_private_segment_buffer 1
		.amdhsa_user_sgpr_dispatch_ptr 0
		.amdhsa_user_sgpr_queue_ptr 0
		.amdhsa_user_sgpr_kernarg_segment_ptr 1
		.amdhsa_user_sgpr_dispatch_id 0
		.amdhsa_user_sgpr_flat_scratch_init 0
		.amdhsa_user_sgpr_private_segment_size 0
		.amdhsa_wavefront_size32 1
		.amdhsa_uses_dynamic_stack 0
		.amdhsa_system_sgpr_private_segment_wavefront_offset 0
		.amdhsa_system_sgpr_workgroup_id_x 1
		.amdhsa_system_sgpr_workgroup_id_y 0
		.amdhsa_system_sgpr_workgroup_id_z 1
		.amdhsa_system_sgpr_workgroup_info 0
		.amdhsa_system_vgpr_workitem_id 0
		.amdhsa_next_free_vgpr 14
		.amdhsa_next_free_sgpr 24
		.amdhsa_reserve_vcc 1
		.amdhsa_reserve_flat_scratch 0
		.amdhsa_float_round_mode_32 0
		.amdhsa_float_round_mode_16_64 0
		.amdhsa_float_denorm_mode_32 3
		.amdhsa_float_denorm_mode_16_64 3
		.amdhsa_dx10_clamp 1
		.amdhsa_ieee_mode 1
		.amdhsa_fp16_overflow 0
		.amdhsa_workgroup_processor_mode 1
		.amdhsa_memory_ordered 1
		.amdhsa_forward_progress 1
		.amdhsa_shared_vgpr_count 0
		.amdhsa_exception_fp_ieee_invalid_op 0
		.amdhsa_exception_fp_denorm_src 0
		.amdhsa_exception_fp_ieee_div_zero 0
		.amdhsa_exception_fp_ieee_overflow 0
		.amdhsa_exception_fp_ieee_underflow 0
		.amdhsa_exception_fp_ieee_inexact 0
		.amdhsa_exception_int_div_zero 0
	.end_amdhsa_kernel
	.section	.text._ZL32rocblas_gemvt_warp_reduce_kernelILb0ELi1024EiPKddKPdEviiT3_lPKT2_lT1_lS7_lS8_lS4_lPT4_lS8_li,"axG",@progbits,_ZL32rocblas_gemvt_warp_reduce_kernelILb0ELi1024EiPKddKPdEviiT3_lPKT2_lT1_lS7_lS8_lS4_lPT4_lS8_li,comdat
.Lfunc_end276:
	.size	_ZL32rocblas_gemvt_warp_reduce_kernelILb0ELi1024EiPKddKPdEviiT3_lPKT2_lT1_lS7_lS8_lS4_lPT4_lS8_li, .Lfunc_end276-_ZL32rocblas_gemvt_warp_reduce_kernelILb0ELi1024EiPKddKPdEviiT3_lPKT2_lT1_lS7_lS8_lS4_lPT4_lS8_li
                                        ; -- End function
	.set _ZL32rocblas_gemvt_warp_reduce_kernelILb0ELi1024EiPKddKPdEviiT3_lPKT2_lT1_lS7_lS8_lS4_lPT4_lS8_li.num_vgpr, 14
	.set _ZL32rocblas_gemvt_warp_reduce_kernelILb0ELi1024EiPKddKPdEviiT3_lPKT2_lT1_lS7_lS8_lS4_lPT4_lS8_li.num_agpr, 0
	.set _ZL32rocblas_gemvt_warp_reduce_kernelILb0ELi1024EiPKddKPdEviiT3_lPKT2_lT1_lS7_lS8_lS4_lPT4_lS8_li.numbered_sgpr, 24
	.set _ZL32rocblas_gemvt_warp_reduce_kernelILb0ELi1024EiPKddKPdEviiT3_lPKT2_lT1_lS7_lS8_lS4_lPT4_lS8_li.num_named_barrier, 0
	.set _ZL32rocblas_gemvt_warp_reduce_kernelILb0ELi1024EiPKddKPdEviiT3_lPKT2_lT1_lS7_lS8_lS4_lPT4_lS8_li.private_seg_size, 0
	.set _ZL32rocblas_gemvt_warp_reduce_kernelILb0ELi1024EiPKddKPdEviiT3_lPKT2_lT1_lS7_lS8_lS4_lPT4_lS8_li.uses_vcc, 1
	.set _ZL32rocblas_gemvt_warp_reduce_kernelILb0ELi1024EiPKddKPdEviiT3_lPKT2_lT1_lS7_lS8_lS4_lPT4_lS8_li.uses_flat_scratch, 0
	.set _ZL32rocblas_gemvt_warp_reduce_kernelILb0ELi1024EiPKddKPdEviiT3_lPKT2_lT1_lS7_lS8_lS4_lPT4_lS8_li.has_dyn_sized_stack, 0
	.set _ZL32rocblas_gemvt_warp_reduce_kernelILb0ELi1024EiPKddKPdEviiT3_lPKT2_lT1_lS7_lS8_lS4_lPT4_lS8_li.has_recursion, 0
	.set _ZL32rocblas_gemvt_warp_reduce_kernelILb0ELi1024EiPKddKPdEviiT3_lPKT2_lT1_lS7_lS8_lS4_lPT4_lS8_li.has_indirect_call, 0
	.section	.AMDGPU.csdata,"",@progbits
; Kernel info:
; codeLenInByte = 1540
; TotalNumSgprs: 26
; NumVgprs: 14
; ScratchSize: 0
; MemoryBound: 0
; FloatMode: 240
; IeeeMode: 1
; LDSByteSize: 256 bytes/workgroup (compile time only)
; SGPRBlocks: 0
; VGPRBlocks: 1
; NumSGPRsForWavesPerEU: 26
; NumVGPRsForWavesPerEU: 14
; Occupancy: 16
; WaveLimiterHint : 1
; COMPUTE_PGM_RSRC2:SCRATCH_EN: 0
; COMPUTE_PGM_RSRC2:USER_SGPR: 6
; COMPUTE_PGM_RSRC2:TRAP_HANDLER: 0
; COMPUTE_PGM_RSRC2:TGID_X_EN: 1
; COMPUTE_PGM_RSRC2:TGID_Y_EN: 0
; COMPUTE_PGM_RSRC2:TGID_Z_EN: 1
; COMPUTE_PGM_RSRC2:TIDIG_COMP_CNT: 0
	.section	.text._ZL32rocblas_gemvt_warp_reduce_kernelILb0ELi1024ElPKddKPdEviiT3_lPKT2_lT1_lS7_lS8_lS4_lPT4_lS8_li,"axG",@progbits,_ZL32rocblas_gemvt_warp_reduce_kernelILb0ELi1024ElPKddKPdEviiT3_lPKT2_lT1_lS7_lS8_lS4_lPT4_lS8_li,comdat
	.globl	_ZL32rocblas_gemvt_warp_reduce_kernelILb0ELi1024ElPKddKPdEviiT3_lPKT2_lT1_lS7_lS8_lS4_lPT4_lS8_li ; -- Begin function _ZL32rocblas_gemvt_warp_reduce_kernelILb0ELi1024ElPKddKPdEviiT3_lPKT2_lT1_lS7_lS8_lS4_lPT4_lS8_li
	.p2align	8
	.type	_ZL32rocblas_gemvt_warp_reduce_kernelILb0ELi1024ElPKddKPdEviiT3_lPKT2_lT1_lS7_lS8_lS4_lPT4_lS8_li,@function
_ZL32rocblas_gemvt_warp_reduce_kernelILb0ELi1024ElPKddKPdEviiT3_lPKT2_lT1_lS7_lS8_lS4_lPT4_lS8_li: ; @_ZL32rocblas_gemvt_warp_reduce_kernelILb0ELi1024ElPKddKPdEviiT3_lPKT2_lT1_lS7_lS8_lS4_lPT4_lS8_li
; %bb.0:
	s_clause 0x1
	s_load_dwordx2 s[10:11], s[4:5], 0x8
	s_load_dwordx2 s[8:9], s[4:5], 0x58
	s_waitcnt lgkmcnt(0)
	v_cmp_eq_f64_e64 s22, s[10:11], 0
	v_cmp_eq_f64_e64 s0, s[8:9], 1.0
	s_and_b32 s0, s22, s0
	s_and_b32 vcc_lo, exec_lo, s0
	s_cbranch_vccnz .LBB277_35
; %bb.1:
	s_mov_b32 s20, s7
	v_cmp_neq_f64_e64 s7, s[10:11], 0
	s_clause 0x1
	s_load_dwordx4 s[0:3], s[4:5], 0x18
	s_load_dwordx2 s[16:17], s[4:5], 0x28
	s_mov_b32 s21, 0
	s_and_b32 vcc_lo, exec_lo, s7
	s_cbranch_vccnz .LBB277_3
; %bb.2:
	s_mov_b32 s14, s21
	s_mov_b64 s[12:13], 0
	s_andn2_b32 vcc_lo, exec_lo, s14
	s_mov_b64 s[18:19], 0
	s_cbranch_vccz .LBB277_4
	s_branch .LBB277_5
.LBB277_3:
	s_mov_b64 s[12:13], 0
	s_mov_b64 s[18:19], 0
.LBB277_4:
	s_lshl_b64 s[14:15], s[20:21], 3
	s_waitcnt lgkmcnt(0)
	s_add_u32 s0, s0, s14
	s_addc_u32 s1, s1, s15
	s_lshl_b64 s[2:3], s[2:3], 3
	s_load_dwordx2 s[0:1], s[0:1], 0x0
	s_waitcnt lgkmcnt(0)
	s_add_u32 s18, s0, s2
	s_addc_u32 s19, s1, s3
.LBB277_5:
	s_waitcnt lgkmcnt(0)
	s_clause 0x1
	s_load_dwordx4 s[0:3], s[4:5], 0x38
	s_load_dwordx2 s[14:15], s[4:5], 0x48
	s_andn2_b32 vcc_lo, exec_lo, s7
	s_cbranch_vccnz .LBB277_7
; %bb.6:
	s_lshl_b64 s[12:13], s[20:21], 3
	s_waitcnt lgkmcnt(0)
	s_add_u32 s0, s0, s12
	s_addc_u32 s1, s1, s13
	s_lshl_b64 s[2:3], s[2:3], 3
	s_load_dwordx2 s[0:1], s[0:1], 0x0
	s_waitcnt lgkmcnt(0)
	s_add_u32 s12, s0, s2
	s_addc_u32 s13, s1, s3
.LBB277_7:
	s_load_dwordx4 s[24:27], s[4:5], 0x68
	s_waitcnt lgkmcnt(0)
	s_load_dwordx2 s[2:3], s[4:5], 0x78
	s_lshl_b64 s[0:1], s[20:21], 3
	s_add_u32 s0, s24, s0
	s_addc_u32 s1, s25, s1
	s_lshl_b64 s[24:25], s[26:27], 3
	s_load_dwordx2 s[20:21], s[0:1], 0x0
	v_cmp_eq_u32_e64 s0, 0, v0
	s_waitcnt lgkmcnt(0)
	s_add_u32 s1, s20, s24
	s_addc_u32 s7, s21, s25
	s_andn2_b32 vcc_lo, exec_lo, s22
	s_cbranch_vccnz .LBB277_12
; %bb.8:
	s_mov_b32 s23, 0
	s_mov_b32 s22, 0
                                        ; implicit-def: $vgpr1_vgpr2
                                        ; implicit-def: $sgpr20_sgpr21
	s_and_saveexec_b32 s24, s0
	s_cbranch_execz .LBB277_13
; %bb.9:
	v_cmp_eq_f64_e64 s0, s[8:9], 0
	s_ashr_i32 s20, s6, 31
	s_mul_hi_u32 s21, s2, s6
	s_mul_i32 s20, s2, s20
	v_mov_b32_e32 v1, 0
	v_mov_b32_e32 v2, 0
	s_add_i32 s20, s21, s20
	s_mul_i32 s21, s3, s6
	s_add_i32 s21, s20, s21
	s_mul_i32 s20, s2, s6
	s_and_b32 vcc_lo, exec_lo, s0
	s_cbranch_vccnz .LBB277_11
; %bb.10:
	s_lshl_b64 s[26:27], s[20:21], 3
	s_add_u32 s26, s1, s26
	s_addc_u32 s27, s7, s27
	v_mov_b32_e32 v1, s26
	v_mov_b32_e32 v2, s27
	flat_load_dwordx2 v[1:2], v[1:2]
	s_waitcnt vmcnt(0) lgkmcnt(0)
	v_mul_f64 v[1:2], s[8:9], v[1:2]
.LBB277_11:
	s_mov_b32 s22, exec_lo
	s_or_b32 exec_lo, exec_lo, s24
	s_and_b32 vcc_lo, exec_lo, s23
	s_cbranch_vccnz .LBB277_14
	s_branch .LBB277_33
.LBB277_12:
	s_mov_b32 s22, 0
                                        ; implicit-def: $vgpr1_vgpr2
                                        ; implicit-def: $sgpr20_sgpr21
	s_cbranch_execnz .LBB277_14
	s_branch .LBB277_33
.LBB277_13:
	s_or_b32 exec_lo, exec_lo, s24
	s_and_b32 vcc_lo, exec_lo, s23
	s_cbranch_vccz .LBB277_33
.LBB277_14:
	s_load_dword s5, s[4:5], 0x0
	s_ashr_i32 s23, s6, 31
	s_mul_hi_u32 s0, s16, s6
	s_mul_i32 s20, s16, s6
	s_mul_i32 s16, s16, s23
	;; [unrolled: 1-line block ×3, first 2 shown]
	s_add_i32 s0, s0, s16
	v_mov_b32_e32 v1, 0
	s_add_i32 s21, s0, s4
	v_mov_b32_e32 v2, 0
	s_lshl_b64 s[16:17], s[20:21], 3
	s_waitcnt lgkmcnt(0)
	v_cmp_gt_i32_e32 vcc_lo, s5, v0
	s_ashr_i32 s0, s5, 31
	s_lshr_b32 s0, s0, 22
	s_add_i32 s0, s5, s0
	v_cndmask_b32_e32 v3, 0, v0, vcc_lo
	v_lshlrev_b32_e32 v3, 3, v3
	v_add_co_u32 v3, s4, s18, v3
	v_add_co_ci_u32_e64 v4, null, s19, 0, s4
	s_and_b32 s4, s0, 0xfffffc00
	v_add_co_u32 v3, vcc_lo, v3, s16
	v_add_co_ci_u32_e64 v4, null, s17, v4, vcc_lo
	s_mov_b32 s19, 0
	s_mov_b32 s18, exec_lo
	v_cmpx_gt_i32_e64 s4, v0
	s_cbranch_execz .LBB277_18
; %bb.15:
	v_mad_u64_u32 v[1:2], null, s14, v0, 0
	v_mov_b32_e32 v9, v0
	s_lshl_b64 s[16:17], s[14:15], 13
	v_mad_u64_u32 v[5:6], null, s15, v0, v[2:3]
	v_mov_b32_e32 v2, v5
	v_mov_b32_e32 v6, v4
	;; [unrolled: 1-line block ×3, first 2 shown]
	v_lshlrev_b64 v[7:8], 3, v[1:2]
	v_mov_b32_e32 v1, 0
	v_mov_b32_e32 v2, 0
	v_add_co_u32 v7, vcc_lo, s12, v7
	v_add_co_ci_u32_e64 v8, null, s13, v8, vcc_lo
	.p2align	6
.LBB277_16:                             ; =>This Inner Loop Header: Depth=1
	flat_load_dwordx2 v[10:11], v[5:6]
	flat_load_dwordx2 v[12:13], v[7:8]
	v_add_nc_u32_e32 v9, 0x400, v9
	v_add_co_u32 v5, vcc_lo, 0x2000, v5
	v_add_co_ci_u32_e64 v6, null, 0, v6, vcc_lo
	v_cmp_le_i32_e32 vcc_lo, s4, v9
	v_add_co_u32 v7, s0, v7, s16
	v_add_co_ci_u32_e64 v8, null, s17, v8, s0
	s_or_b32 s19, vcc_lo, s19
	s_waitcnt vmcnt(0) lgkmcnt(0)
	v_fma_f64 v[1:2], v[10:11], v[12:13], v[1:2]
	s_andn2_b32 exec_lo, exec_lo, s19
	s_cbranch_execnz .LBB277_16
; %bb.17:
	s_or_b32 exec_lo, exec_lo, s19
.LBB277_18:
	s_or_b32 exec_lo, exec_lo, s18
	v_or_b32_e32 v5, s4, v0
	s_mov_b32 s0, exec_lo
	v_cmpx_gt_i32_e64 s5, v5
	s_cbranch_execz .LBB277_20
; %bb.19:
	v_ashrrev_i32_e32 v7, 31, v5
	v_mul_lo_u32 v8, s15, v5
	v_mad_u64_u32 v[5:6], null, s14, v5, 0
	s_ashr_i32 s5, s4, 31
	v_mul_lo_u32 v7, s14, v7
	s_lshl_b64 s[4:5], s[4:5], 3
	v_add_co_u32 v3, vcc_lo, v3, s4
	v_add_co_ci_u32_e64 v4, null, s5, v4, vcc_lo
	v_add3_u32 v6, v6, v7, v8
	v_lshlrev_b64 v[5:6], 3, v[5:6]
	v_add_co_u32 v5, vcc_lo, s12, v5
	v_add_co_ci_u32_e64 v6, null, s13, v6, vcc_lo
	flat_load_dwordx2 v[3:4], v[3:4]
	flat_load_dwordx2 v[5:6], v[5:6]
	s_waitcnt vmcnt(0) lgkmcnt(0)
	v_fma_f64 v[1:2], v[3:4], v[5:6], v[1:2]
.LBB277_20:
	s_or_b32 exec_lo, exec_lo, s0
	v_and_b32_e32 v11, 31, v0
	v_cmp_gt_u32_e32 vcc_lo, 32, v0
	v_lshlrev_b32_e32 v5, 3, v11
	s_and_saveexec_b32 s0, vcc_lo
; %bb.21:
	v_mov_b32_e32 v3, 0
	v_mov_b32_e32 v4, v3
	ds_write_b64 v5, v[3:4]
; %bb.22:
	s_or_b32 exec_lo, exec_lo, s0
	v_mbcnt_lo_u32_b32 v10, -1, 0
	s_mov_b32 s4, exec_lo
	s_waitcnt lgkmcnt(0)
	s_barrier
	buffer_gl0_inv
	v_lshl_or_b32 v6, v10, 2, 64
	v_cmp_gt_u32_e64 s0, 24, v10
	ds_bpermute_b32 v3, v6, v1
	ds_bpermute_b32 v4, v6, v2
	s_waitcnt lgkmcnt(0)
	v_add_f64 v[1:2], v[1:2], v[3:4]
	v_cndmask_b32_e64 v3, 0, 8, s0
	v_cmp_gt_u32_e64 s0, 28, v10
	v_add_lshl_u32 v7, v3, v10, 2
	ds_bpermute_b32 v3, v7, v1
	ds_bpermute_b32 v4, v7, v2
	s_waitcnt lgkmcnt(0)
	v_add_f64 v[1:2], v[1:2], v[3:4]
	v_cndmask_b32_e64 v3, 0, 4, s0
	v_cmp_gt_u32_e64 s0, 30, v10
	v_add_lshl_u32 v8, v3, v10, 2
	ds_bpermute_b32 v3, v8, v1
	ds_bpermute_b32 v4, v8, v2
	s_waitcnt lgkmcnt(0)
	v_add_f64 v[1:2], v[1:2], v[3:4]
	v_cndmask_b32_e64 v3, 0, 2, s0
	v_cmp_ne_u32_e64 s0, 31, v10
	v_add_lshl_u32 v9, v3, v10, 2
	ds_bpermute_b32 v3, v9, v1
	ds_bpermute_b32 v4, v9, v2
	s_waitcnt lgkmcnt(0)
	v_add_f64 v[1:2], v[1:2], v[3:4]
	v_add_co_ci_u32_e64 v3, null, 0, v10, s0
	v_lshlrev_b32_e32 v10, 2, v3
	ds_bpermute_b32 v3, v10, v1
	ds_bpermute_b32 v4, v10, v2
	v_cmpx_eq_u32_e32 0, v11
	s_cbranch_execz .LBB277_24
; %bb.23:
	s_waitcnt lgkmcnt(0)
	v_add_f64 v[1:2], v[1:2], v[3:4]
	v_lshrrev_b32_e32 v3, 2, v0
	v_and_b32_e32 v3, 0xf8, v3
	ds_write_b64 v3, v[1:2]
.LBB277_24:
	s_or_b32 exec_lo, exec_lo, s4
	s_waitcnt lgkmcnt(0)
	v_mov_b32_e32 v3, 0
	v_mov_b32_e32 v4, 0
	s_barrier
	buffer_gl0_inv
	s_and_saveexec_b32 s0, vcc_lo
; %bb.25:
	ds_read_b64 v[3:4], v5
; %bb.26:
	s_or_b32 exec_lo, exec_lo, s0
	s_and_saveexec_b32 s0, vcc_lo
	s_cbranch_execz .LBB277_28
; %bb.27:
	s_waitcnt lgkmcnt(0)
	ds_bpermute_b32 v1, v6, v3
	ds_bpermute_b32 v2, v6, v4
	s_waitcnt lgkmcnt(0)
	v_add_f64 v[1:2], v[3:4], v[1:2]
	ds_bpermute_b32 v3, v7, v1
	ds_bpermute_b32 v4, v7, v2
	s_waitcnt lgkmcnt(0)
	v_add_f64 v[1:2], v[1:2], v[3:4]
	;; [unrolled: 4-line block ×5, first 2 shown]
.LBB277_28:
	s_or_b32 exec_lo, exec_lo, s0
	s_mov_b32 s0, exec_lo
                                        ; implicit-def: $vgpr1_vgpr2
                                        ; implicit-def: $sgpr20_sgpr21
	v_cmpx_eq_u32_e32 0, v0
	s_cbranch_execz .LBB277_32
; %bb.29:
	v_cmp_eq_f64_e64 s4, s[8:9], 0
	s_waitcnt lgkmcnt(0)
	v_mul_f64 v[1:2], s[10:11], v[3:4]
	s_mul_i32 s5, s2, s23
	s_mul_hi_u32 s10, s2, s6
	s_mul_i32 s3, s3, s6
	s_add_i32 s5, s10, s5
	s_mul_i32 s20, s2, s6
	s_add_i32 s21, s5, s3
	s_and_b32 vcc_lo, exec_lo, s4
	s_cbranch_vccnz .LBB277_31
; %bb.30:
	s_lshl_b64 s[2:3], s[20:21], 3
	s_add_u32 s2, s1, s2
	s_addc_u32 s3, s7, s3
	v_mov_b32_e32 v4, s3
	v_mov_b32_e32 v3, s2
	flat_load_dwordx2 v[3:4], v[3:4]
	s_waitcnt vmcnt(0) lgkmcnt(0)
	v_fma_f64 v[1:2], s[8:9], v[3:4], v[1:2]
.LBB277_31:
	s_or_b32 s22, s22, exec_lo
.LBB277_32:
	s_or_b32 exec_lo, exec_lo, s0
.LBB277_33:
	s_and_saveexec_b32 s0, s22
	s_cbranch_execz .LBB277_35
; %bb.34:
	s_lshl_b64 s[2:3], s[20:21], 3
	s_add_u32 s0, s1, s2
	s_addc_u32 s1, s7, s3
	s_waitcnt lgkmcnt(0)
	v_mov_b32_e32 v4, s1
	v_mov_b32_e32 v3, s0
	flat_store_dwordx2 v[3:4], v[1:2]
.LBB277_35:
	s_endpgm
	.section	.rodata,"a",@progbits
	.p2align	6, 0x0
	.amdhsa_kernel _ZL32rocblas_gemvt_warp_reduce_kernelILb0ELi1024ElPKddKPdEviiT3_lPKT2_lT1_lS7_lS8_lS4_lPT4_lS8_li
		.amdhsa_group_segment_fixed_size 256
		.amdhsa_private_segment_fixed_size 0
		.amdhsa_kernarg_size 140
		.amdhsa_user_sgpr_count 6
		.amdhsa_user_sgpr_private_segment_buffer 1
		.amdhsa_user_sgpr_dispatch_ptr 0
		.amdhsa_user_sgpr_queue_ptr 0
		.amdhsa_user_sgpr_kernarg_segment_ptr 1
		.amdhsa_user_sgpr_dispatch_id 0
		.amdhsa_user_sgpr_flat_scratch_init 0
		.amdhsa_user_sgpr_private_segment_size 0
		.amdhsa_wavefront_size32 1
		.amdhsa_uses_dynamic_stack 0
		.amdhsa_system_sgpr_private_segment_wavefront_offset 0
		.amdhsa_system_sgpr_workgroup_id_x 1
		.amdhsa_system_sgpr_workgroup_id_y 0
		.amdhsa_system_sgpr_workgroup_id_z 1
		.amdhsa_system_sgpr_workgroup_info 0
		.amdhsa_system_vgpr_workitem_id 0
		.amdhsa_next_free_vgpr 14
		.amdhsa_next_free_sgpr 28
		.amdhsa_reserve_vcc 1
		.amdhsa_reserve_flat_scratch 0
		.amdhsa_float_round_mode_32 0
		.amdhsa_float_round_mode_16_64 0
		.amdhsa_float_denorm_mode_32 3
		.amdhsa_float_denorm_mode_16_64 3
		.amdhsa_dx10_clamp 1
		.amdhsa_ieee_mode 1
		.amdhsa_fp16_overflow 0
		.amdhsa_workgroup_processor_mode 1
		.amdhsa_memory_ordered 1
		.amdhsa_forward_progress 1
		.amdhsa_shared_vgpr_count 0
		.amdhsa_exception_fp_ieee_invalid_op 0
		.amdhsa_exception_fp_denorm_src 0
		.amdhsa_exception_fp_ieee_div_zero 0
		.amdhsa_exception_fp_ieee_overflow 0
		.amdhsa_exception_fp_ieee_underflow 0
		.amdhsa_exception_fp_ieee_inexact 0
		.amdhsa_exception_int_div_zero 0
	.end_amdhsa_kernel
	.section	.text._ZL32rocblas_gemvt_warp_reduce_kernelILb0ELi1024ElPKddKPdEviiT3_lPKT2_lT1_lS7_lS8_lS4_lPT4_lS8_li,"axG",@progbits,_ZL32rocblas_gemvt_warp_reduce_kernelILb0ELi1024ElPKddKPdEviiT3_lPKT2_lT1_lS7_lS8_lS4_lPT4_lS8_li,comdat
.Lfunc_end277:
	.size	_ZL32rocblas_gemvt_warp_reduce_kernelILb0ELi1024ElPKddKPdEviiT3_lPKT2_lT1_lS7_lS8_lS4_lPT4_lS8_li, .Lfunc_end277-_ZL32rocblas_gemvt_warp_reduce_kernelILb0ELi1024ElPKddKPdEviiT3_lPKT2_lT1_lS7_lS8_lS4_lPT4_lS8_li
                                        ; -- End function
	.set _ZL32rocblas_gemvt_warp_reduce_kernelILb0ELi1024ElPKddKPdEviiT3_lPKT2_lT1_lS7_lS8_lS4_lPT4_lS8_li.num_vgpr, 14
	.set _ZL32rocblas_gemvt_warp_reduce_kernelILb0ELi1024ElPKddKPdEviiT3_lPKT2_lT1_lS7_lS8_lS4_lPT4_lS8_li.num_agpr, 0
	.set _ZL32rocblas_gemvt_warp_reduce_kernelILb0ELi1024ElPKddKPdEviiT3_lPKT2_lT1_lS7_lS8_lS4_lPT4_lS8_li.numbered_sgpr, 28
	.set _ZL32rocblas_gemvt_warp_reduce_kernelILb0ELi1024ElPKddKPdEviiT3_lPKT2_lT1_lS7_lS8_lS4_lPT4_lS8_li.num_named_barrier, 0
	.set _ZL32rocblas_gemvt_warp_reduce_kernelILb0ELi1024ElPKddKPdEviiT3_lPKT2_lT1_lS7_lS8_lS4_lPT4_lS8_li.private_seg_size, 0
	.set _ZL32rocblas_gemvt_warp_reduce_kernelILb0ELi1024ElPKddKPdEviiT3_lPKT2_lT1_lS7_lS8_lS4_lPT4_lS8_li.uses_vcc, 1
	.set _ZL32rocblas_gemvt_warp_reduce_kernelILb0ELi1024ElPKddKPdEviiT3_lPKT2_lT1_lS7_lS8_lS4_lPT4_lS8_li.uses_flat_scratch, 0
	.set _ZL32rocblas_gemvt_warp_reduce_kernelILb0ELi1024ElPKddKPdEviiT3_lPKT2_lT1_lS7_lS8_lS4_lPT4_lS8_li.has_dyn_sized_stack, 0
	.set _ZL32rocblas_gemvt_warp_reduce_kernelILb0ELi1024ElPKddKPdEviiT3_lPKT2_lT1_lS7_lS8_lS4_lPT4_lS8_li.has_recursion, 0
	.set _ZL32rocblas_gemvt_warp_reduce_kernelILb0ELi1024ElPKddKPdEviiT3_lPKT2_lT1_lS7_lS8_lS4_lPT4_lS8_li.has_indirect_call, 0
	.section	.AMDGPU.csdata,"",@progbits
; Kernel info:
; codeLenInByte = 1624
; TotalNumSgprs: 30
; NumVgprs: 14
; ScratchSize: 0
; MemoryBound: 0
; FloatMode: 240
; IeeeMode: 1
; LDSByteSize: 256 bytes/workgroup (compile time only)
; SGPRBlocks: 0
; VGPRBlocks: 1
; NumSGPRsForWavesPerEU: 30
; NumVGPRsForWavesPerEU: 14
; Occupancy: 16
; WaveLimiterHint : 1
; COMPUTE_PGM_RSRC2:SCRATCH_EN: 0
; COMPUTE_PGM_RSRC2:USER_SGPR: 6
; COMPUTE_PGM_RSRC2:TRAP_HANDLER: 0
; COMPUTE_PGM_RSRC2:TGID_X_EN: 1
; COMPUTE_PGM_RSRC2:TGID_Y_EN: 0
; COMPUTE_PGM_RSRC2:TGID_Z_EN: 1
; COMPUTE_PGM_RSRC2:TIDIG_COMP_CNT: 0
	.section	.text._ZL22rocblas_gemvtsm_kernelILb1ELi256EPKdS1_KPdEviiT2_lPKT1_lilS7_lilS4_lPT3_lil,"axG",@progbits,_ZL22rocblas_gemvtsm_kernelILb1ELi256EPKdS1_KPdEviiT2_lPKT1_lilS7_lilS4_lPT3_lil,comdat
	.globl	_ZL22rocblas_gemvtsm_kernelILb1ELi256EPKdS1_KPdEviiT2_lPKT1_lilS7_lilS4_lPT3_lil ; -- Begin function _ZL22rocblas_gemvtsm_kernelILb1ELi256EPKdS1_KPdEviiT2_lPKT1_lilS7_lilS4_lPT3_lil
	.p2align	8
	.type	_ZL22rocblas_gemvtsm_kernelILb1ELi256EPKdS1_KPdEviiT2_lPKT1_lilS7_lilS4_lPT3_lil,@function
_ZL22rocblas_gemvtsm_kernelILb1ELi256EPKdS1_KPdEviiT2_lPKT1_lilS7_lilS4_lPT3_lil: ; @_ZL22rocblas_gemvtsm_kernelILb1ELi256EPKdS1_KPdEviiT2_lPKT1_lilS7_lilS4_lPT3_lil
; %bb.0:
	s_clause 0x1
	s_load_dwordx8 s[16:23], s[4:5], 0x8
	s_load_dwordx8 s[8:15], s[4:5], 0x58
	s_waitcnt lgkmcnt(0)
	s_mul_i32 s1, s19, s6
	s_mul_hi_u32 s2, s18, s6
	s_mul_i32 s0, s18, s6
	s_add_i32 s1, s2, s1
	s_mul_i32 s2, s11, s6
	s_lshl_b64 s[0:1], s[0:1], 3
	s_mul_hi_u32 s3, s10, s6
	s_add_u32 s0, s16, s0
	s_addc_u32 s1, s17, s1
	s_add_i32 s3, s3, s2
	s_mul_i32 s2, s10, s6
	s_mov_b64 s[10:11], 0
	s_lshl_b64 s[2:3], s[2:3], 3
	s_add_u32 s2, s8, s2
	s_addc_u32 s3, s9, s3
	s_load_dwordx2 s[16:17], s[0:1], 0x0
	s_load_dwordx2 s[2:3], s[2:3], 0x0
	s_waitcnt lgkmcnt(0)
	v_cmp_eq_f64_e64 s0, s[16:17], 0
	v_cmp_eq_f64_e64 s1, s[2:3], 1.0
	s_and_b32 s1, s0, s1
	s_and_b32 vcc_lo, exec_lo, s1
	s_cbranch_vccnz .LBB278_39
; %bb.1:
	v_cmp_neq_f64_e64 s1, s[16:17], 0
	s_and_b32 vcc_lo, exec_lo, s0
	s_mov_b32 s7, 0
	s_cbranch_vccnz .LBB278_3
; %bb.2:
	s_lshl_b64 s[8:9], s[6:7], 3
	s_add_u32 s8, s20, s8
	s_addc_u32 s9, s21, s9
	s_lshl_b64 s[10:11], s[22:23], 3
	s_load_dwordx2 s[8:9], s[8:9], 0x0
	s_waitcnt lgkmcnt(0)
	s_add_u32 s10, s8, s10
	s_addc_u32 s11, s9, s11
.LBB278_3:
	s_andn2_b32 vcc_lo, exec_lo, s1
	s_cbranch_vccnz .LBB278_5
; %bb.4:
	s_load_dwordx4 s[20:23], s[4:5], 0x38
	s_lshl_b64 s[8:9], s[6:7], 3
	s_waitcnt lgkmcnt(0)
	s_add_u32 s8, s20, s8
	s_addc_u32 s9, s21, s9
	s_lshl_b64 s[18:19], s[22:23], 3
	s_load_dwordx2 s[8:9], s[8:9], 0x0
	s_waitcnt lgkmcnt(0)
	s_add_u32 s18, s8, s18
	s_addc_u32 s19, s9, s19
	s_branch .LBB278_6
.LBB278_5:
	s_mov_b64 s[18:19], 0
.LBB278_6:
	s_lshl_b64 s[6:7], s[6:7], 3
	s_add_u32 s12, s12, s6
	s_addc_u32 s13, s13, s7
	s_clause 0x1
	s_load_dwordx2 s[6:7], s[4:5], 0x0
	s_load_dword s8, s[4:5], 0x78
	s_load_dwordx2 s[12:13], s[12:13], 0x0
	s_andn2_b32 vcc_lo, exec_lo, s0
	s_mov_b32 s0, -1
	s_cbranch_vccnz .LBB278_21
; %bb.7:
	v_cmp_neq_f64_e64 s0, s[2:3], 0
	s_waitcnt lgkmcnt(0)
	s_cmp_gt_i32 s7, 0
	s_cselect_b32 s20, -1, 0
	v_cndmask_b32_e64 v1, 0, 1, s20
	s_and_b32 vcc_lo, exec_lo, s0
	v_cmp_ne_u32_e64 s0, 1, v1
	s_cbranch_vccnz .LBB278_14
; %bb.8:
	s_and_b32 vcc_lo, exec_lo, s0
	s_cbranch_vccnz .LBB278_13
; %bb.9:
	v_mad_i64_i32 v[1:2], null, s8, v0, 0
	s_lshl_b64 s[0:1], s[14:15], 3
	s_ashr_i32 s9, s8, 31
	s_add_u32 s0, s12, s0
	s_addc_u32 s1, s13, s1
	v_mov_b32_e32 v3, 0
	v_lshlrev_b64 v[1:2], 3, v[1:2]
	v_add_co_u32 v1, vcc_lo, s0, v1
	v_add_co_ci_u32_e64 v2, null, s1, v2, vcc_lo
	s_lshl_b64 s[0:1], s[8:9], 11
	s_mov_b32 s9, 0
	s_branch .LBB278_11
	.p2align	6
.LBB278_10:                             ;   in Loop: Header=BB278_11 Depth=1
	s_or_b32 exec_lo, exec_lo, s21
	v_add_co_u32 v1, vcc_lo, v1, s0
	v_add_co_ci_u32_e64 v2, null, s1, v2, vcc_lo
	s_addk_i32 s9, 0x100
	s_cmp_ge_i32 s9, s7
	s_cbranch_scc1 .LBB278_13
.LBB278_11:                             ; =>This Inner Loop Header: Depth=1
	v_add_nc_u32_e32 v4, s9, v0
	s_mov_b32 s21, exec_lo
	v_cmpx_gt_i32_e64 s7, v4
	s_cbranch_execz .LBB278_10
; %bb.12:                               ;   in Loop: Header=BB278_11 Depth=1
	v_mov_b32_e32 v4, v3
	flat_store_dwordx2 v[1:2], v[3:4]
	s_branch .LBB278_10
.LBB278_13:
	s_cbranch_execz .LBB278_15
	s_branch .LBB278_20
.LBB278_14:
.LBB278_15:
	s_andn2_b32 vcc_lo, exec_lo, s20
	s_cbranch_vccnz .LBB278_20
; %bb.16:
	v_mad_i64_i32 v[1:2], null, s8, v0, 0
	s_lshl_b64 s[0:1], s[14:15], 3
	s_ashr_i32 s9, s8, 31
	s_add_u32 s0, s12, s0
	s_addc_u32 s1, s13, s1
	v_lshlrev_b64 v[1:2], 3, v[1:2]
	v_add_co_u32 v1, vcc_lo, s0, v1
	v_add_co_ci_u32_e64 v2, null, s1, v2, vcc_lo
	s_lshl_b64 s[0:1], s[8:9], 11
	s_mov_b32 s9, 0
	s_branch .LBB278_18
	.p2align	6
.LBB278_17:                             ;   in Loop: Header=BB278_18 Depth=1
	s_or_b32 exec_lo, exec_lo, s20
	v_add_co_u32 v1, vcc_lo, v1, s0
	v_add_co_ci_u32_e64 v2, null, s1, v2, vcc_lo
	s_addk_i32 s9, 0x100
	s_cmp_ge_i32 s9, s7
	s_cbranch_scc1 .LBB278_20
.LBB278_18:                             ; =>This Inner Loop Header: Depth=1
	v_add_nc_u32_e32 v3, s9, v0
	s_mov_b32 s20, exec_lo
	v_cmpx_gt_i32_e64 s7, v3
	s_cbranch_execz .LBB278_17
; %bb.19:                               ;   in Loop: Header=BB278_18 Depth=1
	flat_load_dwordx2 v[3:4], v[1:2]
	s_waitcnt vmcnt(0) lgkmcnt(0)
	v_mul_f64 v[3:4], s[2:3], v[3:4]
	flat_store_dwordx2 v[1:2], v[3:4]
	s_branch .LBB278_17
.LBB278_20:
	s_mov_b32 s0, 0
.LBB278_21:
	s_andn2_b32 vcc_lo, exec_lo, s0
	s_cbranch_vccnz .LBB278_39
; %bb.22:
	s_mov_b32 s0, exec_lo
	s_waitcnt lgkmcnt(0)
	v_cmpx_gt_i32_e64 s6, v0
	s_cbranch_execz .LBB278_24
; %bb.23:
	s_load_dword s1, s[4:5], 0x48
	v_lshlrev_b32_e32 v3, 3, v0
	s_waitcnt lgkmcnt(0)
	v_mad_i64_i32 v[1:2], null, s1, v0, 0
	v_lshlrev_b64 v[1:2], 3, v[1:2]
	v_add_co_u32 v1, vcc_lo, s18, v1
	v_add_co_ci_u32_e64 v2, null, s19, v2, vcc_lo
	flat_load_dwordx2 v[1:2], v[1:2]
	s_waitcnt vmcnt(0) lgkmcnt(0)
	v_mul_f64 v[1:2], s[16:17], v[1:2]
	ds_write_b64 v3, v[1:2]
.LBB278_24:
	s_or_b32 exec_lo, exec_lo, s0
	s_cmp_lt_i32 s7, 1
	s_waitcnt lgkmcnt(0)
	s_waitcnt_vscnt null, 0x0
	s_barrier
	buffer_gl0_inv
	s_cbranch_scc1 .LBB278_39
; %bb.25:
	s_load_dword s4, s[4:5], 0x28
	s_lshl_b64 s[14:15], s[14:15], 3
	s_mov_b32 s1, 0
	s_add_u32 s9, s12, s14
	v_cmp_neq_f64_e64 s14, s[2:3], 0
	s_addc_u32 s12, s13, s15
	s_ashr_i32 s13, s8, 31
	s_waitcnt lgkmcnt(0)
	v_mad_i64_i32 v[1:2], null, s4, v0, 0
	s_ashr_i32 s5, s4, 31
	s_cmp_gt_i32 s6, 0
	s_cselect_b32 s15, -1, 0
	s_and_b32 s16, s6, 7
	s_cmp_gt_u32 s6, 7
	v_lshlrev_b64 v[1:2], 3, v[1:2]
	s_cselect_b32 s17, -1, 0
	s_and_b32 s6, s6, 0x7ffffff8
	s_cmp_lg_u32 s16, 0
	v_add_co_u32 v1, vcc_lo, s10, v1
	v_add_co_ci_u32_e64 v2, null, s11, v2, vcc_lo
	s_cselect_b32 s10, -1, 0
	s_lshl_b64 s[4:5], s[4:5], 11
	s_mov_b32 s11, 0
	s_branch .LBB278_28
.LBB278_26:                             ;   in Loop: Header=BB278_28 Depth=1
	v_add_co_u32 v3, vcc_lo, s9, v3
	v_add_co_ci_u32_e64 v4, null, s12, v4, vcc_lo
	flat_store_dwordx2 v[3:4], v[5:6]
.LBB278_27:                             ;   in Loop: Header=BB278_28 Depth=1
	s_or_b32 exec_lo, exec_lo, s18
	v_add_co_u32 v1, vcc_lo, v1, s4
	v_add_co_ci_u32_e64 v2, null, s5, v2, vcc_lo
	s_addk_i32 s11, 0x100
	s_cmp_ge_i32 s11, s7
	s_cbranch_scc1 .LBB278_39
.LBB278_28:                             ; =>This Loop Header: Depth=1
                                        ;     Child Loop BB278_34 Depth 2
                                        ;     Child Loop BB278_38 Depth 2
	v_add_nc_u32_e32 v3, s11, v0
	s_mov_b32 s18, exec_lo
	v_cmpx_gt_i32_e64 s7, v3
	s_cbranch_execz .LBB278_27
; %bb.29:                               ;   in Loop: Header=BB278_28 Depth=1
	v_mad_u64_u32 v[4:5], null, v3, s8, 0
	s_andn2_b32 vcc_lo, exec_lo, s14
	v_mad_u64_u32 v[5:6], null, v3, s13, v[5:6]
	v_lshlrev_b64 v[3:4], 3, v[4:5]
	s_cbranch_vccnz .LBB278_31
; %bb.30:                               ;   in Loop: Header=BB278_28 Depth=1
	v_add_co_u32 v5, vcc_lo, s9, v3
	v_add_co_ci_u32_e64 v6, null, s12, v4, vcc_lo
	flat_load_dwordx2 v[5:6], v[5:6]
	s_waitcnt vmcnt(0) lgkmcnt(0)
	v_mul_f64 v[5:6], s[2:3], v[5:6]
	s_andn2_b32 vcc_lo, exec_lo, s15
	s_cbranch_vccz .LBB278_32
	s_branch .LBB278_26
.LBB278_31:                             ;   in Loop: Header=BB278_28 Depth=1
	v_mov_b32_e32 v5, 0
	v_mov_b32_e32 v6, 0
	s_andn2_b32 vcc_lo, exec_lo, s15
	s_cbranch_vccnz .LBB278_26
.LBB278_32:                             ;   in Loop: Header=BB278_28 Depth=1
	s_andn2_b32 vcc_lo, exec_lo, s17
	s_mov_b32 s0, 0
	s_cbranch_vccnz .LBB278_36
; %bb.33:                               ;   in Loop: Header=BB278_28 Depth=1
	v_mov_b32_e32 v8, v2
	v_mov_b32_e32 v7, v1
	s_mov_b32 s19, 0
	s_inst_prefetch 0x1
	.p2align	6
.LBB278_34:                             ;   Parent Loop BB278_28 Depth=1
                                        ; =>  This Inner Loop Header: Depth=2
	s_clause 0x3
	flat_load_dwordx4 v[9:12], v[7:8]
	flat_load_dwordx4 v[13:16], v[7:8] offset:16
	flat_load_dwordx4 v[17:20], v[7:8] offset:32
	;; [unrolled: 1-line block ×3, first 2 shown]
	v_mov_b32_e32 v33, s0
	v_add_co_u32 v7, vcc_lo, v7, 64
	v_add_co_ci_u32_e64 v8, null, 0, v8, vcc_lo
	ds_read_b128 v[25:28], v33
	ds_read_b128 v[29:32], v33 offset:16
	s_add_i32 s19, s19, 8
	s_add_i32 s0, s0, 64
	s_cmp_eq_u32 s6, s19
	s_waitcnt vmcnt(3) lgkmcnt(1)
	v_fma_f64 v[5:6], v[25:26], v[9:10], v[5:6]
	v_fma_f64 v[5:6], v[27:28], v[11:12], v[5:6]
	s_waitcnt vmcnt(2) lgkmcnt(0)
	v_fma_f64 v[5:6], v[29:30], v[13:14], v[5:6]
	v_fma_f64 v[5:6], v[31:32], v[15:16], v[5:6]
	ds_read_b128 v[9:12], v33 offset:32
	ds_read_b128 v[13:16], v33 offset:48
	s_waitcnt vmcnt(1) lgkmcnt(1)
	v_fma_f64 v[5:6], v[9:10], v[17:18], v[5:6]
	v_fma_f64 v[5:6], v[11:12], v[19:20], v[5:6]
	s_waitcnt vmcnt(0) lgkmcnt(0)
	v_fma_f64 v[5:6], v[13:14], v[21:22], v[5:6]
	v_fma_f64 v[5:6], v[15:16], v[23:24], v[5:6]
	s_cbranch_scc0 .LBB278_34
; %bb.35:                               ;   in Loop: Header=BB278_28 Depth=1
	s_inst_prefetch 0x2
	s_mov_b32 s0, s6
.LBB278_36:                             ;   in Loop: Header=BB278_28 Depth=1
	s_andn2_b32 vcc_lo, exec_lo, s10
	s_cbranch_vccnz .LBB278_26
; %bb.37:                               ;   in Loop: Header=BB278_28 Depth=1
	s_lshl_b64 s[20:21], s[0:1], 3
	s_lshl_b32 s0, s0, 3
	v_add_co_u32 v7, vcc_lo, v1, s20
	v_add_co_ci_u32_e64 v8, null, s21, v2, vcc_lo
	s_mov_b32 s19, s16
.LBB278_38:                             ;   Parent Loop BB278_28 Depth=1
                                        ; =>  This Inner Loop Header: Depth=2
	flat_load_dwordx2 v[9:10], v[7:8]
	v_mov_b32_e32 v11, s0
	v_add_co_u32 v7, vcc_lo, v7, 8
	v_add_co_ci_u32_e64 v8, null, 0, v8, vcc_lo
	ds_read_b64 v[11:12], v11
	s_add_i32 s19, s19, -1
	s_add_i32 s0, s0, 8
	s_cmp_lg_u32 s19, 0
	s_waitcnt vmcnt(0) lgkmcnt(0)
	v_fma_f64 v[5:6], v[11:12], v[9:10], v[5:6]
	s_cbranch_scc1 .LBB278_38
	s_branch .LBB278_26
.LBB278_39:
	s_endpgm
	.section	.rodata,"a",@progbits
	.p2align	6, 0x0
	.amdhsa_kernel _ZL22rocblas_gemvtsm_kernelILb1ELi256EPKdS1_KPdEviiT2_lPKT1_lilS7_lilS4_lPT3_lil
		.amdhsa_group_segment_fixed_size 512
		.amdhsa_private_segment_fixed_size 0
		.amdhsa_kernarg_size 136
		.amdhsa_user_sgpr_count 6
		.amdhsa_user_sgpr_private_segment_buffer 1
		.amdhsa_user_sgpr_dispatch_ptr 0
		.amdhsa_user_sgpr_queue_ptr 0
		.amdhsa_user_sgpr_kernarg_segment_ptr 1
		.amdhsa_user_sgpr_dispatch_id 0
		.amdhsa_user_sgpr_flat_scratch_init 0
		.amdhsa_user_sgpr_private_segment_size 0
		.amdhsa_wavefront_size32 1
		.amdhsa_uses_dynamic_stack 0
		.amdhsa_system_sgpr_private_segment_wavefront_offset 0
		.amdhsa_system_sgpr_workgroup_id_x 1
		.amdhsa_system_sgpr_workgroup_id_y 0
		.amdhsa_system_sgpr_workgroup_id_z 0
		.amdhsa_system_sgpr_workgroup_info 0
		.amdhsa_system_vgpr_workitem_id 0
		.amdhsa_next_free_vgpr 34
		.amdhsa_next_free_sgpr 24
		.amdhsa_reserve_vcc 1
		.amdhsa_reserve_flat_scratch 1
		.amdhsa_float_round_mode_32 0
		.amdhsa_float_round_mode_16_64 0
		.amdhsa_float_denorm_mode_32 3
		.amdhsa_float_denorm_mode_16_64 3
		.amdhsa_dx10_clamp 1
		.amdhsa_ieee_mode 1
		.amdhsa_fp16_overflow 0
		.amdhsa_workgroup_processor_mode 1
		.amdhsa_memory_ordered 1
		.amdhsa_forward_progress 1
		.amdhsa_shared_vgpr_count 0
		.amdhsa_exception_fp_ieee_invalid_op 0
		.amdhsa_exception_fp_denorm_src 0
		.amdhsa_exception_fp_ieee_div_zero 0
		.amdhsa_exception_fp_ieee_overflow 0
		.amdhsa_exception_fp_ieee_underflow 0
		.amdhsa_exception_fp_ieee_inexact 0
		.amdhsa_exception_int_div_zero 0
	.end_amdhsa_kernel
	.section	.text._ZL22rocblas_gemvtsm_kernelILb1ELi256EPKdS1_KPdEviiT2_lPKT1_lilS7_lilS4_lPT3_lil,"axG",@progbits,_ZL22rocblas_gemvtsm_kernelILb1ELi256EPKdS1_KPdEviiT2_lPKT1_lilS7_lilS4_lPT3_lil,comdat
.Lfunc_end278:
	.size	_ZL22rocblas_gemvtsm_kernelILb1ELi256EPKdS1_KPdEviiT2_lPKT1_lilS7_lilS4_lPT3_lil, .Lfunc_end278-_ZL22rocblas_gemvtsm_kernelILb1ELi256EPKdS1_KPdEviiT2_lPKT1_lilS7_lilS4_lPT3_lil
                                        ; -- End function
	.set _ZL22rocblas_gemvtsm_kernelILb1ELi256EPKdS1_KPdEviiT2_lPKT1_lilS7_lilS4_lPT3_lil.num_vgpr, 34
	.set _ZL22rocblas_gemvtsm_kernelILb1ELi256EPKdS1_KPdEviiT2_lPKT1_lilS7_lilS4_lPT3_lil.num_agpr, 0
	.set _ZL22rocblas_gemvtsm_kernelILb1ELi256EPKdS1_KPdEviiT2_lPKT1_lilS7_lilS4_lPT3_lil.numbered_sgpr, 24
	.set _ZL22rocblas_gemvtsm_kernelILb1ELi256EPKdS1_KPdEviiT2_lPKT1_lilS7_lilS4_lPT3_lil.num_named_barrier, 0
	.set _ZL22rocblas_gemvtsm_kernelILb1ELi256EPKdS1_KPdEviiT2_lPKT1_lilS7_lilS4_lPT3_lil.private_seg_size, 0
	.set _ZL22rocblas_gemvtsm_kernelILb1ELi256EPKdS1_KPdEviiT2_lPKT1_lilS7_lilS4_lPT3_lil.uses_vcc, 1
	.set _ZL22rocblas_gemvtsm_kernelILb1ELi256EPKdS1_KPdEviiT2_lPKT1_lilS7_lilS4_lPT3_lil.uses_flat_scratch, 1
	.set _ZL22rocblas_gemvtsm_kernelILb1ELi256EPKdS1_KPdEviiT2_lPKT1_lilS7_lilS4_lPT3_lil.has_dyn_sized_stack, 0
	.set _ZL22rocblas_gemvtsm_kernelILb1ELi256EPKdS1_KPdEviiT2_lPKT1_lilS7_lilS4_lPT3_lil.has_recursion, 0
	.set _ZL22rocblas_gemvtsm_kernelILb1ELi256EPKdS1_KPdEviiT2_lPKT1_lilS7_lilS4_lPT3_lil.has_indirect_call, 0
	.section	.AMDGPU.csdata,"",@progbits
; Kernel info:
; codeLenInByte = 1516
; TotalNumSgprs: 26
; NumVgprs: 34
; ScratchSize: 0
; MemoryBound: 0
; FloatMode: 240
; IeeeMode: 1
; LDSByteSize: 512 bytes/workgroup (compile time only)
; SGPRBlocks: 0
; VGPRBlocks: 4
; NumSGPRsForWavesPerEU: 26
; NumVGPRsForWavesPerEU: 34
; Occupancy: 16
; WaveLimiterHint : 1
; COMPUTE_PGM_RSRC2:SCRATCH_EN: 0
; COMPUTE_PGM_RSRC2:USER_SGPR: 6
; COMPUTE_PGM_RSRC2:TRAP_HANDLER: 0
; COMPUTE_PGM_RSRC2:TGID_X_EN: 1
; COMPUTE_PGM_RSRC2:TGID_Y_EN: 0
; COMPUTE_PGM_RSRC2:TGID_Z_EN: 0
; COMPUTE_PGM_RSRC2:TIDIG_COMP_CNT: 0
	.section	.text._ZL22rocblas_gemvtsm_kernelILb1ELi256EPKddKPdEviiT2_lPKT1_lilS7_lilS4_lPT3_lil,"axG",@progbits,_ZL22rocblas_gemvtsm_kernelILb1ELi256EPKddKPdEviiT2_lPKT1_lilS7_lilS4_lPT3_lil,comdat
	.globl	_ZL22rocblas_gemvtsm_kernelILb1ELi256EPKddKPdEviiT2_lPKT1_lilS7_lilS4_lPT3_lil ; -- Begin function _ZL22rocblas_gemvtsm_kernelILb1ELi256EPKddKPdEviiT2_lPKT1_lilS7_lilS4_lPT3_lil
	.p2align	8
	.type	_ZL22rocblas_gemvtsm_kernelILb1ELi256EPKddKPdEviiT2_lPKT1_lilS7_lilS4_lPT3_lil,@function
_ZL22rocblas_gemvtsm_kernelILb1ELi256EPKddKPdEviiT2_lPKT1_lilS7_lilS4_lPT3_lil: ; @_ZL22rocblas_gemvtsm_kernelILb1ELi256EPKddKPdEviiT2_lPKT1_lilS7_lilS4_lPT3_lil
; %bb.0:
	s_clause 0x1
	s_load_dwordx2 s[14:15], s[4:5], 0x8
	s_load_dwordx2 s[8:9], s[4:5], 0x58
	s_waitcnt lgkmcnt(0)
	v_cmp_eq_f64_e64 s11, s[14:15], 0
	v_cmp_eq_f64_e64 s0, s[8:9], 1.0
	s_and_b32 s0, s11, s0
	s_and_b32 vcc_lo, exec_lo, s0
	s_cbranch_vccnz .LBB279_40
; %bb.1:
	v_cmp_neq_f64_e64 s0, s[14:15], 0
	s_mov_b32 s7, 0
	s_and_b32 vcc_lo, exec_lo, s0
	s_cbranch_vccnz .LBB279_3
; %bb.2:
	s_mov_b32 s1, s7
	s_mov_b64 s[16:17], 0
	s_andn2_b32 vcc_lo, exec_lo, s1
	s_mov_b64 s[12:13], 0
	s_cbranch_vccz .LBB279_4
	s_branch .LBB279_5
.LBB279_3:
	s_mov_b64 s[16:17], 0
	s_mov_b64 s[12:13], 0
.LBB279_4:
	s_load_dwordx4 s[20:23], s[4:5], 0x18
	s_lshl_b64 s[2:3], s[6:7], 3
	s_waitcnt lgkmcnt(0)
	s_add_u32 s2, s20, s2
	s_addc_u32 s3, s21, s3
	s_lshl_b64 s[12:13], s[22:23], 3
	s_load_dwordx2 s[2:3], s[2:3], 0x0
	s_waitcnt lgkmcnt(0)
	s_add_u32 s12, s2, s12
	s_addc_u32 s13, s3, s13
.LBB279_5:
	s_andn2_b32 vcc_lo, exec_lo, s0
	s_cbranch_vccnz .LBB279_7
; %bb.6:
	s_load_dwordx4 s[0:3], s[4:5], 0x38
	s_lshl_b64 s[16:17], s[6:7], 3
	s_waitcnt lgkmcnt(0)
	s_add_u32 s0, s0, s16
	s_addc_u32 s1, s1, s17
	s_lshl_b64 s[2:3], s[2:3], 3
	s_load_dwordx2 s[0:1], s[0:1], 0x0
	s_waitcnt lgkmcnt(0)
	s_add_u32 s16, s0, s2
	s_addc_u32 s17, s1, s3
.LBB279_7:
	s_load_dwordx4 s[0:3], s[4:5], 0x68
	s_lshl_b64 s[18:19], s[6:7], 3
	s_load_dwordx2 s[6:7], s[4:5], 0x0
	s_waitcnt lgkmcnt(0)
	s_add_u32 s0, s0, s18
	s_addc_u32 s1, s1, s19
	s_load_dword s10, s[4:5], 0x78
	s_load_dwordx2 s[18:19], s[0:1], 0x0
	s_andn2_b32 vcc_lo, exec_lo, s11
	s_mov_b32 s0, -1
	s_cbranch_vccnz .LBB279_22
; %bb.8:
	v_cmp_neq_f64_e64 s0, s[8:9], 0
	s_cmp_gt_i32 s7, 0
	s_cselect_b32 s20, -1, 0
	v_cndmask_b32_e64 v1, 0, 1, s20
	s_and_b32 vcc_lo, exec_lo, s0
	v_cmp_ne_u32_e64 s0, 1, v1
	s_cbranch_vccnz .LBB279_15
; %bb.9:
	s_and_b32 vcc_lo, exec_lo, s0
	s_cbranch_vccnz .LBB279_14
; %bb.10:
	s_waitcnt lgkmcnt(0)
	v_mad_i64_i32 v[1:2], null, s10, v0, 0
	s_lshl_b64 s[0:1], s[2:3], 3
	s_ashr_i32 s11, s10, 31
	s_add_u32 s0, s18, s0
	s_addc_u32 s1, s19, s1
	v_mov_b32_e32 v3, 0
	v_lshlrev_b64 v[1:2], 3, v[1:2]
	v_add_co_u32 v1, vcc_lo, s0, v1
	v_add_co_ci_u32_e64 v2, null, s1, v2, vcc_lo
	s_lshl_b64 s[0:1], s[10:11], 11
	s_mov_b32 s11, 0
	s_branch .LBB279_12
	.p2align	6
.LBB279_11:                             ;   in Loop: Header=BB279_12 Depth=1
	s_or_b32 exec_lo, exec_lo, s21
	v_add_co_u32 v1, vcc_lo, v1, s0
	v_add_co_ci_u32_e64 v2, null, s1, v2, vcc_lo
	s_addk_i32 s11, 0x100
	s_cmp_ge_i32 s11, s7
	s_cbranch_scc1 .LBB279_14
.LBB279_12:                             ; =>This Inner Loop Header: Depth=1
	v_add_nc_u32_e32 v4, s11, v0
	s_mov_b32 s21, exec_lo
	v_cmpx_gt_i32_e64 s7, v4
	s_cbranch_execz .LBB279_11
; %bb.13:                               ;   in Loop: Header=BB279_12 Depth=1
	v_mov_b32_e32 v4, v3
	flat_store_dwordx2 v[1:2], v[3:4]
	s_branch .LBB279_11
.LBB279_14:
	s_cbranch_execz .LBB279_16
	s_branch .LBB279_21
.LBB279_15:
.LBB279_16:
	s_andn2_b32 vcc_lo, exec_lo, s20
	s_cbranch_vccnz .LBB279_21
; %bb.17:
	s_waitcnt lgkmcnt(0)
	v_mad_i64_i32 v[1:2], null, s10, v0, 0
	s_lshl_b64 s[0:1], s[2:3], 3
	s_ashr_i32 s11, s10, 31
	s_add_u32 s0, s18, s0
	s_addc_u32 s1, s19, s1
	v_lshlrev_b64 v[1:2], 3, v[1:2]
	v_add_co_u32 v1, vcc_lo, s0, v1
	v_add_co_ci_u32_e64 v2, null, s1, v2, vcc_lo
	s_lshl_b64 s[0:1], s[10:11], 11
	s_mov_b32 s11, 0
	s_branch .LBB279_19
	.p2align	6
.LBB279_18:                             ;   in Loop: Header=BB279_19 Depth=1
	s_or_b32 exec_lo, exec_lo, s20
	v_add_co_u32 v1, vcc_lo, v1, s0
	v_add_co_ci_u32_e64 v2, null, s1, v2, vcc_lo
	s_addk_i32 s11, 0x100
	s_cmp_ge_i32 s11, s7
	s_cbranch_scc1 .LBB279_21
.LBB279_19:                             ; =>This Inner Loop Header: Depth=1
	v_add_nc_u32_e32 v3, s11, v0
	s_mov_b32 s20, exec_lo
	v_cmpx_gt_i32_e64 s7, v3
	s_cbranch_execz .LBB279_18
; %bb.20:                               ;   in Loop: Header=BB279_19 Depth=1
	flat_load_dwordx2 v[3:4], v[1:2]
	s_waitcnt vmcnt(0) lgkmcnt(0)
	v_mul_f64 v[3:4], s[8:9], v[3:4]
	flat_store_dwordx2 v[1:2], v[3:4]
	s_branch .LBB279_18
.LBB279_21:
	s_mov_b32 s0, 0
.LBB279_22:
	s_andn2_b32 vcc_lo, exec_lo, s0
	s_cbranch_vccnz .LBB279_40
; %bb.23:
	s_mov_b32 s0, exec_lo
	v_cmpx_gt_i32_e64 s6, v0
	s_cbranch_execz .LBB279_25
; %bb.24:
	s_load_dword s1, s[4:5], 0x48
	v_lshlrev_b32_e32 v3, 3, v0
	s_waitcnt lgkmcnt(0)
	v_mad_i64_i32 v[1:2], null, s1, v0, 0
	v_lshlrev_b64 v[1:2], 3, v[1:2]
	v_add_co_u32 v1, vcc_lo, s16, v1
	v_add_co_ci_u32_e64 v2, null, s17, v2, vcc_lo
	flat_load_dwordx2 v[1:2], v[1:2]
	s_waitcnt vmcnt(0) lgkmcnt(0)
	v_mul_f64 v[1:2], s[14:15], v[1:2]
	ds_write_b64 v3, v[1:2]
.LBB279_25:
	s_or_b32 exec_lo, exec_lo, s0
	s_cmp_lt_i32 s7, 1
	s_waitcnt lgkmcnt(0)
	s_waitcnt_vscnt null, 0x0
	s_barrier
	buffer_gl0_inv
	s_cbranch_scc1 .LBB279_40
; %bb.26:
	s_load_dword s20, s[4:5], 0x28
	v_cmp_neq_f64_e64 s14, s[8:9], 0
	s_lshl_b64 s[2:3], s[2:3], 3
	s_mov_b32 s1, 0
	s_add_u32 s4, s18, s2
	s_addc_u32 s5, s19, s3
	s_ashr_i32 s11, s10, 31
	s_waitcnt lgkmcnt(0)
	v_mad_i64_i32 v[1:2], null, s20, v0, 0
	s_ashr_i32 s21, s20, 31
	s_cmp_gt_i32 s6, 0
	s_cselect_b32 s15, -1, 0
	s_and_b32 s16, s6, 7
	s_cmp_gt_u32 s6, 7
	v_lshlrev_b64 v[1:2], 3, v[1:2]
	s_cselect_b32 s17, -1, 0
	s_and_b32 s6, s6, 0x7ffffff8
	s_cmp_lg_u32 s16, 0
	v_add_co_u32 v1, vcc_lo, s12, v1
	v_add_co_ci_u32_e64 v2, null, s13, v2, vcc_lo
	s_cselect_b32 s12, -1, 0
	s_lshl_b64 s[2:3], s[20:21], 11
	s_mov_b32 s13, 0
	s_branch .LBB279_29
.LBB279_27:                             ;   in Loop: Header=BB279_29 Depth=1
	v_add_co_u32 v3, vcc_lo, s4, v3
	v_add_co_ci_u32_e64 v4, null, s5, v4, vcc_lo
	flat_store_dwordx2 v[3:4], v[5:6]
.LBB279_28:                             ;   in Loop: Header=BB279_29 Depth=1
	s_or_b32 exec_lo, exec_lo, s18
	v_add_co_u32 v1, vcc_lo, v1, s2
	v_add_co_ci_u32_e64 v2, null, s3, v2, vcc_lo
	s_addk_i32 s13, 0x100
	s_cmp_ge_i32 s13, s7
	s_cbranch_scc1 .LBB279_40
.LBB279_29:                             ; =>This Loop Header: Depth=1
                                        ;     Child Loop BB279_35 Depth 2
                                        ;     Child Loop BB279_39 Depth 2
	v_add_nc_u32_e32 v3, s13, v0
	s_mov_b32 s18, exec_lo
	v_cmpx_gt_i32_e64 s7, v3
	s_cbranch_execz .LBB279_28
; %bb.30:                               ;   in Loop: Header=BB279_29 Depth=1
	v_mad_u64_u32 v[4:5], null, v3, s10, 0
	s_andn2_b32 vcc_lo, exec_lo, s14
	v_mad_u64_u32 v[5:6], null, v3, s11, v[5:6]
	v_lshlrev_b64 v[3:4], 3, v[4:5]
	s_cbranch_vccnz .LBB279_32
; %bb.31:                               ;   in Loop: Header=BB279_29 Depth=1
	v_add_co_u32 v5, vcc_lo, s4, v3
	v_add_co_ci_u32_e64 v6, null, s5, v4, vcc_lo
	flat_load_dwordx2 v[5:6], v[5:6]
	s_waitcnt vmcnt(0) lgkmcnt(0)
	v_mul_f64 v[5:6], s[8:9], v[5:6]
	s_andn2_b32 vcc_lo, exec_lo, s15
	s_cbranch_vccz .LBB279_33
	s_branch .LBB279_27
.LBB279_32:                             ;   in Loop: Header=BB279_29 Depth=1
	v_mov_b32_e32 v5, 0
	v_mov_b32_e32 v6, 0
	s_andn2_b32 vcc_lo, exec_lo, s15
	s_cbranch_vccnz .LBB279_27
.LBB279_33:                             ;   in Loop: Header=BB279_29 Depth=1
	s_andn2_b32 vcc_lo, exec_lo, s17
	s_mov_b32 s0, 0
	s_cbranch_vccnz .LBB279_37
; %bb.34:                               ;   in Loop: Header=BB279_29 Depth=1
	v_mov_b32_e32 v8, v2
	v_mov_b32_e32 v7, v1
	s_mov_b32 s19, 0
	s_inst_prefetch 0x1
	.p2align	6
.LBB279_35:                             ;   Parent Loop BB279_29 Depth=1
                                        ; =>  This Inner Loop Header: Depth=2
	s_clause 0x3
	flat_load_dwordx4 v[9:12], v[7:8]
	flat_load_dwordx4 v[13:16], v[7:8] offset:16
	flat_load_dwordx4 v[17:20], v[7:8] offset:32
	;; [unrolled: 1-line block ×3, first 2 shown]
	v_mov_b32_e32 v33, s0
	v_add_co_u32 v7, vcc_lo, v7, 64
	v_add_co_ci_u32_e64 v8, null, 0, v8, vcc_lo
	ds_read_b128 v[25:28], v33
	ds_read_b128 v[29:32], v33 offset:16
	s_add_i32 s19, s19, 8
	s_add_i32 s0, s0, 64
	s_cmp_eq_u32 s6, s19
	s_waitcnt vmcnt(3) lgkmcnt(1)
	v_fma_f64 v[5:6], v[25:26], v[9:10], v[5:6]
	v_fma_f64 v[5:6], v[27:28], v[11:12], v[5:6]
	s_waitcnt vmcnt(2) lgkmcnt(0)
	v_fma_f64 v[5:6], v[29:30], v[13:14], v[5:6]
	v_fma_f64 v[5:6], v[31:32], v[15:16], v[5:6]
	ds_read_b128 v[9:12], v33 offset:32
	ds_read_b128 v[13:16], v33 offset:48
	s_waitcnt vmcnt(1) lgkmcnt(1)
	v_fma_f64 v[5:6], v[9:10], v[17:18], v[5:6]
	v_fma_f64 v[5:6], v[11:12], v[19:20], v[5:6]
	s_waitcnt vmcnt(0) lgkmcnt(0)
	v_fma_f64 v[5:6], v[13:14], v[21:22], v[5:6]
	v_fma_f64 v[5:6], v[15:16], v[23:24], v[5:6]
	s_cbranch_scc0 .LBB279_35
; %bb.36:                               ;   in Loop: Header=BB279_29 Depth=1
	s_inst_prefetch 0x2
	s_mov_b32 s0, s6
.LBB279_37:                             ;   in Loop: Header=BB279_29 Depth=1
	s_andn2_b32 vcc_lo, exec_lo, s12
	s_cbranch_vccnz .LBB279_27
; %bb.38:                               ;   in Loop: Header=BB279_29 Depth=1
	s_lshl_b64 s[20:21], s[0:1], 3
	s_lshl_b32 s0, s0, 3
	v_add_co_u32 v7, vcc_lo, v1, s20
	v_add_co_ci_u32_e64 v8, null, s21, v2, vcc_lo
	s_mov_b32 s19, s16
.LBB279_39:                             ;   Parent Loop BB279_29 Depth=1
                                        ; =>  This Inner Loop Header: Depth=2
	flat_load_dwordx2 v[9:10], v[7:8]
	v_mov_b32_e32 v11, s0
	v_add_co_u32 v7, vcc_lo, v7, 8
	v_add_co_ci_u32_e64 v8, null, 0, v8, vcc_lo
	ds_read_b64 v[11:12], v11
	s_add_i32 s19, s19, -1
	s_add_i32 s0, s0, 8
	s_cmp_lg_u32 s19, 0
	s_waitcnt vmcnt(0) lgkmcnt(0)
	v_fma_f64 v[5:6], v[11:12], v[9:10], v[5:6]
	s_cbranch_scc1 .LBB279_39
	s_branch .LBB279_27
.LBB279_40:
	s_endpgm
	.section	.rodata,"a",@progbits
	.p2align	6, 0x0
	.amdhsa_kernel _ZL22rocblas_gemvtsm_kernelILb1ELi256EPKddKPdEviiT2_lPKT1_lilS7_lilS4_lPT3_lil
		.amdhsa_group_segment_fixed_size 512
		.amdhsa_private_segment_fixed_size 0
		.amdhsa_kernarg_size 136
		.amdhsa_user_sgpr_count 6
		.amdhsa_user_sgpr_private_segment_buffer 1
		.amdhsa_user_sgpr_dispatch_ptr 0
		.amdhsa_user_sgpr_queue_ptr 0
		.amdhsa_user_sgpr_kernarg_segment_ptr 1
		.amdhsa_user_sgpr_dispatch_id 0
		.amdhsa_user_sgpr_flat_scratch_init 0
		.amdhsa_user_sgpr_private_segment_size 0
		.amdhsa_wavefront_size32 1
		.amdhsa_uses_dynamic_stack 0
		.amdhsa_system_sgpr_private_segment_wavefront_offset 0
		.amdhsa_system_sgpr_workgroup_id_x 1
		.amdhsa_system_sgpr_workgroup_id_y 0
		.amdhsa_system_sgpr_workgroup_id_z 0
		.amdhsa_system_sgpr_workgroup_info 0
		.amdhsa_system_vgpr_workitem_id 0
		.amdhsa_next_free_vgpr 34
		.amdhsa_next_free_sgpr 24
		.amdhsa_reserve_vcc 1
		.amdhsa_reserve_flat_scratch 1
		.amdhsa_float_round_mode_32 0
		.amdhsa_float_round_mode_16_64 0
		.amdhsa_float_denorm_mode_32 3
		.amdhsa_float_denorm_mode_16_64 3
		.amdhsa_dx10_clamp 1
		.amdhsa_ieee_mode 1
		.amdhsa_fp16_overflow 0
		.amdhsa_workgroup_processor_mode 1
		.amdhsa_memory_ordered 1
		.amdhsa_forward_progress 1
		.amdhsa_shared_vgpr_count 0
		.amdhsa_exception_fp_ieee_invalid_op 0
		.amdhsa_exception_fp_denorm_src 0
		.amdhsa_exception_fp_ieee_div_zero 0
		.amdhsa_exception_fp_ieee_overflow 0
		.amdhsa_exception_fp_ieee_underflow 0
		.amdhsa_exception_fp_ieee_inexact 0
		.amdhsa_exception_int_div_zero 0
	.end_amdhsa_kernel
	.section	.text._ZL22rocblas_gemvtsm_kernelILb1ELi256EPKddKPdEviiT2_lPKT1_lilS7_lilS4_lPT3_lil,"axG",@progbits,_ZL22rocblas_gemvtsm_kernelILb1ELi256EPKddKPdEviiT2_lPKT1_lilS7_lilS4_lPT3_lil,comdat
.Lfunc_end279:
	.size	_ZL22rocblas_gemvtsm_kernelILb1ELi256EPKddKPdEviiT2_lPKT1_lilS7_lilS4_lPT3_lil, .Lfunc_end279-_ZL22rocblas_gemvtsm_kernelILb1ELi256EPKddKPdEviiT2_lPKT1_lilS7_lilS4_lPT3_lil
                                        ; -- End function
	.set _ZL22rocblas_gemvtsm_kernelILb1ELi256EPKddKPdEviiT2_lPKT1_lilS7_lilS4_lPT3_lil.num_vgpr, 34
	.set _ZL22rocblas_gemvtsm_kernelILb1ELi256EPKddKPdEviiT2_lPKT1_lilS7_lilS4_lPT3_lil.num_agpr, 0
	.set _ZL22rocblas_gemvtsm_kernelILb1ELi256EPKddKPdEviiT2_lPKT1_lilS7_lilS4_lPT3_lil.numbered_sgpr, 24
	.set _ZL22rocblas_gemvtsm_kernelILb1ELi256EPKddKPdEviiT2_lPKT1_lilS7_lilS4_lPT3_lil.num_named_barrier, 0
	.set _ZL22rocblas_gemvtsm_kernelILb1ELi256EPKddKPdEviiT2_lPKT1_lilS7_lilS4_lPT3_lil.private_seg_size, 0
	.set _ZL22rocblas_gemvtsm_kernelILb1ELi256EPKddKPdEviiT2_lPKT1_lilS7_lilS4_lPT3_lil.uses_vcc, 1
	.set _ZL22rocblas_gemvtsm_kernelILb1ELi256EPKddKPdEviiT2_lPKT1_lilS7_lilS4_lPT3_lil.uses_flat_scratch, 1
	.set _ZL22rocblas_gemvtsm_kernelILb1ELi256EPKddKPdEviiT2_lPKT1_lilS7_lilS4_lPT3_lil.has_dyn_sized_stack, 0
	.set _ZL22rocblas_gemvtsm_kernelILb1ELi256EPKddKPdEviiT2_lPKT1_lilS7_lilS4_lPT3_lil.has_recursion, 0
	.set _ZL22rocblas_gemvtsm_kernelILb1ELi256EPKddKPdEviiT2_lPKT1_lilS7_lilS4_lPT3_lil.has_indirect_call, 0
	.section	.AMDGPU.csdata,"",@progbits
; Kernel info:
; codeLenInByte = 1452
; TotalNumSgprs: 26
; NumVgprs: 34
; ScratchSize: 0
; MemoryBound: 0
; FloatMode: 240
; IeeeMode: 1
; LDSByteSize: 512 bytes/workgroup (compile time only)
; SGPRBlocks: 0
; VGPRBlocks: 4
; NumSGPRsForWavesPerEU: 26
; NumVGPRsForWavesPerEU: 34
; Occupancy: 16
; WaveLimiterHint : 1
; COMPUTE_PGM_RSRC2:SCRATCH_EN: 0
; COMPUTE_PGM_RSRC2:USER_SGPR: 6
; COMPUTE_PGM_RSRC2:TRAP_HANDLER: 0
; COMPUTE_PGM_RSRC2:TGID_X_EN: 1
; COMPUTE_PGM_RSRC2:TGID_Y_EN: 0
; COMPUTE_PGM_RSRC2:TGID_Z_EN: 0
; COMPUTE_PGM_RSRC2:TIDIG_COMP_CNT: 0
	.section	.text._ZL23rocblas_gemvt_sn_kernelILb1ELi256ELi4EiPKdS1_dEviiT4_lPKT3_lilS5_lilPT5_i,"axG",@progbits,_ZL23rocblas_gemvt_sn_kernelILb1ELi256ELi4EiPKdS1_dEviiT4_lPKT3_lilS5_lilPT5_i,comdat
	.globl	_ZL23rocblas_gemvt_sn_kernelILb1ELi256ELi4EiPKdS1_dEviiT4_lPKT3_lilS5_lilPT5_i ; -- Begin function _ZL23rocblas_gemvt_sn_kernelILb1ELi256ELi4EiPKdS1_dEviiT4_lPKT3_lilS5_lilPT5_i
	.p2align	8
	.type	_ZL23rocblas_gemvt_sn_kernelILb1ELi256ELi4EiPKdS1_dEviiT4_lPKT3_lilS5_lilPT5_i,@function
_ZL23rocblas_gemvt_sn_kernelILb1ELi256ELi4EiPKdS1_dEviiT4_lPKT3_lilS5_lilPT5_i: ; @_ZL23rocblas_gemvt_sn_kernelILb1ELi256ELi4EiPKdS1_dEviiT4_lPKT3_lilS5_lilPT5_i
; %bb.0:
	s_load_dwordx8 s[8:15], s[4:5], 0x8
	s_mov_b32 s2, s7
	s_mov_b32 s3, 0
	s_mov_b64 s[16:17], 0
	s_waitcnt lgkmcnt(0)
	s_mul_i32 s0, s11, s7
	s_mul_hi_u32 s1, s10, s7
	s_add_i32 s1, s1, s0
	s_mul_i32 s0, s10, s7
	s_lshl_b64 s[0:1], s[0:1], 3
	s_add_u32 s0, s8, s0
	s_addc_u32 s1, s9, s1
	s_load_dwordx2 s[10:11], s[0:1], 0x0
	s_mov_b64 s[0:1], 0
	s_waitcnt lgkmcnt(0)
	v_cmp_eq_f64_e64 s7, s[10:11], 0
	v_cmp_neq_f64_e64 s8, s[10:11], 0
	s_and_b32 vcc_lo, exec_lo, s7
	s_cbranch_vccnz .LBB280_2
; %bb.1:
	s_lshl_b64 s[0:1], s[2:3], 3
	s_add_u32 s0, s12, s0
	s_addc_u32 s1, s13, s1
	s_lshl_b64 s[12:13], s[14:15], 3
	s_load_dwordx2 s[0:1], s[0:1], 0x0
	s_waitcnt lgkmcnt(0)
	s_add_u32 s0, s0, s12
	s_addc_u32 s1, s1, s13
.LBB280_2:
	s_andn2_b32 vcc_lo, exec_lo, s8
	s_cbranch_vccnz .LBB280_4
; %bb.3:
	s_load_dwordx4 s[12:15], s[4:5], 0x38
	s_lshl_b64 s[8:9], s[2:3], 3
	s_waitcnt lgkmcnt(0)
	s_add_u32 s8, s12, s8
	s_addc_u32 s9, s13, s9
	s_lshl_b64 s[12:13], s[14:15], 3
	s_load_dwordx2 s[8:9], s[8:9], 0x0
	s_waitcnt lgkmcnt(0)
	s_add_u32 s16, s8, s12
	s_addc_u32 s17, s9, s13
.LBB280_4:
	s_clause 0x2
	s_load_dwordx2 s[12:13], s[4:5], 0x0
	s_load_dword s14, s[4:5], 0x68
	s_load_dwordx2 s[8:9], s[4:5], 0x58
	s_waitcnt lgkmcnt(0)
	s_ashr_i32 s19, s13, 31
	s_mul_hi_u32 s3, s13, s2
	s_mul_i32 s15, s19, s2
	s_mul_i32 s2, s13, s2
	s_add_i32 s3, s3, s15
	s_mul_hi_u32 s15, s2, s14
	s_mul_i32 s3, s3, s14
	s_mul_i32 s2, s2, s14
	s_add_i32 s3, s15, s3
	s_mov_b32 s15, 0
	s_lshl_b64 s[2:3], s[2:3], 3
	s_add_u32 s31, s8, s2
	s_addc_u32 s33, s9, s3
	s_andn2_b32 vcc_lo, exec_lo, s7
	s_mov_b32 s2, -1
	s_cbranch_vccnz .LBB280_9
; %bb.5:
	v_cmp_eq_u32_e32 vcc_lo, 0, v0
	s_cmp_gt_i32 s13, 0
	s_cselect_b32 s2, -1, 0
	s_and_b32 s2, vcc_lo, s2
	s_and_saveexec_b32 s18, s2
	s_cbranch_execz .LBB280_8
; %bb.6:
	v_mov_b32_e32 v1, 0
	s_mov_b32 s7, 0
	s_lshl_b64 s[2:3], s[6:7], 3
	s_mov_b32 s7, s13
	v_mov_b32_e32 v2, v1
	s_add_u32 s2, s31, s2
	s_addc_u32 s3, s33, s3
	s_lshl_b64 s[8:9], s[14:15], 3
.LBB280_7:                              ; =>This Inner Loop Header: Depth=1
	s_add_i32 s7, s7, -1
	global_store_dwordx2 v1, v[1:2], s[2:3]
	s_add_u32 s2, s2, s8
	s_addc_u32 s3, s3, s9
	s_cmp_eq_u32 s7, 0
	s_cbranch_scc0 .LBB280_7
.LBB280_8:
	s_or_b32 exec_lo, exec_lo, s18
	s_mov_b32 s2, 0
.LBB280_9:
	s_andn2_b32 vcc_lo, exec_lo, s2
	s_cbranch_vccnz .LBB280_62
; %bb.10:
	s_clause 0x1
	s_load_dword s18, s[4:5], 0x28
	s_load_dword s15, s[4:5], 0x48
	s_lshl_b32 s2, s6, 10
	s_lshr_b32 s3, s19, 30
	v_lshl_or_b32 v1, v0, 2, s2
	s_ashr_i32 s2, s12, 31
	s_add_i32 s3, s13, s3
	s_lshr_b32 s2, s2, 30
	v_and_b32_e32 v35, 31, v0
	v_ashrrev_i32_e32 v2, 31, v1
	s_add_i32 s2, s12, s2
	v_add_nc_u32_e32 v38, 4, v1
	s_and_b32 s2, s2, -4
	v_mbcnt_lo_u32_b32 v37, -1, 0
	v_lshlrev_b64 v[2:3], 3, v[1:2]
	s_sub_i32 s30, s12, s2
	v_lshrrev_b32_e32 v36, 2, v0
	v_add_nc_u32_e32 v39, s30, v1
	v_cmp_eq_u32_e64 s2, 0, v0
	s_and_b32 s34, s3, -4
	v_add_co_u32 v33, vcc_lo, s0, v2
	s_waitcnt lgkmcnt(0)
	v_mul_lo_u32 v19, s15, v1
	v_add_co_ci_u32_e64 v34, null, s1, v3, vcc_lo
	v_cmp_gt_u32_e64 s0, 32, v0
	v_cmp_gt_u32_e64 s1, 8, v0
	s_cmp_lt_i32 s34, 1
	s_cbranch_scc1 .LBB280_37
; %bb.11:
	v_cmp_gt_u32_e32 vcc_lo, 24, v37
	v_mul_lo_u32 v20, s15, v1
	v_mov_b32_e32 v9, 0
	s_cmp_gt_i32 s30, 0
	s_mov_b32 s21, 0
	v_cndmask_b32_e64 v2, 0, 8, vcc_lo
	v_cmp_gt_u32_e32 vcc_lo, 28, v37
	v_mov_b32_e32 v10, v9
	v_mov_b32_e32 v11, v9
	v_add_nc_u32_e32 v1, s15, v20
	v_ashrrev_i32_e32 v21, 31, v20
	v_cndmask_b32_e64 v3, 0, 4, vcc_lo
	v_cmp_gt_u32_e32 vcc_lo, 30, v37
	v_add_lshl_u32 v41, v2, v37, 2
	v_ashrrev_i32_e32 v2, 31, v1
	v_mov_b32_e32 v12, v9
	v_add_lshl_u32 v42, v3, v37, 2
	v_cndmask_b32_e64 v4, 0, 2, vcc_lo
	v_cmp_ne_u32_e32 vcc_lo, 31, v37
	v_add_nc_u32_e32 v3, s15, v1
	v_lshlrev_b64 v[1:2], 3, v[1:2]
	v_mov_b32_e32 v13, v9
	v_add_lshl_u32 v43, v4, v37, 2
	v_add_co_ci_u32_e64 v5, null, 0, v37, vcc_lo
	v_add_nc_u32_e32 v7, s15, v3
	v_ashrrev_i32_e32 v4, 31, v3
	v_mov_b32_e32 v14, v9
	v_lshlrev_b32_e32 v44, 2, v5
	v_lshlrev_b64 v[5:6], 3, v[20:21]
	v_ashrrev_i32_e32 v8, 31, v7
	v_lshlrev_b64 v[3:4], 3, v[3:4]
	v_mov_b32_e32 v15, v9
	v_mov_b32_e32 v16, v9
	v_cmp_ge_i32_e64 s3, s12, v38
	v_add_co_u32 v21, vcc_lo, s16, v5
	v_add_co_ci_u32_e64 v22, null, s17, v6, vcc_lo
	v_add_co_u32 v23, vcc_lo, s16, v1
	v_add_co_ci_u32_e64 v24, null, s17, v2, vcc_lo
	v_lshlrev_b64 v[1:2], 3, v[7:8]
	v_add_co_u32 v25, vcc_lo, s16, v3
	v_add_co_ci_u32_e64 v26, null, s17, v4, vcc_lo
	v_cmp_ge_i32_e64 s4, s12, v39
	v_add_co_u32 v27, vcc_lo, s16, v1
	v_add_co_ci_u32_e64 v28, null, s17, v2, vcc_lo
	v_mov_b32_e32 v1, v9
	v_lshl_or_b32 v40, v37, 2, 64
	v_cmp_eq_u32_e64 s5, 0, v35
	v_lshlrev_b32_e32 v45, 3, v35
	v_and_b32_e32 v46, 56, v36
	v_mov_b32_e32 v2, v10
	v_mov_b32_e32 v3, v11
	;; [unrolled: 1-line block ×7, first 2 shown]
	s_cselect_b32 s35, -1, 0
	s_mov_b32 s19, s21
	s_lshl_b32 s20, s18, 1
	s_lshl_b32 s36, s18, 2
	s_mul_i32 s37, s18, 3
	s_mov_b32 s38, s21
	s_mov_b32 s22, s21
	s_mov_b64 s[24:25], s[20:21]
	s_mov_b64 s[26:27], s[18:19]
	s_mov_b32 s19, 0
	s_branch .LBB280_13
.LBB280_12:                             ;   in Loop: Header=BB280_13 Depth=1
	s_or_b32 exec_lo, exec_lo, s7
	s_add_i32 s19, s19, 4
	s_add_u32 s26, s26, s36
	s_addc_u32 s27, s27, 0
	s_add_u32 s24, s24, s36
	s_addc_u32 s25, s25, 0
	;; [unrolled: 2-line block ×3, first 2 shown]
	s_add_i32 s22, s22, s36
	s_cmp_ge_i32 s19, s34
	s_cbranch_scc1 .LBB280_38
.LBB280_13:                             ; =>This Loop Header: Depth=1
                                        ;     Child Loop BB280_19 Depth 2
                                        ;     Child Loop BB280_22 Depth 2
	;; [unrolled: 1-line block ×3, first 2 shown]
                                        ; implicit-def: $vgpr11_vgpr12_vgpr13_vgpr14_vgpr15_vgpr16_vgpr17_vgpr18
	s_and_saveexec_b32 s7, s3
	s_xor_b32 s7, exec_lo, s7
	s_cbranch_execz .LBB280_15
; %bb.14:                               ;   in Loop: Header=BB280_13 Depth=1
	s_mul_i32 s8, s19, s18
	s_ashr_i32 s9, s8, 31
	s_add_i32 s28, s8, s18
	s_lshl_b64 s[8:9], s[8:9], 3
	s_ashr_i32 s29, s28, 31
	v_add_co_u32 v7, vcc_lo, v33, s8
	v_add_co_ci_u32_e64 v8, null, s9, v34, vcc_lo
	s_lshl_b64 s[8:9], s[28:29], 3
	s_add_i32 s28, s28, s18
	v_add_co_u32 v55, vcc_lo, v33, s8
	s_ashr_i32 s29, s28, 31
	s_add_i32 s8, s28, s18
	v_add_co_ci_u32_e64 v56, null, s9, v34, vcc_lo
	s_lshl_b64 s[28:29], s[28:29], 3
	s_ashr_i32 s9, s8, 31
	v_add_co_u32 v59, vcc_lo, v33, s28
	s_lshl_b64 s[8:9], s[8:9], 3
	v_add_co_ci_u32_e64 v60, null, s29, v34, vcc_lo
	v_add_co_u32 v63, vcc_lo, v33, s8
	v_add_co_ci_u32_e64 v64, null, s9, v34, vcc_lo
	flat_load_dwordx2 v[1:2], v[21:22]
	s_clause 0x3
	flat_load_dwordx4 v[10:13], v[7:8]
	flat_load_dwordx4 v[14:17], v[55:56]
	;; [unrolled: 1-line block ×4, first 2 shown]
	s_clause 0x1
	flat_load_dwordx2 v[3:4], v[23:24]
	flat_load_dwordx2 v[5:6], v[25:26]
	s_clause 0x3
	flat_load_dwordx4 v[51:54], v[7:8] offset:16
	flat_load_dwordx4 v[55:58], v[55:56] offset:16
	;; [unrolled: 1-line block ×4, first 2 shown]
	flat_load_dwordx2 v[7:8], v[27:28]
	s_waitcnt vmcnt(10) lgkmcnt(10)
	v_fma_f64 v[10:11], v[1:2], v[10:11], 0
	s_waitcnt vmcnt(9) lgkmcnt(9)
	v_fma_f64 v[14:15], v[1:2], v[14:15], 0
	;; [unrolled: 2-line block ×5, first 2 shown]
	v_fma_f64 v[12:13], v[3:4], v[16:17], v[14:15]
	v_fma_f64 v[14:15], v[3:4], v[31:32], v[29:30]
	;; [unrolled: 1-line block ×3, first 2 shown]
	s_waitcnt vmcnt(4) lgkmcnt(4)
	v_fma_f64 v[10:11], v[5:6], v[51:52], v[10:11]
	s_waitcnt vmcnt(3) lgkmcnt(3)
	v_fma_f64 v[29:30], v[5:6], v[55:56], v[12:13]
	;; [unrolled: 2-line block ×5, first 2 shown]
	v_fma_f64 v[13:14], v[7:8], v[57:58], v[29:30]
	v_fma_f64 v[15:16], v[7:8], v[61:62], v[31:32]
	;; [unrolled: 1-line block ×3, first 2 shown]
.LBB280_15:                             ;   in Loop: Header=BB280_13 Depth=1
	s_andn2_saveexec_b32 s20, s7
	s_cbranch_execz .LBB280_25
; %bb.16:                               ;   in Loop: Header=BB280_13 Depth=1
	v_mov_b32_e32 v16, v9
	v_mov_b32_e32 v10, v9
	;; [unrolled: 1-line block ×15, first 2 shown]
	s_and_saveexec_b32 s39, s4
	s_cbranch_execz .LBB280_24
; %bb.17:                               ;   in Loop: Header=BB280_13 Depth=1
	s_andn2_b32 vcc_lo, exec_lo, s35
	s_cbranch_vccnz .LBB280_20
; %bb.18:                               ;   in Loop: Header=BB280_13 Depth=1
	v_mov_b32_e32 v10, v20
	s_mov_b64 s[28:29], 0
	s_inst_prefetch 0x1
	.p2align	6
.LBB280_19:                             ;   Parent Loop BB280_13 Depth=1
                                        ; =>  This Inner Loop Header: Depth=2
	v_ashrrev_i32_e32 v11, 31, v10
	s_cmp_eq_u32 s28, 3
	v_lshlrev_b64 v[11:12], 3, v[10:11]
	v_add_nc_u32_e32 v10, s15, v10
	v_add_co_u32 v11, vcc_lo, s16, v11
	v_add_co_ci_u32_e64 v12, null, s17, v12, vcc_lo
	s_cselect_b32 vcc_lo, -1, 0
	s_cmp_eq_u32 s28, 2
	s_cselect_b32 s7, -1, 0
	flat_load_dwordx2 v[11:12], v[11:12]
	s_cmp_eq_u32 s28, 1
	s_cselect_b32 s8, -1, 0
	s_cmp_eq_u32 s28, 0
	s_cselect_b32 s9, -1, 0
	s_add_u32 s28, s28, 1
	s_addc_u32 s29, s29, 0
	s_cmp_eq_u32 s30, s28
	s_waitcnt vmcnt(0) lgkmcnt(0)
	v_cndmask_b32_e32 v8, v8, v12, vcc_lo
	v_cndmask_b32_e32 v7, v7, v11, vcc_lo
	v_cndmask_b32_e64 v6, v6, v12, s7
	v_cndmask_b32_e64 v5, v5, v11, s7
	;; [unrolled: 1-line block ×6, first 2 shown]
	s_cbranch_scc0 .LBB280_19
.LBB280_20:                             ;   in Loop: Header=BB280_13 Depth=1
	s_inst_prefetch 0x2
	s_andn2_b32 vcc_lo, exec_lo, s35
	s_cbranch_vccnz .LBB280_23
; %bb.21:                               ;   in Loop: Header=BB280_13 Depth=1
	s_ashr_i32 s23, s22, 31
	v_mov_b32_e32 v11, 0
	s_lshl_b64 s[8:9], s[22:23], 3
	v_mov_b32_e32 v13, 0
	v_add_co_u32 v29, vcc_lo, v33, s8
	v_mov_b32_e32 v15, 0
	v_mov_b32_e32 v17, 0
	;; [unrolled: 1-line block ×6, first 2 shown]
	v_add_co_ci_u32_e64 v30, null, s9, v34, vcc_lo
	s_mov_b64 s[28:29], 0
.LBB280_22:                             ;   Parent Loop BB280_13 Depth=1
                                        ; =>  This Inner Loop Header: Depth=2
	s_cmp_eq_u32 s28, 1
	s_cselect_b32 vcc_lo, -1, 0
	s_cmp_eq_u32 s28, 2
	v_cndmask_b32_e32 v10, v2, v4, vcc_lo
	s_cselect_b32 s7, -1, 0
	s_cmp_eq_u32 s28, 3
	v_cndmask_b32_e32 v53, v1, v3, vcc_lo
	s_cselect_b32 s8, -1, 0
	s_add_i32 s40, s26, s28
	s_add_i32 s42, s24, s28
	s_ashr_i32 s41, s40, 31
	s_add_i32 s44, s37, s28
	s_ashr_i32 s43, s42, 31
	s_lshl_b64 s[40:41], s[40:41], 3
	s_ashr_i32 s45, s44, 31
	s_lshl_b64 s[42:43], s[42:43], 3
	v_add_co_u32 v31, s9, v33, s40
	s_lshl_b64 s[44:45], s[44:45], 3
	v_add_co_ci_u32_e64 v32, null, s41, v34, s9
	v_add_co_u32 v47, s9, v33, s42
	v_add_co_ci_u32_e64 v48, null, s43, v34, s9
	v_add_co_u32 v49, s9, v33, s44
	v_add_co_ci_u32_e64 v50, null, s45, v34, s9
	flat_load_dwordx2 v[51:52], v[29:30]
	s_clause 0x2
	flat_load_dwordx2 v[31:32], v[31:32]
	flat_load_dwordx2 v[47:48], v[47:48]
	;; [unrolled: 1-line block ×3, first 2 shown]
	v_cndmask_b32_e64 v10, v10, v6, s7
	v_cndmask_b32_e64 v53, v53, v5, s7
	v_add_co_u32 v29, vcc_lo, v29, 8
	v_add_co_ci_u32_e64 v30, null, 0, v30, vcc_lo
	v_cndmask_b32_e64 v54, v10, v8, s8
	v_cndmask_b32_e64 v53, v53, v7, s8
	s_add_u32 s28, s28, 1
	s_addc_u32 s29, s29, 0
	s_cmp_lg_u32 s30, s28
	s_waitcnt vmcnt(3) lgkmcnt(3)
	v_fma_f64 v[11:12], v[53:54], v[51:52], v[11:12]
	s_waitcnt vmcnt(2) lgkmcnt(2)
	v_fma_f64 v[13:14], v[53:54], v[31:32], v[13:14]
	;; [unrolled: 2-line block ×4, first 2 shown]
	s_cbranch_scc1 .LBB280_22
	s_branch .LBB280_24
.LBB280_23:                             ;   in Loop: Header=BB280_13 Depth=1
	v_mov_b32_e32 v16, v9
	v_mov_b32_e32 v10, v9
	;; [unrolled: 1-line block ×15, first 2 shown]
.LBB280_24:                             ;   in Loop: Header=BB280_13 Depth=1
	s_or_b32 exec_lo, exec_lo, s39
.LBB280_25:                             ;   in Loop: Header=BB280_13 Depth=1
	s_or_b32 exec_lo, exec_lo, s20
	s_mov_b64 s[8:9], 0
	s_branch .LBB280_27
.LBB280_26:                             ;   in Loop: Header=BB280_27 Depth=2
	s_or_b32 exec_lo, exec_lo, s7
	s_cmp_eq_u32 s8, 3
	s_cselect_b32 vcc_lo, -1, 0
	s_cmp_eq_u32 s8, 2
	s_waitcnt lgkmcnt(0)
	v_cndmask_b32_e32 v18, v18, v30, vcc_lo
	v_cndmask_b32_e32 v17, v17, v29, vcc_lo
	s_cselect_b32 vcc_lo, -1, 0
	s_cmp_eq_u32 s8, 1
	v_cndmask_b32_e32 v16, v16, v30, vcc_lo
	v_cndmask_b32_e32 v15, v15, v29, vcc_lo
	s_cselect_b32 vcc_lo, -1, 0
	s_cmp_eq_u32 s8, 0
	v_cndmask_b32_e32 v14, v14, v30, vcc_lo
	v_cndmask_b32_e32 v13, v13, v29, vcc_lo
	s_cselect_b32 vcc_lo, -1, 0
	s_add_u32 s8, s8, 1
	v_cndmask_b32_e32 v12, v12, v30, vcc_lo
	v_cndmask_b32_e32 v11, v11, v29, vcc_lo
	s_addc_u32 s9, s9, 0
	s_cmp_eq_u32 s8, 4
	s_cbranch_scc1 .LBB280_35
.LBB280_27:                             ;   Parent Loop BB280_13 Depth=1
                                        ; =>  This Inner Loop Header: Depth=2
	s_and_saveexec_b32 s7, s0
; %bb.28:                               ;   in Loop: Header=BB280_27 Depth=2
	v_mov_b32_e32 v10, v9
	ds_write_b64 v45, v[9:10]
; %bb.29:                               ;   in Loop: Header=BB280_27 Depth=2
	s_or_b32 exec_lo, exec_lo, s7
	s_cmp_eq_u32 s8, 1
	s_waitcnt lgkmcnt(0)
	s_waitcnt_vscnt null, 0x0
	s_cselect_b32 vcc_lo, -1, 0
	s_cmp_eq_u32 s8, 2
	v_cndmask_b32_e32 v10, v12, v14, vcc_lo
	v_cndmask_b32_e32 v29, v11, v13, vcc_lo
	s_cselect_b32 vcc_lo, -1, 0
	s_cmp_eq_u32 s8, 3
	s_barrier
	v_cndmask_b32_e32 v10, v10, v16, vcc_lo
	v_cndmask_b32_e32 v29, v29, v15, vcc_lo
	s_cselect_b32 vcc_lo, -1, 0
	buffer_gl0_inv
	v_cndmask_b32_e32 v30, v10, v18, vcc_lo
	v_cndmask_b32_e32 v29, v29, v17, vcc_lo
	ds_bpermute_b32 v32, v40, v30
	ds_bpermute_b32 v31, v40, v29
	s_waitcnt lgkmcnt(0)
	v_add_f64 v[29:30], v[29:30], v[31:32]
	ds_bpermute_b32 v31, v41, v29
	ds_bpermute_b32 v32, v41, v30
	s_waitcnt lgkmcnt(0)
	v_add_f64 v[29:30], v[29:30], v[31:32]
	;; [unrolled: 4-line block ×4, first 2 shown]
	ds_bpermute_b32 v31, v44, v29
	ds_bpermute_b32 v32, v44, v30
	s_and_saveexec_b32 s7, s5
	s_cbranch_execz .LBB280_31
; %bb.30:                               ;   in Loop: Header=BB280_27 Depth=2
	s_waitcnt lgkmcnt(0)
	v_add_f64 v[29:30], v[29:30], v[31:32]
	ds_write_b64 v46, v[29:30]
.LBB280_31:                             ;   in Loop: Header=BB280_27 Depth=2
	s_or_b32 exec_lo, exec_lo, s7
	v_mov_b32_e32 v29, 0
	v_mov_b32_e32 v30, 0
	s_waitcnt lgkmcnt(0)
	s_barrier
	buffer_gl0_inv
	s_and_saveexec_b32 s7, s1
; %bb.32:                               ;   in Loop: Header=BB280_27 Depth=2
	ds_read_b64 v[29:30], v45
; %bb.33:                               ;   in Loop: Header=BB280_27 Depth=2
	s_or_b32 exec_lo, exec_lo, s7
	s_and_saveexec_b32 s7, s0
	s_cbranch_execz .LBB280_26
; %bb.34:                               ;   in Loop: Header=BB280_27 Depth=2
	s_waitcnt lgkmcnt(0)
	ds_bpermute_b32 v31, v42, v29
	ds_bpermute_b32 v32, v42, v30
	s_waitcnt lgkmcnt(0)
	v_add_f64 v[29:30], v[29:30], v[31:32]
	ds_bpermute_b32 v31, v43, v29
	ds_bpermute_b32 v32, v43, v30
	s_waitcnt lgkmcnt(0)
	v_add_f64 v[29:30], v[29:30], v[31:32]
	ds_bpermute_b32 v31, v44, v29
	ds_bpermute_b32 v32, v44, v30
	s_waitcnt lgkmcnt(0)
	v_add_f64 v[29:30], v[29:30], v[31:32]
	s_branch .LBB280_26
.LBB280_35:                             ;   in Loop: Header=BB280_13 Depth=1
	s_and_saveexec_b32 s7, s2
	s_cbranch_execz .LBB280_12
; %bb.36:                               ;   in Loop: Header=BB280_13 Depth=1
	s_mul_i32 s8, s19, s14
	v_mul_f64 v[10:11], s[10:11], v[11:12]
	v_mul_f64 v[12:13], s[10:11], v[13:14]
	;; [unrolled: 1-line block ×3, first 2 shown]
	s_add_i32 s20, s8, s6
	v_mul_f64 v[16:17], s[10:11], v[17:18]
	s_lshl_b64 s[8:9], s[20:21], 3
	s_add_u32 s8, s31, s8
	s_addc_u32 s9, s33, s9
	s_add_i32 s20, s20, s14
	s_lshl_b64 s[28:29], s[20:21], 3
	s_add_u32 s28, s31, s28
	s_addc_u32 s29, s33, s29
	s_add_i32 s20, s20, s14
	global_store_dwordx2 v9, v[10:11], s[8:9]
	global_store_dwordx2 v9, v[12:13], s[28:29]
	s_lshl_b64 s[40:41], s[20:21], 3
	s_add_u32 s40, s31, s40
	s_addc_u32 s41, s33, s41
	s_add_i32 s20, s20, s14
	s_lshl_b64 s[42:43], s[20:21], 3
	s_add_u32 s42, s31, s42
	s_addc_u32 s43, s33, s43
	global_store_dwordx2 v9, v[14:15], s[40:41]
	global_store_dwordx2 v9, v[16:17], s[42:43]
	s_branch .LBB280_12
.LBB280_37:
	v_mov_b32_e32 v1, 0
	s_mov_b32 s19, 0
	v_mov_b32_e32 v2, v1
	v_mov_b32_e32 v3, v1
	v_mov_b32_e32 v4, v1
	v_mov_b32_e32 v5, v1
	v_mov_b32_e32 v6, v1
	v_mov_b32_e32 v7, v1
	v_mov_b32_e32 v8, v1
.LBB280_38:
	s_cmp_ge_i32 s19, s13
	s_cbranch_scc1 .LBB280_62
; %bb.39:
	v_cmp_gt_u32_e32 vcc_lo, 24, v37
	v_ashrrev_i32_e32 v20, 31, v19
	s_cmp_gt_i32 s30, 0
	s_mov_b32 s7, 0
	v_cmp_ge_i32_e64 s0, s12, v38
	v_cndmask_b32_e64 v9, 0, 8, vcc_lo
	v_cmp_gt_u32_e32 vcc_lo, 28, v37
	v_lshlrev_b64 v[13:14], 3, v[19:20]
	v_cmp_ge_i32_e64 s1, s12, v39
	s_cselect_b32 s12, -1, 0
	v_add_lshl_u32 v26, v9, v37, 2
	v_cndmask_b32_e64 v10, 0, 4, vcc_lo
	v_cmp_gt_u32_e32 vcc_lo, 30, v37
	v_add_nc_u32_e32 v9, s15, v19
	v_cmp_gt_u32_e64 s2, 32, v0
	v_lshlrev_b32_e32 v24, 3, v35
	v_add_lshl_u32 v27, v10, v37, 2
	v_cndmask_b32_e64 v11, 0, 2, vcc_lo
	v_cmp_ne_u32_e32 vcc_lo, 31, v37
	v_ashrrev_i32_e32 v10, 31, v9
	v_lshl_or_b32 v25, v37, 2, 64
	v_cmp_eq_u32_e64 s3, 0, v35
	v_add_lshl_u32 v28, v11, v37, 2
	v_add_nc_u32_e32 v11, s15, v9
	v_add_co_ci_u32_e64 v12, null, 0, v37, vcc_lo
	v_lshlrev_b64 v[15:16], 3, v[9:10]
	v_add_co_u32 v9, vcc_lo, s16, v13
	v_add_nc_u32_e32 v17, s15, v11
	v_lshlrev_b32_e32 v29, 2, v12
	v_ashrrev_i32_e32 v12, 31, v11
	v_add_co_ci_u32_e64 v10, null, s17, v14, vcc_lo
	v_ashrrev_i32_e32 v18, 31, v17
	v_and_b32_e32 v30, 56, v36
	v_lshlrev_b64 v[13:14], 3, v[11:12]
	v_add_co_u32 v11, vcc_lo, s16, v15
	v_add_co_ci_u32_e64 v12, null, s17, v16, vcc_lo
	v_lshlrev_b64 v[15:16], 3, v[17:18]
	v_add_co_u32 v13, vcc_lo, s16, v13
	v_add_co_ci_u32_e64 v14, null, s17, v14, vcc_lo
	v_cmp_gt_u32_e64 s4, 8, v0
	v_add_co_u32 v15, vcc_lo, s16, v15
	v_cmp_eq_u32_e64 s5, 0, v0
	s_lshl_b64 s[8:9], s[6:7], 3
	v_add_co_ci_u32_e64 v16, null, s17, v16, vcc_lo
	v_mov_b32_e32 v17, 0
	s_add_u32 s24, s31, s8
	s_addc_u32 s25, s33, s9
	s_mul_i32 s20, s19, s18
	s_branch .LBB280_41
.LBB280_40:                             ;   in Loop: Header=BB280_41 Depth=1
	s_or_b32 exec_lo, exec_lo, s6
	s_add_i32 s19, s19, 1
	s_add_i32 s20, s20, s18
	s_cmp_ge_i32 s19, s13
	s_cbranch_scc1 .LBB280_62
.LBB280_41:                             ; =>This Loop Header: Depth=1
                                        ;     Child Loop BB280_54 Depth 2
                                        ;     Child Loop BB280_57 Depth 2
	s_waitcnt lgkmcnt(0)
	v_mov_b32_e32 v20, s7
	v_mov_b32_e32 v21, s7
	s_and_saveexec_b32 s6, s0
	s_xor_b32 s6, exec_lo, s6
	s_cbranch_execnz .LBB280_50
; %bb.42:                               ;   in Loop: Header=BB280_41 Depth=1
	s_andn2_saveexec_b32 s26, s6
	s_cbranch_execnz .LBB280_51
.LBB280_43:                             ;   in Loop: Header=BB280_41 Depth=1
	s_or_b32 exec_lo, exec_lo, s26
	s_and_saveexec_b32 s6, s2
.LBB280_44:                             ;   in Loop: Header=BB280_41 Depth=1
	v_mov_b32_e32 v18, v17
	ds_write_b64 v24, v[17:18]
.LBB280_45:                             ;   in Loop: Header=BB280_41 Depth=1
	s_or_b32 exec_lo, exec_lo, s6
	ds_bpermute_b32 v22, v25, v20
	ds_bpermute_b32 v23, v25, v21
	s_waitcnt lgkmcnt(0)
	s_waitcnt_vscnt null, 0x0
	s_barrier
	buffer_gl0_inv
	v_add_f64 v[20:21], v[20:21], v[22:23]
	ds_bpermute_b32 v22, v26, v20
	ds_bpermute_b32 v23, v26, v21
	s_waitcnt lgkmcnt(0)
	v_add_f64 v[20:21], v[20:21], v[22:23]
	ds_bpermute_b32 v22, v27, v20
	ds_bpermute_b32 v23, v27, v21
	s_waitcnt lgkmcnt(0)
	;; [unrolled: 4-line block ×3, first 2 shown]
	v_add_f64 v[20:21], v[20:21], v[22:23]
	ds_bpermute_b32 v22, v29, v20
	ds_bpermute_b32 v23, v29, v21
	s_and_saveexec_b32 s6, s3
	s_cbranch_execz .LBB280_47
; %bb.46:                               ;   in Loop: Header=BB280_41 Depth=1
	s_waitcnt lgkmcnt(0)
	v_add_f64 v[20:21], v[20:21], v[22:23]
	ds_write_b64 v30, v[20:21]
.LBB280_47:                             ;   in Loop: Header=BB280_41 Depth=1
	s_or_b32 exec_lo, exec_lo, s6
	v_mov_b32_e32 v20, 0
	v_mov_b32_e32 v21, 0
	s_waitcnt lgkmcnt(0)
	s_barrier
	buffer_gl0_inv
	s_and_saveexec_b32 s6, s4
	s_cbranch_execnz .LBB280_59
; %bb.48:                               ;   in Loop: Header=BB280_41 Depth=1
	s_or_b32 exec_lo, exec_lo, s6
	s_and_saveexec_b32 s6, s2
	s_cbranch_execnz .LBB280_60
.LBB280_49:                             ;   in Loop: Header=BB280_41 Depth=1
	s_or_b32 exec_lo, exec_lo, s6
	s_and_saveexec_b32 s6, s5
	s_cbranch_execz .LBB280_40
	s_branch .LBB280_61
.LBB280_50:                             ;   in Loop: Header=BB280_41 Depth=1
	s_mul_i32 s8, s19, s18
	s_ashr_i32 s9, s8, 31
	s_lshl_b64 s[8:9], s[8:9], 3
	v_add_co_u32 v5, vcc_lo, v33, s8
	v_add_co_ci_u32_e64 v6, null, s9, v34, vcc_lo
	flat_load_dwordx4 v[20:23], v[5:6]
	s_clause 0x1
	flat_load_dwordx2 v[1:2], v[9:10]
	flat_load_dwordx2 v[3:4], v[11:12]
	flat_load_dwordx4 v[35:38], v[5:6] offset:16
	s_clause 0x1
	flat_load_dwordx2 v[5:6], v[13:14]
	flat_load_dwordx2 v[7:8], v[15:16]
	s_waitcnt vmcnt(4) lgkmcnt(4)
	v_fma_f64 v[20:21], v[1:2], v[20:21], 0
	s_waitcnt vmcnt(3) lgkmcnt(3)
	v_fma_f64 v[20:21], v[3:4], v[22:23], v[20:21]
	;; [unrolled: 2-line block ×4, first 2 shown]
	s_andn2_saveexec_b32 s26, s6
	s_cbranch_execz .LBB280_43
.LBB280_51:                             ;   in Loop: Header=BB280_41 Depth=1
	s_and_saveexec_b32 s27, s1
	s_cbranch_execz .LBB280_58
; %bb.52:                               ;   in Loop: Header=BB280_41 Depth=1
	s_andn2_b32 vcc_lo, exec_lo, s12
	s_cbranch_vccnz .LBB280_55
; %bb.53:                               ;   in Loop: Header=BB280_41 Depth=1
	v_mov_b32_e32 v22, v19
	s_mov_b64 s[22:23], 0
	s_inst_prefetch 0x1
	.p2align	6
.LBB280_54:                             ;   Parent Loop BB280_41 Depth=1
                                        ; =>  This Inner Loop Header: Depth=2
	v_ashrrev_i32_e32 v23, 31, v22
	s_cmp_eq_u32 s22, 3
	v_lshlrev_b64 v[31:32], 3, v[22:23]
	v_add_nc_u32_e32 v22, s15, v22
	v_add_co_u32 v31, vcc_lo, s16, v31
	v_add_co_ci_u32_e64 v32, null, s17, v32, vcc_lo
	s_cselect_b32 vcc_lo, -1, 0
	s_cmp_eq_u32 s22, 2
	s_cselect_b32 s6, -1, 0
	flat_load_dwordx2 v[31:32], v[31:32]
	s_cmp_eq_u32 s22, 1
	s_cselect_b32 s8, -1, 0
	s_cmp_eq_u32 s22, 0
	s_cselect_b32 s9, -1, 0
	s_add_u32 s22, s22, 1
	s_addc_u32 s23, s23, 0
	s_cmp_eq_u32 s30, s22
	s_waitcnt vmcnt(0) lgkmcnt(0)
	v_cndmask_b32_e32 v8, v8, v32, vcc_lo
	v_cndmask_b32_e32 v7, v7, v31, vcc_lo
	v_cndmask_b32_e64 v6, v6, v32, s6
	v_cndmask_b32_e64 v5, v5, v31, s6
	;; [unrolled: 1-line block ×6, first 2 shown]
	s_cbranch_scc0 .LBB280_54
.LBB280_55:                             ;   in Loop: Header=BB280_41 Depth=1
	s_inst_prefetch 0x2
	s_andn2_b32 vcc_lo, exec_lo, s12
	s_cbranch_vccnz .LBB280_58
; %bb.56:                               ;   in Loop: Header=BB280_41 Depth=1
	s_ashr_i32 s21, s20, 31
	s_lshl_b64 s[8:9], s[20:21], 3
	v_add_co_u32 v22, vcc_lo, v33, s8
	v_add_co_ci_u32_e64 v23, null, s9, v34, vcc_lo
	s_mov_b64 s[8:9], 0
	.p2align	6
.LBB280_57:                             ;   Parent Loop BB280_41 Depth=1
                                        ; =>  This Inner Loop Header: Depth=2
	flat_load_dwordx2 v[31:32], v[22:23]
	s_cmp_eq_u32 s8, 1
	s_cselect_b32 vcc_lo, -1, 0
	s_cmp_eq_u32 s8, 2
	v_cndmask_b32_e32 v0, v2, v4, vcc_lo
	v_cndmask_b32_e32 v18, v1, v3, vcc_lo
	s_cselect_b32 vcc_lo, -1, 0
	s_cmp_eq_u32 s8, 3
	v_cndmask_b32_e32 v0, v0, v6, vcc_lo
	v_cndmask_b32_e32 v18, v18, v5, vcc_lo
	s_cselect_b32 vcc_lo, -1, 0
	s_add_u32 s8, s8, 1
	s_addc_u32 s9, s9, 0
	v_cndmask_b32_e32 v36, v0, v8, vcc_lo
	v_cndmask_b32_e32 v35, v18, v7, vcc_lo
	v_add_co_u32 v22, vcc_lo, v22, 8
	v_add_co_ci_u32_e64 v23, null, 0, v23, vcc_lo
	s_cmp_lg_u32 s30, s8
	s_waitcnt vmcnt(0) lgkmcnt(0)
	v_fma_f64 v[20:21], v[35:36], v[31:32], v[20:21]
	s_cbranch_scc1 .LBB280_57
.LBB280_58:                             ;   in Loop: Header=BB280_41 Depth=1
	s_or_b32 exec_lo, exec_lo, s27
	s_or_b32 exec_lo, exec_lo, s26
	s_and_saveexec_b32 s6, s2
	s_cbranch_execnz .LBB280_44
	s_branch .LBB280_45
.LBB280_59:                             ;   in Loop: Header=BB280_41 Depth=1
	ds_read_b64 v[20:21], v24
	s_or_b32 exec_lo, exec_lo, s6
	s_and_saveexec_b32 s6, s2
	s_cbranch_execz .LBB280_49
.LBB280_60:                             ;   in Loop: Header=BB280_41 Depth=1
	s_waitcnt lgkmcnt(0)
	ds_bpermute_b32 v22, v27, v20
	ds_bpermute_b32 v23, v27, v21
	s_waitcnt lgkmcnt(0)
	v_add_f64 v[20:21], v[20:21], v[22:23]
	ds_bpermute_b32 v22, v28, v20
	ds_bpermute_b32 v23, v28, v21
	s_waitcnt lgkmcnt(0)
	v_add_f64 v[20:21], v[20:21], v[22:23]
	;; [unrolled: 4-line block ×3, first 2 shown]
	s_or_b32 exec_lo, exec_lo, s6
	s_and_saveexec_b32 s6, s5
	s_cbranch_execz .LBB280_40
.LBB280_61:                             ;   in Loop: Header=BB280_41 Depth=1
	s_waitcnt lgkmcnt(0)
	v_mul_f64 v[20:21], s[10:11], v[20:21]
	s_mul_hi_u32 s9, s19, s14
	s_mul_i32 s8, s19, s14
	s_lshl_b64 s[8:9], s[8:9], 3
	s_add_u32 s8, s24, s8
	s_addc_u32 s9, s25, s9
	global_store_dwordx2 v17, v[20:21], s[8:9]
	s_branch .LBB280_40
.LBB280_62:
	s_endpgm
	.section	.rodata,"a",@progbits
	.p2align	6, 0x0
	.amdhsa_kernel _ZL23rocblas_gemvt_sn_kernelILb1ELi256ELi4EiPKdS1_dEviiT4_lPKT3_lilS5_lilPT5_i
		.amdhsa_group_segment_fixed_size 256
		.amdhsa_private_segment_fixed_size 0
		.amdhsa_kernarg_size 360
		.amdhsa_user_sgpr_count 6
		.amdhsa_user_sgpr_private_segment_buffer 1
		.amdhsa_user_sgpr_dispatch_ptr 0
		.amdhsa_user_sgpr_queue_ptr 0
		.amdhsa_user_sgpr_kernarg_segment_ptr 1
		.amdhsa_user_sgpr_dispatch_id 0
		.amdhsa_user_sgpr_flat_scratch_init 0
		.amdhsa_user_sgpr_private_segment_size 0
		.amdhsa_wavefront_size32 1
		.amdhsa_uses_dynamic_stack 0
		.amdhsa_system_sgpr_private_segment_wavefront_offset 0
		.amdhsa_system_sgpr_workgroup_id_x 1
		.amdhsa_system_sgpr_workgroup_id_y 0
		.amdhsa_system_sgpr_workgroup_id_z 1
		.amdhsa_system_sgpr_workgroup_info 0
		.amdhsa_system_vgpr_workitem_id 0
		.amdhsa_next_free_vgpr 67
		.amdhsa_next_free_sgpr 46
		.amdhsa_reserve_vcc 1
		.amdhsa_reserve_flat_scratch 1
		.amdhsa_float_round_mode_32 0
		.amdhsa_float_round_mode_16_64 0
		.amdhsa_float_denorm_mode_32 3
		.amdhsa_float_denorm_mode_16_64 3
		.amdhsa_dx10_clamp 1
		.amdhsa_ieee_mode 1
		.amdhsa_fp16_overflow 0
		.amdhsa_workgroup_processor_mode 1
		.amdhsa_memory_ordered 1
		.amdhsa_forward_progress 1
		.amdhsa_shared_vgpr_count 0
		.amdhsa_exception_fp_ieee_invalid_op 0
		.amdhsa_exception_fp_denorm_src 0
		.amdhsa_exception_fp_ieee_div_zero 0
		.amdhsa_exception_fp_ieee_overflow 0
		.amdhsa_exception_fp_ieee_underflow 0
		.amdhsa_exception_fp_ieee_inexact 0
		.amdhsa_exception_int_div_zero 0
	.end_amdhsa_kernel
	.section	.text._ZL23rocblas_gemvt_sn_kernelILb1ELi256ELi4EiPKdS1_dEviiT4_lPKT3_lilS5_lilPT5_i,"axG",@progbits,_ZL23rocblas_gemvt_sn_kernelILb1ELi256ELi4EiPKdS1_dEviiT4_lPKT3_lilS5_lilPT5_i,comdat
.Lfunc_end280:
	.size	_ZL23rocblas_gemvt_sn_kernelILb1ELi256ELi4EiPKdS1_dEviiT4_lPKT3_lilS5_lilPT5_i, .Lfunc_end280-_ZL23rocblas_gemvt_sn_kernelILb1ELi256ELi4EiPKdS1_dEviiT4_lPKT3_lilS5_lilPT5_i
                                        ; -- End function
	.set _ZL23rocblas_gemvt_sn_kernelILb1ELi256ELi4EiPKdS1_dEviiT4_lPKT3_lilS5_lilPT5_i.num_vgpr, 67
	.set _ZL23rocblas_gemvt_sn_kernelILb1ELi256ELi4EiPKdS1_dEviiT4_lPKT3_lilS5_lilPT5_i.num_agpr, 0
	.set _ZL23rocblas_gemvt_sn_kernelILb1ELi256ELi4EiPKdS1_dEviiT4_lPKT3_lilS5_lilPT5_i.numbered_sgpr, 46
	.set _ZL23rocblas_gemvt_sn_kernelILb1ELi256ELi4EiPKdS1_dEviiT4_lPKT3_lilS5_lilPT5_i.num_named_barrier, 0
	.set _ZL23rocblas_gemvt_sn_kernelILb1ELi256ELi4EiPKdS1_dEviiT4_lPKT3_lilS5_lilPT5_i.private_seg_size, 0
	.set _ZL23rocblas_gemvt_sn_kernelILb1ELi256ELi4EiPKdS1_dEviiT4_lPKT3_lilS5_lilPT5_i.uses_vcc, 1
	.set _ZL23rocblas_gemvt_sn_kernelILb1ELi256ELi4EiPKdS1_dEviiT4_lPKT3_lilS5_lilPT5_i.uses_flat_scratch, 1
	.set _ZL23rocblas_gemvt_sn_kernelILb1ELi256ELi4EiPKdS1_dEviiT4_lPKT3_lilS5_lilPT5_i.has_dyn_sized_stack, 0
	.set _ZL23rocblas_gemvt_sn_kernelILb1ELi256ELi4EiPKdS1_dEviiT4_lPKT3_lilS5_lilPT5_i.has_recursion, 0
	.set _ZL23rocblas_gemvt_sn_kernelILb1ELi256ELi4EiPKdS1_dEviiT4_lPKT3_lilS5_lilPT5_i.has_indirect_call, 0
	.section	.AMDGPU.csdata,"",@progbits
; Kernel info:
; codeLenInByte = 4000
; TotalNumSgprs: 48
; NumVgprs: 67
; ScratchSize: 0
; MemoryBound: 1
; FloatMode: 240
; IeeeMode: 1
; LDSByteSize: 256 bytes/workgroup (compile time only)
; SGPRBlocks: 0
; VGPRBlocks: 8
; NumSGPRsForWavesPerEU: 48
; NumVGPRsForWavesPerEU: 67
; Occupancy: 12
; WaveLimiterHint : 0
; COMPUTE_PGM_RSRC2:SCRATCH_EN: 0
; COMPUTE_PGM_RSRC2:USER_SGPR: 6
; COMPUTE_PGM_RSRC2:TRAP_HANDLER: 0
; COMPUTE_PGM_RSRC2:TGID_X_EN: 1
; COMPUTE_PGM_RSRC2:TGID_Y_EN: 0
; COMPUTE_PGM_RSRC2:TGID_Z_EN: 1
; COMPUTE_PGM_RSRC2:TIDIG_COMP_CNT: 0
	.section	.text._ZL23rocblas_gemvt_sn_kernelILb1ELi256ELi4ElPKdS1_dEviiT4_lPKT3_lilS5_lilPT5_i,"axG",@progbits,_ZL23rocblas_gemvt_sn_kernelILb1ELi256ELi4ElPKdS1_dEviiT4_lPKT3_lilS5_lilPT5_i,comdat
	.globl	_ZL23rocblas_gemvt_sn_kernelILb1ELi256ELi4ElPKdS1_dEviiT4_lPKT3_lilS5_lilPT5_i ; -- Begin function _ZL23rocblas_gemvt_sn_kernelILb1ELi256ELi4ElPKdS1_dEviiT4_lPKT3_lilS5_lilPT5_i
	.p2align	8
	.type	_ZL23rocblas_gemvt_sn_kernelILb1ELi256ELi4ElPKdS1_dEviiT4_lPKT3_lilS5_lilPT5_i,@function
_ZL23rocblas_gemvt_sn_kernelILb1ELi256ELi4ElPKdS1_dEviiT4_lPKT3_lilS5_lilPT5_i: ; @_ZL23rocblas_gemvt_sn_kernelILb1ELi256ELi4ElPKdS1_dEviiT4_lPKT3_lilS5_lilPT5_i
; %bb.0:
	s_load_dwordx8 s[8:15], s[4:5], 0x8
	s_mov_b32 s0, s7
	s_mov_b64 s[22:23], 0
	s_mov_b64 s[20:21], 0
	s_waitcnt lgkmcnt(0)
	s_mul_i32 s1, s11, s7
	s_mul_hi_u32 s2, s10, s7
	s_add_i32 s3, s2, s1
	s_mul_i32 s2, s10, s7
	s_mov_b32 s1, 0
	s_lshl_b64 s[2:3], s[2:3], 3
	s_add_u32 s2, s8, s2
	s_addc_u32 s3, s9, s3
	s_load_dwordx2 s[16:17], s[2:3], 0x0
	s_waitcnt lgkmcnt(0)
	v_cmp_eq_f64_e64 s2, s[16:17], 0
	v_cmp_neq_f64_e64 s3, s[16:17], 0
	s_and_b32 vcc_lo, exec_lo, s2
	s_cbranch_vccnz .LBB281_2
; %bb.1:
	s_lshl_b64 s[8:9], s[0:1], 3
	s_add_u32 s8, s12, s8
	s_addc_u32 s9, s13, s9
	s_lshl_b64 s[10:11], s[14:15], 3
	s_load_dwordx2 s[8:9], s[8:9], 0x0
	s_waitcnt lgkmcnt(0)
	s_add_u32 s20, s8, s10
	s_addc_u32 s21, s9, s11
.LBB281_2:
	s_andn2_b32 vcc_lo, exec_lo, s3
	s_cbranch_vccnz .LBB281_4
; %bb.3:
	s_load_dwordx4 s[8:11], s[4:5], 0x38
	s_lshl_b64 s[12:13], s[0:1], 3
	s_waitcnt lgkmcnt(0)
	s_add_u32 s8, s8, s12
	s_addc_u32 s9, s9, s13
	s_lshl_b64 s[10:11], s[10:11], 3
	s_load_dwordx2 s[8:9], s[8:9], 0x0
	s_waitcnt lgkmcnt(0)
	s_add_u32 s22, s8, s10
	s_addc_u32 s23, s9, s11
.LBB281_4:
	s_clause 0x2
	s_load_dwordx2 s[12:13], s[4:5], 0x0
	s_load_dword s14, s[4:5], 0x68
	s_load_dwordx2 s[10:11], s[4:5], 0x58
	s_mov_b32 s15, 0
	s_waitcnt lgkmcnt(0)
	s_ashr_i32 s8, s13, 31
	s_mul_hi_u32 s1, s13, s0
	s_mul_i32 s3, s8, s0
	s_mul_i32 s0, s13, s0
	s_add_i32 s1, s1, s3
	s_mul_hi_u32 s3, s0, s14
	s_mul_i32 s1, s1, s14
	s_mul_i32 s0, s0, s14
	s_add_i32 s1, s3, s1
	s_lshl_b64 s[0:1], s[0:1], 3
	s_add_u32 s33, s10, s0
	s_addc_u32 s38, s11, s1
	s_andn2_b32 vcc_lo, exec_lo, s2
	s_mov_b32 s0, -1
	s_cbranch_vccnz .LBB281_9
; %bb.5:
	v_cmp_eq_u32_e32 vcc_lo, 0, v0
	s_cmp_gt_i32 s13, 0
	s_cselect_b32 s0, -1, 0
	s_and_b32 s0, vcc_lo, s0
	s_and_saveexec_b32 s9, s0
	s_cbranch_execz .LBB281_8
; %bb.6:
	v_mov_b32_e32 v1, 0
	s_mov_b32 s7, 0
	s_lshl_b64 s[0:1], s[6:7], 3
	s_mov_b32 s7, s13
	v_mov_b32_e32 v2, v1
	s_add_u32 s0, s33, s0
	s_addc_u32 s1, s38, s1
	s_lshl_b64 s[2:3], s[14:15], 3
.LBB281_7:                              ; =>This Inner Loop Header: Depth=1
	s_add_i32 s7, s7, -1
	global_store_dwordx2 v1, v[1:2], s[0:1]
	s_add_u32 s0, s0, s2
	s_addc_u32 s1, s1, s3
	s_cmp_eq_u32 s7, 0
	s_cbranch_scc0 .LBB281_7
.LBB281_8:
	s_or_b32 exec_lo, exec_lo, s9
	s_mov_b32 s0, 0
.LBB281_9:
	s_andn2_b32 vcc_lo, exec_lo, s0
	s_cbranch_vccnz .LBB281_62
; %bb.10:
	s_lshl_b32 s0, s6, 10
	s_clause 0x1
	s_load_dword s18, s[4:5], 0x28
	s_load_dword s24, s[4:5], 0x48
	v_lshl_or_b32 v23, v0, 2, s0
	s_ashr_i32 s0, s12, 31
	s_lshr_b32 s1, s8, 30
	s_lshr_b32 s0, s0, 30
	s_add_i32 s1, s13, s1
	v_ashrrev_i32_e32 v24, 31, v23
	s_add_i32 s0, s12, s0
	s_and_b32 s39, s1, -4
	s_and_b32 s0, s0, -4
	v_add_nc_u32_e32 v44, 4, v23
	v_lshlrev_b64 v[21:22], 3, v[23:24]
	s_sub_i32 s15, s12, s0
	v_and_b32_e32 v41, 31, v0
	v_add_nc_u32_e32 v45, s15, v23
	v_cmp_gt_u32_e64 s0, 32, v0
	v_mbcnt_lo_u32_b32 v43, -1, 0
	v_add_co_u32 v19, vcc_lo, s20, v21
	v_add_co_ci_u32_e64 v20, null, s21, v22, vcc_lo
	v_cmp_gt_u32_e64 s1, 8, v0
	v_lshrrev_b32_e32 v42, 2, v0
	v_cmp_eq_u32_e64 s2, 0, v0
	v_or_b32_e32 v40, 1, v23
	v_or_b32_e32 v39, 2, v23
	;; [unrolled: 1-line block ×3, first 2 shown]
	s_waitcnt lgkmcnt(0)
	s_ashr_i32 s19, s18, 31
	s_ashr_i32 s25, s24, 31
	s_cmp_lt_i32 s39, 1
	s_cbranch_scc1 .LBB281_37
; %bb.11:
	v_cmp_gt_u32_e32 vcc_lo, 24, v43
	v_mad_i64_i32 v[5:6], null, s24, v39, 0
	v_mad_i64_i32 v[7:8], null, s24, v38, 0
	v_cndmask_b32_e64 v1, 0, 8, vcc_lo
	v_cmp_gt_u32_e32 vcc_lo, 28, v43
	v_mov_b32_e32 v9, 0
	s_cmp_gt_i32 s15, 0
	s_mov_b32 s7, 0
	v_add_lshl_u32 v47, v1, v43, 2
	v_cndmask_b32_e64 v2, 0, 4, vcc_lo
	v_cmp_gt_u32_e32 vcc_lo, 30, v43
	v_mov_b32_e32 v10, v9
	v_mov_b32_e32 v11, v9
	v_mov_b32_e32 v12, v9
	v_add_lshl_u32 v48, v2, v43, 2
	v_cndmask_b32_e64 v3, 0, 2, vcc_lo
	v_cmp_ne_u32_e32 vcc_lo, 31, v43
	v_mad_i64_i32 v[1:2], null, s24, v23, 0
	v_mov_b32_e32 v13, v9
	v_add_lshl_u32 v49, v3, v43, 2
	v_add_co_ci_u32_e64 v4, null, 0, v43, vcc_lo
	v_mov_b32_e32 v14, v9
	v_mov_b32_e32 v15, v9
	v_lshlrev_b64 v[1:2], 3, v[1:2]
	v_lshlrev_b32_e32 v50, 2, v4
	v_mad_i64_i32 v[3:4], null, s24, v40, 0
	v_mov_b32_e32 v16, v9
	v_mov_b32_e32 v33, v20
	v_add_co_u32 v24, vcc_lo, s22, v1
	v_add_co_ci_u32_e64 v25, null, s23, v2, vcc_lo
	v_lshlrev_b64 v[3:4], 3, v[3:4]
	v_lshlrev_b64 v[1:2], 3, v[5:6]
	v_cmp_ge_i32_e64 s3, s12, v44
	v_cmp_ge_i32_e64 s4, s12, v45
	s_cselect_b32 s40, -1, 0
	v_lshl_or_b32 v46, v43, 2, 64
	v_add_co_u32 v26, vcc_lo, s22, v3
	v_add_co_ci_u32_e64 v27, null, s23, v4, vcc_lo
	v_lshlrev_b64 v[3:4], 3, v[7:8]
	v_add_co_u32 v28, vcc_lo, s22, v1
	v_add_co_ci_u32_e64 v29, null, s23, v2, vcc_lo
	v_cmp_eq_u32_e64 s5, 0, v41
	v_add_co_u32 v30, vcc_lo, s22, v3
	v_add_co_ci_u32_e64 v31, null, s23, v4, vcc_lo
	v_mov_b32_e32 v1, v9
	v_lshlrev_b32_e32 v51, 3, v41
	s_lshl_b64 s[8:9], s[6:7], 3
	v_and_b32_e32 v52, 56, v42
	v_mov_b32_e32 v32, v19
	v_mov_b32_e32 v2, v10
	;; [unrolled: 1-line block ×8, first 2 shown]
	s_add_u32 s41, s33, s8
	s_addc_u32 s42, s38, s9
	s_lshl_b64 s[26:27], s[24:25], 3
	s_mul_hi_i32 s43, s18, 24
	s_mul_i32 s44, s18, 24
	s_lshl_b64 s[28:29], s[18:19], 5
	s_lshl_b64 s[30:31], s[18:19], 4
	s_lshl_b64 s[34:35], s[18:19], 3
	s_branch .LBB281_13
.LBB281_12:                             ;   in Loop: Header=BB281_13 Depth=1
	s_or_b32 exec_lo, exec_lo, s8
	v_add_co_u32 v32, vcc_lo, v32, s28
	v_add_co_ci_u32_e64 v33, null, s29, v33, vcc_lo
	s_add_i32 s7, s7, 4
	s_cmp_ge_i32 s7, s39
	s_cbranch_scc1 .LBB281_38
.LBB281_13:                             ; =>This Loop Header: Depth=1
                                        ;     Child Loop BB281_19 Depth 2
                                        ;     Child Loop BB281_22 Depth 2
	;; [unrolled: 1-line block ×3, first 2 shown]
                                        ; implicit-def: $vgpr11_vgpr12_vgpr13_vgpr14_vgpr15_vgpr16_vgpr17_vgpr18
	s_and_saveexec_b32 s8, s3
	s_xor_b32 s8, exec_lo, s8
	s_cbranch_execz .LBB281_15
; %bb.14:                               ;   in Loop: Header=BB281_13 Depth=1
	s_mul_i32 s9, s7, s19
	s_mul_hi_u32 s10, s7, s18
	s_add_i32 s11, s10, s9
	s_mul_i32 s10, s7, s18
	s_or_b32 s9, s7, 1
	s_lshl_b64 s[10:11], s[10:11], 3
	s_mul_i32 s36, s9, s19
	s_mul_hi_u32 s37, s9, s18
	v_add_co_u32 v7, vcc_lo, v19, s10
	v_add_co_ci_u32_e64 v8, null, s11, v20, vcc_lo
	s_add_i32 s11, s37, s36
	s_mul_i32 s10, s9, s18
	s_or_b32 s9, s7, 2
	s_lshl_b64 s[10:11], s[10:11], 3
	s_mul_i32 s36, s9, s19
	s_mul_hi_u32 s37, s9, s18
	v_add_co_u32 v61, vcc_lo, v19, s10
	v_add_co_ci_u32_e64 v62, null, s11, v20, vcc_lo
	s_add_i32 s11, s37, s36
	s_or_b32 s36, s7, 3
	s_mul_i32 s10, s9, s18
	s_mul_i32 s9, s36, s19
	s_mul_hi_u32 s37, s36, s18
	s_lshl_b64 s[10:11], s[10:11], 3
	s_add_i32 s37, s37, s9
	s_mul_i32 s36, s36, s18
	v_add_co_u32 v65, vcc_lo, v19, s10
	v_add_co_ci_u32_e64 v66, null, s11, v20, vcc_lo
	s_lshl_b64 s[10:11], s[36:37], 3
	v_add_co_u32 v69, vcc_lo, v19, s10
	v_add_co_ci_u32_e64 v70, null, s11, v20, vcc_lo
	flat_load_dwordx2 v[1:2], v[24:25]
	s_clause 0x3
	flat_load_dwordx4 v[10:13], v[7:8]
	flat_load_dwordx4 v[14:17], v[61:62]
	;; [unrolled: 1-line block ×4, first 2 shown]
	s_clause 0x1
	flat_load_dwordx2 v[3:4], v[26:27]
	flat_load_dwordx2 v[5:6], v[28:29]
	s_clause 0x3
	flat_load_dwordx4 v[57:60], v[7:8] offset:16
	flat_load_dwordx4 v[61:64], v[61:62] offset:16
	;; [unrolled: 1-line block ×4, first 2 shown]
	flat_load_dwordx2 v[7:8], v[30:31]
	s_waitcnt vmcnt(10) lgkmcnt(10)
	v_fma_f64 v[10:11], v[1:2], v[10:11], 0
	s_waitcnt vmcnt(9) lgkmcnt(9)
	v_fma_f64 v[14:15], v[1:2], v[14:15], 0
	;; [unrolled: 2-line block ×5, first 2 shown]
	v_fma_f64 v[12:13], v[3:4], v[16:17], v[14:15]
	v_fma_f64 v[14:15], v[3:4], v[36:37], v[34:35]
	v_fma_f64 v[16:17], v[3:4], v[55:56], v[53:54]
	s_waitcnt vmcnt(4) lgkmcnt(4)
	v_fma_f64 v[10:11], v[5:6], v[57:58], v[10:11]
	s_waitcnt vmcnt(3) lgkmcnt(3)
	v_fma_f64 v[34:35], v[5:6], v[61:62], v[12:13]
	;; [unrolled: 2-line block ×5, first 2 shown]
	v_fma_f64 v[13:14], v[7:8], v[63:64], v[34:35]
	v_fma_f64 v[15:16], v[7:8], v[67:68], v[36:37]
	;; [unrolled: 1-line block ×3, first 2 shown]
.LBB281_15:                             ;   in Loop: Header=BB281_13 Depth=1
	s_andn2_saveexec_b32 s45, s8
	s_cbranch_execz .LBB281_25
; %bb.16:                               ;   in Loop: Header=BB281_13 Depth=1
	v_mov_b32_e32 v16, v9
	v_mov_b32_e32 v10, v9
	;; [unrolled: 1-line block ×15, first 2 shown]
	s_and_saveexec_b32 s46, s4
	s_cbranch_execz .LBB281_24
; %bb.17:                               ;   in Loop: Header=BB281_13 Depth=1
	s_andn2_b32 vcc_lo, exec_lo, s40
	s_cbranch_vccnz .LBB281_20
; %bb.18:                               ;   in Loop: Header=BB281_13 Depth=1
	v_mov_b32_e32 v10, v24
	v_mov_b32_e32 v11, v25
	s_mov_b64 s[36:37], 0
	.p2align	6
.LBB281_19:                             ;   Parent Loop BB281_13 Depth=1
                                        ; =>  This Inner Loop Header: Depth=2
	flat_load_dwordx2 v[12:13], v[10:11]
	s_cmp_eq_u32 s36, 3
	v_add_co_u32 v10, vcc_lo, v10, s26
	v_add_co_ci_u32_e64 v11, null, s27, v11, vcc_lo
	s_cselect_b32 vcc_lo, -1, 0
	s_cmp_eq_u32 s36, 2
	s_cselect_b32 s8, -1, 0
	s_cmp_eq_u32 s36, 1
	s_cselect_b32 s9, -1, 0
	;; [unrolled: 2-line block ×3, first 2 shown]
	s_add_u32 s36, s36, 1
	s_addc_u32 s37, s37, 0
	s_cmp_eq_u32 s15, s36
	s_waitcnt vmcnt(0) lgkmcnt(0)
	v_cndmask_b32_e32 v8, v8, v13, vcc_lo
	v_cndmask_b32_e32 v7, v7, v12, vcc_lo
	v_cndmask_b32_e64 v6, v6, v13, s8
	v_cndmask_b32_e64 v5, v5, v12, s8
	;; [unrolled: 1-line block ×6, first 2 shown]
	s_cbranch_scc0 .LBB281_19
.LBB281_20:                             ;   in Loop: Header=BB281_13 Depth=1
	s_andn2_b32 vcc_lo, exec_lo, s40
	s_cbranch_vccnz .LBB281_23
; %bb.21:                               ;   in Loop: Header=BB281_13 Depth=1
	v_mov_b32_e32 v11, 0
	v_mov_b32_e32 v13, 0
	;; [unrolled: 1-line block ×10, first 2 shown]
	s_mov_b64 s[10:11], 0
.LBB281_22:                             ;   Parent Loop BB281_13 Depth=1
                                        ; =>  This Inner Loop Header: Depth=2
	v_add_co_u32 v36, vcc_lo, v34, s34
	v_add_co_ci_u32_e64 v37, null, s35, v35, vcc_lo
	v_add_co_u32 v53, vcc_lo, v34, s30
	v_add_co_ci_u32_e64 v54, null, s31, v35, vcc_lo
	;; [unrolled: 2-line block ×3, first 2 shown]
	s_clause 0x3
	flat_load_dwordx2 v[57:58], v[34:35]
	flat_load_dwordx2 v[36:37], v[36:37]
	;; [unrolled: 1-line block ×4, first 2 shown]
	s_cmp_eq_u32 s10, 1
	s_cselect_b32 vcc_lo, -1, 0
	s_cmp_eq_u32 s10, 2
	v_cndmask_b32_e32 v10, v2, v4, vcc_lo
	v_cndmask_b32_e32 v59, v1, v3, vcc_lo
	s_cselect_b32 vcc_lo, -1, 0
	s_cmp_eq_u32 s10, 3
	v_cndmask_b32_e32 v10, v10, v6, vcc_lo
	v_cndmask_b32_e32 v59, v59, v5, vcc_lo
	s_cselect_b32 s8, -1, 0
	v_add_co_u32 v34, vcc_lo, v34, 8
	v_cndmask_b32_e64 v60, v10, v8, s8
	v_cndmask_b32_e64 v59, v59, v7, s8
	v_add_co_ci_u32_e64 v35, null, 0, v35, vcc_lo
	s_add_u32 s10, s10, 1
	s_addc_u32 s11, s11, 0
	s_cmp_lg_u32 s15, s10
	s_waitcnt vmcnt(3) lgkmcnt(3)
	v_fma_f64 v[11:12], v[59:60], v[57:58], v[11:12]
	s_waitcnt vmcnt(2) lgkmcnt(2)
	v_fma_f64 v[13:14], v[59:60], v[36:37], v[13:14]
	;; [unrolled: 2-line block ×4, first 2 shown]
	s_cbranch_scc1 .LBB281_22
	s_branch .LBB281_24
.LBB281_23:                             ;   in Loop: Header=BB281_13 Depth=1
	v_mov_b32_e32 v16, v9
	v_mov_b32_e32 v10, v9
	;; [unrolled: 1-line block ×15, first 2 shown]
.LBB281_24:                             ;   in Loop: Header=BB281_13 Depth=1
	s_or_b32 exec_lo, exec_lo, s46
.LBB281_25:                             ;   in Loop: Header=BB281_13 Depth=1
	s_or_b32 exec_lo, exec_lo, s45
	s_mov_b64 s[8:9], 0
	s_branch .LBB281_27
.LBB281_26:                             ;   in Loop: Header=BB281_27 Depth=2
	s_or_b32 exec_lo, exec_lo, s10
	s_cmp_eq_u32 s8, 3
	s_cselect_b32 vcc_lo, -1, 0
	s_cmp_eq_u32 s8, 2
	s_waitcnt lgkmcnt(0)
	v_cndmask_b32_e32 v18, v18, v35, vcc_lo
	v_cndmask_b32_e32 v17, v17, v34, vcc_lo
	s_cselect_b32 vcc_lo, -1, 0
	s_cmp_eq_u32 s8, 1
	v_cndmask_b32_e32 v16, v16, v35, vcc_lo
	v_cndmask_b32_e32 v15, v15, v34, vcc_lo
	s_cselect_b32 vcc_lo, -1, 0
	s_cmp_eq_u32 s8, 0
	v_cndmask_b32_e32 v14, v14, v35, vcc_lo
	v_cndmask_b32_e32 v13, v13, v34, vcc_lo
	s_cselect_b32 vcc_lo, -1, 0
	s_add_u32 s8, s8, 1
	v_cndmask_b32_e32 v12, v12, v35, vcc_lo
	v_cndmask_b32_e32 v11, v11, v34, vcc_lo
	s_addc_u32 s9, s9, 0
	s_cmp_eq_u32 s8, 4
	s_cbranch_scc1 .LBB281_35
.LBB281_27:                             ;   Parent Loop BB281_13 Depth=1
                                        ; =>  This Inner Loop Header: Depth=2
	s_and_saveexec_b32 s10, s0
; %bb.28:                               ;   in Loop: Header=BB281_27 Depth=2
	v_mov_b32_e32 v10, v9
	ds_write_b64 v51, v[9:10]
; %bb.29:                               ;   in Loop: Header=BB281_27 Depth=2
	s_or_b32 exec_lo, exec_lo, s10
	s_cmp_eq_u32 s8, 1
	s_waitcnt lgkmcnt(0)
	s_waitcnt_vscnt null, 0x0
	s_cselect_b32 vcc_lo, -1, 0
	s_cmp_eq_u32 s8, 2
	v_cndmask_b32_e32 v10, v12, v14, vcc_lo
	v_cndmask_b32_e32 v34, v11, v13, vcc_lo
	s_cselect_b32 vcc_lo, -1, 0
	s_cmp_eq_u32 s8, 3
	s_barrier
	v_cndmask_b32_e32 v10, v10, v16, vcc_lo
	v_cndmask_b32_e32 v34, v34, v15, vcc_lo
	s_cselect_b32 vcc_lo, -1, 0
	buffer_gl0_inv
	v_cndmask_b32_e32 v35, v10, v18, vcc_lo
	v_cndmask_b32_e32 v34, v34, v17, vcc_lo
	ds_bpermute_b32 v37, v46, v35
	ds_bpermute_b32 v36, v46, v34
	s_waitcnt lgkmcnt(0)
	v_add_f64 v[34:35], v[34:35], v[36:37]
	ds_bpermute_b32 v36, v47, v34
	ds_bpermute_b32 v37, v47, v35
	s_waitcnt lgkmcnt(0)
	v_add_f64 v[34:35], v[34:35], v[36:37]
	;; [unrolled: 4-line block ×4, first 2 shown]
	ds_bpermute_b32 v36, v50, v34
	ds_bpermute_b32 v37, v50, v35
	s_and_saveexec_b32 s10, s5
	s_cbranch_execz .LBB281_31
; %bb.30:                               ;   in Loop: Header=BB281_27 Depth=2
	s_waitcnt lgkmcnt(0)
	v_add_f64 v[34:35], v[34:35], v[36:37]
	ds_write_b64 v52, v[34:35]
.LBB281_31:                             ;   in Loop: Header=BB281_27 Depth=2
	s_or_b32 exec_lo, exec_lo, s10
	v_mov_b32_e32 v34, 0
	v_mov_b32_e32 v35, 0
	s_waitcnt lgkmcnt(0)
	s_barrier
	buffer_gl0_inv
	s_and_saveexec_b32 s10, s1
; %bb.32:                               ;   in Loop: Header=BB281_27 Depth=2
	ds_read_b64 v[34:35], v51
; %bb.33:                               ;   in Loop: Header=BB281_27 Depth=2
	s_or_b32 exec_lo, exec_lo, s10
	s_and_saveexec_b32 s10, s0
	s_cbranch_execz .LBB281_26
; %bb.34:                               ;   in Loop: Header=BB281_27 Depth=2
	s_waitcnt lgkmcnt(0)
	ds_bpermute_b32 v36, v48, v34
	ds_bpermute_b32 v37, v48, v35
	s_waitcnt lgkmcnt(0)
	v_add_f64 v[34:35], v[34:35], v[36:37]
	ds_bpermute_b32 v36, v49, v34
	ds_bpermute_b32 v37, v49, v35
	s_waitcnt lgkmcnt(0)
	v_add_f64 v[34:35], v[34:35], v[36:37]
	;; [unrolled: 4-line block ×3, first 2 shown]
	s_branch .LBB281_26
.LBB281_35:                             ;   in Loop: Header=BB281_13 Depth=1
	s_and_saveexec_b32 s8, s2
	s_cbranch_execz .LBB281_12
; %bb.36:                               ;   in Loop: Header=BB281_13 Depth=1
	s_mul_hi_u32 s11, s7, s14
	s_mul_i32 s10, s7, s14
	v_mul_f64 v[10:11], s[16:17], v[11:12]
	s_lshl_b64 s[10:11], s[10:11], 3
	v_mul_f64 v[12:13], s[16:17], v[13:14]
	s_add_u32 s10, s41, s10
	s_addc_u32 s11, s42, s11
	s_or_b32 s9, s7, 1
	v_mul_f64 v[14:15], s[16:17], v[15:16]
	v_mul_f64 v[16:17], s[16:17], v[17:18]
	s_mul_hi_u32 s37, s9, s14
	s_mul_i32 s36, s9, s14
	s_lshl_b64 s[36:37], s[36:37], 3
	s_add_u32 s36, s41, s36
	s_addc_u32 s37, s42, s37
	s_or_b32 s9, s7, 2
	s_mul_hi_u32 s47, s9, s14
	s_mul_i32 s46, s9, s14
	s_lshl_b64 s[46:47], s[46:47], 3
	s_add_u32 s46, s41, s46
	s_addc_u32 s47, s42, s47
	s_or_b32 s9, s7, 3
	global_store_dwordx2 v9, v[10:11], s[10:11]
	s_mul_hi_u32 s49, s9, s14
	s_mul_i32 s48, s9, s14
	global_store_dwordx2 v9, v[12:13], s[36:37]
	s_lshl_b64 s[10:11], s[48:49], 3
	s_add_u32 s10, s41, s10
	s_addc_u32 s11, s42, s11
	global_store_dwordx2 v9, v[14:15], s[46:47]
	global_store_dwordx2 v9, v[16:17], s[10:11]
	s_branch .LBB281_12
.LBB281_37:
	v_mov_b32_e32 v1, 0
	s_mov_b32 s7, 0
	v_mov_b32_e32 v2, v1
	v_mov_b32_e32 v3, v1
	;; [unrolled: 1-line block ×7, first 2 shown]
.LBB281_38:
	s_cmp_ge_i32 s7, s13
	s_cbranch_scc1 .LBB281_62
; %bb.39:
	v_cmp_gt_u32_e32 vcc_lo, 24, v43
	v_mad_i64_i32 v[13:14], null, s24, v39, 0
	v_mad_i64_i32 v[15:16], null, s24, v38, 0
	v_cndmask_b32_e64 v9, 0, 8, vcc_lo
	v_cmp_gt_u32_e32 vcc_lo, 28, v43
	s_cmp_gt_i32 s15, 0
	s_mov_b32 s11, 0
	v_lshlrev_b64 v[13:14], 3, v[13:14]
	v_add_lshl_u32 v29, v9, v43, 2
	v_cndmask_b32_e64 v10, 0, 4, vcc_lo
	v_cmp_gt_u32_e32 vcc_lo, 30, v43
	s_mov_b32 s10, s6
	v_lshlrev_b64 v[15:16], 3, v[15:16]
	v_cmp_ge_i32_e64 s0, s12, v44
	v_add_lshl_u32 v30, v10, v43, 2
	v_cndmask_b32_e64 v11, 0, 2, vcc_lo
	v_cmp_ne_u32_e32 vcc_lo, 31, v43
	v_mad_i64_i32 v[9:10], null, s24, v23, 0
	v_cmp_ge_i32_e64 s1, s12, v45
	v_add_lshl_u32 v31, v11, v43, 2
	v_add_co_ci_u32_e64 v12, null, 0, v43, vcc_lo
	s_cselect_b32 s12, -1, 0
	s_lshl_b64 s[8:9], s[10:11], 3
	v_lshlrev_b64 v[9:10], 3, v[9:10]
	v_lshlrev_b32_e32 v32, 2, v12
	v_mad_i64_i32 v[11:12], null, s24, v40, 0
	s_add_u32 s10, s33, s8
	s_mul_i32 s6, s19, s7
	v_add_co_u32 v9, vcc_lo, s22, v9
	v_add_co_ci_u32_e64 v10, null, s23, v10, vcc_lo
	v_lshlrev_b64 v[11:12], 3, v[11:12]
	s_mul_hi_u32 s8, s18, s7
	s_addc_u32 s26, s38, s9
	s_add_i32 s9, s8, s6
	s_mul_i32 s8, s18, s7
	v_cmp_gt_u32_e64 s2, 32, v0
	v_add_co_u32 v11, vcc_lo, s22, v11
	v_add_co_ci_u32_e64 v12, null, s23, v12, vcc_lo
	v_add_co_u32 v13, vcc_lo, s22, v13
	v_add_co_ci_u32_e64 v14, null, s23, v14, vcc_lo
	v_add_co_u32 v15, vcc_lo, s22, v15
	s_lshl_b64 s[8:9], s[8:9], 3
	v_add_co_ci_u32_e64 v16, null, s23, v16, vcc_lo
	s_lshl_b64 s[22:23], s[24:25], 3
	s_add_u32 s6, s20, s8
	s_addc_u32 s8, s21, s9
	v_add_co_u32 v17, vcc_lo, s6, v21
	v_lshlrev_b32_e32 v27, 3, v41
	v_lshl_or_b32 v28, v43, 2, 64
	v_cmp_eq_u32_e64 s3, 0, v41
	v_and_b32_e32 v33, 56, v42
	v_cmp_gt_u32_e64 s4, 8, v0
	v_cmp_eq_u32_e64 s5, 0, v0
	v_add_co_ci_u32_e64 v18, null, s8, v22, vcc_lo
	v_mov_b32_e32 v21, 0
	s_lshl_b64 s[20:21], s[18:19], 3
	s_branch .LBB281_41
.LBB281_40:                             ;   in Loop: Header=BB281_41 Depth=1
	s_or_b32 exec_lo, exec_lo, s6
	v_add_co_u32 v17, vcc_lo, v17, s20
	v_add_co_ci_u32_e64 v18, null, s21, v18, vcc_lo
	s_add_i32 s7, s7, 1
	s_cmp_ge_i32 s7, s13
	s_cbranch_scc1 .LBB281_62
.LBB281_41:                             ; =>This Loop Header: Depth=1
                                        ;     Child Loop BB281_54 Depth 2
                                        ;     Child Loop BB281_57 Depth 2
	s_waitcnt lgkmcnt(0)
	v_mov_b32_e32 v23, s11
	v_mov_b32_e32 v24, s11
	s_and_saveexec_b32 s6, s0
	s_xor_b32 s6, exec_lo, s6
	s_cbranch_execnz .LBB281_50
; %bb.42:                               ;   in Loop: Header=BB281_41 Depth=1
	s_andn2_saveexec_b32 s27, s6
	s_cbranch_execnz .LBB281_51
.LBB281_43:                             ;   in Loop: Header=BB281_41 Depth=1
	s_or_b32 exec_lo, exec_lo, s27
	s_and_saveexec_b32 s6, s2
.LBB281_44:                             ;   in Loop: Header=BB281_41 Depth=1
	v_mov_b32_e32 v22, v21
	ds_write_b64 v27, v[21:22]
.LBB281_45:                             ;   in Loop: Header=BB281_41 Depth=1
	s_or_b32 exec_lo, exec_lo, s6
	ds_bpermute_b32 v25, v28, v23
	ds_bpermute_b32 v26, v28, v24
	s_waitcnt lgkmcnt(0)
	s_waitcnt_vscnt null, 0x0
	s_barrier
	buffer_gl0_inv
	v_add_f64 v[22:23], v[23:24], v[25:26]
	ds_bpermute_b32 v24, v29, v22
	ds_bpermute_b32 v25, v29, v23
	s_waitcnt lgkmcnt(0)
	v_add_f64 v[22:23], v[22:23], v[24:25]
	ds_bpermute_b32 v24, v30, v22
	ds_bpermute_b32 v25, v30, v23
	s_waitcnt lgkmcnt(0)
	;; [unrolled: 4-line block ×3, first 2 shown]
	v_add_f64 v[22:23], v[22:23], v[24:25]
	ds_bpermute_b32 v24, v32, v22
	ds_bpermute_b32 v25, v32, v23
	s_and_saveexec_b32 s6, s3
	s_cbranch_execz .LBB281_47
; %bb.46:                               ;   in Loop: Header=BB281_41 Depth=1
	s_waitcnt lgkmcnt(0)
	v_add_f64 v[22:23], v[22:23], v[24:25]
	ds_write_b64 v33, v[22:23]
.LBB281_47:                             ;   in Loop: Header=BB281_41 Depth=1
	s_or_b32 exec_lo, exec_lo, s6
	v_mov_b32_e32 v22, 0
	v_mov_b32_e32 v23, 0
	s_waitcnt lgkmcnt(0)
	s_barrier
	buffer_gl0_inv
	s_and_saveexec_b32 s6, s4
	s_cbranch_execnz .LBB281_59
; %bb.48:                               ;   in Loop: Header=BB281_41 Depth=1
	s_or_b32 exec_lo, exec_lo, s6
	s_and_saveexec_b32 s6, s2
	s_cbranch_execnz .LBB281_60
.LBB281_49:                             ;   in Loop: Header=BB281_41 Depth=1
	s_or_b32 exec_lo, exec_lo, s6
	s_and_saveexec_b32 s6, s5
	s_cbranch_execz .LBB281_40
	s_branch .LBB281_61
.LBB281_50:                             ;   in Loop: Header=BB281_41 Depth=1
	s_mul_i32 s9, s7, s19
	s_mul_hi_u32 s24, s7, s18
	s_mul_i32 s8, s7, s18
	s_add_i32 s9, s24, s9
	s_lshl_b64 s[8:9], s[8:9], 3
	v_add_co_u32 v5, vcc_lo, v19, s8
	v_add_co_ci_u32_e64 v6, null, s9, v20, vcc_lo
	flat_load_dwordx4 v[22:25], v[5:6]
	s_clause 0x1
	flat_load_dwordx2 v[1:2], v[9:10]
	flat_load_dwordx2 v[3:4], v[11:12]
	flat_load_dwordx4 v[34:37], v[5:6] offset:16
	s_clause 0x1
	flat_load_dwordx2 v[5:6], v[13:14]
	flat_load_dwordx2 v[7:8], v[15:16]
	s_waitcnt vmcnt(4) lgkmcnt(4)
	v_fma_f64 v[22:23], v[1:2], v[22:23], 0
	s_waitcnt vmcnt(3) lgkmcnt(3)
	v_fma_f64 v[22:23], v[3:4], v[24:25], v[22:23]
	;; [unrolled: 2-line block ×4, first 2 shown]
	s_andn2_saveexec_b32 s27, s6
	s_cbranch_execz .LBB281_43
.LBB281_51:                             ;   in Loop: Header=BB281_41 Depth=1
	s_and_saveexec_b32 s28, s1
	s_cbranch_execz .LBB281_58
; %bb.52:                               ;   in Loop: Header=BB281_41 Depth=1
	s_andn2_b32 vcc_lo, exec_lo, s12
	s_cbranch_vccnz .LBB281_55
; %bb.53:                               ;   in Loop: Header=BB281_41 Depth=1
	v_mov_b32_e32 v26, v10
	v_mov_b32_e32 v25, v9
	s_mov_b64 s[24:25], 0
	.p2align	6
.LBB281_54:                             ;   Parent Loop BB281_41 Depth=1
                                        ; =>  This Inner Loop Header: Depth=2
	flat_load_dwordx2 v[34:35], v[25:26]
	s_cmp_eq_u32 s24, 3
	v_add_co_u32 v25, vcc_lo, v25, s22
	v_add_co_ci_u32_e64 v26, null, s23, v26, vcc_lo
	s_cselect_b32 vcc_lo, -1, 0
	s_cmp_eq_u32 s24, 2
	s_cselect_b32 s6, -1, 0
	s_cmp_eq_u32 s24, 1
	s_cselect_b32 s8, -1, 0
	;; [unrolled: 2-line block ×3, first 2 shown]
	s_add_u32 s24, s24, 1
	s_addc_u32 s25, s25, 0
	s_cmp_eq_u32 s15, s24
	s_waitcnt vmcnt(0) lgkmcnt(0)
	v_cndmask_b32_e32 v8, v8, v35, vcc_lo
	v_cndmask_b32_e32 v7, v7, v34, vcc_lo
	v_cndmask_b32_e64 v6, v6, v35, s6
	v_cndmask_b32_e64 v5, v5, v34, s6
	;; [unrolled: 1-line block ×6, first 2 shown]
	s_cbranch_scc0 .LBB281_54
.LBB281_55:                             ;   in Loop: Header=BB281_41 Depth=1
	s_andn2_b32 vcc_lo, exec_lo, s12
	s_cbranch_vccnz .LBB281_58
; %bb.56:                               ;   in Loop: Header=BB281_41 Depth=1
	v_mov_b32_e32 v26, v18
	v_mov_b32_e32 v25, v17
	s_mov_b64 s[8:9], 0
	.p2align	6
.LBB281_57:                             ;   Parent Loop BB281_41 Depth=1
                                        ; =>  This Inner Loop Header: Depth=2
	flat_load_dwordx2 v[34:35], v[25:26]
	s_cmp_eq_u32 s8, 1
	s_cselect_b32 vcc_lo, -1, 0
	s_cmp_eq_u32 s8, 2
	v_cndmask_b32_e32 v0, v2, v4, vcc_lo
	v_cndmask_b32_e32 v22, v1, v3, vcc_lo
	s_cselect_b32 vcc_lo, -1, 0
	s_cmp_eq_u32 s8, 3
	v_cndmask_b32_e32 v0, v0, v6, vcc_lo
	v_cndmask_b32_e32 v22, v22, v5, vcc_lo
	s_cselect_b32 vcc_lo, -1, 0
	s_add_u32 s8, s8, 1
	s_addc_u32 s9, s9, 0
	v_cndmask_b32_e32 v37, v0, v8, vcc_lo
	v_cndmask_b32_e32 v36, v22, v7, vcc_lo
	v_add_co_u32 v25, vcc_lo, v25, 8
	v_add_co_ci_u32_e64 v26, null, 0, v26, vcc_lo
	s_cmp_lg_u32 s15, s8
	s_waitcnt vmcnt(0) lgkmcnt(0)
	v_fma_f64 v[23:24], v[36:37], v[34:35], v[23:24]
	s_cbranch_scc1 .LBB281_57
.LBB281_58:                             ;   in Loop: Header=BB281_41 Depth=1
	s_or_b32 exec_lo, exec_lo, s28
	s_or_b32 exec_lo, exec_lo, s27
	s_and_saveexec_b32 s6, s2
	s_cbranch_execnz .LBB281_44
	s_branch .LBB281_45
.LBB281_59:                             ;   in Loop: Header=BB281_41 Depth=1
	ds_read_b64 v[22:23], v27
	s_or_b32 exec_lo, exec_lo, s6
	s_and_saveexec_b32 s6, s2
	s_cbranch_execz .LBB281_49
.LBB281_60:                             ;   in Loop: Header=BB281_41 Depth=1
	s_waitcnt lgkmcnt(0)
	ds_bpermute_b32 v24, v30, v22
	ds_bpermute_b32 v25, v30, v23
	s_waitcnt lgkmcnt(0)
	v_add_f64 v[22:23], v[22:23], v[24:25]
	ds_bpermute_b32 v24, v31, v22
	ds_bpermute_b32 v25, v31, v23
	s_waitcnt lgkmcnt(0)
	v_add_f64 v[22:23], v[22:23], v[24:25]
	ds_bpermute_b32 v24, v32, v22
	ds_bpermute_b32 v25, v32, v23
	s_waitcnt lgkmcnt(0)
	v_add_f64 v[22:23], v[22:23], v[24:25]
	s_or_b32 exec_lo, exec_lo, s6
	s_and_saveexec_b32 s6, s5
	s_cbranch_execz .LBB281_40
.LBB281_61:                             ;   in Loop: Header=BB281_41 Depth=1
	s_waitcnt lgkmcnt(0)
	v_mul_f64 v[22:23], s[16:17], v[22:23]
	s_mul_hi_u32 s9, s7, s14
	s_mul_i32 s8, s7, s14
	s_lshl_b64 s[8:9], s[8:9], 3
	s_add_u32 s8, s10, s8
	s_addc_u32 s9, s26, s9
	global_store_dwordx2 v21, v[22:23], s[8:9]
	s_branch .LBB281_40
.LBB281_62:
	s_endpgm
	.section	.rodata,"a",@progbits
	.p2align	6, 0x0
	.amdhsa_kernel _ZL23rocblas_gemvt_sn_kernelILb1ELi256ELi4ElPKdS1_dEviiT4_lPKT3_lilS5_lilPT5_i
		.amdhsa_group_segment_fixed_size 256
		.amdhsa_private_segment_fixed_size 0
		.amdhsa_kernarg_size 360
		.amdhsa_user_sgpr_count 6
		.amdhsa_user_sgpr_private_segment_buffer 1
		.amdhsa_user_sgpr_dispatch_ptr 0
		.amdhsa_user_sgpr_queue_ptr 0
		.amdhsa_user_sgpr_kernarg_segment_ptr 1
		.amdhsa_user_sgpr_dispatch_id 0
		.amdhsa_user_sgpr_flat_scratch_init 0
		.amdhsa_user_sgpr_private_segment_size 0
		.amdhsa_wavefront_size32 1
		.amdhsa_uses_dynamic_stack 0
		.amdhsa_system_sgpr_private_segment_wavefront_offset 0
		.amdhsa_system_sgpr_workgroup_id_x 1
		.amdhsa_system_sgpr_workgroup_id_y 0
		.amdhsa_system_sgpr_workgroup_id_z 1
		.amdhsa_system_sgpr_workgroup_info 0
		.amdhsa_system_vgpr_workitem_id 0
		.amdhsa_next_free_vgpr 73
		.amdhsa_next_free_sgpr 50
		.amdhsa_reserve_vcc 1
		.amdhsa_reserve_flat_scratch 1
		.amdhsa_float_round_mode_32 0
		.amdhsa_float_round_mode_16_64 0
		.amdhsa_float_denorm_mode_32 3
		.amdhsa_float_denorm_mode_16_64 3
		.amdhsa_dx10_clamp 1
		.amdhsa_ieee_mode 1
		.amdhsa_fp16_overflow 0
		.amdhsa_workgroup_processor_mode 1
		.amdhsa_memory_ordered 1
		.amdhsa_forward_progress 1
		.amdhsa_shared_vgpr_count 0
		.amdhsa_exception_fp_ieee_invalid_op 0
		.amdhsa_exception_fp_denorm_src 0
		.amdhsa_exception_fp_ieee_div_zero 0
		.amdhsa_exception_fp_ieee_overflow 0
		.amdhsa_exception_fp_ieee_underflow 0
		.amdhsa_exception_fp_ieee_inexact 0
		.amdhsa_exception_int_div_zero 0
	.end_amdhsa_kernel
	.section	.text._ZL23rocblas_gemvt_sn_kernelILb1ELi256ELi4ElPKdS1_dEviiT4_lPKT3_lilS5_lilPT5_i,"axG",@progbits,_ZL23rocblas_gemvt_sn_kernelILb1ELi256ELi4ElPKdS1_dEviiT4_lPKT3_lilS5_lilPT5_i,comdat
.Lfunc_end281:
	.size	_ZL23rocblas_gemvt_sn_kernelILb1ELi256ELi4ElPKdS1_dEviiT4_lPKT3_lilS5_lilPT5_i, .Lfunc_end281-_ZL23rocblas_gemvt_sn_kernelILb1ELi256ELi4ElPKdS1_dEviiT4_lPKT3_lilS5_lilPT5_i
                                        ; -- End function
	.set _ZL23rocblas_gemvt_sn_kernelILb1ELi256ELi4ElPKdS1_dEviiT4_lPKT3_lilS5_lilPT5_i.num_vgpr, 73
	.set _ZL23rocblas_gemvt_sn_kernelILb1ELi256ELi4ElPKdS1_dEviiT4_lPKT3_lilS5_lilPT5_i.num_agpr, 0
	.set _ZL23rocblas_gemvt_sn_kernelILb1ELi256ELi4ElPKdS1_dEviiT4_lPKT3_lilS5_lilPT5_i.numbered_sgpr, 50
	.set _ZL23rocblas_gemvt_sn_kernelILb1ELi256ELi4ElPKdS1_dEviiT4_lPKT3_lilS5_lilPT5_i.num_named_barrier, 0
	.set _ZL23rocblas_gemvt_sn_kernelILb1ELi256ELi4ElPKdS1_dEviiT4_lPKT3_lilS5_lilPT5_i.private_seg_size, 0
	.set _ZL23rocblas_gemvt_sn_kernelILb1ELi256ELi4ElPKdS1_dEviiT4_lPKT3_lilS5_lilPT5_i.uses_vcc, 1
	.set _ZL23rocblas_gemvt_sn_kernelILb1ELi256ELi4ElPKdS1_dEviiT4_lPKT3_lilS5_lilPT5_i.uses_flat_scratch, 1
	.set _ZL23rocblas_gemvt_sn_kernelILb1ELi256ELi4ElPKdS1_dEviiT4_lPKT3_lilS5_lilPT5_i.has_dyn_sized_stack, 0
	.set _ZL23rocblas_gemvt_sn_kernelILb1ELi256ELi4ElPKdS1_dEviiT4_lPKT3_lilS5_lilPT5_i.has_recursion, 0
	.set _ZL23rocblas_gemvt_sn_kernelILb1ELi256ELi4ElPKdS1_dEviiT4_lPKT3_lilS5_lilPT5_i.has_indirect_call, 0
	.section	.AMDGPU.csdata,"",@progbits
; Kernel info:
; codeLenInByte = 4064
; TotalNumSgprs: 52
; NumVgprs: 73
; ScratchSize: 0
; MemoryBound: 1
; FloatMode: 240
; IeeeMode: 1
; LDSByteSize: 256 bytes/workgroup (compile time only)
; SGPRBlocks: 0
; VGPRBlocks: 9
; NumSGPRsForWavesPerEU: 52
; NumVGPRsForWavesPerEU: 73
; Occupancy: 12
; WaveLimiterHint : 0
; COMPUTE_PGM_RSRC2:SCRATCH_EN: 0
; COMPUTE_PGM_RSRC2:USER_SGPR: 6
; COMPUTE_PGM_RSRC2:TRAP_HANDLER: 0
; COMPUTE_PGM_RSRC2:TGID_X_EN: 1
; COMPUTE_PGM_RSRC2:TGID_Y_EN: 0
; COMPUTE_PGM_RSRC2:TGID_Z_EN: 1
; COMPUTE_PGM_RSRC2:TIDIG_COMP_CNT: 0
	.section	.text._ZL23rocblas_gemvt_sn_kernelILb1ELi256ELi4EiPKdddEviiT4_lPKT3_lilS5_lilPT5_i,"axG",@progbits,_ZL23rocblas_gemvt_sn_kernelILb1ELi256ELi4EiPKdddEviiT4_lPKT3_lilS5_lilPT5_i,comdat
	.globl	_ZL23rocblas_gemvt_sn_kernelILb1ELi256ELi4EiPKdddEviiT4_lPKT3_lilS5_lilPT5_i ; -- Begin function _ZL23rocblas_gemvt_sn_kernelILb1ELi256ELi4EiPKdddEviiT4_lPKT3_lilS5_lilPT5_i
	.p2align	8
	.type	_ZL23rocblas_gemvt_sn_kernelILb1ELi256ELi4EiPKdddEviiT4_lPKT3_lilS5_lilPT5_i,@function
_ZL23rocblas_gemvt_sn_kernelILb1ELi256ELi4EiPKdddEviiT4_lPKT3_lilS5_lilPT5_i: ; @_ZL23rocblas_gemvt_sn_kernelILb1ELi256ELi4EiPKdddEviiT4_lPKT3_lilS5_lilPT5_i
; %bb.0:
	s_load_dwordx2 s[10:11], s[4:5], 0x8
	s_mov_b32 s2, s7
	s_mov_b64 s[0:1], 0
	s_mov_b32 s3, 0
	s_waitcnt lgkmcnt(0)
	v_cmp_neq_f64_e64 s8, s[10:11], 0
	v_cmp_eq_f64_e64 s7, s[10:11], 0
	s_and_b32 vcc_lo, exec_lo, s8
	s_cbranch_vccnz .LBB282_2
; %bb.1:
	s_mov_b32 s9, s3
	s_andn2_b32 vcc_lo, exec_lo, s9
	s_cbranch_vccz .LBB282_3
	s_branch .LBB282_4
.LBB282_2:
.LBB282_3:
	s_load_dwordx4 s[12:15], s[4:5], 0x18
	s_lshl_b64 s[0:1], s[2:3], 3
	s_waitcnt lgkmcnt(0)
	s_add_u32 s0, s12, s0
	s_addc_u32 s1, s13, s1
	s_lshl_b64 s[12:13], s[14:15], 3
	s_load_dwordx2 s[0:1], s[0:1], 0x0
	s_waitcnt lgkmcnt(0)
	s_add_u32 s0, s0, s12
	s_addc_u32 s1, s1, s13
.LBB282_4:
	s_andn2_b32 vcc_lo, exec_lo, s8
	s_cbranch_vccnz .LBB282_6
; %bb.5:
	s_load_dwordx4 s[12:15], s[4:5], 0x38
	s_lshl_b64 s[8:9], s[2:3], 3
	s_waitcnt lgkmcnt(0)
	s_add_u32 s8, s12, s8
	s_addc_u32 s9, s13, s9
	s_lshl_b64 s[12:13], s[14:15], 3
	s_load_dwordx2 s[8:9], s[8:9], 0x0
	s_waitcnt lgkmcnt(0)
	s_add_u32 s12, s8, s12
	s_addc_u32 s13, s9, s13
	s_branch .LBB282_7
.LBB282_6:
	s_mov_b64 s[12:13], 0
.LBB282_7:
	s_clause 0x2
	s_load_dwordx2 s[14:15], s[4:5], 0x0
	s_load_dword s16, s[4:5], 0x68
	s_load_dwordx2 s[8:9], s[4:5], 0x58
	s_waitcnt lgkmcnt(0)
	s_ashr_i32 s19, s15, 31
	s_mul_hi_u32 s3, s2, s15
	s_mul_i32 s17, s2, s19
	s_mul_i32 s2, s2, s15
	s_add_i32 s3, s3, s17
	s_mul_hi_u32 s17, s2, s16
	s_mul_i32 s3, s3, s16
	s_mul_i32 s2, s2, s16
	s_add_i32 s3, s17, s3
	s_mov_b32 s17, 0
	s_lshl_b64 s[2:3], s[2:3], 3
	s_add_u32 s31, s8, s2
	s_addc_u32 s33, s9, s3
	s_andn2_b32 vcc_lo, exec_lo, s7
	s_mov_b32 s2, -1
	s_cbranch_vccnz .LBB282_12
; %bb.8:
	v_cmp_eq_u32_e32 vcc_lo, 0, v0
	s_cmp_gt_i32 s15, 0
	s_cselect_b32 s2, -1, 0
	s_and_b32 s2, vcc_lo, s2
	s_and_saveexec_b32 s18, s2
	s_cbranch_execz .LBB282_11
; %bb.9:
	v_mov_b32_e32 v1, 0
	s_mov_b32 s7, 0
	s_lshl_b64 s[2:3], s[6:7], 3
	s_mov_b32 s7, s15
	v_mov_b32_e32 v2, v1
	s_add_u32 s2, s31, s2
	s_addc_u32 s3, s33, s3
	s_lshl_b64 s[8:9], s[16:17], 3
.LBB282_10:                             ; =>This Inner Loop Header: Depth=1
	s_add_i32 s7, s7, -1
	global_store_dwordx2 v1, v[1:2], s[2:3]
	s_add_u32 s2, s2, s8
	s_addc_u32 s3, s3, s9
	s_cmp_eq_u32 s7, 0
	s_cbranch_scc0 .LBB282_10
.LBB282_11:
	s_or_b32 exec_lo, exec_lo, s18
	s_mov_b32 s2, 0
.LBB282_12:
	s_andn2_b32 vcc_lo, exec_lo, s2
	s_cbranch_vccnz .LBB282_65
; %bb.13:
	s_clause 0x1
	s_load_dword s18, s[4:5], 0x28
	s_load_dword s17, s[4:5], 0x48
	s_lshl_b32 s2, s6, 10
	s_lshr_b32 s3, s19, 30
	v_lshl_or_b32 v1, v0, 2, s2
	s_ashr_i32 s2, s14, 31
	s_add_i32 s3, s15, s3
	s_lshr_b32 s2, s2, 30
	v_and_b32_e32 v35, 31, v0
	v_ashrrev_i32_e32 v2, 31, v1
	s_add_i32 s2, s14, s2
	v_add_nc_u32_e32 v38, 4, v1
	s_and_b32 s2, s2, -4
	v_mbcnt_lo_u32_b32 v37, -1, 0
	v_lshlrev_b64 v[2:3], 3, v[1:2]
	s_sub_i32 s30, s14, s2
	v_lshrrev_b32_e32 v36, 2, v0
	v_add_nc_u32_e32 v39, s30, v1
	v_cmp_eq_u32_e64 s2, 0, v0
	s_and_b32 s34, s3, -4
	v_add_co_u32 v33, vcc_lo, s0, v2
	s_waitcnt lgkmcnt(0)
	v_mul_lo_u32 v19, s17, v1
	v_add_co_ci_u32_e64 v34, null, s1, v3, vcc_lo
	v_cmp_gt_u32_e64 s0, 32, v0
	v_cmp_gt_u32_e64 s1, 8, v0
	s_cmp_lt_i32 s34, 1
	s_cbranch_scc1 .LBB282_40
; %bb.14:
	v_cmp_gt_u32_e32 vcc_lo, 24, v37
	v_mul_lo_u32 v20, s17, v1
	v_mov_b32_e32 v9, 0
	s_cmp_gt_i32 s30, 0
	s_mov_b32 s21, 0
	v_cndmask_b32_e64 v2, 0, 8, vcc_lo
	v_cmp_gt_u32_e32 vcc_lo, 28, v37
	v_mov_b32_e32 v10, v9
	v_mov_b32_e32 v11, v9
	v_add_nc_u32_e32 v1, s17, v20
	v_ashrrev_i32_e32 v21, 31, v20
	v_cndmask_b32_e64 v3, 0, 4, vcc_lo
	v_cmp_gt_u32_e32 vcc_lo, 30, v37
	v_add_lshl_u32 v41, v2, v37, 2
	v_ashrrev_i32_e32 v2, 31, v1
	v_mov_b32_e32 v12, v9
	v_add_lshl_u32 v42, v3, v37, 2
	v_cndmask_b32_e64 v4, 0, 2, vcc_lo
	v_cmp_ne_u32_e32 vcc_lo, 31, v37
	v_add_nc_u32_e32 v3, s17, v1
	v_lshlrev_b64 v[1:2], 3, v[1:2]
	v_mov_b32_e32 v13, v9
	v_add_lshl_u32 v43, v4, v37, 2
	v_add_co_ci_u32_e64 v5, null, 0, v37, vcc_lo
	v_add_nc_u32_e32 v7, s17, v3
	v_ashrrev_i32_e32 v4, 31, v3
	v_mov_b32_e32 v14, v9
	v_lshlrev_b32_e32 v44, 2, v5
	v_lshlrev_b64 v[5:6], 3, v[20:21]
	v_ashrrev_i32_e32 v8, 31, v7
	v_lshlrev_b64 v[3:4], 3, v[3:4]
	v_mov_b32_e32 v15, v9
	v_mov_b32_e32 v16, v9
	v_cmp_ge_i32_e64 s3, s14, v38
	v_add_co_u32 v21, vcc_lo, s12, v5
	v_add_co_ci_u32_e64 v22, null, s13, v6, vcc_lo
	v_add_co_u32 v23, vcc_lo, s12, v1
	v_add_co_ci_u32_e64 v24, null, s13, v2, vcc_lo
	v_lshlrev_b64 v[1:2], 3, v[7:8]
	v_add_co_u32 v25, vcc_lo, s12, v3
	v_add_co_ci_u32_e64 v26, null, s13, v4, vcc_lo
	v_cmp_ge_i32_e64 s4, s14, v39
	v_add_co_u32 v27, vcc_lo, s12, v1
	v_add_co_ci_u32_e64 v28, null, s13, v2, vcc_lo
	v_mov_b32_e32 v1, v9
	v_lshl_or_b32 v40, v37, 2, 64
	v_cmp_eq_u32_e64 s5, 0, v35
	v_lshlrev_b32_e32 v45, 3, v35
	v_and_b32_e32 v46, 56, v36
	v_mov_b32_e32 v2, v10
	v_mov_b32_e32 v3, v11
	;; [unrolled: 1-line block ×7, first 2 shown]
	s_cselect_b32 s35, -1, 0
	s_mov_b32 s19, s21
	s_lshl_b32 s20, s18, 1
	s_lshl_b32 s36, s18, 2
	s_mul_i32 s37, s18, 3
	s_mov_b32 s38, s21
	s_mov_b32 s22, s21
	s_mov_b64 s[24:25], s[20:21]
	s_mov_b64 s[26:27], s[18:19]
	s_mov_b32 s19, 0
	s_branch .LBB282_16
.LBB282_15:                             ;   in Loop: Header=BB282_16 Depth=1
	s_or_b32 exec_lo, exec_lo, s7
	s_add_i32 s19, s19, 4
	s_add_u32 s26, s26, s36
	s_addc_u32 s27, s27, 0
	s_add_u32 s24, s24, s36
	s_addc_u32 s25, s25, 0
	;; [unrolled: 2-line block ×3, first 2 shown]
	s_add_i32 s22, s22, s36
	s_cmp_ge_i32 s19, s34
	s_cbranch_scc1 .LBB282_41
.LBB282_16:                             ; =>This Loop Header: Depth=1
                                        ;     Child Loop BB282_22 Depth 2
                                        ;     Child Loop BB282_25 Depth 2
	;; [unrolled: 1-line block ×3, first 2 shown]
                                        ; implicit-def: $vgpr11_vgpr12_vgpr13_vgpr14_vgpr15_vgpr16_vgpr17_vgpr18
	s_and_saveexec_b32 s7, s3
	s_xor_b32 s7, exec_lo, s7
	s_cbranch_execz .LBB282_18
; %bb.17:                               ;   in Loop: Header=BB282_16 Depth=1
	s_mul_i32 s8, s19, s18
	s_ashr_i32 s9, s8, 31
	s_add_i32 s28, s8, s18
	s_lshl_b64 s[8:9], s[8:9], 3
	s_ashr_i32 s29, s28, 31
	v_add_co_u32 v7, vcc_lo, v33, s8
	v_add_co_ci_u32_e64 v8, null, s9, v34, vcc_lo
	s_lshl_b64 s[8:9], s[28:29], 3
	s_add_i32 s28, s28, s18
	v_add_co_u32 v55, vcc_lo, v33, s8
	s_ashr_i32 s29, s28, 31
	s_add_i32 s8, s28, s18
	v_add_co_ci_u32_e64 v56, null, s9, v34, vcc_lo
	s_lshl_b64 s[28:29], s[28:29], 3
	s_ashr_i32 s9, s8, 31
	v_add_co_u32 v59, vcc_lo, v33, s28
	s_lshl_b64 s[8:9], s[8:9], 3
	v_add_co_ci_u32_e64 v60, null, s29, v34, vcc_lo
	v_add_co_u32 v63, vcc_lo, v33, s8
	v_add_co_ci_u32_e64 v64, null, s9, v34, vcc_lo
	flat_load_dwordx2 v[1:2], v[21:22]
	s_clause 0x3
	flat_load_dwordx4 v[10:13], v[7:8]
	flat_load_dwordx4 v[14:17], v[55:56]
	;; [unrolled: 1-line block ×4, first 2 shown]
	s_clause 0x1
	flat_load_dwordx2 v[3:4], v[23:24]
	flat_load_dwordx2 v[5:6], v[25:26]
	s_clause 0x3
	flat_load_dwordx4 v[51:54], v[7:8] offset:16
	flat_load_dwordx4 v[55:58], v[55:56] offset:16
	flat_load_dwordx4 v[59:62], v[59:60] offset:16
	flat_load_dwordx4 v[63:66], v[63:64] offset:16
	flat_load_dwordx2 v[7:8], v[27:28]
	s_waitcnt vmcnt(10) lgkmcnt(10)
	v_fma_f64 v[10:11], v[1:2], v[10:11], 0
	s_waitcnt vmcnt(9) lgkmcnt(9)
	v_fma_f64 v[14:15], v[1:2], v[14:15], 0
	s_waitcnt vmcnt(8) lgkmcnt(8)
	v_fma_f64 v[29:30], v[1:2], v[29:30], 0
	s_waitcnt vmcnt(7) lgkmcnt(7)
	v_fma_f64 v[47:48], v[1:2], v[47:48], 0
	s_waitcnt vmcnt(6) lgkmcnt(6)
	v_fma_f64 v[10:11], v[3:4], v[12:13], v[10:11]
	v_fma_f64 v[12:13], v[3:4], v[16:17], v[14:15]
	v_fma_f64 v[14:15], v[3:4], v[31:32], v[29:30]
	;; [unrolled: 1-line block ×3, first 2 shown]
	s_waitcnt vmcnt(4) lgkmcnt(4)
	v_fma_f64 v[10:11], v[5:6], v[51:52], v[10:11]
	s_waitcnt vmcnt(3) lgkmcnt(3)
	v_fma_f64 v[29:30], v[5:6], v[55:56], v[12:13]
	;; [unrolled: 2-line block ×5, first 2 shown]
	v_fma_f64 v[13:14], v[7:8], v[57:58], v[29:30]
	v_fma_f64 v[15:16], v[7:8], v[61:62], v[31:32]
	;; [unrolled: 1-line block ×3, first 2 shown]
.LBB282_18:                             ;   in Loop: Header=BB282_16 Depth=1
	s_andn2_saveexec_b32 s20, s7
	s_cbranch_execz .LBB282_28
; %bb.19:                               ;   in Loop: Header=BB282_16 Depth=1
	v_mov_b32_e32 v16, v9
	v_mov_b32_e32 v10, v9
	;; [unrolled: 1-line block ×15, first 2 shown]
	s_and_saveexec_b32 s39, s4
	s_cbranch_execz .LBB282_27
; %bb.20:                               ;   in Loop: Header=BB282_16 Depth=1
	s_andn2_b32 vcc_lo, exec_lo, s35
	s_cbranch_vccnz .LBB282_23
; %bb.21:                               ;   in Loop: Header=BB282_16 Depth=1
	v_mov_b32_e32 v10, v20
	s_mov_b64 s[28:29], 0
	s_inst_prefetch 0x1
	.p2align	6
.LBB282_22:                             ;   Parent Loop BB282_16 Depth=1
                                        ; =>  This Inner Loop Header: Depth=2
	v_ashrrev_i32_e32 v11, 31, v10
	s_cmp_eq_u32 s28, 3
	v_lshlrev_b64 v[11:12], 3, v[10:11]
	v_add_nc_u32_e32 v10, s17, v10
	v_add_co_u32 v11, vcc_lo, s12, v11
	v_add_co_ci_u32_e64 v12, null, s13, v12, vcc_lo
	s_cselect_b32 vcc_lo, -1, 0
	s_cmp_eq_u32 s28, 2
	s_cselect_b32 s7, -1, 0
	flat_load_dwordx2 v[11:12], v[11:12]
	s_cmp_eq_u32 s28, 1
	s_cselect_b32 s8, -1, 0
	s_cmp_eq_u32 s28, 0
	s_cselect_b32 s9, -1, 0
	s_add_u32 s28, s28, 1
	s_addc_u32 s29, s29, 0
	s_cmp_eq_u32 s30, s28
	s_waitcnt vmcnt(0) lgkmcnt(0)
	v_cndmask_b32_e32 v8, v8, v12, vcc_lo
	v_cndmask_b32_e32 v7, v7, v11, vcc_lo
	v_cndmask_b32_e64 v6, v6, v12, s7
	v_cndmask_b32_e64 v5, v5, v11, s7
	;; [unrolled: 1-line block ×6, first 2 shown]
	s_cbranch_scc0 .LBB282_22
.LBB282_23:                             ;   in Loop: Header=BB282_16 Depth=1
	s_inst_prefetch 0x2
	s_andn2_b32 vcc_lo, exec_lo, s35
	s_cbranch_vccnz .LBB282_26
; %bb.24:                               ;   in Loop: Header=BB282_16 Depth=1
	s_ashr_i32 s23, s22, 31
	v_mov_b32_e32 v11, 0
	s_lshl_b64 s[8:9], s[22:23], 3
	v_mov_b32_e32 v13, 0
	v_add_co_u32 v29, vcc_lo, v33, s8
	v_mov_b32_e32 v15, 0
	v_mov_b32_e32 v17, 0
	;; [unrolled: 1-line block ×6, first 2 shown]
	v_add_co_ci_u32_e64 v30, null, s9, v34, vcc_lo
	s_mov_b64 s[28:29], 0
.LBB282_25:                             ;   Parent Loop BB282_16 Depth=1
                                        ; =>  This Inner Loop Header: Depth=2
	s_cmp_eq_u32 s28, 1
	s_cselect_b32 vcc_lo, -1, 0
	s_cmp_eq_u32 s28, 2
	v_cndmask_b32_e32 v10, v2, v4, vcc_lo
	s_cselect_b32 s7, -1, 0
	s_cmp_eq_u32 s28, 3
	v_cndmask_b32_e32 v53, v1, v3, vcc_lo
	s_cselect_b32 s8, -1, 0
	s_add_i32 s40, s26, s28
	s_add_i32 s42, s24, s28
	s_ashr_i32 s41, s40, 31
	s_add_i32 s44, s37, s28
	s_ashr_i32 s43, s42, 31
	s_lshl_b64 s[40:41], s[40:41], 3
	s_ashr_i32 s45, s44, 31
	s_lshl_b64 s[42:43], s[42:43], 3
	v_add_co_u32 v31, s9, v33, s40
	s_lshl_b64 s[44:45], s[44:45], 3
	v_add_co_ci_u32_e64 v32, null, s41, v34, s9
	v_add_co_u32 v47, s9, v33, s42
	v_add_co_ci_u32_e64 v48, null, s43, v34, s9
	v_add_co_u32 v49, s9, v33, s44
	v_add_co_ci_u32_e64 v50, null, s45, v34, s9
	flat_load_dwordx2 v[51:52], v[29:30]
	s_clause 0x2
	flat_load_dwordx2 v[31:32], v[31:32]
	flat_load_dwordx2 v[47:48], v[47:48]
	;; [unrolled: 1-line block ×3, first 2 shown]
	v_cndmask_b32_e64 v10, v10, v6, s7
	v_cndmask_b32_e64 v53, v53, v5, s7
	v_add_co_u32 v29, vcc_lo, v29, 8
	v_add_co_ci_u32_e64 v30, null, 0, v30, vcc_lo
	v_cndmask_b32_e64 v54, v10, v8, s8
	v_cndmask_b32_e64 v53, v53, v7, s8
	s_add_u32 s28, s28, 1
	s_addc_u32 s29, s29, 0
	s_cmp_lg_u32 s30, s28
	s_waitcnt vmcnt(3) lgkmcnt(3)
	v_fma_f64 v[11:12], v[53:54], v[51:52], v[11:12]
	s_waitcnt vmcnt(2) lgkmcnt(2)
	v_fma_f64 v[13:14], v[53:54], v[31:32], v[13:14]
	;; [unrolled: 2-line block ×4, first 2 shown]
	s_cbranch_scc1 .LBB282_25
	s_branch .LBB282_27
.LBB282_26:                             ;   in Loop: Header=BB282_16 Depth=1
	v_mov_b32_e32 v16, v9
	v_mov_b32_e32 v10, v9
	;; [unrolled: 1-line block ×15, first 2 shown]
.LBB282_27:                             ;   in Loop: Header=BB282_16 Depth=1
	s_or_b32 exec_lo, exec_lo, s39
.LBB282_28:                             ;   in Loop: Header=BB282_16 Depth=1
	s_or_b32 exec_lo, exec_lo, s20
	s_mov_b64 s[8:9], 0
	s_branch .LBB282_30
.LBB282_29:                             ;   in Loop: Header=BB282_30 Depth=2
	s_or_b32 exec_lo, exec_lo, s7
	s_cmp_eq_u32 s8, 3
	s_cselect_b32 vcc_lo, -1, 0
	s_cmp_eq_u32 s8, 2
	s_waitcnt lgkmcnt(0)
	v_cndmask_b32_e32 v18, v18, v30, vcc_lo
	v_cndmask_b32_e32 v17, v17, v29, vcc_lo
	s_cselect_b32 vcc_lo, -1, 0
	s_cmp_eq_u32 s8, 1
	v_cndmask_b32_e32 v16, v16, v30, vcc_lo
	v_cndmask_b32_e32 v15, v15, v29, vcc_lo
	s_cselect_b32 vcc_lo, -1, 0
	s_cmp_eq_u32 s8, 0
	v_cndmask_b32_e32 v14, v14, v30, vcc_lo
	v_cndmask_b32_e32 v13, v13, v29, vcc_lo
	s_cselect_b32 vcc_lo, -1, 0
	s_add_u32 s8, s8, 1
	v_cndmask_b32_e32 v12, v12, v30, vcc_lo
	v_cndmask_b32_e32 v11, v11, v29, vcc_lo
	s_addc_u32 s9, s9, 0
	s_cmp_eq_u32 s8, 4
	s_cbranch_scc1 .LBB282_38
.LBB282_30:                             ;   Parent Loop BB282_16 Depth=1
                                        ; =>  This Inner Loop Header: Depth=2
	s_and_saveexec_b32 s7, s0
; %bb.31:                               ;   in Loop: Header=BB282_30 Depth=2
	v_mov_b32_e32 v10, v9
	ds_write_b64 v45, v[9:10]
; %bb.32:                               ;   in Loop: Header=BB282_30 Depth=2
	s_or_b32 exec_lo, exec_lo, s7
	s_cmp_eq_u32 s8, 1
	s_waitcnt lgkmcnt(0)
	s_waitcnt_vscnt null, 0x0
	s_cselect_b32 vcc_lo, -1, 0
	s_cmp_eq_u32 s8, 2
	v_cndmask_b32_e32 v10, v12, v14, vcc_lo
	v_cndmask_b32_e32 v29, v11, v13, vcc_lo
	s_cselect_b32 vcc_lo, -1, 0
	s_cmp_eq_u32 s8, 3
	s_barrier
	v_cndmask_b32_e32 v10, v10, v16, vcc_lo
	v_cndmask_b32_e32 v29, v29, v15, vcc_lo
	s_cselect_b32 vcc_lo, -1, 0
	buffer_gl0_inv
	v_cndmask_b32_e32 v30, v10, v18, vcc_lo
	v_cndmask_b32_e32 v29, v29, v17, vcc_lo
	ds_bpermute_b32 v32, v40, v30
	ds_bpermute_b32 v31, v40, v29
	s_waitcnt lgkmcnt(0)
	v_add_f64 v[29:30], v[29:30], v[31:32]
	ds_bpermute_b32 v31, v41, v29
	ds_bpermute_b32 v32, v41, v30
	s_waitcnt lgkmcnt(0)
	v_add_f64 v[29:30], v[29:30], v[31:32]
	;; [unrolled: 4-line block ×4, first 2 shown]
	ds_bpermute_b32 v31, v44, v29
	ds_bpermute_b32 v32, v44, v30
	s_and_saveexec_b32 s7, s5
	s_cbranch_execz .LBB282_34
; %bb.33:                               ;   in Loop: Header=BB282_30 Depth=2
	s_waitcnt lgkmcnt(0)
	v_add_f64 v[29:30], v[29:30], v[31:32]
	ds_write_b64 v46, v[29:30]
.LBB282_34:                             ;   in Loop: Header=BB282_30 Depth=2
	s_or_b32 exec_lo, exec_lo, s7
	v_mov_b32_e32 v29, 0
	v_mov_b32_e32 v30, 0
	s_waitcnt lgkmcnt(0)
	s_barrier
	buffer_gl0_inv
	s_and_saveexec_b32 s7, s1
; %bb.35:                               ;   in Loop: Header=BB282_30 Depth=2
	ds_read_b64 v[29:30], v45
; %bb.36:                               ;   in Loop: Header=BB282_30 Depth=2
	s_or_b32 exec_lo, exec_lo, s7
	s_and_saveexec_b32 s7, s0
	s_cbranch_execz .LBB282_29
; %bb.37:                               ;   in Loop: Header=BB282_30 Depth=2
	s_waitcnt lgkmcnt(0)
	ds_bpermute_b32 v31, v42, v29
	ds_bpermute_b32 v32, v42, v30
	s_waitcnt lgkmcnt(0)
	v_add_f64 v[29:30], v[29:30], v[31:32]
	ds_bpermute_b32 v31, v43, v29
	ds_bpermute_b32 v32, v43, v30
	s_waitcnt lgkmcnt(0)
	v_add_f64 v[29:30], v[29:30], v[31:32]
	;; [unrolled: 4-line block ×3, first 2 shown]
	s_branch .LBB282_29
.LBB282_38:                             ;   in Loop: Header=BB282_16 Depth=1
	s_and_saveexec_b32 s7, s2
	s_cbranch_execz .LBB282_15
; %bb.39:                               ;   in Loop: Header=BB282_16 Depth=1
	s_mul_i32 s8, s19, s16
	v_mul_f64 v[10:11], s[10:11], v[11:12]
	v_mul_f64 v[12:13], s[10:11], v[13:14]
	;; [unrolled: 1-line block ×3, first 2 shown]
	s_add_i32 s20, s8, s6
	v_mul_f64 v[16:17], s[10:11], v[17:18]
	s_lshl_b64 s[8:9], s[20:21], 3
	s_add_u32 s8, s31, s8
	s_addc_u32 s9, s33, s9
	s_add_i32 s20, s20, s16
	s_lshl_b64 s[28:29], s[20:21], 3
	s_add_u32 s28, s31, s28
	s_addc_u32 s29, s33, s29
	s_add_i32 s20, s20, s16
	global_store_dwordx2 v9, v[10:11], s[8:9]
	global_store_dwordx2 v9, v[12:13], s[28:29]
	s_lshl_b64 s[40:41], s[20:21], 3
	s_add_u32 s40, s31, s40
	s_addc_u32 s41, s33, s41
	s_add_i32 s20, s20, s16
	s_lshl_b64 s[42:43], s[20:21], 3
	s_add_u32 s42, s31, s42
	s_addc_u32 s43, s33, s43
	global_store_dwordx2 v9, v[14:15], s[40:41]
	global_store_dwordx2 v9, v[16:17], s[42:43]
	s_branch .LBB282_15
.LBB282_40:
	v_mov_b32_e32 v1, 0
	s_mov_b32 s19, 0
	v_mov_b32_e32 v2, v1
	v_mov_b32_e32 v3, v1
	;; [unrolled: 1-line block ×7, first 2 shown]
.LBB282_41:
	s_cmp_ge_i32 s19, s15
	s_cbranch_scc1 .LBB282_65
; %bb.42:
	v_cmp_gt_u32_e32 vcc_lo, 24, v37
	v_ashrrev_i32_e32 v20, 31, v19
	s_cmp_gt_i32 s30, 0
	s_mov_b32 s7, 0
	v_cmp_ge_i32_e64 s0, s14, v38
	v_cndmask_b32_e64 v9, 0, 8, vcc_lo
	v_cmp_gt_u32_e32 vcc_lo, 28, v37
	v_lshlrev_b64 v[13:14], 3, v[19:20]
	v_cmp_ge_i32_e64 s1, s14, v39
	s_cselect_b32 s14, -1, 0
	v_add_lshl_u32 v26, v9, v37, 2
	v_cndmask_b32_e64 v10, 0, 4, vcc_lo
	v_cmp_gt_u32_e32 vcc_lo, 30, v37
	v_add_nc_u32_e32 v9, s17, v19
	v_cmp_gt_u32_e64 s2, 32, v0
	v_lshlrev_b32_e32 v24, 3, v35
	v_add_lshl_u32 v27, v10, v37, 2
	v_cndmask_b32_e64 v11, 0, 2, vcc_lo
	v_cmp_ne_u32_e32 vcc_lo, 31, v37
	v_ashrrev_i32_e32 v10, 31, v9
	v_lshl_or_b32 v25, v37, 2, 64
	v_cmp_eq_u32_e64 s3, 0, v35
	v_add_lshl_u32 v28, v11, v37, 2
	v_add_nc_u32_e32 v11, s17, v9
	v_add_co_ci_u32_e64 v12, null, 0, v37, vcc_lo
	v_lshlrev_b64 v[15:16], 3, v[9:10]
	v_add_co_u32 v9, vcc_lo, s12, v13
	v_add_nc_u32_e32 v17, s17, v11
	v_lshlrev_b32_e32 v29, 2, v12
	v_ashrrev_i32_e32 v12, 31, v11
	v_add_co_ci_u32_e64 v10, null, s13, v14, vcc_lo
	v_ashrrev_i32_e32 v18, 31, v17
	v_and_b32_e32 v30, 56, v36
	v_lshlrev_b64 v[13:14], 3, v[11:12]
	v_add_co_u32 v11, vcc_lo, s12, v15
	v_add_co_ci_u32_e64 v12, null, s13, v16, vcc_lo
	v_lshlrev_b64 v[15:16], 3, v[17:18]
	v_add_co_u32 v13, vcc_lo, s12, v13
	v_add_co_ci_u32_e64 v14, null, s13, v14, vcc_lo
	v_cmp_gt_u32_e64 s4, 8, v0
	v_add_co_u32 v15, vcc_lo, s12, v15
	v_cmp_eq_u32_e64 s5, 0, v0
	s_lshl_b64 s[8:9], s[6:7], 3
	v_add_co_ci_u32_e64 v16, null, s13, v16, vcc_lo
	v_mov_b32_e32 v17, 0
	s_add_u32 s24, s31, s8
	s_addc_u32 s25, s33, s9
	s_mul_i32 s20, s19, s18
	s_branch .LBB282_44
.LBB282_43:                             ;   in Loop: Header=BB282_44 Depth=1
	s_or_b32 exec_lo, exec_lo, s6
	s_add_i32 s19, s19, 1
	s_add_i32 s20, s20, s18
	s_cmp_ge_i32 s19, s15
	s_cbranch_scc1 .LBB282_65
.LBB282_44:                             ; =>This Loop Header: Depth=1
                                        ;     Child Loop BB282_57 Depth 2
                                        ;     Child Loop BB282_60 Depth 2
	s_waitcnt lgkmcnt(0)
	v_mov_b32_e32 v20, s7
	v_mov_b32_e32 v21, s7
	s_and_saveexec_b32 s6, s0
	s_xor_b32 s6, exec_lo, s6
	s_cbranch_execnz .LBB282_53
; %bb.45:                               ;   in Loop: Header=BB282_44 Depth=1
	s_andn2_saveexec_b32 s26, s6
	s_cbranch_execnz .LBB282_54
.LBB282_46:                             ;   in Loop: Header=BB282_44 Depth=1
	s_or_b32 exec_lo, exec_lo, s26
	s_and_saveexec_b32 s6, s2
.LBB282_47:                             ;   in Loop: Header=BB282_44 Depth=1
	v_mov_b32_e32 v18, v17
	ds_write_b64 v24, v[17:18]
.LBB282_48:                             ;   in Loop: Header=BB282_44 Depth=1
	s_or_b32 exec_lo, exec_lo, s6
	ds_bpermute_b32 v22, v25, v20
	ds_bpermute_b32 v23, v25, v21
	s_waitcnt lgkmcnt(0)
	s_waitcnt_vscnt null, 0x0
	s_barrier
	buffer_gl0_inv
	v_add_f64 v[20:21], v[20:21], v[22:23]
	ds_bpermute_b32 v22, v26, v20
	ds_bpermute_b32 v23, v26, v21
	s_waitcnt lgkmcnt(0)
	v_add_f64 v[20:21], v[20:21], v[22:23]
	ds_bpermute_b32 v22, v27, v20
	ds_bpermute_b32 v23, v27, v21
	s_waitcnt lgkmcnt(0)
	v_add_f64 v[20:21], v[20:21], v[22:23]
	ds_bpermute_b32 v22, v28, v20
	ds_bpermute_b32 v23, v28, v21
	s_waitcnt lgkmcnt(0)
	v_add_f64 v[20:21], v[20:21], v[22:23]
	ds_bpermute_b32 v22, v29, v20
	ds_bpermute_b32 v23, v29, v21
	s_and_saveexec_b32 s6, s3
	s_cbranch_execz .LBB282_50
; %bb.49:                               ;   in Loop: Header=BB282_44 Depth=1
	s_waitcnt lgkmcnt(0)
	v_add_f64 v[20:21], v[20:21], v[22:23]
	ds_write_b64 v30, v[20:21]
.LBB282_50:                             ;   in Loop: Header=BB282_44 Depth=1
	s_or_b32 exec_lo, exec_lo, s6
	v_mov_b32_e32 v20, 0
	v_mov_b32_e32 v21, 0
	s_waitcnt lgkmcnt(0)
	s_barrier
	buffer_gl0_inv
	s_and_saveexec_b32 s6, s4
	s_cbranch_execnz .LBB282_62
; %bb.51:                               ;   in Loop: Header=BB282_44 Depth=1
	s_or_b32 exec_lo, exec_lo, s6
	s_and_saveexec_b32 s6, s2
	s_cbranch_execnz .LBB282_63
.LBB282_52:                             ;   in Loop: Header=BB282_44 Depth=1
	s_or_b32 exec_lo, exec_lo, s6
	s_and_saveexec_b32 s6, s5
	s_cbranch_execz .LBB282_43
	s_branch .LBB282_64
.LBB282_53:                             ;   in Loop: Header=BB282_44 Depth=1
	s_mul_i32 s8, s19, s18
	s_ashr_i32 s9, s8, 31
	s_lshl_b64 s[8:9], s[8:9], 3
	v_add_co_u32 v5, vcc_lo, v33, s8
	v_add_co_ci_u32_e64 v6, null, s9, v34, vcc_lo
	flat_load_dwordx4 v[20:23], v[5:6]
	s_clause 0x1
	flat_load_dwordx2 v[1:2], v[9:10]
	flat_load_dwordx2 v[3:4], v[11:12]
	flat_load_dwordx4 v[35:38], v[5:6] offset:16
	s_clause 0x1
	flat_load_dwordx2 v[5:6], v[13:14]
	flat_load_dwordx2 v[7:8], v[15:16]
	s_waitcnt vmcnt(4) lgkmcnt(4)
	v_fma_f64 v[20:21], v[1:2], v[20:21], 0
	s_waitcnt vmcnt(3) lgkmcnt(3)
	v_fma_f64 v[20:21], v[3:4], v[22:23], v[20:21]
	;; [unrolled: 2-line block ×4, first 2 shown]
	s_andn2_saveexec_b32 s26, s6
	s_cbranch_execz .LBB282_46
.LBB282_54:                             ;   in Loop: Header=BB282_44 Depth=1
	s_and_saveexec_b32 s27, s1
	s_cbranch_execz .LBB282_61
; %bb.55:                               ;   in Loop: Header=BB282_44 Depth=1
	s_andn2_b32 vcc_lo, exec_lo, s14
	s_cbranch_vccnz .LBB282_58
; %bb.56:                               ;   in Loop: Header=BB282_44 Depth=1
	v_mov_b32_e32 v22, v19
	s_mov_b64 s[22:23], 0
	s_inst_prefetch 0x1
	.p2align	6
.LBB282_57:                             ;   Parent Loop BB282_44 Depth=1
                                        ; =>  This Inner Loop Header: Depth=2
	v_ashrrev_i32_e32 v23, 31, v22
	s_cmp_eq_u32 s22, 3
	v_lshlrev_b64 v[31:32], 3, v[22:23]
	v_add_nc_u32_e32 v22, s17, v22
	v_add_co_u32 v31, vcc_lo, s12, v31
	v_add_co_ci_u32_e64 v32, null, s13, v32, vcc_lo
	s_cselect_b32 vcc_lo, -1, 0
	s_cmp_eq_u32 s22, 2
	s_cselect_b32 s6, -1, 0
	flat_load_dwordx2 v[31:32], v[31:32]
	s_cmp_eq_u32 s22, 1
	s_cselect_b32 s8, -1, 0
	s_cmp_eq_u32 s22, 0
	s_cselect_b32 s9, -1, 0
	s_add_u32 s22, s22, 1
	s_addc_u32 s23, s23, 0
	s_cmp_eq_u32 s30, s22
	s_waitcnt vmcnt(0) lgkmcnt(0)
	v_cndmask_b32_e32 v8, v8, v32, vcc_lo
	v_cndmask_b32_e32 v7, v7, v31, vcc_lo
	v_cndmask_b32_e64 v6, v6, v32, s6
	v_cndmask_b32_e64 v5, v5, v31, s6
	;; [unrolled: 1-line block ×6, first 2 shown]
	s_cbranch_scc0 .LBB282_57
.LBB282_58:                             ;   in Loop: Header=BB282_44 Depth=1
	s_inst_prefetch 0x2
	s_andn2_b32 vcc_lo, exec_lo, s14
	s_cbranch_vccnz .LBB282_61
; %bb.59:                               ;   in Loop: Header=BB282_44 Depth=1
	s_ashr_i32 s21, s20, 31
	s_lshl_b64 s[8:9], s[20:21], 3
	v_add_co_u32 v22, vcc_lo, v33, s8
	v_add_co_ci_u32_e64 v23, null, s9, v34, vcc_lo
	s_mov_b64 s[8:9], 0
	.p2align	6
.LBB282_60:                             ;   Parent Loop BB282_44 Depth=1
                                        ; =>  This Inner Loop Header: Depth=2
	flat_load_dwordx2 v[31:32], v[22:23]
	s_cmp_eq_u32 s8, 1
	s_cselect_b32 vcc_lo, -1, 0
	s_cmp_eq_u32 s8, 2
	v_cndmask_b32_e32 v0, v2, v4, vcc_lo
	v_cndmask_b32_e32 v18, v1, v3, vcc_lo
	s_cselect_b32 vcc_lo, -1, 0
	s_cmp_eq_u32 s8, 3
	v_cndmask_b32_e32 v0, v0, v6, vcc_lo
	v_cndmask_b32_e32 v18, v18, v5, vcc_lo
	s_cselect_b32 vcc_lo, -1, 0
	s_add_u32 s8, s8, 1
	s_addc_u32 s9, s9, 0
	v_cndmask_b32_e32 v36, v0, v8, vcc_lo
	v_cndmask_b32_e32 v35, v18, v7, vcc_lo
	v_add_co_u32 v22, vcc_lo, v22, 8
	v_add_co_ci_u32_e64 v23, null, 0, v23, vcc_lo
	s_cmp_lg_u32 s30, s8
	s_waitcnt vmcnt(0) lgkmcnt(0)
	v_fma_f64 v[20:21], v[35:36], v[31:32], v[20:21]
	s_cbranch_scc1 .LBB282_60
.LBB282_61:                             ;   in Loop: Header=BB282_44 Depth=1
	s_or_b32 exec_lo, exec_lo, s27
	s_or_b32 exec_lo, exec_lo, s26
	s_and_saveexec_b32 s6, s2
	s_cbranch_execnz .LBB282_47
	s_branch .LBB282_48
.LBB282_62:                             ;   in Loop: Header=BB282_44 Depth=1
	ds_read_b64 v[20:21], v24
	s_or_b32 exec_lo, exec_lo, s6
	s_and_saveexec_b32 s6, s2
	s_cbranch_execz .LBB282_52
.LBB282_63:                             ;   in Loop: Header=BB282_44 Depth=1
	s_waitcnt lgkmcnt(0)
	ds_bpermute_b32 v22, v27, v20
	ds_bpermute_b32 v23, v27, v21
	s_waitcnt lgkmcnt(0)
	v_add_f64 v[20:21], v[20:21], v[22:23]
	ds_bpermute_b32 v22, v28, v20
	ds_bpermute_b32 v23, v28, v21
	s_waitcnt lgkmcnt(0)
	v_add_f64 v[20:21], v[20:21], v[22:23]
	ds_bpermute_b32 v22, v29, v20
	ds_bpermute_b32 v23, v29, v21
	s_waitcnt lgkmcnt(0)
	v_add_f64 v[20:21], v[20:21], v[22:23]
	s_or_b32 exec_lo, exec_lo, s6
	s_and_saveexec_b32 s6, s5
	s_cbranch_execz .LBB282_43
.LBB282_64:                             ;   in Loop: Header=BB282_44 Depth=1
	s_waitcnt lgkmcnt(0)
	v_mul_f64 v[20:21], s[10:11], v[20:21]
	s_mul_hi_u32 s9, s19, s16
	s_mul_i32 s8, s19, s16
	s_lshl_b64 s[8:9], s[8:9], 3
	s_add_u32 s8, s24, s8
	s_addc_u32 s9, s25, s9
	global_store_dwordx2 v17, v[20:21], s[8:9]
	s_branch .LBB282_43
.LBB282_65:
	s_endpgm
	.section	.rodata,"a",@progbits
	.p2align	6, 0x0
	.amdhsa_kernel _ZL23rocblas_gemvt_sn_kernelILb1ELi256ELi4EiPKdddEviiT4_lPKT3_lilS5_lilPT5_i
		.amdhsa_group_segment_fixed_size 256
		.amdhsa_private_segment_fixed_size 0
		.amdhsa_kernarg_size 360
		.amdhsa_user_sgpr_count 6
		.amdhsa_user_sgpr_private_segment_buffer 1
		.amdhsa_user_sgpr_dispatch_ptr 0
		.amdhsa_user_sgpr_queue_ptr 0
		.amdhsa_user_sgpr_kernarg_segment_ptr 1
		.amdhsa_user_sgpr_dispatch_id 0
		.amdhsa_user_sgpr_flat_scratch_init 0
		.amdhsa_user_sgpr_private_segment_size 0
		.amdhsa_wavefront_size32 1
		.amdhsa_uses_dynamic_stack 0
		.amdhsa_system_sgpr_private_segment_wavefront_offset 0
		.amdhsa_system_sgpr_workgroup_id_x 1
		.amdhsa_system_sgpr_workgroup_id_y 0
		.amdhsa_system_sgpr_workgroup_id_z 1
		.amdhsa_system_sgpr_workgroup_info 0
		.amdhsa_system_vgpr_workitem_id 0
		.amdhsa_next_free_vgpr 67
		.amdhsa_next_free_sgpr 46
		.amdhsa_reserve_vcc 1
		.amdhsa_reserve_flat_scratch 1
		.amdhsa_float_round_mode_32 0
		.amdhsa_float_round_mode_16_64 0
		.amdhsa_float_denorm_mode_32 3
		.amdhsa_float_denorm_mode_16_64 3
		.amdhsa_dx10_clamp 1
		.amdhsa_ieee_mode 1
		.amdhsa_fp16_overflow 0
		.amdhsa_workgroup_processor_mode 1
		.amdhsa_memory_ordered 1
		.amdhsa_forward_progress 1
		.amdhsa_shared_vgpr_count 0
		.amdhsa_exception_fp_ieee_invalid_op 0
		.amdhsa_exception_fp_denorm_src 0
		.amdhsa_exception_fp_ieee_div_zero 0
		.amdhsa_exception_fp_ieee_overflow 0
		.amdhsa_exception_fp_ieee_underflow 0
		.amdhsa_exception_fp_ieee_inexact 0
		.amdhsa_exception_int_div_zero 0
	.end_amdhsa_kernel
	.section	.text._ZL23rocblas_gemvt_sn_kernelILb1ELi256ELi4EiPKdddEviiT4_lPKT3_lilS5_lilPT5_i,"axG",@progbits,_ZL23rocblas_gemvt_sn_kernelILb1ELi256ELi4EiPKdddEviiT4_lPKT3_lilS5_lilPT5_i,comdat
.Lfunc_end282:
	.size	_ZL23rocblas_gemvt_sn_kernelILb1ELi256ELi4EiPKdddEviiT4_lPKT3_lilS5_lilPT5_i, .Lfunc_end282-_ZL23rocblas_gemvt_sn_kernelILb1ELi256ELi4EiPKdddEviiT4_lPKT3_lilS5_lilPT5_i
                                        ; -- End function
	.set _ZL23rocblas_gemvt_sn_kernelILb1ELi256ELi4EiPKdddEviiT4_lPKT3_lilS5_lilPT5_i.num_vgpr, 67
	.set _ZL23rocblas_gemvt_sn_kernelILb1ELi256ELi4EiPKdddEviiT4_lPKT3_lilS5_lilPT5_i.num_agpr, 0
	.set _ZL23rocblas_gemvt_sn_kernelILb1ELi256ELi4EiPKdddEviiT4_lPKT3_lilS5_lilPT5_i.numbered_sgpr, 46
	.set _ZL23rocblas_gemvt_sn_kernelILb1ELi256ELi4EiPKdddEviiT4_lPKT3_lilS5_lilPT5_i.num_named_barrier, 0
	.set _ZL23rocblas_gemvt_sn_kernelILb1ELi256ELi4EiPKdddEviiT4_lPKT3_lilS5_lilPT5_i.private_seg_size, 0
	.set _ZL23rocblas_gemvt_sn_kernelILb1ELi256ELi4EiPKdddEviiT4_lPKT3_lilS5_lilPT5_i.uses_vcc, 1
	.set _ZL23rocblas_gemvt_sn_kernelILb1ELi256ELi4EiPKdddEviiT4_lPKT3_lilS5_lilPT5_i.uses_flat_scratch, 1
	.set _ZL23rocblas_gemvt_sn_kernelILb1ELi256ELi4EiPKdddEviiT4_lPKT3_lilS5_lilPT5_i.has_dyn_sized_stack, 0
	.set _ZL23rocblas_gemvt_sn_kernelILb1ELi256ELi4EiPKdddEviiT4_lPKT3_lilS5_lilPT5_i.has_recursion, 0
	.set _ZL23rocblas_gemvt_sn_kernelILb1ELi256ELi4EiPKdddEviiT4_lPKT3_lilS5_lilPT5_i.has_indirect_call, 0
	.section	.AMDGPU.csdata,"",@progbits
; Kernel info:
; codeLenInByte = 4000
; TotalNumSgprs: 48
; NumVgprs: 67
; ScratchSize: 0
; MemoryBound: 1
; FloatMode: 240
; IeeeMode: 1
; LDSByteSize: 256 bytes/workgroup (compile time only)
; SGPRBlocks: 0
; VGPRBlocks: 8
; NumSGPRsForWavesPerEU: 48
; NumVGPRsForWavesPerEU: 67
; Occupancy: 12
; WaveLimiterHint : 0
; COMPUTE_PGM_RSRC2:SCRATCH_EN: 0
; COMPUTE_PGM_RSRC2:USER_SGPR: 6
; COMPUTE_PGM_RSRC2:TRAP_HANDLER: 0
; COMPUTE_PGM_RSRC2:TGID_X_EN: 1
; COMPUTE_PGM_RSRC2:TGID_Y_EN: 0
; COMPUTE_PGM_RSRC2:TGID_Z_EN: 1
; COMPUTE_PGM_RSRC2:TIDIG_COMP_CNT: 0
	.section	.text._ZL23rocblas_gemvt_sn_kernelILb1ELi256ELi4ElPKdddEviiT4_lPKT3_lilS5_lilPT5_i,"axG",@progbits,_ZL23rocblas_gemvt_sn_kernelILb1ELi256ELi4ElPKdddEviiT4_lPKT3_lilS5_lilPT5_i,comdat
	.globl	_ZL23rocblas_gemvt_sn_kernelILb1ELi256ELi4ElPKdddEviiT4_lPKT3_lilS5_lilPT5_i ; -- Begin function _ZL23rocblas_gemvt_sn_kernelILb1ELi256ELi4ElPKdddEviiT4_lPKT3_lilS5_lilPT5_i
	.p2align	8
	.type	_ZL23rocblas_gemvt_sn_kernelILb1ELi256ELi4ElPKdddEviiT4_lPKT3_lilS5_lilPT5_i,@function
_ZL23rocblas_gemvt_sn_kernelILb1ELi256ELi4ElPKdddEviiT4_lPKT3_lilS5_lilPT5_i: ; @_ZL23rocblas_gemvt_sn_kernelILb1ELi256ELi4ElPKdddEviiT4_lPKT3_lilS5_lilPT5_i
; %bb.0:
	s_load_dwordx2 s[12:13], s[4:5], 0x8
	s_mov_b32 s0, s7
	s_mov_b64 s[20:21], 0
	s_mov_b32 s1, 0
	s_waitcnt lgkmcnt(0)
	v_cmp_neq_f64_e64 s3, s[12:13], 0
	v_cmp_eq_f64_e64 s2, s[12:13], 0
	s_and_b32 vcc_lo, exec_lo, s3
	s_cbranch_vccnz .LBB283_2
; %bb.1:
	s_mov_b32 s7, s1
	s_andn2_b32 vcc_lo, exec_lo, s7
	s_cbranch_vccz .LBB283_3
	s_branch .LBB283_4
.LBB283_2:
.LBB283_3:
	s_load_dwordx4 s[8:11], s[4:5], 0x18
	s_lshl_b64 s[14:15], s[0:1], 3
	s_waitcnt lgkmcnt(0)
	s_add_u32 s8, s8, s14
	s_addc_u32 s9, s9, s15
	s_lshl_b64 s[10:11], s[10:11], 3
	s_load_dwordx2 s[8:9], s[8:9], 0x0
	s_waitcnt lgkmcnt(0)
	s_add_u32 s20, s8, s10
	s_addc_u32 s21, s9, s11
.LBB283_4:
	s_andn2_b32 vcc_lo, exec_lo, s3
	s_cbranch_vccnz .LBB283_6
; %bb.5:
	s_load_dwordx4 s[8:11], s[4:5], 0x38
	s_lshl_b64 s[14:15], s[0:1], 3
	s_waitcnt lgkmcnt(0)
	s_add_u32 s8, s8, s14
	s_addc_u32 s9, s9, s15
	s_lshl_b64 s[10:11], s[10:11], 3
	s_load_dwordx2 s[8:9], s[8:9], 0x0
	s_waitcnt lgkmcnt(0)
	s_add_u32 s22, s8, s10
	s_addc_u32 s23, s9, s11
	s_branch .LBB283_7
.LBB283_6:
	s_mov_b64 s[22:23], 0
.LBB283_7:
	s_clause 0x2
	s_load_dwordx2 s[14:15], s[4:5], 0x0
	s_load_dword s16, s[4:5], 0x68
	s_load_dwordx2 s[10:11], s[4:5], 0x58
	s_mov_b32 s17, 0
	s_waitcnt lgkmcnt(0)
	s_ashr_i32 s8, s15, 31
	s_mul_hi_u32 s1, s0, s15
	s_mul_i32 s3, s0, s8
	s_mul_i32 s0, s0, s15
	s_add_i32 s1, s1, s3
	s_mul_hi_u32 s3, s0, s16
	s_mul_i32 s1, s1, s16
	s_mul_i32 s0, s0, s16
	s_add_i32 s1, s3, s1
	s_lshl_b64 s[0:1], s[0:1], 3
	s_add_u32 s33, s10, s0
	s_addc_u32 s38, s11, s1
	s_andn2_b32 vcc_lo, exec_lo, s2
	s_mov_b32 s0, -1
	s_cbranch_vccnz .LBB283_12
; %bb.8:
	v_cmp_eq_u32_e32 vcc_lo, 0, v0
	s_cmp_gt_i32 s15, 0
	s_cselect_b32 s0, -1, 0
	s_and_b32 s0, vcc_lo, s0
	s_and_saveexec_b32 s9, s0
	s_cbranch_execz .LBB283_11
; %bb.9:
	v_mov_b32_e32 v1, 0
	s_mov_b32 s7, 0
	s_lshl_b64 s[0:1], s[6:7], 3
	s_mov_b32 s7, s15
	v_mov_b32_e32 v2, v1
	s_add_u32 s0, s33, s0
	s_addc_u32 s1, s38, s1
	s_lshl_b64 s[2:3], s[16:17], 3
.LBB283_10:                             ; =>This Inner Loop Header: Depth=1
	s_add_i32 s7, s7, -1
	global_store_dwordx2 v1, v[1:2], s[0:1]
	s_add_u32 s0, s0, s2
	s_addc_u32 s1, s1, s3
	s_cmp_eq_u32 s7, 0
	s_cbranch_scc0 .LBB283_10
.LBB283_11:
	s_or_b32 exec_lo, exec_lo, s9
	s_mov_b32 s0, 0
.LBB283_12:
	s_andn2_b32 vcc_lo, exec_lo, s0
	s_cbranch_vccnz .LBB283_65
; %bb.13:
	s_lshl_b32 s0, s6, 10
	s_clause 0x1
	s_load_dword s18, s[4:5], 0x28
	s_load_dword s24, s[4:5], 0x48
	v_lshl_or_b32 v23, v0, 2, s0
	s_ashr_i32 s0, s14, 31
	s_lshr_b32 s1, s8, 30
	s_lshr_b32 s0, s0, 30
	s_add_i32 s1, s15, s1
	v_ashrrev_i32_e32 v24, 31, v23
	s_add_i32 s0, s14, s0
	s_and_b32 s39, s1, -4
	s_and_b32 s0, s0, -4
	v_add_nc_u32_e32 v44, 4, v23
	v_lshlrev_b64 v[21:22], 3, v[23:24]
	s_sub_i32 s17, s14, s0
	v_and_b32_e32 v41, 31, v0
	v_add_nc_u32_e32 v45, s17, v23
	v_cmp_gt_u32_e64 s0, 32, v0
	v_mbcnt_lo_u32_b32 v43, -1, 0
	v_add_co_u32 v19, vcc_lo, s20, v21
	v_add_co_ci_u32_e64 v20, null, s21, v22, vcc_lo
	v_cmp_gt_u32_e64 s1, 8, v0
	v_lshrrev_b32_e32 v42, 2, v0
	v_cmp_eq_u32_e64 s2, 0, v0
	v_or_b32_e32 v40, 1, v23
	v_or_b32_e32 v39, 2, v23
	v_or_b32_e32 v38, 3, v23
	s_waitcnt lgkmcnt(0)
	s_ashr_i32 s19, s18, 31
	s_ashr_i32 s25, s24, 31
	s_cmp_lt_i32 s39, 1
	s_cbranch_scc1 .LBB283_40
; %bb.14:
	v_cmp_gt_u32_e32 vcc_lo, 24, v43
	v_mad_i64_i32 v[5:6], null, s24, v39, 0
	v_mad_i64_i32 v[7:8], null, s24, v38, 0
	v_cndmask_b32_e64 v1, 0, 8, vcc_lo
	v_cmp_gt_u32_e32 vcc_lo, 28, v43
	v_mov_b32_e32 v9, 0
	s_cmp_gt_i32 s17, 0
	s_mov_b32 s7, 0
	v_add_lshl_u32 v47, v1, v43, 2
	v_cndmask_b32_e64 v2, 0, 4, vcc_lo
	v_cmp_gt_u32_e32 vcc_lo, 30, v43
	v_mov_b32_e32 v10, v9
	v_mov_b32_e32 v11, v9
	;; [unrolled: 1-line block ×3, first 2 shown]
	v_add_lshl_u32 v48, v2, v43, 2
	v_cndmask_b32_e64 v3, 0, 2, vcc_lo
	v_cmp_ne_u32_e32 vcc_lo, 31, v43
	v_mad_i64_i32 v[1:2], null, s24, v23, 0
	v_mov_b32_e32 v13, v9
	v_add_lshl_u32 v49, v3, v43, 2
	v_add_co_ci_u32_e64 v4, null, 0, v43, vcc_lo
	v_mov_b32_e32 v14, v9
	v_mov_b32_e32 v15, v9
	v_lshlrev_b64 v[1:2], 3, v[1:2]
	v_lshlrev_b32_e32 v50, 2, v4
	v_mad_i64_i32 v[3:4], null, s24, v40, 0
	v_mov_b32_e32 v16, v9
	v_mov_b32_e32 v33, v20
	v_add_co_u32 v24, vcc_lo, s22, v1
	v_add_co_ci_u32_e64 v25, null, s23, v2, vcc_lo
	v_lshlrev_b64 v[3:4], 3, v[3:4]
	v_lshlrev_b64 v[1:2], 3, v[5:6]
	v_cmp_ge_i32_e64 s3, s14, v44
	v_cmp_ge_i32_e64 s4, s14, v45
	s_cselect_b32 s40, -1, 0
	v_lshl_or_b32 v46, v43, 2, 64
	v_add_co_u32 v26, vcc_lo, s22, v3
	v_add_co_ci_u32_e64 v27, null, s23, v4, vcc_lo
	v_lshlrev_b64 v[3:4], 3, v[7:8]
	v_add_co_u32 v28, vcc_lo, s22, v1
	v_add_co_ci_u32_e64 v29, null, s23, v2, vcc_lo
	v_cmp_eq_u32_e64 s5, 0, v41
	v_add_co_u32 v30, vcc_lo, s22, v3
	v_add_co_ci_u32_e64 v31, null, s23, v4, vcc_lo
	v_mov_b32_e32 v1, v9
	v_lshlrev_b32_e32 v51, 3, v41
	s_lshl_b64 s[8:9], s[6:7], 3
	v_and_b32_e32 v52, 56, v42
	v_mov_b32_e32 v32, v19
	v_mov_b32_e32 v2, v10
	;; [unrolled: 1-line block ×8, first 2 shown]
	s_add_u32 s41, s33, s8
	s_addc_u32 s42, s38, s9
	s_lshl_b64 s[26:27], s[24:25], 3
	s_mul_hi_i32 s43, s18, 24
	s_mul_i32 s44, s18, 24
	s_lshl_b64 s[28:29], s[18:19], 5
	s_lshl_b64 s[30:31], s[18:19], 4
	;; [unrolled: 1-line block ×3, first 2 shown]
	s_branch .LBB283_16
.LBB283_15:                             ;   in Loop: Header=BB283_16 Depth=1
	s_or_b32 exec_lo, exec_lo, s8
	v_add_co_u32 v32, vcc_lo, v32, s28
	v_add_co_ci_u32_e64 v33, null, s29, v33, vcc_lo
	s_add_i32 s7, s7, 4
	s_cmp_ge_i32 s7, s39
	s_cbranch_scc1 .LBB283_41
.LBB283_16:                             ; =>This Loop Header: Depth=1
                                        ;     Child Loop BB283_22 Depth 2
                                        ;     Child Loop BB283_25 Depth 2
	;; [unrolled: 1-line block ×3, first 2 shown]
                                        ; implicit-def: $vgpr11_vgpr12_vgpr13_vgpr14_vgpr15_vgpr16_vgpr17_vgpr18
	s_and_saveexec_b32 s8, s3
	s_xor_b32 s8, exec_lo, s8
	s_cbranch_execz .LBB283_18
; %bb.17:                               ;   in Loop: Header=BB283_16 Depth=1
	s_mul_i32 s9, s7, s19
	s_mul_hi_u32 s10, s7, s18
	s_add_i32 s11, s10, s9
	s_mul_i32 s10, s7, s18
	s_or_b32 s9, s7, 1
	s_lshl_b64 s[10:11], s[10:11], 3
	s_mul_i32 s36, s9, s19
	s_mul_hi_u32 s37, s9, s18
	v_add_co_u32 v7, vcc_lo, v19, s10
	v_add_co_ci_u32_e64 v8, null, s11, v20, vcc_lo
	s_add_i32 s11, s37, s36
	s_mul_i32 s10, s9, s18
	s_or_b32 s9, s7, 2
	s_lshl_b64 s[10:11], s[10:11], 3
	s_mul_i32 s36, s9, s19
	s_mul_hi_u32 s37, s9, s18
	v_add_co_u32 v61, vcc_lo, v19, s10
	v_add_co_ci_u32_e64 v62, null, s11, v20, vcc_lo
	s_add_i32 s11, s37, s36
	s_or_b32 s36, s7, 3
	s_mul_i32 s10, s9, s18
	s_mul_i32 s9, s36, s19
	s_mul_hi_u32 s37, s36, s18
	s_lshl_b64 s[10:11], s[10:11], 3
	s_add_i32 s37, s37, s9
	s_mul_i32 s36, s36, s18
	v_add_co_u32 v65, vcc_lo, v19, s10
	v_add_co_ci_u32_e64 v66, null, s11, v20, vcc_lo
	s_lshl_b64 s[10:11], s[36:37], 3
	v_add_co_u32 v69, vcc_lo, v19, s10
	v_add_co_ci_u32_e64 v70, null, s11, v20, vcc_lo
	flat_load_dwordx2 v[1:2], v[24:25]
	s_clause 0x3
	flat_load_dwordx4 v[10:13], v[7:8]
	flat_load_dwordx4 v[14:17], v[61:62]
	;; [unrolled: 1-line block ×4, first 2 shown]
	s_clause 0x1
	flat_load_dwordx2 v[3:4], v[26:27]
	flat_load_dwordx2 v[5:6], v[28:29]
	s_clause 0x3
	flat_load_dwordx4 v[57:60], v[7:8] offset:16
	flat_load_dwordx4 v[61:64], v[61:62] offset:16
	;; [unrolled: 1-line block ×4, first 2 shown]
	flat_load_dwordx2 v[7:8], v[30:31]
	s_waitcnt vmcnt(10) lgkmcnt(10)
	v_fma_f64 v[10:11], v[1:2], v[10:11], 0
	s_waitcnt vmcnt(9) lgkmcnt(9)
	v_fma_f64 v[14:15], v[1:2], v[14:15], 0
	;; [unrolled: 2-line block ×5, first 2 shown]
	v_fma_f64 v[12:13], v[3:4], v[16:17], v[14:15]
	v_fma_f64 v[14:15], v[3:4], v[36:37], v[34:35]
	;; [unrolled: 1-line block ×3, first 2 shown]
	s_waitcnt vmcnt(4) lgkmcnt(4)
	v_fma_f64 v[10:11], v[5:6], v[57:58], v[10:11]
	s_waitcnt vmcnt(3) lgkmcnt(3)
	v_fma_f64 v[34:35], v[5:6], v[61:62], v[12:13]
	;; [unrolled: 2-line block ×5, first 2 shown]
	v_fma_f64 v[13:14], v[7:8], v[63:64], v[34:35]
	v_fma_f64 v[15:16], v[7:8], v[67:68], v[36:37]
	;; [unrolled: 1-line block ×3, first 2 shown]
.LBB283_18:                             ;   in Loop: Header=BB283_16 Depth=1
	s_andn2_saveexec_b32 s45, s8
	s_cbranch_execz .LBB283_28
; %bb.19:                               ;   in Loop: Header=BB283_16 Depth=1
	v_mov_b32_e32 v16, v9
	v_mov_b32_e32 v10, v9
	;; [unrolled: 1-line block ×15, first 2 shown]
	s_and_saveexec_b32 s46, s4
	s_cbranch_execz .LBB283_27
; %bb.20:                               ;   in Loop: Header=BB283_16 Depth=1
	s_andn2_b32 vcc_lo, exec_lo, s40
	s_cbranch_vccnz .LBB283_23
; %bb.21:                               ;   in Loop: Header=BB283_16 Depth=1
	v_mov_b32_e32 v10, v24
	v_mov_b32_e32 v11, v25
	s_mov_b64 s[36:37], 0
	.p2align	6
.LBB283_22:                             ;   Parent Loop BB283_16 Depth=1
                                        ; =>  This Inner Loop Header: Depth=2
	flat_load_dwordx2 v[12:13], v[10:11]
	s_cmp_eq_u32 s36, 3
	v_add_co_u32 v10, vcc_lo, v10, s26
	v_add_co_ci_u32_e64 v11, null, s27, v11, vcc_lo
	s_cselect_b32 vcc_lo, -1, 0
	s_cmp_eq_u32 s36, 2
	s_cselect_b32 s8, -1, 0
	s_cmp_eq_u32 s36, 1
	s_cselect_b32 s9, -1, 0
	;; [unrolled: 2-line block ×3, first 2 shown]
	s_add_u32 s36, s36, 1
	s_addc_u32 s37, s37, 0
	s_cmp_eq_u32 s17, s36
	s_waitcnt vmcnt(0) lgkmcnt(0)
	v_cndmask_b32_e32 v8, v8, v13, vcc_lo
	v_cndmask_b32_e32 v7, v7, v12, vcc_lo
	v_cndmask_b32_e64 v6, v6, v13, s8
	v_cndmask_b32_e64 v5, v5, v12, s8
	v_cndmask_b32_e64 v4, v4, v13, s9
	v_cndmask_b32_e64 v3, v3, v12, s9
	v_cndmask_b32_e64 v2, v2, v13, s10
	v_cndmask_b32_e64 v1, v1, v12, s10
	s_cbranch_scc0 .LBB283_22
.LBB283_23:                             ;   in Loop: Header=BB283_16 Depth=1
	s_andn2_b32 vcc_lo, exec_lo, s40
	s_cbranch_vccnz .LBB283_26
; %bb.24:                               ;   in Loop: Header=BB283_16 Depth=1
	v_mov_b32_e32 v11, 0
	v_mov_b32_e32 v13, 0
	;; [unrolled: 1-line block ×10, first 2 shown]
	s_mov_b64 s[10:11], 0
.LBB283_25:                             ;   Parent Loop BB283_16 Depth=1
                                        ; =>  This Inner Loop Header: Depth=2
	v_add_co_u32 v36, vcc_lo, v34, s34
	v_add_co_ci_u32_e64 v37, null, s35, v35, vcc_lo
	v_add_co_u32 v53, vcc_lo, v34, s30
	v_add_co_ci_u32_e64 v54, null, s31, v35, vcc_lo
	v_add_co_u32 v55, vcc_lo, v34, s44
	v_add_co_ci_u32_e64 v56, null, s43, v35, vcc_lo
	s_clause 0x3
	flat_load_dwordx2 v[57:58], v[34:35]
	flat_load_dwordx2 v[36:37], v[36:37]
	;; [unrolled: 1-line block ×4, first 2 shown]
	s_cmp_eq_u32 s10, 1
	s_cselect_b32 vcc_lo, -1, 0
	s_cmp_eq_u32 s10, 2
	v_cndmask_b32_e32 v10, v2, v4, vcc_lo
	v_cndmask_b32_e32 v59, v1, v3, vcc_lo
	s_cselect_b32 vcc_lo, -1, 0
	s_cmp_eq_u32 s10, 3
	v_cndmask_b32_e32 v10, v10, v6, vcc_lo
	v_cndmask_b32_e32 v59, v59, v5, vcc_lo
	s_cselect_b32 s8, -1, 0
	v_add_co_u32 v34, vcc_lo, v34, 8
	v_cndmask_b32_e64 v60, v10, v8, s8
	v_cndmask_b32_e64 v59, v59, v7, s8
	v_add_co_ci_u32_e64 v35, null, 0, v35, vcc_lo
	s_add_u32 s10, s10, 1
	s_addc_u32 s11, s11, 0
	s_cmp_lg_u32 s17, s10
	s_waitcnt vmcnt(3) lgkmcnt(3)
	v_fma_f64 v[11:12], v[59:60], v[57:58], v[11:12]
	s_waitcnt vmcnt(2) lgkmcnt(2)
	v_fma_f64 v[13:14], v[59:60], v[36:37], v[13:14]
	;; [unrolled: 2-line block ×4, first 2 shown]
	s_cbranch_scc1 .LBB283_25
	s_branch .LBB283_27
.LBB283_26:                             ;   in Loop: Header=BB283_16 Depth=1
	v_mov_b32_e32 v16, v9
	v_mov_b32_e32 v10, v9
	;; [unrolled: 1-line block ×15, first 2 shown]
.LBB283_27:                             ;   in Loop: Header=BB283_16 Depth=1
	s_or_b32 exec_lo, exec_lo, s46
.LBB283_28:                             ;   in Loop: Header=BB283_16 Depth=1
	s_or_b32 exec_lo, exec_lo, s45
	s_mov_b64 s[8:9], 0
	s_branch .LBB283_30
.LBB283_29:                             ;   in Loop: Header=BB283_30 Depth=2
	s_or_b32 exec_lo, exec_lo, s10
	s_cmp_eq_u32 s8, 3
	s_cselect_b32 vcc_lo, -1, 0
	s_cmp_eq_u32 s8, 2
	s_waitcnt lgkmcnt(0)
	v_cndmask_b32_e32 v18, v18, v35, vcc_lo
	v_cndmask_b32_e32 v17, v17, v34, vcc_lo
	s_cselect_b32 vcc_lo, -1, 0
	s_cmp_eq_u32 s8, 1
	v_cndmask_b32_e32 v16, v16, v35, vcc_lo
	v_cndmask_b32_e32 v15, v15, v34, vcc_lo
	s_cselect_b32 vcc_lo, -1, 0
	s_cmp_eq_u32 s8, 0
	v_cndmask_b32_e32 v14, v14, v35, vcc_lo
	v_cndmask_b32_e32 v13, v13, v34, vcc_lo
	s_cselect_b32 vcc_lo, -1, 0
	s_add_u32 s8, s8, 1
	v_cndmask_b32_e32 v12, v12, v35, vcc_lo
	v_cndmask_b32_e32 v11, v11, v34, vcc_lo
	s_addc_u32 s9, s9, 0
	s_cmp_eq_u32 s8, 4
	s_cbranch_scc1 .LBB283_38
.LBB283_30:                             ;   Parent Loop BB283_16 Depth=1
                                        ; =>  This Inner Loop Header: Depth=2
	s_and_saveexec_b32 s10, s0
; %bb.31:                               ;   in Loop: Header=BB283_30 Depth=2
	v_mov_b32_e32 v10, v9
	ds_write_b64 v51, v[9:10]
; %bb.32:                               ;   in Loop: Header=BB283_30 Depth=2
	s_or_b32 exec_lo, exec_lo, s10
	s_cmp_eq_u32 s8, 1
	s_waitcnt lgkmcnt(0)
	s_waitcnt_vscnt null, 0x0
	s_cselect_b32 vcc_lo, -1, 0
	s_cmp_eq_u32 s8, 2
	v_cndmask_b32_e32 v10, v12, v14, vcc_lo
	v_cndmask_b32_e32 v34, v11, v13, vcc_lo
	s_cselect_b32 vcc_lo, -1, 0
	s_cmp_eq_u32 s8, 3
	s_barrier
	v_cndmask_b32_e32 v10, v10, v16, vcc_lo
	v_cndmask_b32_e32 v34, v34, v15, vcc_lo
	s_cselect_b32 vcc_lo, -1, 0
	buffer_gl0_inv
	v_cndmask_b32_e32 v35, v10, v18, vcc_lo
	v_cndmask_b32_e32 v34, v34, v17, vcc_lo
	ds_bpermute_b32 v37, v46, v35
	ds_bpermute_b32 v36, v46, v34
	s_waitcnt lgkmcnt(0)
	v_add_f64 v[34:35], v[34:35], v[36:37]
	ds_bpermute_b32 v36, v47, v34
	ds_bpermute_b32 v37, v47, v35
	s_waitcnt lgkmcnt(0)
	v_add_f64 v[34:35], v[34:35], v[36:37]
	;; [unrolled: 4-line block ×4, first 2 shown]
	ds_bpermute_b32 v36, v50, v34
	ds_bpermute_b32 v37, v50, v35
	s_and_saveexec_b32 s10, s5
	s_cbranch_execz .LBB283_34
; %bb.33:                               ;   in Loop: Header=BB283_30 Depth=2
	s_waitcnt lgkmcnt(0)
	v_add_f64 v[34:35], v[34:35], v[36:37]
	ds_write_b64 v52, v[34:35]
.LBB283_34:                             ;   in Loop: Header=BB283_30 Depth=2
	s_or_b32 exec_lo, exec_lo, s10
	v_mov_b32_e32 v34, 0
	v_mov_b32_e32 v35, 0
	s_waitcnt lgkmcnt(0)
	s_barrier
	buffer_gl0_inv
	s_and_saveexec_b32 s10, s1
; %bb.35:                               ;   in Loop: Header=BB283_30 Depth=2
	ds_read_b64 v[34:35], v51
; %bb.36:                               ;   in Loop: Header=BB283_30 Depth=2
	s_or_b32 exec_lo, exec_lo, s10
	s_and_saveexec_b32 s10, s0
	s_cbranch_execz .LBB283_29
; %bb.37:                               ;   in Loop: Header=BB283_30 Depth=2
	s_waitcnt lgkmcnt(0)
	ds_bpermute_b32 v36, v48, v34
	ds_bpermute_b32 v37, v48, v35
	s_waitcnt lgkmcnt(0)
	v_add_f64 v[34:35], v[34:35], v[36:37]
	ds_bpermute_b32 v36, v49, v34
	ds_bpermute_b32 v37, v49, v35
	s_waitcnt lgkmcnt(0)
	v_add_f64 v[34:35], v[34:35], v[36:37]
	;; [unrolled: 4-line block ×3, first 2 shown]
	s_branch .LBB283_29
.LBB283_38:                             ;   in Loop: Header=BB283_16 Depth=1
	s_and_saveexec_b32 s8, s2
	s_cbranch_execz .LBB283_15
; %bb.39:                               ;   in Loop: Header=BB283_16 Depth=1
	s_mul_hi_u32 s11, s7, s16
	s_mul_i32 s10, s7, s16
	v_mul_f64 v[10:11], s[12:13], v[11:12]
	s_lshl_b64 s[10:11], s[10:11], 3
	v_mul_f64 v[12:13], s[12:13], v[13:14]
	s_add_u32 s10, s41, s10
	s_addc_u32 s11, s42, s11
	s_or_b32 s9, s7, 1
	v_mul_f64 v[14:15], s[12:13], v[15:16]
	v_mul_f64 v[16:17], s[12:13], v[17:18]
	s_mul_hi_u32 s37, s9, s16
	s_mul_i32 s36, s9, s16
	s_lshl_b64 s[36:37], s[36:37], 3
	s_add_u32 s36, s41, s36
	s_addc_u32 s37, s42, s37
	s_or_b32 s9, s7, 2
	s_mul_hi_u32 s47, s9, s16
	s_mul_i32 s46, s9, s16
	s_lshl_b64 s[46:47], s[46:47], 3
	s_add_u32 s46, s41, s46
	s_addc_u32 s47, s42, s47
	s_or_b32 s9, s7, 3
	global_store_dwordx2 v9, v[10:11], s[10:11]
	s_mul_hi_u32 s49, s9, s16
	s_mul_i32 s48, s9, s16
	global_store_dwordx2 v9, v[12:13], s[36:37]
	s_lshl_b64 s[10:11], s[48:49], 3
	s_add_u32 s10, s41, s10
	s_addc_u32 s11, s42, s11
	global_store_dwordx2 v9, v[14:15], s[46:47]
	global_store_dwordx2 v9, v[16:17], s[10:11]
	s_branch .LBB283_15
.LBB283_40:
	v_mov_b32_e32 v1, 0
	s_mov_b32 s7, 0
	v_mov_b32_e32 v2, v1
	v_mov_b32_e32 v3, v1
	;; [unrolled: 1-line block ×7, first 2 shown]
.LBB283_41:
	s_cmp_ge_i32 s7, s15
	s_cbranch_scc1 .LBB283_65
; %bb.42:
	v_cmp_gt_u32_e32 vcc_lo, 24, v43
	v_mad_i64_i32 v[13:14], null, s24, v39, 0
	v_mad_i64_i32 v[15:16], null, s24, v38, 0
	v_cndmask_b32_e64 v9, 0, 8, vcc_lo
	v_cmp_gt_u32_e32 vcc_lo, 28, v43
	s_cmp_gt_i32 s17, 0
	s_mov_b32 s11, 0
	v_lshlrev_b64 v[13:14], 3, v[13:14]
	v_add_lshl_u32 v29, v9, v43, 2
	v_cndmask_b32_e64 v10, 0, 4, vcc_lo
	v_cmp_gt_u32_e32 vcc_lo, 30, v43
	s_mov_b32 s10, s6
	v_lshlrev_b64 v[15:16], 3, v[15:16]
	v_cmp_ge_i32_e64 s0, s14, v44
	v_add_lshl_u32 v30, v10, v43, 2
	v_cndmask_b32_e64 v11, 0, 2, vcc_lo
	v_cmp_ne_u32_e32 vcc_lo, 31, v43
	v_mad_i64_i32 v[9:10], null, s24, v23, 0
	v_cmp_ge_i32_e64 s1, s14, v45
	v_add_lshl_u32 v31, v11, v43, 2
	v_add_co_ci_u32_e64 v12, null, 0, v43, vcc_lo
	s_cselect_b32 s14, -1, 0
	s_lshl_b64 s[8:9], s[10:11], 3
	v_lshlrev_b64 v[9:10], 3, v[9:10]
	v_lshlrev_b32_e32 v32, 2, v12
	v_mad_i64_i32 v[11:12], null, s24, v40, 0
	s_add_u32 s10, s33, s8
	s_mul_i32 s6, s19, s7
	v_add_co_u32 v9, vcc_lo, s22, v9
	v_add_co_ci_u32_e64 v10, null, s23, v10, vcc_lo
	v_lshlrev_b64 v[11:12], 3, v[11:12]
	s_mul_hi_u32 s8, s18, s7
	s_addc_u32 s26, s38, s9
	s_add_i32 s9, s8, s6
	s_mul_i32 s8, s18, s7
	v_cmp_gt_u32_e64 s2, 32, v0
	v_add_co_u32 v11, vcc_lo, s22, v11
	v_add_co_ci_u32_e64 v12, null, s23, v12, vcc_lo
	v_add_co_u32 v13, vcc_lo, s22, v13
	v_add_co_ci_u32_e64 v14, null, s23, v14, vcc_lo
	v_add_co_u32 v15, vcc_lo, s22, v15
	s_lshl_b64 s[8:9], s[8:9], 3
	v_add_co_ci_u32_e64 v16, null, s23, v16, vcc_lo
	s_lshl_b64 s[22:23], s[24:25], 3
	s_add_u32 s6, s20, s8
	s_addc_u32 s8, s21, s9
	v_add_co_u32 v17, vcc_lo, s6, v21
	v_lshlrev_b32_e32 v27, 3, v41
	v_lshl_or_b32 v28, v43, 2, 64
	v_cmp_eq_u32_e64 s3, 0, v41
	v_and_b32_e32 v33, 56, v42
	v_cmp_gt_u32_e64 s4, 8, v0
	v_cmp_eq_u32_e64 s5, 0, v0
	v_add_co_ci_u32_e64 v18, null, s8, v22, vcc_lo
	v_mov_b32_e32 v21, 0
	s_lshl_b64 s[20:21], s[18:19], 3
	s_branch .LBB283_44
.LBB283_43:                             ;   in Loop: Header=BB283_44 Depth=1
	s_or_b32 exec_lo, exec_lo, s6
	v_add_co_u32 v17, vcc_lo, v17, s20
	v_add_co_ci_u32_e64 v18, null, s21, v18, vcc_lo
	s_add_i32 s7, s7, 1
	s_cmp_ge_i32 s7, s15
	s_cbranch_scc1 .LBB283_65
.LBB283_44:                             ; =>This Loop Header: Depth=1
                                        ;     Child Loop BB283_57 Depth 2
                                        ;     Child Loop BB283_60 Depth 2
	s_waitcnt lgkmcnt(0)
	v_mov_b32_e32 v23, s11
	v_mov_b32_e32 v24, s11
	s_and_saveexec_b32 s6, s0
	s_xor_b32 s6, exec_lo, s6
	s_cbranch_execnz .LBB283_53
; %bb.45:                               ;   in Loop: Header=BB283_44 Depth=1
	s_andn2_saveexec_b32 s27, s6
	s_cbranch_execnz .LBB283_54
.LBB283_46:                             ;   in Loop: Header=BB283_44 Depth=1
	s_or_b32 exec_lo, exec_lo, s27
	s_and_saveexec_b32 s6, s2
.LBB283_47:                             ;   in Loop: Header=BB283_44 Depth=1
	v_mov_b32_e32 v22, v21
	ds_write_b64 v27, v[21:22]
.LBB283_48:                             ;   in Loop: Header=BB283_44 Depth=1
	s_or_b32 exec_lo, exec_lo, s6
	ds_bpermute_b32 v25, v28, v23
	ds_bpermute_b32 v26, v28, v24
	s_waitcnt lgkmcnt(0)
	s_waitcnt_vscnt null, 0x0
	s_barrier
	buffer_gl0_inv
	v_add_f64 v[22:23], v[23:24], v[25:26]
	ds_bpermute_b32 v24, v29, v22
	ds_bpermute_b32 v25, v29, v23
	s_waitcnt lgkmcnt(0)
	v_add_f64 v[22:23], v[22:23], v[24:25]
	ds_bpermute_b32 v24, v30, v22
	ds_bpermute_b32 v25, v30, v23
	s_waitcnt lgkmcnt(0)
	v_add_f64 v[22:23], v[22:23], v[24:25]
	ds_bpermute_b32 v24, v31, v22
	ds_bpermute_b32 v25, v31, v23
	s_waitcnt lgkmcnt(0)
	v_add_f64 v[22:23], v[22:23], v[24:25]
	ds_bpermute_b32 v24, v32, v22
	ds_bpermute_b32 v25, v32, v23
	s_and_saveexec_b32 s6, s3
	s_cbranch_execz .LBB283_50
; %bb.49:                               ;   in Loop: Header=BB283_44 Depth=1
	s_waitcnt lgkmcnt(0)
	v_add_f64 v[22:23], v[22:23], v[24:25]
	ds_write_b64 v33, v[22:23]
.LBB283_50:                             ;   in Loop: Header=BB283_44 Depth=1
	s_or_b32 exec_lo, exec_lo, s6
	v_mov_b32_e32 v22, 0
	v_mov_b32_e32 v23, 0
	s_waitcnt lgkmcnt(0)
	s_barrier
	buffer_gl0_inv
	s_and_saveexec_b32 s6, s4
	s_cbranch_execnz .LBB283_62
; %bb.51:                               ;   in Loop: Header=BB283_44 Depth=1
	s_or_b32 exec_lo, exec_lo, s6
	s_and_saveexec_b32 s6, s2
	s_cbranch_execnz .LBB283_63
.LBB283_52:                             ;   in Loop: Header=BB283_44 Depth=1
	s_or_b32 exec_lo, exec_lo, s6
	s_and_saveexec_b32 s6, s5
	s_cbranch_execz .LBB283_43
	s_branch .LBB283_64
.LBB283_53:                             ;   in Loop: Header=BB283_44 Depth=1
	s_mul_i32 s9, s7, s19
	s_mul_hi_u32 s24, s7, s18
	s_mul_i32 s8, s7, s18
	s_add_i32 s9, s24, s9
	s_lshl_b64 s[8:9], s[8:9], 3
	v_add_co_u32 v5, vcc_lo, v19, s8
	v_add_co_ci_u32_e64 v6, null, s9, v20, vcc_lo
	flat_load_dwordx4 v[22:25], v[5:6]
	s_clause 0x1
	flat_load_dwordx2 v[1:2], v[9:10]
	flat_load_dwordx2 v[3:4], v[11:12]
	flat_load_dwordx4 v[34:37], v[5:6] offset:16
	s_clause 0x1
	flat_load_dwordx2 v[5:6], v[13:14]
	flat_load_dwordx2 v[7:8], v[15:16]
	s_waitcnt vmcnt(4) lgkmcnt(4)
	v_fma_f64 v[22:23], v[1:2], v[22:23], 0
	s_waitcnt vmcnt(3) lgkmcnt(3)
	v_fma_f64 v[22:23], v[3:4], v[24:25], v[22:23]
	;; [unrolled: 2-line block ×4, first 2 shown]
	s_andn2_saveexec_b32 s27, s6
	s_cbranch_execz .LBB283_46
.LBB283_54:                             ;   in Loop: Header=BB283_44 Depth=1
	s_and_saveexec_b32 s28, s1
	s_cbranch_execz .LBB283_61
; %bb.55:                               ;   in Loop: Header=BB283_44 Depth=1
	s_andn2_b32 vcc_lo, exec_lo, s14
	s_cbranch_vccnz .LBB283_58
; %bb.56:                               ;   in Loop: Header=BB283_44 Depth=1
	v_mov_b32_e32 v26, v10
	v_mov_b32_e32 v25, v9
	s_mov_b64 s[24:25], 0
	.p2align	6
.LBB283_57:                             ;   Parent Loop BB283_44 Depth=1
                                        ; =>  This Inner Loop Header: Depth=2
	flat_load_dwordx2 v[34:35], v[25:26]
	s_cmp_eq_u32 s24, 3
	v_add_co_u32 v25, vcc_lo, v25, s22
	v_add_co_ci_u32_e64 v26, null, s23, v26, vcc_lo
	s_cselect_b32 vcc_lo, -1, 0
	s_cmp_eq_u32 s24, 2
	s_cselect_b32 s6, -1, 0
	s_cmp_eq_u32 s24, 1
	s_cselect_b32 s8, -1, 0
	;; [unrolled: 2-line block ×3, first 2 shown]
	s_add_u32 s24, s24, 1
	s_addc_u32 s25, s25, 0
	s_cmp_eq_u32 s17, s24
	s_waitcnt vmcnt(0) lgkmcnt(0)
	v_cndmask_b32_e32 v8, v8, v35, vcc_lo
	v_cndmask_b32_e32 v7, v7, v34, vcc_lo
	v_cndmask_b32_e64 v6, v6, v35, s6
	v_cndmask_b32_e64 v5, v5, v34, s6
	;; [unrolled: 1-line block ×6, first 2 shown]
	s_cbranch_scc0 .LBB283_57
.LBB283_58:                             ;   in Loop: Header=BB283_44 Depth=1
	s_andn2_b32 vcc_lo, exec_lo, s14
	s_cbranch_vccnz .LBB283_61
; %bb.59:                               ;   in Loop: Header=BB283_44 Depth=1
	v_mov_b32_e32 v26, v18
	v_mov_b32_e32 v25, v17
	s_mov_b64 s[8:9], 0
	.p2align	6
.LBB283_60:                             ;   Parent Loop BB283_44 Depth=1
                                        ; =>  This Inner Loop Header: Depth=2
	flat_load_dwordx2 v[34:35], v[25:26]
	s_cmp_eq_u32 s8, 1
	s_cselect_b32 vcc_lo, -1, 0
	s_cmp_eq_u32 s8, 2
	v_cndmask_b32_e32 v0, v2, v4, vcc_lo
	v_cndmask_b32_e32 v22, v1, v3, vcc_lo
	s_cselect_b32 vcc_lo, -1, 0
	s_cmp_eq_u32 s8, 3
	v_cndmask_b32_e32 v0, v0, v6, vcc_lo
	v_cndmask_b32_e32 v22, v22, v5, vcc_lo
	s_cselect_b32 vcc_lo, -1, 0
	s_add_u32 s8, s8, 1
	s_addc_u32 s9, s9, 0
	v_cndmask_b32_e32 v37, v0, v8, vcc_lo
	v_cndmask_b32_e32 v36, v22, v7, vcc_lo
	v_add_co_u32 v25, vcc_lo, v25, 8
	v_add_co_ci_u32_e64 v26, null, 0, v26, vcc_lo
	s_cmp_lg_u32 s17, s8
	s_waitcnt vmcnt(0) lgkmcnt(0)
	v_fma_f64 v[23:24], v[36:37], v[34:35], v[23:24]
	s_cbranch_scc1 .LBB283_60
.LBB283_61:                             ;   in Loop: Header=BB283_44 Depth=1
	s_or_b32 exec_lo, exec_lo, s28
	s_or_b32 exec_lo, exec_lo, s27
	s_and_saveexec_b32 s6, s2
	s_cbranch_execnz .LBB283_47
	s_branch .LBB283_48
.LBB283_62:                             ;   in Loop: Header=BB283_44 Depth=1
	ds_read_b64 v[22:23], v27
	s_or_b32 exec_lo, exec_lo, s6
	s_and_saveexec_b32 s6, s2
	s_cbranch_execz .LBB283_52
.LBB283_63:                             ;   in Loop: Header=BB283_44 Depth=1
	s_waitcnt lgkmcnt(0)
	ds_bpermute_b32 v24, v30, v22
	ds_bpermute_b32 v25, v30, v23
	s_waitcnt lgkmcnt(0)
	v_add_f64 v[22:23], v[22:23], v[24:25]
	ds_bpermute_b32 v24, v31, v22
	ds_bpermute_b32 v25, v31, v23
	s_waitcnt lgkmcnt(0)
	v_add_f64 v[22:23], v[22:23], v[24:25]
	;; [unrolled: 4-line block ×3, first 2 shown]
	s_or_b32 exec_lo, exec_lo, s6
	s_and_saveexec_b32 s6, s5
	s_cbranch_execz .LBB283_43
.LBB283_64:                             ;   in Loop: Header=BB283_44 Depth=1
	s_waitcnt lgkmcnt(0)
	v_mul_f64 v[22:23], s[12:13], v[22:23]
	s_mul_hi_u32 s9, s7, s16
	s_mul_i32 s8, s7, s16
	s_lshl_b64 s[8:9], s[8:9], 3
	s_add_u32 s8, s10, s8
	s_addc_u32 s9, s26, s9
	global_store_dwordx2 v21, v[22:23], s[8:9]
	s_branch .LBB283_43
.LBB283_65:
	s_endpgm
	.section	.rodata,"a",@progbits
	.p2align	6, 0x0
	.amdhsa_kernel _ZL23rocblas_gemvt_sn_kernelILb1ELi256ELi4ElPKdddEviiT4_lPKT3_lilS5_lilPT5_i
		.amdhsa_group_segment_fixed_size 256
		.amdhsa_private_segment_fixed_size 0
		.amdhsa_kernarg_size 360
		.amdhsa_user_sgpr_count 6
		.amdhsa_user_sgpr_private_segment_buffer 1
		.amdhsa_user_sgpr_dispatch_ptr 0
		.amdhsa_user_sgpr_queue_ptr 0
		.amdhsa_user_sgpr_kernarg_segment_ptr 1
		.amdhsa_user_sgpr_dispatch_id 0
		.amdhsa_user_sgpr_flat_scratch_init 0
		.amdhsa_user_sgpr_private_segment_size 0
		.amdhsa_wavefront_size32 1
		.amdhsa_uses_dynamic_stack 0
		.amdhsa_system_sgpr_private_segment_wavefront_offset 0
		.amdhsa_system_sgpr_workgroup_id_x 1
		.amdhsa_system_sgpr_workgroup_id_y 0
		.amdhsa_system_sgpr_workgroup_id_z 1
		.amdhsa_system_sgpr_workgroup_info 0
		.amdhsa_system_vgpr_workitem_id 0
		.amdhsa_next_free_vgpr 73
		.amdhsa_next_free_sgpr 50
		.amdhsa_reserve_vcc 1
		.amdhsa_reserve_flat_scratch 1
		.amdhsa_float_round_mode_32 0
		.amdhsa_float_round_mode_16_64 0
		.amdhsa_float_denorm_mode_32 3
		.amdhsa_float_denorm_mode_16_64 3
		.amdhsa_dx10_clamp 1
		.amdhsa_ieee_mode 1
		.amdhsa_fp16_overflow 0
		.amdhsa_workgroup_processor_mode 1
		.amdhsa_memory_ordered 1
		.amdhsa_forward_progress 1
		.amdhsa_shared_vgpr_count 0
		.amdhsa_exception_fp_ieee_invalid_op 0
		.amdhsa_exception_fp_denorm_src 0
		.amdhsa_exception_fp_ieee_div_zero 0
		.amdhsa_exception_fp_ieee_overflow 0
		.amdhsa_exception_fp_ieee_underflow 0
		.amdhsa_exception_fp_ieee_inexact 0
		.amdhsa_exception_int_div_zero 0
	.end_amdhsa_kernel
	.section	.text._ZL23rocblas_gemvt_sn_kernelILb1ELi256ELi4ElPKdddEviiT4_lPKT3_lilS5_lilPT5_i,"axG",@progbits,_ZL23rocblas_gemvt_sn_kernelILb1ELi256ELi4ElPKdddEviiT4_lPKT3_lilS5_lilPT5_i,comdat
.Lfunc_end283:
	.size	_ZL23rocblas_gemvt_sn_kernelILb1ELi256ELi4ElPKdddEviiT4_lPKT3_lilS5_lilPT5_i, .Lfunc_end283-_ZL23rocblas_gemvt_sn_kernelILb1ELi256ELi4ElPKdddEviiT4_lPKT3_lilS5_lilPT5_i
                                        ; -- End function
	.set _ZL23rocblas_gemvt_sn_kernelILb1ELi256ELi4ElPKdddEviiT4_lPKT3_lilS5_lilPT5_i.num_vgpr, 73
	.set _ZL23rocblas_gemvt_sn_kernelILb1ELi256ELi4ElPKdddEviiT4_lPKT3_lilS5_lilPT5_i.num_agpr, 0
	.set _ZL23rocblas_gemvt_sn_kernelILb1ELi256ELi4ElPKdddEviiT4_lPKT3_lilS5_lilPT5_i.numbered_sgpr, 50
	.set _ZL23rocblas_gemvt_sn_kernelILb1ELi256ELi4ElPKdddEviiT4_lPKT3_lilS5_lilPT5_i.num_named_barrier, 0
	.set _ZL23rocblas_gemvt_sn_kernelILb1ELi256ELi4ElPKdddEviiT4_lPKT3_lilS5_lilPT5_i.private_seg_size, 0
	.set _ZL23rocblas_gemvt_sn_kernelILb1ELi256ELi4ElPKdddEviiT4_lPKT3_lilS5_lilPT5_i.uses_vcc, 1
	.set _ZL23rocblas_gemvt_sn_kernelILb1ELi256ELi4ElPKdddEviiT4_lPKT3_lilS5_lilPT5_i.uses_flat_scratch, 1
	.set _ZL23rocblas_gemvt_sn_kernelILb1ELi256ELi4ElPKdddEviiT4_lPKT3_lilS5_lilPT5_i.has_dyn_sized_stack, 0
	.set _ZL23rocblas_gemvt_sn_kernelILb1ELi256ELi4ElPKdddEviiT4_lPKT3_lilS5_lilPT5_i.has_recursion, 0
	.set _ZL23rocblas_gemvt_sn_kernelILb1ELi256ELi4ElPKdddEviiT4_lPKT3_lilS5_lilPT5_i.has_indirect_call, 0
	.section	.AMDGPU.csdata,"",@progbits
; Kernel info:
; codeLenInByte = 4064
; TotalNumSgprs: 52
; NumVgprs: 73
; ScratchSize: 0
; MemoryBound: 1
; FloatMode: 240
; IeeeMode: 1
; LDSByteSize: 256 bytes/workgroup (compile time only)
; SGPRBlocks: 0
; VGPRBlocks: 9
; NumSGPRsForWavesPerEU: 52
; NumVGPRsForWavesPerEU: 73
; Occupancy: 12
; WaveLimiterHint : 0
; COMPUTE_PGM_RSRC2:SCRATCH_EN: 0
; COMPUTE_PGM_RSRC2:USER_SGPR: 6
; COMPUTE_PGM_RSRC2:TRAP_HANDLER: 0
; COMPUTE_PGM_RSRC2:TGID_X_EN: 1
; COMPUTE_PGM_RSRC2:TGID_Y_EN: 0
; COMPUTE_PGM_RSRC2:TGID_Z_EN: 1
; COMPUTE_PGM_RSRC2:TIDIG_COMP_CNT: 0
	.section	.text._ZL36rocblas_gemvt_double_buffered_kernelILb1ELi128ELi4ELi16EPKdS1_KPdEviiT4_lPKT3_lilS7_lilPT5_lili,"axG",@progbits,_ZL36rocblas_gemvt_double_buffered_kernelILb1ELi128ELi4ELi16EPKdS1_KPdEviiT4_lPKT3_lilS7_lilPT5_lili,comdat
	.globl	_ZL36rocblas_gemvt_double_buffered_kernelILb1ELi128ELi4ELi16EPKdS1_KPdEviiT4_lPKT3_lilS7_lilPT5_lili ; -- Begin function _ZL36rocblas_gemvt_double_buffered_kernelILb1ELi128ELi4ELi16EPKdS1_KPdEviiT4_lPKT3_lilS7_lilPT5_lili
	.p2align	8
	.type	_ZL36rocblas_gemvt_double_buffered_kernelILb1ELi128ELi4ELi16EPKdS1_KPdEviiT4_lPKT3_lilS7_lilPT5_lili,@function
_ZL36rocblas_gemvt_double_buffered_kernelILb1ELi128ELi4ELi16EPKdS1_KPdEviiT4_lPKT3_lilS7_lilPT5_lili: ; @_ZL36rocblas_gemvt_double_buffered_kernelILb1ELi128ELi4ELi16EPKdS1_KPdEviiT4_lPKT3_lilS7_lilPT5_lili
; %bb.0:
	s_load_dwordx8 s[12:19], s[4:5], 0x8
	s_waitcnt lgkmcnt(0)
	s_mul_i32 s0, s15, s8
	s_mul_hi_u32 s1, s14, s8
	s_add_i32 s1, s1, s0
	s_mul_i32 s0, s14, s8
	s_lshl_b64 s[0:1], s[0:1], 3
	s_add_u32 s0, s12, s0
	s_addc_u32 s1, s13, s1
	s_load_dwordx2 s[10:11], s[0:1], 0x0
	s_waitcnt lgkmcnt(0)
	v_cmp_eq_f64_e64 s0, s[10:11], 0
	s_and_b32 vcc_lo, exec_lo, s0
	s_cbranch_vccnz .LBB284_12
; %bb.1:
	s_clause 0x1
	s_load_dword s0, s[4:5], 0x84
	s_load_dword s1, s[4:5], 0x0
	s_waitcnt lgkmcnt(0)
	v_cvt_f32_u32_e32 v2, s0
	s_ashr_i32 s3, s1, 31
	s_sub_i32 s9, 0, s0
	s_lshr_b32 s3, s3, 25
	s_add_i32 s1, s1, s3
	v_rcp_iflag_f32_e32 v2, v2
	s_ashr_i32 s1, s1, 7
	v_mul_f32_e32 v2, 0x4f7ffffe, v2
	v_cvt_u32_f32_e32 v2, v2
	v_readfirstlane_b32 s2, v2
	s_mul_i32 s9, s9, s2
	s_mul_hi_u32 s3, s2, s9
	s_add_i32 s2, s2, s3
	s_mul_hi_u32 s2, s1, s2
	s_mul_i32 s3, s2, s0
	s_add_i32 s9, s2, 1
	s_sub_i32 s3, s1, s3
	s_sub_i32 s12, s3, s0
	s_cmp_ge_u32 s3, s0
	s_cselect_b32 s2, s9, s2
	s_cselect_b32 s3, s12, s3
	s_add_i32 s9, s2, 1
	s_cmp_ge_u32 s3, s0
	s_cselect_b32 s20, s9, s2
	s_mov_b32 s9, 0
	s_mul_i32 s0, s20, s0
	s_sub_i32 s21, s1, s0
	s_cmp_lt_u32 s7, s21
	s_cselect_b32 s0, -1, 0
	s_cmp_lg_u32 s0, 0
	s_addc_u32 s24, s20, 0
	s_cmp_eq_u32 s24, 0
	s_cbranch_scc1 .LBB284_12
; %bb.2:
	s_load_dwordx4 s[0:3], s[4:5], 0x58
	s_lshl_b64 s[14:15], s[8:9], 3
	v_lshl_add_u32 v35, v1, 7, v0
	v_and_b32_e32 v2, 63, v0
	v_lshrrev_b32_e32 v141, 2, v35
	v_lshlrev_b32_e32 v142, 3, v2
	v_and_b32_e32 v143, 0x7ff0, v141
	s_waitcnt lgkmcnt(0)
	s_add_u32 s0, s0, s14
	s_addc_u32 s1, s1, s15
	s_lshl_b32 s12, s6, 7
	s_load_dwordx2 s[8:9], s[0:1], 0x0
	s_ashr_i32 s13, s12, 31
	s_cmp_lt_i32 s24, 1
	s_cbranch_scc1 .LBB284_8
; %bb.3:
	v_cvt_f64_i32_e32 v[3:4], s7
	v_cvt_f64_u32_e32 v[5:6], s21
	s_mul_i32 s20, s20, s7
	s_clause 0x1
	s_load_dword s0, s[4:5], 0x28
	s_load_dwordx4 s[28:31], s[4:5], 0x38
	v_cvt_f64_u32_e32 v[7:8], s20
	s_load_dword s20, s[4:5], 0x48
	v_lshlrev_b32_e32 v67, 1, v35
	v_mov_b32_e32 v35, 0
	v_mov_b32_e32 v63, 0
	;; [unrolled: 1-line block ×4, first 2 shown]
	v_and_b32_e32 v69, 0x3ff80, v67
	v_mov_b32_e32 v55, 0
	v_mov_b32_e32 v57, 0
	;; [unrolled: 1-line block ×10, first 2 shown]
	s_waitcnt lgkmcnt(0)
	s_ashr_i32 s1, s0, 31
	v_min_f64 v[3:4], v[3:4], v[5:6]
	s_add_u32 s6, s16, s14
	s_addc_u32 s7, s17, s15
	s_add_u32 s14, s28, s14
	s_load_dwordx2 s[16:17], s[6:7], 0x0
	s_addc_u32 s15, s29, s15
	s_lshl_b64 s[18:19], s[18:19], 3
	s_load_dwordx2 s[6:7], s[14:15], 0x0
	s_ashr_i32 s21, s20, 31
	s_mul_hi_i32 s15, s0, s12
	s_mul_i32 s14, s0, s12
	v_mov_b32_e32 v37, 0
	v_mov_b32_e32 v65, 0
	;; [unrolled: 1-line block ×11, first 2 shown]
	v_add_f64 v[3:4], v[3:4], v[7:8]
	v_mov_b32_e32 v50, 0
	s_waitcnt lgkmcnt(0)
	s_add_u32 s27, s16, s18
	s_addc_u32 s28, s17, s19
	s_lshl_b64 s[22:23], s[30:31], 3
	v_mov_b32_e32 v44, 0
	s_add_u32 s25, s6, s22
	s_addc_u32 s26, s7, s23
	s_lshl_b64 s[6:7], s[14:15], 3
	v_mov_b32_e32 v46, 0
	s_add_u32 s14, s27, s6
	s_addc_u32 s15, s28, s7
	v_mov_b32_e32 v40, 0
	v_mov_b32_e32 v42, 0
	;; [unrolled: 1-line block ×4, first 2 shown]
	v_cvt_i32_f64_e32 v5, v[3:4]
	v_mov_b32_e32 v3, 0
	v_mad_i64_i32 v[3:4], null, s0, v143, v[2:3]
	v_lshlrev_b64 v[3:4], 3, v[3:4]
	v_readfirstlane_b32 s22, v5
	s_lshl_b32 s6, s22, 7
	s_ashr_i32 s7, s6, 31
	s_lshl_b64 s[22:23], s[6:7], 3
	s_add_u32 s6, s14, s22
	s_addc_u32 s7, s15, s23
	v_add_co_u32 v3, vcc_lo, s6, v3
	v_add_co_ci_u32_e64 v4, null, s7, v4, vcc_lo
	s_lshl_b64 s[6:7], s[0:1], 3
	v_or_b32_e32 v67, s22, v142
	s_sub_u32 s14, 0, s6
	v_mad_i64_i32 v[33:34], null, 0x78, s0, v[3:4]
	s_subb_u32 s15, 0, s7
	s_lshl_b64 s[28:29], s[12:13], 3
	s_add_i32 s27, s24, -1
	v_or_b32_e32 v70, 0x200, v67
	v_mul_lo_u32 v73, v67, s21
	v_mad_u64_u32 v[67:68], null, v67, s20, 0
	v_add_co_u32 v5, vcc_lo, v33, s14
	v_add_co_ci_u32_e64 v6, null, s15, v34, vcc_lo
	s_mul_i32 s30, s23, s20
	v_add_co_u32 v7, vcc_lo, v5, s14
	v_add_co_ci_u32_e64 v8, null, s15, v6, vcc_lo
	v_add3_u32 v68, v68, v73, s30
	v_add_co_u32 v9, vcc_lo, v7, s14
	v_add_co_ci_u32_e64 v10, null, s15, v8, vcc_lo
	s_clause 0x2
	flat_load_dwordx2 v[3:4], v[3:4]
	flat_load_dwordx2 v[5:6], v[5:6]
	;; [unrolled: 1-line block ×3, first 2 shown]
	v_add_co_u32 v11, vcc_lo, v9, s14
	v_add_co_ci_u32_e64 v12, null, s15, v10, vcc_lo
	v_mul_lo_u32 v103, v70, s21
	v_add_co_u32 v13, vcc_lo, v11, s14
	v_add_co_ci_u32_e64 v14, null, s15, v12, vcc_lo
	v_add_co_u32 v15, vcc_lo, v13, s14
	v_add_co_ci_u32_e64 v16, null, s15, v14, vcc_lo
	s_clause 0x2
	flat_load_dwordx2 v[9:10], v[9:10]
	flat_load_dwordx2 v[11:12], v[11:12]
	;; [unrolled: 1-line block ×3, first 2 shown]
	v_add_co_u32 v17, vcc_lo, v15, s14
	v_add_co_ci_u32_e64 v18, null, s15, v16, vcc_lo
	flat_load_dwordx2 v[15:16], v[15:16]
	v_add_co_u32 v19, vcc_lo, v17, s14
	v_add_co_ci_u32_e64 v20, null, s15, v18, vcc_lo
	flat_load_dwordx2 v[17:18], v[17:18]
	;; [unrolled: 3-line block ×4, first 2 shown]
	v_add_co_u32 v25, vcc_lo, v23, s14
	v_add_co_ci_u32_e64 v26, null, s15, v24, vcc_lo
	v_add_co_u32 v27, vcc_lo, v25, s14
	v_add_co_ci_u32_e64 v28, null, s15, v26, vcc_lo
	v_add_co_u32 v29, vcc_lo, v27, s14
	v_add_co_ci_u32_e64 v30, null, s15, v28, vcc_lo
	v_add_co_u32 v31, vcc_lo, v29, s14
	v_add_co_ci_u32_e64 v32, null, s15, v30, vcc_lo
	flat_load_dwordx2 v[23:24], v[23:24]
	flat_load_dwordx2 v[25:26], v[25:26]
	;; [unrolled: 1-line block ×6, first 2 shown]
	s_lshl_b64 s[14:15], s[20:21], 10
	s_add_u32 s13, s16, s22
	v_add_co_u32 v74, s16, v69, s28
	v_add_co_ci_u32_e64 v75, null, 0, s29, s16
	s_addc_u32 s17, s17, s23
	v_add_co_u32 v76, vcc_lo, v74, 8
	v_add_co_ci_u32_e64 v77, null, 0, v75, vcc_lo
	v_add_co_u32 v78, vcc_lo, v74, 16
	v_add_co_ci_u32_e64 v79, null, 0, v75, vcc_lo
	;; [unrolled: 2-line block ×12, first 2 shown]
	v_add_co_u32 v100, vcc_lo, 0x68, v74
	s_add_u32 s16, s13, s18
	s_addc_u32 s17, s17, s19
	v_add_co_ci_u32_e64 v101, null, 0, v75, vcc_lo
	v_add_co_u32 v102, vcc_lo, 0x70, v74
	v_mad_u64_u32 v[71:72], null, v74, s0, s[16:17]
	v_mul_lo_u32 v104, v74, s1
	v_add_co_ci_u32_e64 v106, null, 0, v75, vcc_lo
	v_add_co_u32 v107, vcc_lo, 0x78, v74
	v_mad_u64_u32 v[73:74], null, v76, s0, s[16:17]
	v_mul_lo_u32 v109, v76, s1
	v_mul_lo_u32 v110, v77, s0
	;; [unrolled: 1-line block ×3, first 2 shown]
	v_add_co_ci_u32_e64 v108, null, 0, v75, vcc_lo
	v_mad_u64_u32 v[75:76], null, v78, s0, s[16:17]
	v_mul_lo_u32 v111, v78, s1
	v_mul_lo_u32 v112, v79, s0
	v_mad_u64_u32 v[77:78], null, v80, s0, s[16:17]
	v_mul_lo_u32 v113, v80, s1
	v_mul_lo_u32 v114, v81, s0
	;; [unrolled: 3-line block ×4, first 2 shown]
	v_add3_u32 v74, v110, v74, v109
	v_mad_u64_u32 v[83:84], null, v86, s0, s[16:17]
	v_mul_lo_u32 v119, v86, s1
	v_mul_lo_u32 v120, v87, s0
	v_add3_u32 v76, v112, v76, v111
	v_add_co_u32 v144, vcc_lo, 0x400, v73
	v_mad_u64_u32 v[85:86], null, v88, s0, s[16:17]
	v_mul_lo_u32 v121, v88, s1
	v_mul_lo_u32 v122, v89, s0
	v_add3_u32 v78, v114, v78, v113
	v_add_co_ci_u32_e64 v145, null, 0, v74, vcc_lo
	v_add_co_u32 v146, vcc_lo, 0x400, v75
	v_mad_u64_u32 v[87:88], null, v90, s0, s[16:17]
	v_mul_lo_u32 v123, v90, s1
	v_mul_lo_u32 v124, v91, s0
	v_add3_u32 v80, v116, v80, v115
	v_add_co_ci_u32_e64 v147, null, 0, v76, vcc_lo
	;; [unrolled: 6-line block ×9, first 2 shown]
	v_add_co_u32 v162, vcc_lo, 0x400, v91
	v_add3_u32 v96, v132, v96, v131
	v_add_co_ci_u32_e64 v163, null, 0, v92, vcc_lo
	v_add_co_u32 v164, vcc_lo, 0x400, v93
	v_add3_u32 v98, v134, v98, v133
	v_mad_u64_u32 v[69:70], null, v70, s20, 0
	v_add_co_ci_u32_e64 v165, null, 0, v94, vcc_lo
	v_add_co_u32 v166, vcc_lo, 0x400, v95
	v_add3_u32 v100, v106, v100, v135
	v_add_co_ci_u32_e64 v167, null, 0, v96, vcc_lo
	v_add_co_u32 v168, vcc_lo, 0x400, v97
	v_add3_u32 v102, v108, v102, v107
	v_add_co_ci_u32_e64 v169, null, 0, v98, vcc_lo
	v_add_co_u32 v170, vcc_lo, 0x400, v99
	v_add_co_ci_u32_e64 v171, null, 0, v100, vcc_lo
	v_add_co_u32 v172, vcc_lo, 0x400, v101
	v_add3_u32 v70, v70, v103, s30
	v_add3_u32 v72, v105, v72, v104
	v_add_co_ci_u32_e64 v173, null, 0, v102, vcc_lo
	s_mov_b32 s1, 0
	s_waitcnt vmcnt(15) lgkmcnt(15)
	v_mov_b32_e32 v74, v4
	s_waitcnt vmcnt(14) lgkmcnt(14)
	v_mov_b32_e32 v102, v6
	;; [unrolled: 2-line block ×3, first 2 shown]
	v_mov_b32_e32 v73, v3
	v_mov_b32_e32 v101, v5
	;; [unrolled: 1-line block ×3, first 2 shown]
	s_waitcnt vmcnt(12) lgkmcnt(12)
	v_mov_b32_e32 v98, v10
	s_waitcnt vmcnt(11) lgkmcnt(11)
	v_mov_b32_e32 v96, v12
	;; [unrolled: 2-line block ×3, first 2 shown]
	v_mov_b32_e32 v97, v9
	v_mov_b32_e32 v95, v11
	;; [unrolled: 1-line block ×3, first 2 shown]
	s_waitcnt vmcnt(9) lgkmcnt(9)
	v_mov_b32_e32 v92, v16
	v_mov_b32_e32 v91, v15
	s_waitcnt vmcnt(8) lgkmcnt(8)
	v_mov_b32_e32 v90, v18
	v_mov_b32_e32 v89, v17
	;; [unrolled: 3-line block ×4, first 2 shown]
	s_waitcnt vmcnt(5) lgkmcnt(5)
	v_mov_b32_e32 v84, v24
	s_waitcnt vmcnt(4) lgkmcnt(4)
	v_mov_b32_e32 v82, v26
	;; [unrolled: 2-line block ×6, first 2 shown]
	v_mov_b32_e32 v83, v23
	v_mov_b32_e32 v81, v25
	;; [unrolled: 1-line block ×6, first 2 shown]
.LBB284_4:                              ; =>This Inner Loop Header: Depth=1
	v_add_co_u32 v139, vcc_lo, v71, v142
	v_add_co_ci_u32_e64 v140, null, 0, v72, vcc_lo
	s_cmp_lg_u32 s27, s1
	v_add_co_u32 v105, vcc_lo, 0x200, v139
	v_add_co_ci_u32_e64 v106, null, 0, v140, vcc_lo
	v_add_co_u32 v107, vcc_lo, v105, s6
	v_add_co_ci_u32_e64 v108, null, s7, v106, vcc_lo
	flat_load_dwordx2 v[105:106], v[139:140] offset:512
	v_add_co_u32 v109, vcc_lo, v107, s6
	v_add_co_ci_u32_e64 v110, null, s7, v108, vcc_lo
	v_add_co_u32 v137, vcc_lo, s25, v67
	v_add_co_u32 v111, s0, v109, s6
	v_add_co_ci_u32_e64 v112, null, s7, v110, s0
	v_add_co_ci_u32_e64 v138, null, s26, v68, vcc_lo
	v_add_co_u32 v113, vcc_lo, v111, s6
	v_add_co_ci_u32_e64 v114, null, s7, v112, vcc_lo
	s_clause 0x2
	flat_load_dwordx2 v[107:108], v[107:108]
	flat_load_dwordx2 v[109:110], v[109:110]
	;; [unrolled: 1-line block ×3, first 2 shown]
	v_add_co_u32 v115, vcc_lo, v113, s6
	v_add_co_ci_u32_e64 v116, null, s7, v114, vcc_lo
	flat_load_dwordx2 v[113:114], v[113:114]
	v_add_co_u32 v117, vcc_lo, v115, s6
	v_add_co_ci_u32_e64 v118, null, s7, v116, vcc_lo
	flat_load_dwordx2 v[115:116], v[115:116]
	;; [unrolled: 3-line block ×7, first 2 shown]
	v_add_co_u32 v129, vcc_lo, v127, s6
	v_add_co_ci_u32_e64 v130, null, s7, v128, vcc_lo
	v_add_co_u32 v131, vcc_lo, v129, s6
	v_add_co_ci_u32_e64 v132, null, s7, v130, vcc_lo
	;; [unrolled: 2-line block ×4, first 2 shown]
	flat_load_dwordx2 v[127:128], v[127:128]
	flat_load_dwordx2 v[129:130], v[129:130]
	;; [unrolled: 1-line block ×6, first 2 shown]
	s_cbranch_scc0 .LBB284_6
; %bb.5:                                ;   in Loop: Header=BB284_4 Depth=1
	v_add_co_u32 v75, vcc_lo, v144, v142
	v_add_co_ci_u32_e64 v76, null, 0, v145, vcc_lo
	v_add_co_u32 v77, vcc_lo, v146, v142
	v_add_co_ci_u32_e64 v78, null, 0, v147, vcc_lo
	;; [unrolled: 2-line block ×15, first 2 shown]
	flat_load_dwordx2 v[73:74], v[139:140] offset:1024
	flat_load_dwordx2 v[75:76], v[75:76]
	flat_load_dwordx2 v[77:78], v[77:78]
	;; [unrolled: 1-line block ×15, first 2 shown]
.LBB284_6:                              ;   in Loop: Header=BB284_4 Depth=1
	v_add_co_u32 v139, vcc_lo, s25, v69
	v_add_co_ci_u32_e64 v140, null, s26, v70, vcc_lo
	s_waitcnt vmcnt(0) lgkmcnt(0)
	v_fma_f64 v[3:4], v[3:4], v[137:138], v[35:36]
	v_fma_f64 v[31:32], v[31:32], v[137:138], v[63:64]
	;; [unrolled: 1-line block ×3, first 2 shown]
	flat_load_dwordx2 v[139:140], v[139:140]
	v_fma_f64 v[27:28], v[27:28], v[137:138], v[61:62]
	v_fma_f64 v[25:26], v[25:26], v[137:138], v[55:56]
	;; [unrolled: 1-line block ×13, first 2 shown]
	v_add_co_u32 v71, vcc_lo, 0x400, v71
	v_add_co_ci_u32_e64 v72, null, 0, v72, vcc_lo
	v_add_co_u32 v144, vcc_lo, 0x400, v144
	v_add_co_ci_u32_e64 v145, null, 0, v145, vcc_lo
	;; [unrolled: 2-line block ×15, first 2 shown]
	v_add_co_u32 v172, vcc_lo, 0x400, v172
	s_add_i32 s1, s1, 1
	v_add_co_ci_u32_e64 v173, null, 0, v173, vcc_lo
	s_add_u32 s25, s25, s14
	s_addc_u32 s26, s26, s15
	s_cmp_ge_i32 s1, s24
	s_waitcnt vmcnt(0) lgkmcnt(0)
	v_fma_f64 v[35:36], v[105:106], v[139:140], v[3:4]
	v_fma_f64 v[63:64], v[107:108], v[139:140], v[31:32]
	;; [unrolled: 1-line block ×16, first 2 shown]
	s_cbranch_scc1 .LBB284_9
; %bb.7:                                ;   in Loop: Header=BB284_4 Depth=1
	v_mov_b32_e32 v3, v73
	v_mov_b32_e32 v31, v75
	v_mov_b32_e32 v29, v77
	v_mov_b32_e32 v27, v79
	v_mov_b32_e32 v25, v81
	v_mov_b32_e32 v23, v83
	v_mov_b32_e32 v21, v85
	v_mov_b32_e32 v19, v87
	v_mov_b32_e32 v17, v89
	v_mov_b32_e32 v15, v91
	v_mov_b32_e32 v13, v93
	v_mov_b32_e32 v11, v95
	v_mov_b32_e32 v9, v97
	v_mov_b32_e32 v7, v99
	v_mov_b32_e32 v5, v101
	v_mov_b32_e32 v33, v103
	v_mov_b32_e32 v4, v74
	v_mov_b32_e32 v32, v76
	v_mov_b32_e32 v30, v78
	v_mov_b32_e32 v28, v80
	v_mov_b32_e32 v26, v82
	v_mov_b32_e32 v24, v84
	v_mov_b32_e32 v22, v86
	v_mov_b32_e32 v20, v88
	v_mov_b32_e32 v18, v90
	v_mov_b32_e32 v16, v92
	v_mov_b32_e32 v14, v94
	v_mov_b32_e32 v12, v96
	v_mov_b32_e32 v10, v98
	v_mov_b32_e32 v8, v100
	v_mov_b32_e32 v6, v102
	v_mov_b32_e32 v34, v104
	s_branch .LBB284_4
.LBB284_8:
	v_mov_b32_e32 v65, 0
	v_mov_b32_e32 v37, 0
	;; [unrolled: 1-line block ×32, first 2 shown]
.LBB284_9:
	v_lshlrev_b32_e32 v4, 9, v141
	v_lshl_or_b32 v3, v143, 9, v142
	s_mov_b32 s0, 0
	s_mov_b32 s1, exec_lo
	ds_write2st64_b64 v3, v[35:36], v[63:64] offset1:1
	ds_write2st64_b64 v3, v[59:60], v[61:62] offset0:2 offset1:3
	ds_write2st64_b64 v3, v[55:56], v[57:58] offset0:4 offset1:5
	;; [unrolled: 1-line block ×3, first 2 shown]
	v_or3_b32 v4, v4, v142, 0x1e00
	ds_write2st64_b64 v3, v[47:48], v[49:50] offset0:8 offset1:9
	ds_write2st64_b64 v3, v[43:44], v[45:46] offset0:10 offset1:11
	;; [unrolled: 1-line block ×3, first 2 shown]
	ds_write_b64 v3, v[37:38] offset:7168
	ds_write_b64 v4, v[65:66]
	s_waitcnt lgkmcnt(0)
	s_barrier
	buffer_gl0_inv
	v_cmpx_eq_u32_e32 0, v1
	s_cbranch_execz .LBB284_12
; %bb.10:
	v_lshlrev_b32_e32 v1, 9, v0
	v_add_nc_u32_e32 v5, 1, v0
	v_add_nc_u32_e32 v6, 2, v0
	;; [unrolled: 1-line block ×3, first 2 shown]
	s_load_dword s1, s[4:5], 0x68
	v_lshl_or_b32 v3, v2, 3, v1
	v_and_b32_e32 v5, 63, v5
	v_and_b32_e32 v6, 63, v6
	;; [unrolled: 1-line block ×3, first 2 shown]
	v_xor_b32_e32 v2, 32, v2
	ds_read_b64 v[3:4], v3
	v_lshl_or_b32 v5, v5, 3, v1
	v_lshl_or_b32 v8, v6, 3, v1
	;; [unrolled: 1-line block ×3, first 2 shown]
	s_lshl_b64 s[2:3], s[2:3], 3
	ds_read_b64 v[5:6], v5
	ds_read_b64 v[7:8], v8
	;; [unrolled: 1-line block ×3, first 2 shown]
	s_add_u32 s6, s8, s2
	s_waitcnt lgkmcnt(0)
	s_mul_hi_i32 s5, s1, s12
	s_mul_i32 s4, s1, s12
	v_add_f64 v[3:4], v[3:4], 0
	v_add_f64 v[3:4], v[3:4], v[5:6]
	v_add_nc_u32_e32 v5, 4, v0
	v_and_b32_e32 v5, 63, v5
	v_lshl_or_b32 v5, v5, 3, v1
	ds_read_b64 v[5:6], v5
	v_add_f64 v[3:4], v[3:4], v[7:8]
	v_add_nc_u32_e32 v7, 5, v0
	v_add_nc_u32_e32 v8, 6, v0
	v_and_b32_e32 v7, 63, v7
	v_and_b32_e32 v8, 63, v8
	v_lshl_or_b32 v7, v7, 3, v1
	v_add_f64 v[3:4], v[3:4], v[9:10]
	v_add_nc_u32_e32 v9, 7, v0
	v_lshl_or_b32 v10, v8, 3, v1
	v_and_b32_e32 v9, 63, v9
	v_lshl_or_b32 v11, v9, 3, v1
	ds_read_b64 v[7:8], v7
	ds_read_b64 v[9:10], v10
	ds_read_b64 v[11:12], v11
	s_waitcnt lgkmcnt(3)
	v_add_f64 v[3:4], v[3:4], v[5:6]
	v_add_nc_u32_e32 v5, 8, v0
	v_and_b32_e32 v5, 63, v5
	v_lshl_or_b32 v5, v5, 3, v1
	ds_read_b64 v[5:6], v5
	s_waitcnt lgkmcnt(3)
	v_add_f64 v[3:4], v[3:4], v[7:8]
	v_add_nc_u32_e32 v7, 9, v0
	v_add_nc_u32_e32 v8, 10, v0
	v_and_b32_e32 v7, 63, v7
	v_and_b32_e32 v8, 63, v8
	v_lshl_or_b32 v7, v7, 3, v1
	s_waitcnt lgkmcnt(2)
	v_add_f64 v[3:4], v[3:4], v[9:10]
	v_add_nc_u32_e32 v9, 11, v0
	v_lshl_or_b32 v10, v8, 3, v1
	v_and_b32_e32 v9, 63, v9
	s_waitcnt lgkmcnt(1)
	v_add_f64 v[3:4], v[3:4], v[11:12]
	v_lshl_or_b32 v11, v9, 3, v1
	ds_read_b64 v[7:8], v7
	ds_read_b64 v[9:10], v10
	ds_read_b64 v[11:12], v11
	s_waitcnt lgkmcnt(3)
	v_add_f64 v[3:4], v[3:4], v[5:6]
	v_add_nc_u32_e32 v5, 12, v0
	v_and_b32_e32 v5, 63, v5
	v_lshl_or_b32 v5, v5, 3, v1
	ds_read_b64 v[5:6], v5
	s_waitcnt lgkmcnt(3)
	v_add_f64 v[3:4], v[3:4], v[7:8]
	v_add_nc_u32_e32 v7, 13, v0
	v_add_nc_u32_e32 v8, 14, v0
	v_and_b32_e32 v7, 63, v7
	v_and_b32_e32 v8, 63, v8
	v_lshl_or_b32 v7, v7, 3, v1
	s_waitcnt lgkmcnt(2)
	v_add_f64 v[3:4], v[3:4], v[9:10]
	v_add_nc_u32_e32 v9, 15, v0
	v_lshl_or_b32 v10, v8, 3, v1
	v_and_b32_e32 v9, 63, v9
	s_waitcnt lgkmcnt(1)
	v_add_f64 v[3:4], v[3:4], v[11:12]
	v_lshl_or_b32 v11, v9, 3, v1
	ds_read_b64 v[7:8], v7
	ds_read_b64 v[9:10], v10
	ds_read_b64 v[11:12], v11
	s_waitcnt lgkmcnt(3)
	v_add_f64 v[3:4], v[3:4], v[5:6]
	v_add_nc_u32_e32 v5, 16, v0
	v_and_b32_e32 v5, 63, v5
	v_lshl_or_b32 v5, v5, 3, v1
	ds_read_b64 v[5:6], v5
	s_waitcnt lgkmcnt(3)
	v_add_f64 v[3:4], v[3:4], v[7:8]
	v_add_nc_u32_e32 v7, 17, v0
	v_add_nc_u32_e32 v8, 18, v0
	v_and_b32_e32 v7, 63, v7
	v_and_b32_e32 v8, 63, v8
	v_lshl_or_b32 v7, v7, 3, v1
	s_waitcnt lgkmcnt(2)
	v_add_f64 v[3:4], v[3:4], v[9:10]
	v_add_nc_u32_e32 v9, 19, v0
	v_lshl_or_b32 v10, v8, 3, v1
	v_and_b32_e32 v9, 63, v9
	s_waitcnt lgkmcnt(1)
	v_add_f64 v[3:4], v[3:4], v[11:12]
	v_lshl_or_b32 v11, v9, 3, v1
	ds_read_b64 v[7:8], v7
	ds_read_b64 v[9:10], v10
	ds_read_b64 v[11:12], v11
	s_waitcnt lgkmcnt(3)
	v_add_f64 v[3:4], v[3:4], v[5:6]
	v_add_nc_u32_e32 v5, 20, v0
	v_and_b32_e32 v5, 63, v5
	v_lshl_or_b32 v5, v5, 3, v1
	ds_read_b64 v[5:6], v5
	s_waitcnt lgkmcnt(3)
	v_add_f64 v[3:4], v[3:4], v[7:8]
	v_add_nc_u32_e32 v7, 21, v0
	v_add_nc_u32_e32 v8, 22, v0
	v_and_b32_e32 v7, 63, v7
	v_and_b32_e32 v8, 63, v8
	v_lshl_or_b32 v7, v7, 3, v1
	s_waitcnt lgkmcnt(2)
	v_add_f64 v[3:4], v[3:4], v[9:10]
	v_add_nc_u32_e32 v9, 23, v0
	v_lshl_or_b32 v10, v8, 3, v1
	v_and_b32_e32 v9, 63, v9
	s_waitcnt lgkmcnt(1)
	v_add_f64 v[3:4], v[3:4], v[11:12]
	v_lshl_or_b32 v11, v9, 3, v1
	ds_read_b64 v[7:8], v7
	ds_read_b64 v[9:10], v10
	ds_read_b64 v[11:12], v11
	s_waitcnt lgkmcnt(3)
	v_add_f64 v[3:4], v[3:4], v[5:6]
	v_add_nc_u32_e32 v5, 24, v0
	v_and_b32_e32 v5, 63, v5
	v_lshl_or_b32 v5, v5, 3, v1
	ds_read_b64 v[5:6], v5
	s_waitcnt lgkmcnt(3)
	v_add_f64 v[3:4], v[3:4], v[7:8]
	v_add_nc_u32_e32 v7, 25, v0
	v_add_nc_u32_e32 v8, 26, v0
	v_and_b32_e32 v7, 63, v7
	v_and_b32_e32 v8, 63, v8
	v_lshl_or_b32 v7, v7, 3, v1
	s_waitcnt lgkmcnt(2)
	v_add_f64 v[3:4], v[3:4], v[9:10]
	v_add_nc_u32_e32 v9, 27, v0
	v_lshl_or_b32 v10, v8, 3, v1
	v_and_b32_e32 v9, 63, v9
	s_waitcnt lgkmcnt(1)
	v_add_f64 v[3:4], v[3:4], v[11:12]
	v_lshl_or_b32 v11, v9, 3, v1
	ds_read_b64 v[7:8], v7
	ds_read_b64 v[9:10], v10
	ds_read_b64 v[11:12], v11
	s_waitcnt lgkmcnt(3)
	v_add_f64 v[3:4], v[3:4], v[5:6]
	v_add_nc_u32_e32 v5, 28, v0
	v_and_b32_e32 v5, 63, v5
	v_lshl_or_b32 v5, v5, 3, v1
	ds_read_b64 v[5:6], v5
	s_waitcnt lgkmcnt(3)
	v_add_f64 v[3:4], v[3:4], v[7:8]
	v_add_nc_u32_e32 v7, 29, v0
	v_add_nc_u32_e32 v8, 30, v0
	v_and_b32_e32 v7, 63, v7
	v_and_b32_e32 v8, 63, v8
	v_lshl_or_b32 v7, v7, 3, v1
	s_waitcnt lgkmcnt(2)
	v_add_f64 v[3:4], v[3:4], v[9:10]
	v_add_nc_u32_e32 v9, 31, v0
	v_lshl_or_b32 v10, v8, 3, v1
	v_and_b32_e32 v9, 63, v9
	s_waitcnt lgkmcnt(1)
	v_add_f64 v[3:4], v[3:4], v[11:12]
	v_lshl_or_b32 v11, v9, 3, v1
	ds_read_b64 v[7:8], v7
	ds_read_b64 v[9:10], v10
	;; [unrolled: 1-line block ×3, first 2 shown]
	s_waitcnt lgkmcnt(3)
	v_add_f64 v[3:4], v[3:4], v[5:6]
	v_lshl_or_b32 v5, v2, 3, v1
	v_add_nc_u32_e32 v6, 33, v0
	v_and_b32_e32 v6, 63, v6
	v_lshl_or_b32 v6, v6, 3, v1
	s_waitcnt lgkmcnt(2)
	v_add_f64 v[3:4], v[3:4], v[7:8]
	v_add_nc_u32_e32 v7, 34, v0
	v_add_nc_u32_e32 v8, 35, v0
	v_and_b32_e32 v7, 63, v7
	v_and_b32_e32 v8, 63, v8
	s_waitcnt lgkmcnt(1)
	v_add_f64 v[3:4], v[3:4], v[9:10]
	v_lshl_or_b32 v9, v7, 3, v1
	v_lshl_or_b32 v10, v8, 3, v1
	s_waitcnt lgkmcnt(0)
	v_add_f64 v[2:3], v[3:4], v[11:12]
	ds_read_b64 v[4:5], v5
	ds_read_b64 v[6:7], v6
	;; [unrolled: 1-line block ×4, first 2 shown]
	v_add_nc_u32_e32 v12, 55, v0
	v_and_b32_e32 v12, 63, v12
	v_lshl_or_b32 v14, v12, 3, v1
	s_waitcnt lgkmcnt(3)
	v_add_f64 v[2:3], v[2:3], v[4:5]
	v_add_nc_u32_e32 v4, 36, v0
	v_and_b32_e32 v4, 63, v4
	v_lshl_or_b32 v4, v4, 3, v1
	ds_read_b64 v[4:5], v4
	s_waitcnt lgkmcnt(3)
	v_add_f64 v[2:3], v[2:3], v[6:7]
	v_add_nc_u32_e32 v6, 37, v0
	v_add_nc_u32_e32 v7, 38, v0
	v_and_b32_e32 v6, 63, v6
	v_and_b32_e32 v7, 63, v7
	v_lshl_or_b32 v6, v6, 3, v1
	s_waitcnt lgkmcnt(2)
	v_add_f64 v[2:3], v[2:3], v[8:9]
	v_add_nc_u32_e32 v8, 39, v0
	v_lshl_or_b32 v9, v7, 3, v1
	v_and_b32_e32 v8, 63, v8
	s_waitcnt lgkmcnt(1)
	v_add_f64 v[2:3], v[2:3], v[10:11]
	v_lshl_or_b32 v10, v8, 3, v1
	ds_read_b64 v[6:7], v6
	ds_read_b64 v[8:9], v9
	ds_read_b64 v[10:11], v10
	s_waitcnt lgkmcnt(3)
	v_add_f64 v[2:3], v[2:3], v[4:5]
	v_add_nc_u32_e32 v4, 40, v0
	v_and_b32_e32 v4, 63, v4
	v_lshl_or_b32 v4, v4, 3, v1
	ds_read_b64 v[4:5], v4
	s_waitcnt lgkmcnt(3)
	v_add_f64 v[2:3], v[2:3], v[6:7]
	v_add_nc_u32_e32 v6, 41, v0
	v_add_nc_u32_e32 v7, 42, v0
	v_and_b32_e32 v6, 63, v6
	v_and_b32_e32 v7, 63, v7
	v_lshl_or_b32 v6, v6, 3, v1
	s_waitcnt lgkmcnt(2)
	v_add_f64 v[2:3], v[2:3], v[8:9]
	v_add_nc_u32_e32 v8, 43, v0
	v_lshl_or_b32 v9, v7, 3, v1
	v_and_b32_e32 v8, 63, v8
	s_waitcnt lgkmcnt(1)
	v_add_f64 v[2:3], v[2:3], v[10:11]
	v_lshl_or_b32 v10, v8, 3, v1
	ds_read_b64 v[6:7], v6
	ds_read_b64 v[8:9], v9
	ds_read_b64 v[10:11], v10
	;; [unrolled: 24-line block ×4, first 2 shown]
	s_waitcnt lgkmcnt(3)
	v_add_f64 v[2:3], v[2:3], v[4:5]
	v_mad_i64_i32 v[4:5], null, s1, v0, 0
	s_addc_u32 s1, s9, s3
	s_lshl_b64 s[2:3], s[4:5], 3
	s_add_u32 s2, s6, s2
	s_addc_u32 s1, s1, s3
	v_lshlrev_b64 v[4:5], 3, v[4:5]
	v_add_co_u32 v4, vcc_lo, s2, v4
	v_add_co_ci_u32_e64 v5, null, s1, v5, vcc_lo
	s_waitcnt lgkmcnt(2)
	v_add_f64 v[2:3], v[2:3], v[6:7]
	s_waitcnt lgkmcnt(1)
	v_add_f64 v[6:7], v[2:3], v[8:9]
	v_add_nc_u32_e32 v8, 52, v0
	flat_load_dwordx2 v[2:3], v[4:5]
	v_and_b32_e32 v8, 63, v8
	v_lshl_or_b32 v8, v8, 3, v1
	ds_read_b64 v[8:9], v8
	s_waitcnt lgkmcnt(2)
	v_add_f64 v[6:7], v[6:7], v[10:11]
	v_add_nc_u32_e32 v10, 53, v0
	v_add_nc_u32_e32 v11, 54, v0
	v_and_b32_e32 v10, 63, v10
	v_and_b32_e32 v11, 63, v11
	v_lshl_or_b32 v10, v10, 3, v1
	v_lshl_or_b32 v13, v11, 3, v1
	ds_read_b64 v[10:11], v10
	ds_read_b64 v[12:13], v13
	;; [unrolled: 1-line block ×3, first 2 shown]
	s_waitcnt lgkmcnt(3)
	v_add_f64 v[6:7], v[6:7], v[8:9]
	v_add_nc_u32_e32 v8, 56, v0
	v_and_b32_e32 v8, 63, v8
	v_lshl_or_b32 v8, v8, 3, v1
	ds_read_b64 v[8:9], v8
	s_waitcnt lgkmcnt(3)
	v_add_f64 v[6:7], v[6:7], v[10:11]
	v_add_nc_u32_e32 v10, 57, v0
	v_add_nc_u32_e32 v11, 58, v0
	v_and_b32_e32 v10, 63, v10
	v_and_b32_e32 v11, 63, v11
	v_lshl_or_b32 v10, v10, 3, v1
	s_waitcnt lgkmcnt(2)
	v_add_f64 v[6:7], v[6:7], v[12:13]
	v_add_nc_u32_e32 v12, 59, v0
	v_lshl_or_b32 v13, v11, 3, v1
	v_and_b32_e32 v12, 63, v12
	s_waitcnt lgkmcnt(1)
	v_add_f64 v[6:7], v[6:7], v[14:15]
	v_lshl_or_b32 v14, v12, 3, v1
	ds_read_b64 v[10:11], v10
	ds_read_b64 v[12:13], v13
	;; [unrolled: 1-line block ×3, first 2 shown]
	s_waitcnt lgkmcnt(3)
	v_add_f64 v[6:7], v[6:7], v[8:9]
	v_add_nc_u32_e32 v8, 60, v0
	v_and_b32_e32 v8, 63, v8
	v_lshl_or_b32 v8, v8, 3, v1
	ds_read_b64 v[8:9], v8
	s_waitcnt lgkmcnt(3)
	v_add_f64 v[6:7], v[6:7], v[10:11]
	v_add_nc_u32_e32 v10, 61, v0
	v_add_nc_u32_e32 v11, 62, v0
	v_add_nc_u32_e32 v0, -1, v0
	v_and_b32_e32 v10, 63, v10
	v_and_b32_e32 v11, 63, v11
	;; [unrolled: 1-line block ×3, first 2 shown]
	v_lshl_or_b32 v10, v10, 3, v1
	v_lshl_or_b32 v11, v11, 3, v1
	s_waitcnt lgkmcnt(2)
	v_add_f64 v[6:7], v[6:7], v[12:13]
	v_lshl_or_b32 v12, v0, 3, v1
	ds_read_b64 v[0:1], v10
	ds_read_b64 v[10:11], v11
	;; [unrolled: 1-line block ×3, first 2 shown]
	s_waitcnt lgkmcnt(4)
	v_add_f64 v[6:7], v[6:7], v[14:15]
	s_waitcnt lgkmcnt(3)
	v_add_f64 v[6:7], v[6:7], v[8:9]
	;; [unrolled: 2-line block ×5, first 2 shown]
	v_mul_f64 v[6:7], s[10:11], v[0:1]
.LBB284_11:                             ; =>This Inner Loop Header: Depth=1
	s_waitcnt vmcnt(0)
	v_add_f64 v[0:1], v[2:3], v[6:7]
	flat_atomic_cmpswap_x2 v[0:1], v[4:5], v[0:3] glc
	s_waitcnt vmcnt(0) lgkmcnt(0)
	v_cmp_eq_u64_e32 vcc_lo, v[0:1], v[2:3]
	v_mov_b32_e32 v3, v1
	v_mov_b32_e32 v2, v0
	s_or_b32 s0, vcc_lo, s0
	s_andn2_b32 exec_lo, exec_lo, s0
	s_cbranch_execnz .LBB284_11
.LBB284_12:
	s_endpgm
	.section	.rodata,"a",@progbits
	.p2align	6, 0x0
	.amdhsa_kernel _ZL36rocblas_gemvt_double_buffered_kernelILb1ELi128ELi4ELi16EPKdS1_KPdEviiT4_lPKT3_lilS7_lilPT5_lili
		.amdhsa_group_segment_fixed_size 65536
		.amdhsa_private_segment_fixed_size 0
		.amdhsa_kernarg_size 384
		.amdhsa_user_sgpr_count 6
		.amdhsa_user_sgpr_private_segment_buffer 1
		.amdhsa_user_sgpr_dispatch_ptr 0
		.amdhsa_user_sgpr_queue_ptr 0
		.amdhsa_user_sgpr_kernarg_segment_ptr 1
		.amdhsa_user_sgpr_dispatch_id 0
		.amdhsa_user_sgpr_flat_scratch_init 0
		.amdhsa_user_sgpr_private_segment_size 0
		.amdhsa_wavefront_size32 1
		.amdhsa_uses_dynamic_stack 0
		.amdhsa_system_sgpr_private_segment_wavefront_offset 0
		.amdhsa_system_sgpr_workgroup_id_x 1
		.amdhsa_system_sgpr_workgroup_id_y 1
		.amdhsa_system_sgpr_workgroup_id_z 1
		.amdhsa_system_sgpr_workgroup_info 0
		.amdhsa_system_vgpr_workitem_id 1
		.amdhsa_next_free_vgpr 174
		.amdhsa_next_free_sgpr 32
		.amdhsa_reserve_vcc 1
		.amdhsa_reserve_flat_scratch 1
		.amdhsa_float_round_mode_32 0
		.amdhsa_float_round_mode_16_64 0
		.amdhsa_float_denorm_mode_32 3
		.amdhsa_float_denorm_mode_16_64 3
		.amdhsa_dx10_clamp 1
		.amdhsa_ieee_mode 1
		.amdhsa_fp16_overflow 0
		.amdhsa_workgroup_processor_mode 1
		.amdhsa_memory_ordered 1
		.amdhsa_forward_progress 1
		.amdhsa_shared_vgpr_count 0
		.amdhsa_exception_fp_ieee_invalid_op 0
		.amdhsa_exception_fp_denorm_src 0
		.amdhsa_exception_fp_ieee_div_zero 0
		.amdhsa_exception_fp_ieee_overflow 0
		.amdhsa_exception_fp_ieee_underflow 0
		.amdhsa_exception_fp_ieee_inexact 0
		.amdhsa_exception_int_div_zero 0
	.end_amdhsa_kernel
	.section	.text._ZL36rocblas_gemvt_double_buffered_kernelILb1ELi128ELi4ELi16EPKdS1_KPdEviiT4_lPKT3_lilS7_lilPT5_lili,"axG",@progbits,_ZL36rocblas_gemvt_double_buffered_kernelILb1ELi128ELi4ELi16EPKdS1_KPdEviiT4_lPKT3_lilS7_lilPT5_lili,comdat
.Lfunc_end284:
	.size	_ZL36rocblas_gemvt_double_buffered_kernelILb1ELi128ELi4ELi16EPKdS1_KPdEviiT4_lPKT3_lilS7_lilPT5_lili, .Lfunc_end284-_ZL36rocblas_gemvt_double_buffered_kernelILb1ELi128ELi4ELi16EPKdS1_KPdEviiT4_lPKT3_lilS7_lilPT5_lili
                                        ; -- End function
	.set _ZL36rocblas_gemvt_double_buffered_kernelILb1ELi128ELi4ELi16EPKdS1_KPdEviiT4_lPKT3_lilS7_lilPT5_lili.num_vgpr, 174
	.set _ZL36rocblas_gemvt_double_buffered_kernelILb1ELi128ELi4ELi16EPKdS1_KPdEviiT4_lPKT3_lilS7_lilPT5_lili.num_agpr, 0
	.set _ZL36rocblas_gemvt_double_buffered_kernelILb1ELi128ELi4ELi16EPKdS1_KPdEviiT4_lPKT3_lilS7_lilPT5_lili.numbered_sgpr, 32
	.set _ZL36rocblas_gemvt_double_buffered_kernelILb1ELi128ELi4ELi16EPKdS1_KPdEviiT4_lPKT3_lilS7_lilPT5_lili.num_named_barrier, 0
	.set _ZL36rocblas_gemvt_double_buffered_kernelILb1ELi128ELi4ELi16EPKdS1_KPdEviiT4_lPKT3_lilS7_lilPT5_lili.private_seg_size, 0
	.set _ZL36rocblas_gemvt_double_buffered_kernelILb1ELi128ELi4ELi16EPKdS1_KPdEviiT4_lPKT3_lilS7_lilPT5_lili.uses_vcc, 1
	.set _ZL36rocblas_gemvt_double_buffered_kernelILb1ELi128ELi4ELi16EPKdS1_KPdEviiT4_lPKT3_lilS7_lilPT5_lili.uses_flat_scratch, 1
	.set _ZL36rocblas_gemvt_double_buffered_kernelILb1ELi128ELi4ELi16EPKdS1_KPdEviiT4_lPKT3_lilS7_lilPT5_lili.has_dyn_sized_stack, 0
	.set _ZL36rocblas_gemvt_double_buffered_kernelILb1ELi128ELi4ELi16EPKdS1_KPdEviiT4_lPKT3_lilS7_lilPT5_lili.has_recursion, 0
	.set _ZL36rocblas_gemvt_double_buffered_kernelILb1ELi128ELi4ELi16EPKdS1_KPdEviiT4_lPKT3_lilS7_lilPT5_lili.has_indirect_call, 0
	.section	.AMDGPU.csdata,"",@progbits
; Kernel info:
; codeLenInByte = 6676
; TotalNumSgprs: 34
; NumVgprs: 174
; ScratchSize: 0
; MemoryBound: 0
; FloatMode: 240
; IeeeMode: 1
; LDSByteSize: 65536 bytes/workgroup (compile time only)
; SGPRBlocks: 0
; VGPRBlocks: 21
; NumSGPRsForWavesPerEU: 34
; NumVGPRsForWavesPerEU: 174
; Occupancy: 5
; WaveLimiterHint : 1
; COMPUTE_PGM_RSRC2:SCRATCH_EN: 0
; COMPUTE_PGM_RSRC2:USER_SGPR: 6
; COMPUTE_PGM_RSRC2:TRAP_HANDLER: 0
; COMPUTE_PGM_RSRC2:TGID_X_EN: 1
; COMPUTE_PGM_RSRC2:TGID_Y_EN: 1
; COMPUTE_PGM_RSRC2:TGID_Z_EN: 1
; COMPUTE_PGM_RSRC2:TIDIG_COMP_CNT: 1
	.section	.text._ZL36rocblas_gemvt_double_buffered_kernelILb1ELi128ELi4ELi16EPKddKPdEviiT4_lPKT3_lilS7_lilPT5_lili,"axG",@progbits,_ZL36rocblas_gemvt_double_buffered_kernelILb1ELi128ELi4ELi16EPKddKPdEviiT4_lPKT3_lilS7_lilPT5_lili,comdat
	.globl	_ZL36rocblas_gemvt_double_buffered_kernelILb1ELi128ELi4ELi16EPKddKPdEviiT4_lPKT3_lilS7_lilPT5_lili ; -- Begin function _ZL36rocblas_gemvt_double_buffered_kernelILb1ELi128ELi4ELi16EPKddKPdEviiT4_lPKT3_lilS7_lilPT5_lili
	.p2align	8
	.type	_ZL36rocblas_gemvt_double_buffered_kernelILb1ELi128ELi4ELi16EPKddKPdEviiT4_lPKT3_lilS7_lilPT5_lili,@function
_ZL36rocblas_gemvt_double_buffered_kernelILb1ELi128ELi4ELi16EPKddKPdEviiT4_lPKT3_lilS7_lilPT5_lili: ; @_ZL36rocblas_gemvt_double_buffered_kernelILb1ELi128ELi4ELi16EPKddKPdEviiT4_lPKT3_lilS7_lilPT5_lili
; %bb.0:
	s_load_dwordx2 s[10:11], s[4:5], 0x8
	s_waitcnt lgkmcnt(0)
	v_cmp_eq_f64_e64 s0, s[10:11], 0
	s_and_b32 vcc_lo, exec_lo, s0
	s_cbranch_vccnz .LBB285_12
; %bb.1:
	s_clause 0x1
	s_load_dword s0, s[4:5], 0x84
	s_load_dword s1, s[4:5], 0x0
	s_waitcnt lgkmcnt(0)
	v_cvt_f32_u32_e32 v2, s0
	s_ashr_i32 s3, s1, 31
	s_sub_i32 s9, 0, s0
	s_lshr_b32 s3, s3, 25
	s_add_i32 s1, s1, s3
	v_rcp_iflag_f32_e32 v2, v2
	s_ashr_i32 s1, s1, 7
	v_mul_f32_e32 v2, 0x4f7ffffe, v2
	v_cvt_u32_f32_e32 v2, v2
	v_readfirstlane_b32 s2, v2
	s_mul_i32 s9, s9, s2
	s_mul_hi_u32 s3, s2, s9
	s_add_i32 s2, s2, s3
	s_mul_hi_u32 s2, s1, s2
	s_mul_i32 s3, s2, s0
	s_add_i32 s9, s2, 1
	s_sub_i32 s3, s1, s3
	s_sub_i32 s12, s3, s0
	s_cmp_ge_u32 s3, s0
	s_cselect_b32 s2, s9, s2
	s_cselect_b32 s3, s12, s3
	s_add_i32 s9, s2, 1
	s_cmp_ge_u32 s3, s0
	s_cselect_b32 s16, s9, s2
	s_mov_b32 s9, 0
	s_mul_i32 s0, s16, s0
	s_sub_i32 s17, s1, s0
	s_cmp_lt_u32 s7, s17
	s_cselect_b32 s0, -1, 0
	s_cmp_lg_u32 s0, 0
	s_addc_u32 s24, s16, 0
	s_cmp_eq_u32 s24, 0
	s_cbranch_scc1 .LBB285_12
; %bb.2:
	s_load_dwordx4 s[0:3], s[4:5], 0x58
	s_lshl_b64 s[14:15], s[8:9], 3
	v_lshl_add_u32 v35, v1, 7, v0
	v_and_b32_e32 v2, 63, v0
	v_lshrrev_b32_e32 v141, 2, v35
	v_lshlrev_b32_e32 v142, 3, v2
	v_and_b32_e32 v143, 0x7ff0, v141
	s_waitcnt lgkmcnt(0)
	s_add_u32 s0, s0, s14
	s_addc_u32 s1, s1, s15
	s_lshl_b32 s12, s6, 7
	s_load_dwordx2 s[8:9], s[0:1], 0x0
	s_ashr_i32 s13, s12, 31
	s_cmp_lt_i32 s24, 1
	s_cbranch_scc1 .LBB285_8
; %bb.3:
	v_cvt_f64_i32_e32 v[3:4], s7
	v_cvt_f64_u32_e32 v[5:6], s17
	s_mul_i32 s16, s16, s7
	s_clause 0x2
	s_load_dword s0, s[4:5], 0x28
	s_load_dwordx4 s[20:23], s[4:5], 0x18
	s_load_dwordx4 s[28:31], s[4:5], 0x38
	v_cvt_f64_u32_e32 v[7:8], s16
	s_load_dword s16, s[4:5], 0x48
	v_lshlrev_b32_e32 v67, 1, v35
	v_mov_b32_e32 v35, 0
	v_mov_b32_e32 v63, 0
	;; [unrolled: 1-line block ×4, first 2 shown]
	v_and_b32_e32 v69, 0x3ff80, v67
	v_mov_b32_e32 v55, 0
	v_mov_b32_e32 v57, 0
	;; [unrolled: 1-line block ×9, first 2 shown]
	s_waitcnt lgkmcnt(0)
	s_ashr_i32 s1, s0, 31
	s_add_u32 s6, s20, s14
	v_min_f64 v[3:4], v[3:4], v[5:6]
	s_addc_u32 s7, s21, s15
	s_add_u32 s14, s28, s14
	s_load_dwordx2 s[18:19], s[6:7], 0x0
	s_addc_u32 s15, s29, s15
	s_lshl_b64 s[20:21], s[22:23], 3
	s_load_dwordx2 s[6:7], s[14:15], 0x0
	s_ashr_i32 s17, s16, 31
	s_mul_hi_i32 s15, s0, s12
	s_mul_i32 s14, s0, s12
	v_mov_b32_e32 v41, 0
	v_mov_b32_e32 v37, 0
	;; [unrolled: 1-line block ×12, first 2 shown]
	v_add_f64 v[3:4], v[3:4], v[7:8]
	s_waitcnt lgkmcnt(0)
	s_add_u32 s27, s18, s20
	s_addc_u32 s28, s19, s21
	s_lshl_b64 s[22:23], s[30:31], 3
	v_mov_b32_e32 v50, 0
	s_add_u32 s25, s6, s22
	s_addc_u32 s26, s7, s23
	s_lshl_b64 s[6:7], s[14:15], 3
	v_mov_b32_e32 v44, 0
	s_add_u32 s14, s27, s6
	s_addc_u32 s15, s28, s7
	v_mov_b32_e32 v46, 0
	v_mov_b32_e32 v40, 0
	v_mov_b32_e32 v42, 0
	v_mov_b32_e32 v38, 0
	v_mov_b32_e32 v66, 0
	v_cvt_i32_f64_e32 v5, v[3:4]
	v_mov_b32_e32 v3, 0
	v_mad_i64_i32 v[3:4], null, s0, v143, v[2:3]
	v_lshlrev_b64 v[3:4], 3, v[3:4]
	v_readfirstlane_b32 s22, v5
	s_lshl_b32 s6, s22, 7
	s_ashr_i32 s7, s6, 31
	s_lshl_b64 s[22:23], s[6:7], 3
	s_add_u32 s6, s14, s22
	s_addc_u32 s7, s15, s23
	v_add_co_u32 v3, vcc_lo, s6, v3
	v_add_co_ci_u32_e64 v4, null, s7, v4, vcc_lo
	s_lshl_b64 s[6:7], s[0:1], 3
	v_or_b32_e32 v67, s22, v142
	s_sub_u32 s14, 0, s6
	v_mad_i64_i32 v[33:34], null, 0x78, s0, v[3:4]
	s_subb_u32 s15, 0, s7
	s_lshl_b64 s[28:29], s[12:13], 3
	s_add_i32 s27, s24, -1
	v_or_b32_e32 v70, 0x200, v67
	v_mul_lo_u32 v73, v67, s17
	v_mad_u64_u32 v[67:68], null, v67, s16, 0
	v_add_co_u32 v5, vcc_lo, v33, s14
	v_add_co_ci_u32_e64 v6, null, s15, v34, vcc_lo
	s_mul_i32 s30, s23, s16
	v_add_co_u32 v7, vcc_lo, v5, s14
	v_add_co_ci_u32_e64 v8, null, s15, v6, vcc_lo
	v_add3_u32 v68, v68, v73, s30
	v_add_co_u32 v9, vcc_lo, v7, s14
	v_add_co_ci_u32_e64 v10, null, s15, v8, vcc_lo
	s_clause 0x2
	flat_load_dwordx2 v[3:4], v[3:4]
	flat_load_dwordx2 v[5:6], v[5:6]
	;; [unrolled: 1-line block ×3, first 2 shown]
	v_add_co_u32 v11, vcc_lo, v9, s14
	v_add_co_ci_u32_e64 v12, null, s15, v10, vcc_lo
	v_mul_lo_u32 v103, v70, s17
	v_add_co_u32 v13, vcc_lo, v11, s14
	v_add_co_ci_u32_e64 v14, null, s15, v12, vcc_lo
	v_add_co_u32 v15, vcc_lo, v13, s14
	v_add_co_ci_u32_e64 v16, null, s15, v14, vcc_lo
	s_clause 0x2
	flat_load_dwordx2 v[9:10], v[9:10]
	flat_load_dwordx2 v[11:12], v[11:12]
	;; [unrolled: 1-line block ×3, first 2 shown]
	v_add_co_u32 v17, vcc_lo, v15, s14
	v_add_co_ci_u32_e64 v18, null, s15, v16, vcc_lo
	flat_load_dwordx2 v[15:16], v[15:16]
	v_add_co_u32 v19, vcc_lo, v17, s14
	v_add_co_ci_u32_e64 v20, null, s15, v18, vcc_lo
	flat_load_dwordx2 v[17:18], v[17:18]
	;; [unrolled: 3-line block ×4, first 2 shown]
	v_add_co_u32 v25, vcc_lo, v23, s14
	v_add_co_ci_u32_e64 v26, null, s15, v24, vcc_lo
	v_add_co_u32 v27, vcc_lo, v25, s14
	v_add_co_ci_u32_e64 v28, null, s15, v26, vcc_lo
	;; [unrolled: 2-line block ×4, first 2 shown]
	flat_load_dwordx2 v[23:24], v[23:24]
	flat_load_dwordx2 v[25:26], v[25:26]
	;; [unrolled: 1-line block ×6, first 2 shown]
	s_lshl_b64 s[14:15], s[16:17], 10
	s_add_u32 s13, s18, s22
	v_add_co_u32 v74, s18, v69, s28
	v_add_co_ci_u32_e64 v75, null, 0, s29, s18
	s_addc_u32 s19, s19, s23
	v_add_co_u32 v76, vcc_lo, v74, 8
	v_add_co_ci_u32_e64 v77, null, 0, v75, vcc_lo
	v_add_co_u32 v78, vcc_lo, v74, 16
	v_add_co_ci_u32_e64 v79, null, 0, v75, vcc_lo
	;; [unrolled: 2-line block ×12, first 2 shown]
	v_add_co_u32 v100, vcc_lo, 0x68, v74
	s_add_u32 s18, s13, s20
	s_addc_u32 s19, s19, s21
	v_add_co_ci_u32_e64 v101, null, 0, v75, vcc_lo
	v_add_co_u32 v102, vcc_lo, 0x70, v74
	v_mad_u64_u32 v[71:72], null, v74, s0, s[18:19]
	v_mul_lo_u32 v104, v74, s1
	v_add_co_ci_u32_e64 v106, null, 0, v75, vcc_lo
	v_add_co_u32 v107, vcc_lo, 0x78, v74
	v_mad_u64_u32 v[73:74], null, v76, s0, s[18:19]
	v_mul_lo_u32 v109, v76, s1
	v_mul_lo_u32 v110, v77, s0
	;; [unrolled: 1-line block ×3, first 2 shown]
	v_add_co_ci_u32_e64 v108, null, 0, v75, vcc_lo
	v_mad_u64_u32 v[75:76], null, v78, s0, s[18:19]
	v_mul_lo_u32 v111, v78, s1
	v_mul_lo_u32 v112, v79, s0
	v_mad_u64_u32 v[77:78], null, v80, s0, s[18:19]
	v_mul_lo_u32 v113, v80, s1
	v_mul_lo_u32 v114, v81, s0
	;; [unrolled: 3-line block ×4, first 2 shown]
	v_add3_u32 v74, v110, v74, v109
	v_mad_u64_u32 v[83:84], null, v86, s0, s[18:19]
	v_mul_lo_u32 v119, v86, s1
	v_mul_lo_u32 v120, v87, s0
	v_add3_u32 v76, v112, v76, v111
	v_add_co_u32 v144, vcc_lo, 0x400, v73
	v_mad_u64_u32 v[85:86], null, v88, s0, s[18:19]
	v_mul_lo_u32 v121, v88, s1
	v_mul_lo_u32 v122, v89, s0
	v_add3_u32 v78, v114, v78, v113
	v_add_co_ci_u32_e64 v145, null, 0, v74, vcc_lo
	v_add_co_u32 v146, vcc_lo, 0x400, v75
	v_mad_u64_u32 v[87:88], null, v90, s0, s[18:19]
	v_mul_lo_u32 v123, v90, s1
	v_mul_lo_u32 v124, v91, s0
	v_add3_u32 v80, v116, v80, v115
	v_add_co_ci_u32_e64 v147, null, 0, v76, vcc_lo
	;; [unrolled: 6-line block ×9, first 2 shown]
	v_add_co_u32 v162, vcc_lo, 0x400, v91
	v_add3_u32 v96, v132, v96, v131
	v_add_co_ci_u32_e64 v163, null, 0, v92, vcc_lo
	v_add_co_u32 v164, vcc_lo, 0x400, v93
	v_add3_u32 v98, v134, v98, v133
	v_mad_u64_u32 v[69:70], null, v70, s16, 0
	v_add_co_ci_u32_e64 v165, null, 0, v94, vcc_lo
	v_add_co_u32 v166, vcc_lo, 0x400, v95
	v_add3_u32 v100, v106, v100, v135
	v_add_co_ci_u32_e64 v167, null, 0, v96, vcc_lo
	v_add_co_u32 v168, vcc_lo, 0x400, v97
	v_add3_u32 v102, v108, v102, v107
	v_add_co_ci_u32_e64 v169, null, 0, v98, vcc_lo
	v_add_co_u32 v170, vcc_lo, 0x400, v99
	v_add_co_ci_u32_e64 v171, null, 0, v100, vcc_lo
	v_add_co_u32 v172, vcc_lo, 0x400, v101
	v_add3_u32 v70, v70, v103, s30
	v_add3_u32 v72, v105, v72, v104
	v_add_co_ci_u32_e64 v173, null, 0, v102, vcc_lo
	s_mov_b32 s1, 0
	s_waitcnt vmcnt(15) lgkmcnt(15)
	v_mov_b32_e32 v74, v4
	s_waitcnt vmcnt(14) lgkmcnt(14)
	v_mov_b32_e32 v102, v6
	s_waitcnt vmcnt(13) lgkmcnt(13)
	v_mov_b32_e32 v100, v8
	v_mov_b32_e32 v73, v3
	v_mov_b32_e32 v101, v5
	;; [unrolled: 1-line block ×3, first 2 shown]
	s_waitcnt vmcnt(12) lgkmcnt(12)
	v_mov_b32_e32 v98, v10
	s_waitcnt vmcnt(11) lgkmcnt(11)
	v_mov_b32_e32 v96, v12
	;; [unrolled: 2-line block ×3, first 2 shown]
	v_mov_b32_e32 v97, v9
	v_mov_b32_e32 v95, v11
	;; [unrolled: 1-line block ×3, first 2 shown]
	s_waitcnt vmcnt(9) lgkmcnt(9)
	v_mov_b32_e32 v92, v16
	v_mov_b32_e32 v91, v15
	s_waitcnt vmcnt(8) lgkmcnt(8)
	v_mov_b32_e32 v90, v18
	v_mov_b32_e32 v89, v17
	;; [unrolled: 3-line block ×4, first 2 shown]
	s_waitcnt vmcnt(5) lgkmcnt(5)
	v_mov_b32_e32 v84, v24
	s_waitcnt vmcnt(4) lgkmcnt(4)
	v_mov_b32_e32 v82, v26
	s_waitcnt vmcnt(3) lgkmcnt(3)
	v_mov_b32_e32 v80, v28
	s_waitcnt vmcnt(2) lgkmcnt(2)
	v_mov_b32_e32 v78, v30
	s_waitcnt vmcnt(1) lgkmcnt(1)
	v_mov_b32_e32 v76, v32
	s_waitcnt vmcnt(0) lgkmcnt(0)
	v_mov_b32_e32 v104, v34
	v_mov_b32_e32 v83, v23
	v_mov_b32_e32 v81, v25
	;; [unrolled: 1-line block ×6, first 2 shown]
.LBB285_4:                              ; =>This Inner Loop Header: Depth=1
	v_add_co_u32 v139, vcc_lo, v71, v142
	v_add_co_ci_u32_e64 v140, null, 0, v72, vcc_lo
	s_cmp_lg_u32 s27, s1
	v_add_co_u32 v105, vcc_lo, 0x200, v139
	v_add_co_ci_u32_e64 v106, null, 0, v140, vcc_lo
	v_add_co_u32 v107, vcc_lo, v105, s6
	v_add_co_ci_u32_e64 v108, null, s7, v106, vcc_lo
	flat_load_dwordx2 v[105:106], v[139:140] offset:512
	v_add_co_u32 v109, vcc_lo, v107, s6
	v_add_co_ci_u32_e64 v110, null, s7, v108, vcc_lo
	v_add_co_u32 v137, vcc_lo, s25, v67
	v_add_co_u32 v111, s0, v109, s6
	v_add_co_ci_u32_e64 v112, null, s7, v110, s0
	v_add_co_ci_u32_e64 v138, null, s26, v68, vcc_lo
	v_add_co_u32 v113, vcc_lo, v111, s6
	v_add_co_ci_u32_e64 v114, null, s7, v112, vcc_lo
	s_clause 0x2
	flat_load_dwordx2 v[107:108], v[107:108]
	flat_load_dwordx2 v[109:110], v[109:110]
	;; [unrolled: 1-line block ×3, first 2 shown]
	v_add_co_u32 v115, vcc_lo, v113, s6
	v_add_co_ci_u32_e64 v116, null, s7, v114, vcc_lo
	flat_load_dwordx2 v[113:114], v[113:114]
	v_add_co_u32 v117, vcc_lo, v115, s6
	v_add_co_ci_u32_e64 v118, null, s7, v116, vcc_lo
	flat_load_dwordx2 v[115:116], v[115:116]
	;; [unrolled: 3-line block ×7, first 2 shown]
	v_add_co_u32 v129, vcc_lo, v127, s6
	v_add_co_ci_u32_e64 v130, null, s7, v128, vcc_lo
	v_add_co_u32 v131, vcc_lo, v129, s6
	v_add_co_ci_u32_e64 v132, null, s7, v130, vcc_lo
	;; [unrolled: 2-line block ×4, first 2 shown]
	flat_load_dwordx2 v[127:128], v[127:128]
	flat_load_dwordx2 v[129:130], v[129:130]
	;; [unrolled: 1-line block ×6, first 2 shown]
	s_cbranch_scc0 .LBB285_6
; %bb.5:                                ;   in Loop: Header=BB285_4 Depth=1
	v_add_co_u32 v75, vcc_lo, v144, v142
	v_add_co_ci_u32_e64 v76, null, 0, v145, vcc_lo
	v_add_co_u32 v77, vcc_lo, v146, v142
	v_add_co_ci_u32_e64 v78, null, 0, v147, vcc_lo
	;; [unrolled: 2-line block ×15, first 2 shown]
	flat_load_dwordx2 v[73:74], v[139:140] offset:1024
	flat_load_dwordx2 v[75:76], v[75:76]
	flat_load_dwordx2 v[77:78], v[77:78]
	;; [unrolled: 1-line block ×15, first 2 shown]
.LBB285_6:                              ;   in Loop: Header=BB285_4 Depth=1
	v_add_co_u32 v139, vcc_lo, s25, v69
	v_add_co_ci_u32_e64 v140, null, s26, v70, vcc_lo
	s_waitcnt vmcnt(0) lgkmcnt(0)
	v_fma_f64 v[3:4], v[3:4], v[137:138], v[35:36]
	v_fma_f64 v[31:32], v[31:32], v[137:138], v[63:64]
	;; [unrolled: 1-line block ×3, first 2 shown]
	flat_load_dwordx2 v[139:140], v[139:140]
	v_fma_f64 v[27:28], v[27:28], v[137:138], v[61:62]
	v_fma_f64 v[25:26], v[25:26], v[137:138], v[55:56]
	;; [unrolled: 1-line block ×13, first 2 shown]
	v_add_co_u32 v71, vcc_lo, 0x400, v71
	v_add_co_ci_u32_e64 v72, null, 0, v72, vcc_lo
	v_add_co_u32 v144, vcc_lo, 0x400, v144
	v_add_co_ci_u32_e64 v145, null, 0, v145, vcc_lo
	;; [unrolled: 2-line block ×15, first 2 shown]
	v_add_co_u32 v172, vcc_lo, 0x400, v172
	s_add_i32 s1, s1, 1
	v_add_co_ci_u32_e64 v173, null, 0, v173, vcc_lo
	s_add_u32 s25, s25, s14
	s_addc_u32 s26, s26, s15
	s_cmp_ge_i32 s1, s24
	s_waitcnt vmcnt(0) lgkmcnt(0)
	v_fma_f64 v[35:36], v[105:106], v[139:140], v[3:4]
	v_fma_f64 v[63:64], v[107:108], v[139:140], v[31:32]
	;; [unrolled: 1-line block ×16, first 2 shown]
	s_cbranch_scc1 .LBB285_9
; %bb.7:                                ;   in Loop: Header=BB285_4 Depth=1
	v_mov_b32_e32 v3, v73
	v_mov_b32_e32 v31, v75
	;; [unrolled: 1-line block ×32, first 2 shown]
	s_branch .LBB285_4
.LBB285_8:
	v_mov_b32_e32 v65, 0
	v_mov_b32_e32 v37, 0
	;; [unrolled: 1-line block ×32, first 2 shown]
.LBB285_9:
	v_lshlrev_b32_e32 v4, 9, v141
	v_lshl_or_b32 v3, v143, 9, v142
	s_mov_b32 s0, 0
	s_mov_b32 s1, exec_lo
	ds_write2st64_b64 v3, v[35:36], v[63:64] offset1:1
	ds_write2st64_b64 v3, v[59:60], v[61:62] offset0:2 offset1:3
	ds_write2st64_b64 v3, v[55:56], v[57:58] offset0:4 offset1:5
	;; [unrolled: 1-line block ×3, first 2 shown]
	v_or3_b32 v4, v4, v142, 0x1e00
	ds_write2st64_b64 v3, v[47:48], v[49:50] offset0:8 offset1:9
	ds_write2st64_b64 v3, v[43:44], v[45:46] offset0:10 offset1:11
	;; [unrolled: 1-line block ×3, first 2 shown]
	ds_write_b64 v3, v[37:38] offset:7168
	ds_write_b64 v4, v[65:66]
	s_waitcnt lgkmcnt(0)
	s_barrier
	buffer_gl0_inv
	v_cmpx_eq_u32_e32 0, v1
	s_cbranch_execz .LBB285_12
; %bb.10:
	v_lshlrev_b32_e32 v1, 9, v0
	v_add_nc_u32_e32 v5, 1, v0
	v_add_nc_u32_e32 v6, 2, v0
	;; [unrolled: 1-line block ×3, first 2 shown]
	s_load_dword s1, s[4:5], 0x68
	v_lshl_or_b32 v3, v2, 3, v1
	v_and_b32_e32 v5, 63, v5
	v_and_b32_e32 v6, 63, v6
	;; [unrolled: 1-line block ×3, first 2 shown]
	v_xor_b32_e32 v2, 32, v2
	ds_read_b64 v[3:4], v3
	v_lshl_or_b32 v5, v5, 3, v1
	v_lshl_or_b32 v8, v6, 3, v1
	v_lshl_or_b32 v9, v7, 3, v1
	s_lshl_b64 s[2:3], s[2:3], 3
	ds_read_b64 v[5:6], v5
	ds_read_b64 v[7:8], v8
	;; [unrolled: 1-line block ×3, first 2 shown]
	s_add_u32 s6, s8, s2
	s_waitcnt lgkmcnt(0)
	s_mul_hi_i32 s5, s1, s12
	s_mul_i32 s4, s1, s12
	v_add_f64 v[3:4], v[3:4], 0
	v_add_f64 v[3:4], v[3:4], v[5:6]
	v_add_nc_u32_e32 v5, 4, v0
	v_and_b32_e32 v5, 63, v5
	v_lshl_or_b32 v5, v5, 3, v1
	ds_read_b64 v[5:6], v5
	v_add_f64 v[3:4], v[3:4], v[7:8]
	v_add_nc_u32_e32 v7, 5, v0
	v_add_nc_u32_e32 v8, 6, v0
	v_and_b32_e32 v7, 63, v7
	v_and_b32_e32 v8, 63, v8
	v_lshl_or_b32 v7, v7, 3, v1
	v_add_f64 v[3:4], v[3:4], v[9:10]
	v_add_nc_u32_e32 v9, 7, v0
	v_lshl_or_b32 v10, v8, 3, v1
	v_and_b32_e32 v9, 63, v9
	v_lshl_or_b32 v11, v9, 3, v1
	ds_read_b64 v[7:8], v7
	ds_read_b64 v[9:10], v10
	ds_read_b64 v[11:12], v11
	s_waitcnt lgkmcnt(3)
	v_add_f64 v[3:4], v[3:4], v[5:6]
	v_add_nc_u32_e32 v5, 8, v0
	v_and_b32_e32 v5, 63, v5
	v_lshl_or_b32 v5, v5, 3, v1
	ds_read_b64 v[5:6], v5
	s_waitcnt lgkmcnt(3)
	v_add_f64 v[3:4], v[3:4], v[7:8]
	v_add_nc_u32_e32 v7, 9, v0
	v_add_nc_u32_e32 v8, 10, v0
	v_and_b32_e32 v7, 63, v7
	v_and_b32_e32 v8, 63, v8
	v_lshl_or_b32 v7, v7, 3, v1
	s_waitcnt lgkmcnt(2)
	v_add_f64 v[3:4], v[3:4], v[9:10]
	v_add_nc_u32_e32 v9, 11, v0
	v_lshl_or_b32 v10, v8, 3, v1
	v_and_b32_e32 v9, 63, v9
	s_waitcnt lgkmcnt(1)
	v_add_f64 v[3:4], v[3:4], v[11:12]
	v_lshl_or_b32 v11, v9, 3, v1
	ds_read_b64 v[7:8], v7
	ds_read_b64 v[9:10], v10
	ds_read_b64 v[11:12], v11
	s_waitcnt lgkmcnt(3)
	v_add_f64 v[3:4], v[3:4], v[5:6]
	v_add_nc_u32_e32 v5, 12, v0
	v_and_b32_e32 v5, 63, v5
	v_lshl_or_b32 v5, v5, 3, v1
	ds_read_b64 v[5:6], v5
	s_waitcnt lgkmcnt(3)
	v_add_f64 v[3:4], v[3:4], v[7:8]
	v_add_nc_u32_e32 v7, 13, v0
	v_add_nc_u32_e32 v8, 14, v0
	v_and_b32_e32 v7, 63, v7
	v_and_b32_e32 v8, 63, v8
	v_lshl_or_b32 v7, v7, 3, v1
	s_waitcnt lgkmcnt(2)
	v_add_f64 v[3:4], v[3:4], v[9:10]
	v_add_nc_u32_e32 v9, 15, v0
	v_lshl_or_b32 v10, v8, 3, v1
	v_and_b32_e32 v9, 63, v9
	s_waitcnt lgkmcnt(1)
	v_add_f64 v[3:4], v[3:4], v[11:12]
	;; [unrolled: 24-line block ×6, first 2 shown]
	v_lshl_or_b32 v11, v9, 3, v1
	ds_read_b64 v[7:8], v7
	ds_read_b64 v[9:10], v10
	;; [unrolled: 1-line block ×3, first 2 shown]
	s_waitcnt lgkmcnt(3)
	v_add_f64 v[3:4], v[3:4], v[5:6]
	v_lshl_or_b32 v5, v2, 3, v1
	v_add_nc_u32_e32 v6, 33, v0
	v_and_b32_e32 v6, 63, v6
	v_lshl_or_b32 v6, v6, 3, v1
	s_waitcnt lgkmcnt(2)
	v_add_f64 v[3:4], v[3:4], v[7:8]
	v_add_nc_u32_e32 v7, 34, v0
	v_add_nc_u32_e32 v8, 35, v0
	v_and_b32_e32 v7, 63, v7
	v_and_b32_e32 v8, 63, v8
	s_waitcnt lgkmcnt(1)
	v_add_f64 v[3:4], v[3:4], v[9:10]
	v_lshl_or_b32 v9, v7, 3, v1
	v_lshl_or_b32 v10, v8, 3, v1
	s_waitcnt lgkmcnt(0)
	v_add_f64 v[2:3], v[3:4], v[11:12]
	ds_read_b64 v[4:5], v5
	ds_read_b64 v[6:7], v6
	ds_read_b64 v[8:9], v9
	ds_read_b64 v[10:11], v10
	v_add_nc_u32_e32 v12, 55, v0
	v_and_b32_e32 v12, 63, v12
	v_lshl_or_b32 v14, v12, 3, v1
	s_waitcnt lgkmcnt(3)
	v_add_f64 v[2:3], v[2:3], v[4:5]
	v_add_nc_u32_e32 v4, 36, v0
	v_and_b32_e32 v4, 63, v4
	v_lshl_or_b32 v4, v4, 3, v1
	ds_read_b64 v[4:5], v4
	s_waitcnt lgkmcnt(3)
	v_add_f64 v[2:3], v[2:3], v[6:7]
	v_add_nc_u32_e32 v6, 37, v0
	v_add_nc_u32_e32 v7, 38, v0
	v_and_b32_e32 v6, 63, v6
	v_and_b32_e32 v7, 63, v7
	v_lshl_or_b32 v6, v6, 3, v1
	s_waitcnt lgkmcnt(2)
	v_add_f64 v[2:3], v[2:3], v[8:9]
	v_add_nc_u32_e32 v8, 39, v0
	v_lshl_or_b32 v9, v7, 3, v1
	v_and_b32_e32 v8, 63, v8
	s_waitcnt lgkmcnt(1)
	v_add_f64 v[2:3], v[2:3], v[10:11]
	v_lshl_or_b32 v10, v8, 3, v1
	ds_read_b64 v[6:7], v6
	ds_read_b64 v[8:9], v9
	ds_read_b64 v[10:11], v10
	s_waitcnt lgkmcnt(3)
	v_add_f64 v[2:3], v[2:3], v[4:5]
	v_add_nc_u32_e32 v4, 40, v0
	v_and_b32_e32 v4, 63, v4
	v_lshl_or_b32 v4, v4, 3, v1
	ds_read_b64 v[4:5], v4
	s_waitcnt lgkmcnt(3)
	v_add_f64 v[2:3], v[2:3], v[6:7]
	v_add_nc_u32_e32 v6, 41, v0
	v_add_nc_u32_e32 v7, 42, v0
	v_and_b32_e32 v6, 63, v6
	v_and_b32_e32 v7, 63, v7
	v_lshl_or_b32 v6, v6, 3, v1
	s_waitcnt lgkmcnt(2)
	v_add_f64 v[2:3], v[2:3], v[8:9]
	v_add_nc_u32_e32 v8, 43, v0
	v_lshl_or_b32 v9, v7, 3, v1
	v_and_b32_e32 v8, 63, v8
	s_waitcnt lgkmcnt(1)
	v_add_f64 v[2:3], v[2:3], v[10:11]
	v_lshl_or_b32 v10, v8, 3, v1
	ds_read_b64 v[6:7], v6
	ds_read_b64 v[8:9], v9
	ds_read_b64 v[10:11], v10
	;; [unrolled: 24-line block ×4, first 2 shown]
	s_waitcnt lgkmcnt(3)
	v_add_f64 v[2:3], v[2:3], v[4:5]
	v_mad_i64_i32 v[4:5], null, s1, v0, 0
	s_addc_u32 s1, s9, s3
	s_lshl_b64 s[2:3], s[4:5], 3
	s_add_u32 s2, s6, s2
	s_addc_u32 s1, s1, s3
	v_lshlrev_b64 v[4:5], 3, v[4:5]
	v_add_co_u32 v4, vcc_lo, s2, v4
	v_add_co_ci_u32_e64 v5, null, s1, v5, vcc_lo
	s_waitcnt lgkmcnt(2)
	v_add_f64 v[2:3], v[2:3], v[6:7]
	s_waitcnt lgkmcnt(1)
	v_add_f64 v[6:7], v[2:3], v[8:9]
	v_add_nc_u32_e32 v8, 52, v0
	flat_load_dwordx2 v[2:3], v[4:5]
	v_and_b32_e32 v8, 63, v8
	v_lshl_or_b32 v8, v8, 3, v1
	ds_read_b64 v[8:9], v8
	s_waitcnt lgkmcnt(2)
	v_add_f64 v[6:7], v[6:7], v[10:11]
	v_add_nc_u32_e32 v10, 53, v0
	v_add_nc_u32_e32 v11, 54, v0
	v_and_b32_e32 v10, 63, v10
	v_and_b32_e32 v11, 63, v11
	v_lshl_or_b32 v10, v10, 3, v1
	v_lshl_or_b32 v13, v11, 3, v1
	ds_read_b64 v[10:11], v10
	ds_read_b64 v[12:13], v13
	;; [unrolled: 1-line block ×3, first 2 shown]
	s_waitcnt lgkmcnt(3)
	v_add_f64 v[6:7], v[6:7], v[8:9]
	v_add_nc_u32_e32 v8, 56, v0
	v_and_b32_e32 v8, 63, v8
	v_lshl_or_b32 v8, v8, 3, v1
	ds_read_b64 v[8:9], v8
	s_waitcnt lgkmcnt(3)
	v_add_f64 v[6:7], v[6:7], v[10:11]
	v_add_nc_u32_e32 v10, 57, v0
	v_add_nc_u32_e32 v11, 58, v0
	v_and_b32_e32 v10, 63, v10
	v_and_b32_e32 v11, 63, v11
	v_lshl_or_b32 v10, v10, 3, v1
	s_waitcnt lgkmcnt(2)
	v_add_f64 v[6:7], v[6:7], v[12:13]
	v_add_nc_u32_e32 v12, 59, v0
	v_lshl_or_b32 v13, v11, 3, v1
	v_and_b32_e32 v12, 63, v12
	s_waitcnt lgkmcnt(1)
	v_add_f64 v[6:7], v[6:7], v[14:15]
	v_lshl_or_b32 v14, v12, 3, v1
	ds_read_b64 v[10:11], v10
	ds_read_b64 v[12:13], v13
	;; [unrolled: 1-line block ×3, first 2 shown]
	s_waitcnt lgkmcnt(3)
	v_add_f64 v[6:7], v[6:7], v[8:9]
	v_add_nc_u32_e32 v8, 60, v0
	v_and_b32_e32 v8, 63, v8
	v_lshl_or_b32 v8, v8, 3, v1
	ds_read_b64 v[8:9], v8
	s_waitcnt lgkmcnt(3)
	v_add_f64 v[6:7], v[6:7], v[10:11]
	v_add_nc_u32_e32 v10, 61, v0
	v_add_nc_u32_e32 v11, 62, v0
	v_add_nc_u32_e32 v0, -1, v0
	v_and_b32_e32 v10, 63, v10
	v_and_b32_e32 v11, 63, v11
	;; [unrolled: 1-line block ×3, first 2 shown]
	v_lshl_or_b32 v10, v10, 3, v1
	v_lshl_or_b32 v11, v11, 3, v1
	s_waitcnt lgkmcnt(2)
	v_add_f64 v[6:7], v[6:7], v[12:13]
	v_lshl_or_b32 v12, v0, 3, v1
	ds_read_b64 v[0:1], v10
	ds_read_b64 v[10:11], v11
	;; [unrolled: 1-line block ×3, first 2 shown]
	s_waitcnt lgkmcnt(4)
	v_add_f64 v[6:7], v[6:7], v[14:15]
	s_waitcnt lgkmcnt(3)
	v_add_f64 v[6:7], v[6:7], v[8:9]
	;; [unrolled: 2-line block ×5, first 2 shown]
	v_mul_f64 v[6:7], s[10:11], v[0:1]
.LBB285_11:                             ; =>This Inner Loop Header: Depth=1
	s_waitcnt vmcnt(0)
	v_add_f64 v[0:1], v[2:3], v[6:7]
	flat_atomic_cmpswap_x2 v[0:1], v[4:5], v[0:3] glc
	s_waitcnt vmcnt(0) lgkmcnt(0)
	v_cmp_eq_u64_e32 vcc_lo, v[0:1], v[2:3]
	v_mov_b32_e32 v3, v1
	v_mov_b32_e32 v2, v0
	s_or_b32 s0, vcc_lo, s0
	s_andn2_b32 exec_lo, exec_lo, s0
	s_cbranch_execnz .LBB285_11
.LBB285_12:
	s_endpgm
	.section	.rodata,"a",@progbits
	.p2align	6, 0x0
	.amdhsa_kernel _ZL36rocblas_gemvt_double_buffered_kernelILb1ELi128ELi4ELi16EPKddKPdEviiT4_lPKT3_lilS7_lilPT5_lili
		.amdhsa_group_segment_fixed_size 65536
		.amdhsa_private_segment_fixed_size 0
		.amdhsa_kernarg_size 384
		.amdhsa_user_sgpr_count 6
		.amdhsa_user_sgpr_private_segment_buffer 1
		.amdhsa_user_sgpr_dispatch_ptr 0
		.amdhsa_user_sgpr_queue_ptr 0
		.amdhsa_user_sgpr_kernarg_segment_ptr 1
		.amdhsa_user_sgpr_dispatch_id 0
		.amdhsa_user_sgpr_flat_scratch_init 0
		.amdhsa_user_sgpr_private_segment_size 0
		.amdhsa_wavefront_size32 1
		.amdhsa_uses_dynamic_stack 0
		.amdhsa_system_sgpr_private_segment_wavefront_offset 0
		.amdhsa_system_sgpr_workgroup_id_x 1
		.amdhsa_system_sgpr_workgroup_id_y 1
		.amdhsa_system_sgpr_workgroup_id_z 1
		.amdhsa_system_sgpr_workgroup_info 0
		.amdhsa_system_vgpr_workitem_id 1
		.amdhsa_next_free_vgpr 174
		.amdhsa_next_free_sgpr 32
		.amdhsa_reserve_vcc 1
		.amdhsa_reserve_flat_scratch 1
		.amdhsa_float_round_mode_32 0
		.amdhsa_float_round_mode_16_64 0
		.amdhsa_float_denorm_mode_32 3
		.amdhsa_float_denorm_mode_16_64 3
		.amdhsa_dx10_clamp 1
		.amdhsa_ieee_mode 1
		.amdhsa_fp16_overflow 0
		.amdhsa_workgroup_processor_mode 1
		.amdhsa_memory_ordered 1
		.amdhsa_forward_progress 1
		.amdhsa_shared_vgpr_count 0
		.amdhsa_exception_fp_ieee_invalid_op 0
		.amdhsa_exception_fp_denorm_src 0
		.amdhsa_exception_fp_ieee_div_zero 0
		.amdhsa_exception_fp_ieee_overflow 0
		.amdhsa_exception_fp_ieee_underflow 0
		.amdhsa_exception_fp_ieee_inexact 0
		.amdhsa_exception_int_div_zero 0
	.end_amdhsa_kernel
	.section	.text._ZL36rocblas_gemvt_double_buffered_kernelILb1ELi128ELi4ELi16EPKddKPdEviiT4_lPKT3_lilS7_lilPT5_lili,"axG",@progbits,_ZL36rocblas_gemvt_double_buffered_kernelILb1ELi128ELi4ELi16EPKddKPdEviiT4_lPKT3_lilS7_lilPT5_lili,comdat
.Lfunc_end285:
	.size	_ZL36rocblas_gemvt_double_buffered_kernelILb1ELi128ELi4ELi16EPKddKPdEviiT4_lPKT3_lilS7_lilPT5_lili, .Lfunc_end285-_ZL36rocblas_gemvt_double_buffered_kernelILb1ELi128ELi4ELi16EPKddKPdEviiT4_lPKT3_lilS7_lilPT5_lili
                                        ; -- End function
	.set _ZL36rocblas_gemvt_double_buffered_kernelILb1ELi128ELi4ELi16EPKddKPdEviiT4_lPKT3_lilS7_lilPT5_lili.num_vgpr, 174
	.set _ZL36rocblas_gemvt_double_buffered_kernelILb1ELi128ELi4ELi16EPKddKPdEviiT4_lPKT3_lilS7_lilPT5_lili.num_agpr, 0
	.set _ZL36rocblas_gemvt_double_buffered_kernelILb1ELi128ELi4ELi16EPKddKPdEviiT4_lPKT3_lilS7_lilPT5_lili.numbered_sgpr, 32
	.set _ZL36rocblas_gemvt_double_buffered_kernelILb1ELi128ELi4ELi16EPKddKPdEviiT4_lPKT3_lilS7_lilPT5_lili.num_named_barrier, 0
	.set _ZL36rocblas_gemvt_double_buffered_kernelILb1ELi128ELi4ELi16EPKddKPdEviiT4_lPKT3_lilS7_lilPT5_lili.private_seg_size, 0
	.set _ZL36rocblas_gemvt_double_buffered_kernelILb1ELi128ELi4ELi16EPKddKPdEviiT4_lPKT3_lilS7_lilPT5_lili.uses_vcc, 1
	.set _ZL36rocblas_gemvt_double_buffered_kernelILb1ELi128ELi4ELi16EPKddKPdEviiT4_lPKT3_lilS7_lilPT5_lili.uses_flat_scratch, 1
	.set _ZL36rocblas_gemvt_double_buffered_kernelILb1ELi128ELi4ELi16EPKddKPdEviiT4_lPKT3_lilS7_lilPT5_lili.has_dyn_sized_stack, 0
	.set _ZL36rocblas_gemvt_double_buffered_kernelILb1ELi128ELi4ELi16EPKddKPdEviiT4_lPKT3_lilS7_lilPT5_lili.has_recursion, 0
	.set _ZL36rocblas_gemvt_double_buffered_kernelILb1ELi128ELi4ELi16EPKddKPdEviiT4_lPKT3_lilS7_lilPT5_lili.has_indirect_call, 0
	.section	.AMDGPU.csdata,"",@progbits
; Kernel info:
; codeLenInByte = 6644
; TotalNumSgprs: 34
; NumVgprs: 174
; ScratchSize: 0
; MemoryBound: 0
; FloatMode: 240
; IeeeMode: 1
; LDSByteSize: 65536 bytes/workgroup (compile time only)
; SGPRBlocks: 0
; VGPRBlocks: 21
; NumSGPRsForWavesPerEU: 34
; NumVGPRsForWavesPerEU: 174
; Occupancy: 5
; WaveLimiterHint : 1
; COMPUTE_PGM_RSRC2:SCRATCH_EN: 0
; COMPUTE_PGM_RSRC2:USER_SGPR: 6
; COMPUTE_PGM_RSRC2:TRAP_HANDLER: 0
; COMPUTE_PGM_RSRC2:TGID_X_EN: 1
; COMPUTE_PGM_RSRC2:TGID_Y_EN: 1
; COMPUTE_PGM_RSRC2:TGID_Z_EN: 1
; COMPUTE_PGM_RSRC2:TIDIG_COMP_CNT: 1
	.section	.text._ZL20rocblas_gemvt_kernelILb1ELi256EPKdS1_KPdEviiT2_lPKT1_lilS7_lilS4_lPT3_lili,"axG",@progbits,_ZL20rocblas_gemvt_kernelILb1ELi256EPKdS1_KPdEviiT2_lPKT1_lilS7_lilS4_lPT3_lili,comdat
	.globl	_ZL20rocblas_gemvt_kernelILb1ELi256EPKdS1_KPdEviiT2_lPKT1_lilS7_lilS4_lPT3_lili ; -- Begin function _ZL20rocblas_gemvt_kernelILb1ELi256EPKdS1_KPdEviiT2_lPKT1_lilS7_lilS4_lPT3_lili
	.p2align	8
	.type	_ZL20rocblas_gemvt_kernelILb1ELi256EPKdS1_KPdEviiT2_lPKT1_lilS7_lilS4_lPT3_lili,@function
_ZL20rocblas_gemvt_kernelILb1ELi256EPKdS1_KPdEviiT2_lPKT1_lilS7_lilS4_lPT3_lili: ; @_ZL20rocblas_gemvt_kernelILb1ELi256EPKdS1_KPdEviiT2_lPKT1_lilS7_lilS4_lPT3_lili
; %bb.0:
	s_clause 0x1
	s_load_dwordx8 s[16:23], s[4:5], 0x8
	s_load_dwordx8 s[8:15], s[4:5], 0x58
	s_mov_b32 s0, s7
	s_waitcnt lgkmcnt(0)
	s_mul_i32 s1, s19, s7
	s_mul_hi_u32 s3, s18, s7
	s_mul_i32 s2, s18, s7
	s_add_i32 s3, s3, s1
	s_mul_i32 s1, s11, s7
	s_lshl_b64 s[2:3], s[2:3], 3
	s_mul_hi_u32 s7, s10, s7
	s_add_u32 s2, s16, s2
	s_addc_u32 s3, s17, s3
	s_add_i32 s11, s7, s1
	s_mul_i32 s10, s10, s0
	s_mov_b64 s[16:17], 0
	s_lshl_b64 s[10:11], s[10:11], 3
	s_add_u32 s10, s8, s10
	s_addc_u32 s11, s9, s11
	s_load_dwordx2 s[8:9], s[2:3], 0x0
	s_load_dwordx2 s[2:3], s[10:11], 0x0
	s_waitcnt lgkmcnt(0)
	v_cmp_eq_f64_e64 s19, s[8:9], 0
	v_cmp_eq_f64_e64 s1, s[2:3], 1.0
	s_and_b32 s1, s19, s1
	s_and_b32 vcc_lo, exec_lo, s1
	s_cbranch_vccnz .LBB286_41
; %bb.1:
	v_cmp_neq_f64_e64 s7, s[8:9], 0
	s_and_b32 vcc_lo, exec_lo, s19
	s_mov_b32 s1, 0
	s_cbranch_vccnz .LBB286_3
; %bb.2:
	s_lshl_b64 s[10:11], s[0:1], 3
	s_add_u32 s10, s20, s10
	s_addc_u32 s11, s21, s11
	s_lshl_b64 s[16:17], s[22:23], 3
	s_load_dwordx2 s[10:11], s[10:11], 0x0
	s_waitcnt lgkmcnt(0)
	s_add_u32 s16, s10, s16
	s_addc_u32 s17, s11, s17
.LBB286_3:
	s_andn2_b32 vcc_lo, exec_lo, s7
	s_cbranch_vccnz .LBB286_5
; %bb.4:
	s_load_dwordx4 s[20:23], s[4:5], 0x38
	s_lshl_b64 s[10:11], s[0:1], 3
	s_waitcnt lgkmcnt(0)
	s_add_u32 s10, s20, s10
	s_addc_u32 s11, s21, s11
	s_lshl_b64 s[20:21], s[22:23], 3
	s_load_dwordx2 s[10:11], s[10:11], 0x0
	s_waitcnt lgkmcnt(0)
	s_add_u32 s10, s10, s20
	s_addc_u32 s11, s11, s21
	s_branch .LBB286_6
.LBB286_5:
	s_mov_b64 s[10:11], 0
.LBB286_6:
	s_lshl_b64 s[0:1], s[0:1], 3
	s_add_u32 s0, s12, s0
	s_addc_u32 s1, s13, s1
	s_lshl_b64 s[14:15], s[14:15], 3
	s_load_dwordx2 s[12:13], s[0:1], 0x0
	s_load_dword s18, s[4:5], 0x78
	v_cmp_eq_u32_e64 s0, 0, v0
	s_waitcnt lgkmcnt(0)
	s_add_u32 s7, s12, s14
	s_addc_u32 s14, s13, s15
	s_andn2_b32 vcc_lo, exec_lo, s19
	s_cbranch_vccnz .LBB286_11
; %bb.7:
	s_mov_b32 s1, 0
	s_mov_b32 s15, 0
                                        ; implicit-def: $vgpr1_vgpr2
                                        ; implicit-def: $sgpr12_sgpr13
	s_and_saveexec_b32 s19, s0
	s_cbranch_execz .LBB286_12
; %bb.8:
	v_cmp_eq_f64_e64 s0, s[2:3], 0
	v_mov_b32_e32 v1, 0
	v_mov_b32_e32 v2, 0
	s_mul_hi_i32 s13, s18, s6
	s_mul_i32 s12, s18, s6
	s_and_b32 vcc_lo, exec_lo, s0
	s_cbranch_vccnz .LBB286_10
; %bb.9:
	s_lshl_b64 s[20:21], s[12:13], 3
	s_add_u32 s20, s7, s20
	s_addc_u32 s21, s14, s21
	v_mov_b32_e32 v1, s20
	v_mov_b32_e32 v2, s21
	flat_load_dwordx2 v[1:2], v[1:2]
	s_waitcnt vmcnt(0) lgkmcnt(0)
	v_mul_f64 v[1:2], s[2:3], v[1:2]
.LBB286_10:
	s_mov_b32 s15, exec_lo
	s_or_b32 exec_lo, exec_lo, s19
	s_and_b32 vcc_lo, exec_lo, s1
	s_cbranch_vccnz .LBB286_13
	s_branch .LBB286_39
.LBB286_11:
	s_mov_b32 s15, 0
                                        ; implicit-def: $vgpr1_vgpr2
                                        ; implicit-def: $sgpr12_sgpr13
	s_cbranch_execnz .LBB286_13
	s_branch .LBB286_39
.LBB286_12:
	s_or_b32 exec_lo, exec_lo, s19
	s_and_b32 vcc_lo, exec_lo, s1
	s_cbranch_vccz .LBB286_39
.LBB286_13:
	s_clause 0x2
	s_load_dword s19, s[4:5], 0x0
	s_load_dword s1, s[4:5], 0x28
	;; [unrolled: 1-line block ×3, first 2 shown]
	v_mov_b32_e32 v1, 0
	v_mov_b32_e32 v2, 0
	s_waitcnt lgkmcnt(0)
	v_cmp_gt_i32_e32 vcc_lo, s19, v0
	s_mul_hi_i32 s5, s1, s6
	s_mul_i32 s4, s1, s6
	s_ashr_i32 s1, s19, 31
	s_lshl_b64 s[4:5], s[4:5], 3
	v_cndmask_b32_e32 v3, 0, v0, vcc_lo
	s_lshr_b32 s1, s1, 24
	s_add_i32 s1, s19, s1
	v_lshlrev_b32_e32 v3, 3, v3
	v_add_co_u32 v3, s12, s16, v3
	v_add_co_ci_u32_e64 v4, null, s17, 0, s12
	v_add_co_u32 v3, vcc_lo, v3, s4
	v_add_co_ci_u32_e64 v4, null, s5, v4, vcc_lo
	s_and_b32 s4, s1, 0xffffff00
	s_cmpk_lt_i32 s19, 0x100
	s_mov_b32 s5, 0
	s_cbranch_scc1 .LBB286_16
; %bb.14:
	v_mad_i64_i32 v[1:2], null, s0, v0, 0
	v_mov_b32_e32 v8, v4
	v_mov_b32_e32 v7, v3
	s_ashr_i32 s1, s0, 31
	s_lshl_b64 s[12:13], s[0:1], 11
	v_lshlrev_b64 v[5:6], 3, v[1:2]
	v_mov_b32_e32 v1, 0
	v_mov_b32_e32 v2, 0
	v_add_co_u32 v5, vcc_lo, s10, v5
	v_add_co_ci_u32_e64 v6, null, s11, v6, vcc_lo
	.p2align	6
.LBB286_15:                             ; =>This Inner Loop Header: Depth=1
	flat_load_dwordx2 v[9:10], v[7:8]
	flat_load_dwordx2 v[11:12], v[5:6]
	v_add_co_u32 v5, vcc_lo, v5, s12
	v_add_co_ci_u32_e64 v6, null, s13, v6, vcc_lo
	v_add_co_u32 v7, vcc_lo, 0x800, v7
	v_add_co_ci_u32_e64 v8, null, 0, v8, vcc_lo
	s_addk_i32 s5, 0x100
	s_cmp_ge_i32 s5, s4
	s_waitcnt vmcnt(0) lgkmcnt(0)
	v_fma_f64 v[1:2], v[9:10], v[11:12], v[1:2]
	s_cbranch_scc0 .LBB286_15
.LBB286_16:
	v_add_nc_u32_e32 v5, s4, v0
	s_mov_b32 s1, exec_lo
	v_cmpx_gt_i32_e64 s19, v5
	s_cbranch_execz .LBB286_18
; %bb.17:
	v_mad_i64_i32 v[5:6], null, s0, v5, 0
	s_ashr_i32 s5, s4, 31
	s_lshl_b64 s[4:5], s[4:5], 3
	v_add_co_u32 v3, vcc_lo, v3, s4
	v_lshlrev_b64 v[5:6], 3, v[5:6]
	v_add_co_ci_u32_e64 v4, null, s5, v4, vcc_lo
	v_add_co_u32 v5, vcc_lo, s10, v5
	v_add_co_ci_u32_e64 v6, null, s11, v6, vcc_lo
	flat_load_dwordx2 v[3:4], v[3:4]
	flat_load_dwordx2 v[5:6], v[5:6]
	s_waitcnt vmcnt(0) lgkmcnt(0)
	v_fma_f64 v[1:2], v[3:4], v[5:6], v[1:2]
.LBB286_18:
	s_or_b32 exec_lo, exec_lo, s1
	v_lshlrev_b32_e32 v3, 3, v0
	s_mov_b32 s0, exec_lo
	ds_write_b64 v3, v[1:2]
	s_waitcnt lgkmcnt(0)
	s_barrier
	buffer_gl0_inv
	v_cmpx_gt_u32_e32 0x80, v0
	s_cbranch_execz .LBB286_20
; %bb.19:
	ds_read2st64_b64 v[4:7], v3 offset1:2
	s_waitcnt lgkmcnt(0)
	v_add_f64 v[1:2], v[6:7], v[4:5]
	ds_write_b64 v3, v[1:2]
.LBB286_20:
	s_or_b32 exec_lo, exec_lo, s0
	s_mov_b32 s0, exec_lo
	s_waitcnt lgkmcnt(0)
	s_barrier
	buffer_gl0_inv
	v_cmpx_gt_u32_e32 64, v0
	s_cbranch_execz .LBB286_22
; %bb.21:
	ds_read2st64_b64 v[4:7], v3 offset1:1
	s_waitcnt lgkmcnt(0)
	v_add_f64 v[1:2], v[6:7], v[4:5]
	ds_write_b64 v3, v[1:2]
.LBB286_22:
	s_or_b32 exec_lo, exec_lo, s0
	s_mov_b32 s0, exec_lo
	s_waitcnt lgkmcnt(0)
	s_barrier
	buffer_gl0_inv
	v_cmpx_gt_u32_e32 32, v0
	s_cbranch_execz .LBB286_24
; %bb.23:
	ds_read2_b64 v[4:7], v3 offset1:32
	s_waitcnt lgkmcnt(0)
	v_add_f64 v[1:2], v[6:7], v[4:5]
	ds_write_b64 v3, v[1:2]
.LBB286_24:
	s_or_b32 exec_lo, exec_lo, s0
	s_mov_b32 s0, exec_lo
	s_waitcnt lgkmcnt(0)
	s_barrier
	buffer_gl0_inv
	v_cmpx_gt_u32_e32 16, v0
	s_cbranch_execz .LBB286_26
; %bb.25:
	ds_read2_b64 v[4:7], v3 offset1:16
	s_waitcnt lgkmcnt(0)
	v_add_f64 v[1:2], v[6:7], v[4:5]
	ds_write_b64 v3, v[1:2]
.LBB286_26:
	;; [unrolled: 13-line block ×5, first 2 shown]
	s_or_b32 exec_lo, exec_lo, s0
	v_cmp_eq_u32_e32 vcc_lo, 0, v0
	s_waitcnt lgkmcnt(0)
	s_barrier
	buffer_gl0_inv
	s_and_saveexec_b32 s0, vcc_lo
	s_cbranch_execz .LBB286_34
; %bb.33:
	v_mov_b32_e32 v4, 0
	ds_read_b128 v[0:3], v4
	s_waitcnt lgkmcnt(0)
	v_add_f64 v[0:1], v[2:3], v[0:1]
	ds_write_b64 v4, v[0:1]
.LBB286_34:
	s_or_b32 exec_lo, exec_lo, s0
	s_waitcnt lgkmcnt(0)
	s_barrier
	buffer_gl0_inv
                                        ; implicit-def: $vgpr1_vgpr2
                                        ; implicit-def: $sgpr12_sgpr13
	s_and_saveexec_b32 s0, vcc_lo
	s_cbranch_execz .LBB286_38
; %bb.35:
	v_mov_b32_e32 v0, 0
	v_cmp_eq_f64_e64 s1, s[2:3], 0
	s_mul_hi_i32 s13, s18, s6
	s_mul_i32 s12, s18, s6
	ds_read_b64 v[0:1], v0
	s_and_b32 vcc_lo, exec_lo, s1
	s_waitcnt lgkmcnt(0)
	v_mul_f64 v[1:2], s[8:9], v[0:1]
	s_cbranch_vccnz .LBB286_37
; %bb.36:
	s_lshl_b64 s[4:5], s[12:13], 3
	s_add_u32 s4, s7, s4
	s_addc_u32 s5, s14, s5
	v_mov_b32_e32 v3, s4
	v_mov_b32_e32 v4, s5
	flat_load_dwordx2 v[3:4], v[3:4]
	s_waitcnt vmcnt(0) lgkmcnt(0)
	v_fma_f64 v[1:2], s[2:3], v[3:4], v[1:2]
.LBB286_37:
	s_or_b32 s15, s15, exec_lo
.LBB286_38:
	s_or_b32 exec_lo, exec_lo, s0
.LBB286_39:
	s_and_saveexec_b32 s0, s15
	s_cbranch_execz .LBB286_41
; %bb.40:
	s_lshl_b64 s[0:1], s[12:13], 3
	s_add_u32 s0, s7, s0
	s_addc_u32 s1, s14, s1
	v_mov_b32_e32 v4, s1
	v_mov_b32_e32 v3, s0
	flat_store_dwordx2 v[3:4], v[1:2]
.LBB286_41:
	s_endpgm
	.section	.rodata,"a",@progbits
	.p2align	6, 0x0
	.amdhsa_kernel _ZL20rocblas_gemvt_kernelILb1ELi256EPKdS1_KPdEviiT2_lPKT1_lilS7_lilS4_lPT3_lili
		.amdhsa_group_segment_fixed_size 2048
		.amdhsa_private_segment_fixed_size 0
		.amdhsa_kernarg_size 140
		.amdhsa_user_sgpr_count 6
		.amdhsa_user_sgpr_private_segment_buffer 1
		.amdhsa_user_sgpr_dispatch_ptr 0
		.amdhsa_user_sgpr_queue_ptr 0
		.amdhsa_user_sgpr_kernarg_segment_ptr 1
		.amdhsa_user_sgpr_dispatch_id 0
		.amdhsa_user_sgpr_flat_scratch_init 0
		.amdhsa_user_sgpr_private_segment_size 0
		.amdhsa_wavefront_size32 1
		.amdhsa_uses_dynamic_stack 0
		.amdhsa_system_sgpr_private_segment_wavefront_offset 0
		.amdhsa_system_sgpr_workgroup_id_x 1
		.amdhsa_system_sgpr_workgroup_id_y 0
		.amdhsa_system_sgpr_workgroup_id_z 1
		.amdhsa_system_sgpr_workgroup_info 0
		.amdhsa_system_vgpr_workitem_id 0
		.amdhsa_next_free_vgpr 13
		.amdhsa_next_free_sgpr 24
		.amdhsa_reserve_vcc 1
		.amdhsa_reserve_flat_scratch 0
		.amdhsa_float_round_mode_32 0
		.amdhsa_float_round_mode_16_64 0
		.amdhsa_float_denorm_mode_32 3
		.amdhsa_float_denorm_mode_16_64 3
		.amdhsa_dx10_clamp 1
		.amdhsa_ieee_mode 1
		.amdhsa_fp16_overflow 0
		.amdhsa_workgroup_processor_mode 1
		.amdhsa_memory_ordered 1
		.amdhsa_forward_progress 1
		.amdhsa_shared_vgpr_count 0
		.amdhsa_exception_fp_ieee_invalid_op 0
		.amdhsa_exception_fp_denorm_src 0
		.amdhsa_exception_fp_ieee_div_zero 0
		.amdhsa_exception_fp_ieee_overflow 0
		.amdhsa_exception_fp_ieee_underflow 0
		.amdhsa_exception_fp_ieee_inexact 0
		.amdhsa_exception_int_div_zero 0
	.end_amdhsa_kernel
	.section	.text._ZL20rocblas_gemvt_kernelILb1ELi256EPKdS1_KPdEviiT2_lPKT1_lilS7_lilS4_lPT3_lili,"axG",@progbits,_ZL20rocblas_gemvt_kernelILb1ELi256EPKdS1_KPdEviiT2_lPKT1_lilS7_lilS4_lPT3_lili,comdat
.Lfunc_end286:
	.size	_ZL20rocblas_gemvt_kernelILb1ELi256EPKdS1_KPdEviiT2_lPKT1_lilS7_lilS4_lPT3_lili, .Lfunc_end286-_ZL20rocblas_gemvt_kernelILb1ELi256EPKdS1_KPdEviiT2_lPKT1_lilS7_lilS4_lPT3_lili
                                        ; -- End function
	.set _ZL20rocblas_gemvt_kernelILb1ELi256EPKdS1_KPdEviiT2_lPKT1_lilS7_lilS4_lPT3_lili.num_vgpr, 13
	.set _ZL20rocblas_gemvt_kernelILb1ELi256EPKdS1_KPdEviiT2_lPKT1_lilS7_lilS4_lPT3_lili.num_agpr, 0
	.set _ZL20rocblas_gemvt_kernelILb1ELi256EPKdS1_KPdEviiT2_lPKT1_lilS7_lilS4_lPT3_lili.numbered_sgpr, 24
	.set _ZL20rocblas_gemvt_kernelILb1ELi256EPKdS1_KPdEviiT2_lPKT1_lilS7_lilS4_lPT3_lili.num_named_barrier, 0
	.set _ZL20rocblas_gemvt_kernelILb1ELi256EPKdS1_KPdEviiT2_lPKT1_lilS7_lilS4_lPT3_lili.private_seg_size, 0
	.set _ZL20rocblas_gemvt_kernelILb1ELi256EPKdS1_KPdEviiT2_lPKT1_lilS7_lilS4_lPT3_lili.uses_vcc, 1
	.set _ZL20rocblas_gemvt_kernelILb1ELi256EPKdS1_KPdEviiT2_lPKT1_lilS7_lilS4_lPT3_lili.uses_flat_scratch, 0
	.set _ZL20rocblas_gemvt_kernelILb1ELi256EPKdS1_KPdEviiT2_lPKT1_lilS7_lilS4_lPT3_lili.has_dyn_sized_stack, 0
	.set _ZL20rocblas_gemvt_kernelILb1ELi256EPKdS1_KPdEviiT2_lPKT1_lilS7_lilS4_lPT3_lili.has_recursion, 0
	.set _ZL20rocblas_gemvt_kernelILb1ELi256EPKdS1_KPdEviiT2_lPKT1_lilS7_lilS4_lPT3_lili.has_indirect_call, 0
	.section	.AMDGPU.csdata,"",@progbits
; Kernel info:
; codeLenInByte = 1484
; TotalNumSgprs: 26
; NumVgprs: 13
; ScratchSize: 0
; MemoryBound: 0
; FloatMode: 240
; IeeeMode: 1
; LDSByteSize: 2048 bytes/workgroup (compile time only)
; SGPRBlocks: 0
; VGPRBlocks: 1
; NumSGPRsForWavesPerEU: 26
; NumVGPRsForWavesPerEU: 13
; Occupancy: 16
; WaveLimiterHint : 1
; COMPUTE_PGM_RSRC2:SCRATCH_EN: 0
; COMPUTE_PGM_RSRC2:USER_SGPR: 6
; COMPUTE_PGM_RSRC2:TRAP_HANDLER: 0
; COMPUTE_PGM_RSRC2:TGID_X_EN: 1
; COMPUTE_PGM_RSRC2:TGID_Y_EN: 0
; COMPUTE_PGM_RSRC2:TGID_Z_EN: 1
; COMPUTE_PGM_RSRC2:TIDIG_COMP_CNT: 0
	.section	.text._ZL20rocblas_gemvt_kernelILb1ELi256EPKddKPdEviiT2_lPKT1_lilS7_lilS4_lPT3_lili,"axG",@progbits,_ZL20rocblas_gemvt_kernelILb1ELi256EPKddKPdEviiT2_lPKT1_lilS7_lilS4_lPT3_lili,comdat
	.globl	_ZL20rocblas_gemvt_kernelILb1ELi256EPKddKPdEviiT2_lPKT1_lilS7_lilS4_lPT3_lili ; -- Begin function _ZL20rocblas_gemvt_kernelILb1ELi256EPKddKPdEviiT2_lPKT1_lilS7_lilS4_lPT3_lili
	.p2align	8
	.type	_ZL20rocblas_gemvt_kernelILb1ELi256EPKddKPdEviiT2_lPKT1_lilS7_lilS4_lPT3_lili,@function
_ZL20rocblas_gemvt_kernelILb1ELi256EPKddKPdEviiT2_lPKT1_lilS7_lilS4_lPT3_lili: ; @_ZL20rocblas_gemvt_kernelILb1ELi256EPKddKPdEviiT2_lPKT1_lilS7_lilS4_lPT3_lili
; %bb.0:
	s_clause 0x1
	s_load_dwordx2 s[8:9], s[4:5], 0x8
	s_load_dwordx2 s[2:3], s[4:5], 0x58
	s_waitcnt lgkmcnt(0)
	v_cmp_eq_f64_e64 s14, s[8:9], 0
	v_cmp_eq_f64_e64 s1, s[2:3], 1.0
	s_and_b32 s1, s14, s1
	s_and_b32 vcc_lo, exec_lo, s1
	s_cbranch_vccnz .LBB287_42
; %bb.1:
	s_mov_b32 s0, s7
	v_cmp_neq_f64_e64 s7, s[8:9], 0
	s_mov_b32 s1, 0
	s_and_b32 vcc_lo, exec_lo, s7
	s_cbranch_vccnz .LBB287_3
; %bb.2:
	s_mov_b32 s12, s1
	s_mov_b64 s[10:11], 0
	s_andn2_b32 vcc_lo, exec_lo, s12
	s_mov_b64 s[12:13], 0
	s_cbranch_vccz .LBB287_4
	s_branch .LBB287_5
.LBB287_3:
	s_mov_b64 s[10:11], 0
	s_mov_b64 s[12:13], 0
.LBB287_4:
	s_load_dwordx4 s[16:19], s[4:5], 0x18
	s_lshl_b64 s[12:13], s[0:1], 3
	s_waitcnt lgkmcnt(0)
	s_add_u32 s12, s16, s12
	s_addc_u32 s13, s17, s13
	s_lshl_b64 s[16:17], s[18:19], 3
	s_load_dwordx2 s[12:13], s[12:13], 0x0
	s_waitcnt lgkmcnt(0)
	s_add_u32 s12, s12, s16
	s_addc_u32 s13, s13, s17
.LBB287_5:
	s_andn2_b32 vcc_lo, exec_lo, s7
	s_cbranch_vccnz .LBB287_7
; %bb.6:
	s_load_dwordx4 s[16:19], s[4:5], 0x38
	s_lshl_b64 s[10:11], s[0:1], 3
	s_waitcnt lgkmcnt(0)
	s_add_u32 s10, s16, s10
	s_addc_u32 s11, s17, s11
	s_lshl_b64 s[16:17], s[18:19], 3
	s_load_dwordx2 s[10:11], s[10:11], 0x0
	s_waitcnt lgkmcnt(0)
	s_add_u32 s10, s10, s16
	s_addc_u32 s11, s11, s17
.LBB287_7:
	s_clause 0x1
	s_load_dwordx4 s[20:23], s[4:5], 0x68
	s_load_dword s17, s[4:5], 0x78
	s_lshl_b64 s[0:1], s[0:1], 3
	s_waitcnt lgkmcnt(0)
	s_add_u32 s0, s20, s0
	s_addc_u32 s1, s21, s1
	s_lshl_b64 s[20:21], s[22:23], 3
	s_load_dwordx2 s[18:19], s[0:1], 0x0
	v_cmp_eq_u32_e64 s0, 0, v0
	s_waitcnt lgkmcnt(0)
	s_add_u32 s7, s18, s20
	s_addc_u32 s16, s19, s21
	s_andn2_b32 vcc_lo, exec_lo, s14
	s_cbranch_vccnz .LBB287_12
; %bb.8:
	s_mov_b32 s1, 0
	s_mov_b32 s18, 0
                                        ; implicit-def: $vgpr1_vgpr2
                                        ; implicit-def: $sgpr14_sgpr15
	s_and_saveexec_b32 s19, s0
	s_cbranch_execz .LBB287_13
; %bb.9:
	v_cmp_eq_f64_e64 s0, s[2:3], 0
	v_mov_b32_e32 v1, 0
	v_mov_b32_e32 v2, 0
	s_mul_hi_i32 s15, s17, s6
	s_mul_i32 s14, s17, s6
	s_and_b32 vcc_lo, exec_lo, s0
	s_cbranch_vccnz .LBB287_11
; %bb.10:
	s_lshl_b64 s[20:21], s[14:15], 3
	s_add_u32 s20, s7, s20
	s_addc_u32 s21, s16, s21
	v_mov_b32_e32 v1, s20
	v_mov_b32_e32 v2, s21
	flat_load_dwordx2 v[1:2], v[1:2]
	s_waitcnt vmcnt(0) lgkmcnt(0)
	v_mul_f64 v[1:2], s[2:3], v[1:2]
.LBB287_11:
	s_mov_b32 s18, exec_lo
	s_or_b32 exec_lo, exec_lo, s19
	s_and_b32 vcc_lo, exec_lo, s1
	s_cbranch_vccnz .LBB287_14
	s_branch .LBB287_40
.LBB287_12:
	s_mov_b32 s18, 0
                                        ; implicit-def: $vgpr1_vgpr2
                                        ; implicit-def: $sgpr14_sgpr15
	s_cbranch_execnz .LBB287_14
	s_branch .LBB287_40
.LBB287_13:
	s_or_b32 exec_lo, exec_lo, s19
	s_and_b32 vcc_lo, exec_lo, s1
	s_cbranch_vccz .LBB287_40
.LBB287_14:
	s_clause 0x2
	s_load_dword s14, s[4:5], 0x0
	s_load_dword s1, s[4:5], 0x28
	;; [unrolled: 1-line block ×3, first 2 shown]
	v_mov_b32_e32 v1, 0
	v_mov_b32_e32 v2, 0
	s_waitcnt lgkmcnt(0)
	v_cmp_gt_i32_e32 vcc_lo, s14, v0
	s_mul_hi_i32 s5, s1, s6
	s_mul_i32 s4, s1, s6
	s_ashr_i32 s1, s14, 31
	s_lshl_b64 s[4:5], s[4:5], 3
	v_cndmask_b32_e32 v3, 0, v0, vcc_lo
	s_lshr_b32 s1, s1, 24
	s_add_i32 s1, s14, s1
	v_lshlrev_b32_e32 v3, 3, v3
	v_add_co_u32 v3, s12, s12, v3
	v_add_co_ci_u32_e64 v4, null, s13, 0, s12
	v_add_co_u32 v3, vcc_lo, v3, s4
	v_add_co_ci_u32_e64 v4, null, s5, v4, vcc_lo
	s_and_b32 s4, s1, 0xffffff00
	s_cmpk_lt_i32 s14, 0x100
	s_mov_b32 s5, 0
	s_cbranch_scc1 .LBB287_17
; %bb.15:
	v_mad_i64_i32 v[1:2], null, s0, v0, 0
	v_mov_b32_e32 v8, v4
	v_mov_b32_e32 v7, v3
	s_ashr_i32 s1, s0, 31
	s_lshl_b64 s[12:13], s[0:1], 11
	v_lshlrev_b64 v[5:6], 3, v[1:2]
	v_mov_b32_e32 v1, 0
	v_mov_b32_e32 v2, 0
	v_add_co_u32 v5, vcc_lo, s10, v5
	v_add_co_ci_u32_e64 v6, null, s11, v6, vcc_lo
	.p2align	6
.LBB287_16:                             ; =>This Inner Loop Header: Depth=1
	flat_load_dwordx2 v[9:10], v[7:8]
	flat_load_dwordx2 v[11:12], v[5:6]
	v_add_co_u32 v5, vcc_lo, v5, s12
	v_add_co_ci_u32_e64 v6, null, s13, v6, vcc_lo
	v_add_co_u32 v7, vcc_lo, 0x800, v7
	v_add_co_ci_u32_e64 v8, null, 0, v8, vcc_lo
	s_addk_i32 s5, 0x100
	s_cmp_ge_i32 s5, s4
	s_waitcnt vmcnt(0) lgkmcnt(0)
	v_fma_f64 v[1:2], v[9:10], v[11:12], v[1:2]
	s_cbranch_scc0 .LBB287_16
.LBB287_17:
	v_add_nc_u32_e32 v5, s4, v0
	s_mov_b32 s1, exec_lo
	v_cmpx_gt_i32_e64 s14, v5
	s_cbranch_execz .LBB287_19
; %bb.18:
	v_mad_i64_i32 v[5:6], null, s0, v5, 0
	s_ashr_i32 s5, s4, 31
	s_lshl_b64 s[4:5], s[4:5], 3
	v_add_co_u32 v3, vcc_lo, v3, s4
	v_lshlrev_b64 v[5:6], 3, v[5:6]
	v_add_co_ci_u32_e64 v4, null, s5, v4, vcc_lo
	v_add_co_u32 v5, vcc_lo, s10, v5
	v_add_co_ci_u32_e64 v6, null, s11, v6, vcc_lo
	flat_load_dwordx2 v[3:4], v[3:4]
	flat_load_dwordx2 v[5:6], v[5:6]
	s_waitcnt vmcnt(0) lgkmcnt(0)
	v_fma_f64 v[1:2], v[3:4], v[5:6], v[1:2]
.LBB287_19:
	s_or_b32 exec_lo, exec_lo, s1
	v_lshlrev_b32_e32 v3, 3, v0
	s_mov_b32 s0, exec_lo
	ds_write_b64 v3, v[1:2]
	s_waitcnt lgkmcnt(0)
	s_barrier
	buffer_gl0_inv
	v_cmpx_gt_u32_e32 0x80, v0
	s_cbranch_execz .LBB287_21
; %bb.20:
	ds_read2st64_b64 v[4:7], v3 offset1:2
	s_waitcnt lgkmcnt(0)
	v_add_f64 v[1:2], v[6:7], v[4:5]
	ds_write_b64 v3, v[1:2]
.LBB287_21:
	s_or_b32 exec_lo, exec_lo, s0
	s_mov_b32 s0, exec_lo
	s_waitcnt lgkmcnt(0)
	s_barrier
	buffer_gl0_inv
	v_cmpx_gt_u32_e32 64, v0
	s_cbranch_execz .LBB287_23
; %bb.22:
	ds_read2st64_b64 v[4:7], v3 offset1:1
	s_waitcnt lgkmcnt(0)
	v_add_f64 v[1:2], v[6:7], v[4:5]
	ds_write_b64 v3, v[1:2]
.LBB287_23:
	s_or_b32 exec_lo, exec_lo, s0
	s_mov_b32 s0, exec_lo
	s_waitcnt lgkmcnt(0)
	s_barrier
	buffer_gl0_inv
	v_cmpx_gt_u32_e32 32, v0
	s_cbranch_execz .LBB287_25
; %bb.24:
	ds_read2_b64 v[4:7], v3 offset1:32
	s_waitcnt lgkmcnt(0)
	v_add_f64 v[1:2], v[6:7], v[4:5]
	ds_write_b64 v3, v[1:2]
.LBB287_25:
	s_or_b32 exec_lo, exec_lo, s0
	s_mov_b32 s0, exec_lo
	s_waitcnt lgkmcnt(0)
	s_barrier
	buffer_gl0_inv
	v_cmpx_gt_u32_e32 16, v0
	s_cbranch_execz .LBB287_27
; %bb.26:
	ds_read2_b64 v[4:7], v3 offset1:16
	s_waitcnt lgkmcnt(0)
	v_add_f64 v[1:2], v[6:7], v[4:5]
	ds_write_b64 v3, v[1:2]
.LBB287_27:
	;; [unrolled: 13-line block ×5, first 2 shown]
	s_or_b32 exec_lo, exec_lo, s0
	v_cmp_eq_u32_e32 vcc_lo, 0, v0
	s_waitcnt lgkmcnt(0)
	s_barrier
	buffer_gl0_inv
	s_and_saveexec_b32 s0, vcc_lo
	s_cbranch_execz .LBB287_35
; %bb.34:
	v_mov_b32_e32 v4, 0
	ds_read_b128 v[0:3], v4
	s_waitcnt lgkmcnt(0)
	v_add_f64 v[0:1], v[2:3], v[0:1]
	ds_write_b64 v4, v[0:1]
.LBB287_35:
	s_or_b32 exec_lo, exec_lo, s0
	s_waitcnt lgkmcnt(0)
	s_barrier
	buffer_gl0_inv
                                        ; implicit-def: $vgpr1_vgpr2
                                        ; implicit-def: $sgpr14_sgpr15
	s_and_saveexec_b32 s0, vcc_lo
	s_cbranch_execz .LBB287_39
; %bb.36:
	v_mov_b32_e32 v0, 0
	v_cmp_eq_f64_e64 s1, s[2:3], 0
	s_mul_hi_i32 s15, s17, s6
	s_mul_i32 s14, s17, s6
	ds_read_b64 v[0:1], v0
	s_and_b32 vcc_lo, exec_lo, s1
	s_waitcnt lgkmcnt(0)
	v_mul_f64 v[1:2], s[8:9], v[0:1]
	s_cbranch_vccnz .LBB287_38
; %bb.37:
	s_lshl_b64 s[4:5], s[14:15], 3
	s_add_u32 s4, s7, s4
	s_addc_u32 s5, s16, s5
	v_mov_b32_e32 v3, s4
	v_mov_b32_e32 v4, s5
	flat_load_dwordx2 v[3:4], v[3:4]
	s_waitcnt vmcnt(0) lgkmcnt(0)
	v_fma_f64 v[1:2], s[2:3], v[3:4], v[1:2]
.LBB287_38:
	s_or_b32 s18, s18, exec_lo
.LBB287_39:
	s_or_b32 exec_lo, exec_lo, s0
.LBB287_40:
	s_and_saveexec_b32 s0, s18
	s_cbranch_execz .LBB287_42
; %bb.41:
	s_lshl_b64 s[0:1], s[14:15], 3
	s_add_u32 s0, s7, s0
	s_addc_u32 s1, s16, s1
	v_mov_b32_e32 v4, s1
	v_mov_b32_e32 v3, s0
	flat_store_dwordx2 v[3:4], v[1:2]
.LBB287_42:
	s_endpgm
	.section	.rodata,"a",@progbits
	.p2align	6, 0x0
	.amdhsa_kernel _ZL20rocblas_gemvt_kernelILb1ELi256EPKddKPdEviiT2_lPKT1_lilS7_lilS4_lPT3_lili
		.amdhsa_group_segment_fixed_size 2048
		.amdhsa_private_segment_fixed_size 0
		.amdhsa_kernarg_size 140
		.amdhsa_user_sgpr_count 6
		.amdhsa_user_sgpr_private_segment_buffer 1
		.amdhsa_user_sgpr_dispatch_ptr 0
		.amdhsa_user_sgpr_queue_ptr 0
		.amdhsa_user_sgpr_kernarg_segment_ptr 1
		.amdhsa_user_sgpr_dispatch_id 0
		.amdhsa_user_sgpr_flat_scratch_init 0
		.amdhsa_user_sgpr_private_segment_size 0
		.amdhsa_wavefront_size32 1
		.amdhsa_uses_dynamic_stack 0
		.amdhsa_system_sgpr_private_segment_wavefront_offset 0
		.amdhsa_system_sgpr_workgroup_id_x 1
		.amdhsa_system_sgpr_workgroup_id_y 0
		.amdhsa_system_sgpr_workgroup_id_z 1
		.amdhsa_system_sgpr_workgroup_info 0
		.amdhsa_system_vgpr_workitem_id 0
		.amdhsa_next_free_vgpr 13
		.amdhsa_next_free_sgpr 24
		.amdhsa_reserve_vcc 1
		.amdhsa_reserve_flat_scratch 0
		.amdhsa_float_round_mode_32 0
		.amdhsa_float_round_mode_16_64 0
		.amdhsa_float_denorm_mode_32 3
		.amdhsa_float_denorm_mode_16_64 3
		.amdhsa_dx10_clamp 1
		.amdhsa_ieee_mode 1
		.amdhsa_fp16_overflow 0
		.amdhsa_workgroup_processor_mode 1
		.amdhsa_memory_ordered 1
		.amdhsa_forward_progress 1
		.amdhsa_shared_vgpr_count 0
		.amdhsa_exception_fp_ieee_invalid_op 0
		.amdhsa_exception_fp_denorm_src 0
		.amdhsa_exception_fp_ieee_div_zero 0
		.amdhsa_exception_fp_ieee_overflow 0
		.amdhsa_exception_fp_ieee_underflow 0
		.amdhsa_exception_fp_ieee_inexact 0
		.amdhsa_exception_int_div_zero 0
	.end_amdhsa_kernel
	.section	.text._ZL20rocblas_gemvt_kernelILb1ELi256EPKddKPdEviiT2_lPKT1_lilS7_lilS4_lPT3_lili,"axG",@progbits,_ZL20rocblas_gemvt_kernelILb1ELi256EPKddKPdEviiT2_lPKT1_lilS7_lilS4_lPT3_lili,comdat
.Lfunc_end287:
	.size	_ZL20rocblas_gemvt_kernelILb1ELi256EPKddKPdEviiT2_lPKT1_lilS7_lilS4_lPT3_lili, .Lfunc_end287-_ZL20rocblas_gemvt_kernelILb1ELi256EPKddKPdEviiT2_lPKT1_lilS7_lilS4_lPT3_lili
                                        ; -- End function
	.set _ZL20rocblas_gemvt_kernelILb1ELi256EPKddKPdEviiT2_lPKT1_lilS7_lilS4_lPT3_lili.num_vgpr, 13
	.set _ZL20rocblas_gemvt_kernelILb1ELi256EPKddKPdEviiT2_lPKT1_lilS7_lilS4_lPT3_lili.num_agpr, 0
	.set _ZL20rocblas_gemvt_kernelILb1ELi256EPKddKPdEviiT2_lPKT1_lilS7_lilS4_lPT3_lili.numbered_sgpr, 24
	.set _ZL20rocblas_gemvt_kernelILb1ELi256EPKddKPdEviiT2_lPKT1_lilS7_lilS4_lPT3_lili.num_named_barrier, 0
	.set _ZL20rocblas_gemvt_kernelILb1ELi256EPKddKPdEviiT2_lPKT1_lilS7_lilS4_lPT3_lili.private_seg_size, 0
	.set _ZL20rocblas_gemvt_kernelILb1ELi256EPKddKPdEviiT2_lPKT1_lilS7_lilS4_lPT3_lili.uses_vcc, 1
	.set _ZL20rocblas_gemvt_kernelILb1ELi256EPKddKPdEviiT2_lPKT1_lilS7_lilS4_lPT3_lili.uses_flat_scratch, 0
	.set _ZL20rocblas_gemvt_kernelILb1ELi256EPKddKPdEviiT2_lPKT1_lilS7_lilS4_lPT3_lili.has_dyn_sized_stack, 0
	.set _ZL20rocblas_gemvt_kernelILb1ELi256EPKddKPdEviiT2_lPKT1_lilS7_lilS4_lPT3_lili.has_recursion, 0
	.set _ZL20rocblas_gemvt_kernelILb1ELi256EPKddKPdEviiT2_lPKT1_lilS7_lilS4_lPT3_lili.has_indirect_call, 0
	.section	.AMDGPU.csdata,"",@progbits
; Kernel info:
; codeLenInByte = 1484
; TotalNumSgprs: 26
; NumVgprs: 13
; ScratchSize: 0
; MemoryBound: 0
; FloatMode: 240
; IeeeMode: 1
; LDSByteSize: 2048 bytes/workgroup (compile time only)
; SGPRBlocks: 0
; VGPRBlocks: 1
; NumSGPRsForWavesPerEU: 26
; NumVGPRsForWavesPerEU: 13
; Occupancy: 16
; WaveLimiterHint : 1
; COMPUTE_PGM_RSRC2:SCRATCH_EN: 0
; COMPUTE_PGM_RSRC2:USER_SGPR: 6
; COMPUTE_PGM_RSRC2:TRAP_HANDLER: 0
; COMPUTE_PGM_RSRC2:TGID_X_EN: 1
; COMPUTE_PGM_RSRC2:TGID_Y_EN: 0
; COMPUTE_PGM_RSRC2:TGID_Z_EN: 1
; COMPUTE_PGM_RSRC2:TIDIG_COMP_CNT: 0
	.section	.text._ZL32rocblas_gemvt_warp_reduce_kernelILb1ELi1024EiPKdS1_KPdEviiT3_lPKT2_lT1_lS7_lS8_lS4_lPT4_lS8_li,"axG",@progbits,_ZL32rocblas_gemvt_warp_reduce_kernelILb1ELi1024EiPKdS1_KPdEviiT3_lPKT2_lT1_lS7_lS8_lS4_lPT4_lS8_li,comdat
	.globl	_ZL32rocblas_gemvt_warp_reduce_kernelILb1ELi1024EiPKdS1_KPdEviiT3_lPKT2_lT1_lS7_lS8_lS4_lPT4_lS8_li ; -- Begin function _ZL32rocblas_gemvt_warp_reduce_kernelILb1ELi1024EiPKdS1_KPdEviiT3_lPKT2_lT1_lS7_lS8_lS4_lPT4_lS8_li
	.p2align	8
	.type	_ZL32rocblas_gemvt_warp_reduce_kernelILb1ELi1024EiPKdS1_KPdEviiT3_lPKT2_lT1_lS7_lS8_lS4_lPT4_lS8_li,@function
_ZL32rocblas_gemvt_warp_reduce_kernelILb1ELi1024EiPKdS1_KPdEviiT3_lPKT2_lT1_lS7_lS8_lS4_lPT4_lS8_li: ; @_ZL32rocblas_gemvt_warp_reduce_kernelILb1ELi1024EiPKdS1_KPdEviiT3_lPKT2_lT1_lS7_lS8_lS4_lPT4_lS8_li
; %bb.0:
	s_clause 0x1
	s_load_dwordx8 s[16:23], s[4:5], 0x8
	s_load_dwordx8 s[8:15], s[4:5], 0x58
	s_mov_b32 s0, s7
	s_waitcnt lgkmcnt(0)
	s_mul_i32 s1, s19, s7
	s_mul_hi_u32 s3, s18, s7
	s_mul_i32 s2, s18, s7
	s_add_i32 s3, s3, s1
	s_mul_i32 s1, s11, s7
	s_lshl_b64 s[2:3], s[2:3], 3
	s_mul_hi_u32 s7, s10, s7
	s_add_u32 s2, s16, s2
	s_addc_u32 s3, s17, s3
	s_add_i32 s11, s7, s1
	s_mul_i32 s10, s10, s0
	s_mov_b64 s[16:17], 0
	s_lshl_b64 s[10:11], s[10:11], 3
	s_add_u32 s10, s8, s10
	s_addc_u32 s11, s9, s11
	s_load_dwordx2 s[8:9], s[2:3], 0x0
	s_load_dwordx2 s[2:3], s[10:11], 0x0
	s_waitcnt lgkmcnt(0)
	v_cmp_eq_f64_e64 s19, s[8:9], 0
	v_cmp_eq_f64_e64 s1, s[2:3], 1.0
	s_and_b32 s1, s19, s1
	s_and_b32 vcc_lo, exec_lo, s1
	s_cbranch_vccnz .LBB288_34
; %bb.1:
	v_cmp_neq_f64_e64 s7, s[8:9], 0
	s_and_b32 vcc_lo, exec_lo, s19
	s_mov_b32 s1, 0
	s_cbranch_vccnz .LBB288_3
; %bb.2:
	s_lshl_b64 s[10:11], s[0:1], 3
	s_add_u32 s10, s20, s10
	s_addc_u32 s11, s21, s11
	s_lshl_b64 s[16:17], s[22:23], 3
	s_load_dwordx2 s[10:11], s[10:11], 0x0
	s_waitcnt lgkmcnt(0)
	s_add_u32 s16, s10, s16
	s_addc_u32 s17, s11, s17
.LBB288_3:
	s_andn2_b32 vcc_lo, exec_lo, s7
	s_cbranch_vccnz .LBB288_5
; %bb.4:
	s_load_dwordx4 s[20:23], s[4:5], 0x38
	s_lshl_b64 s[10:11], s[0:1], 3
	s_waitcnt lgkmcnt(0)
	s_add_u32 s10, s20, s10
	s_addc_u32 s11, s21, s11
	s_lshl_b64 s[20:21], s[22:23], 3
	s_load_dwordx2 s[10:11], s[10:11], 0x0
	s_waitcnt lgkmcnt(0)
	s_add_u32 s10, s10, s20
	s_addc_u32 s11, s11, s21
	s_branch .LBB288_6
.LBB288_5:
	s_mov_b64 s[10:11], 0
.LBB288_6:
	s_lshl_b64 s[0:1], s[0:1], 3
	s_add_u32 s0, s12, s0
	s_addc_u32 s1, s13, s1
	s_lshl_b64 s[14:15], s[14:15], 3
	s_load_dwordx2 s[12:13], s[0:1], 0x0
	s_load_dword s18, s[4:5], 0x78
	v_cmp_eq_u32_e64 s0, 0, v0
	s_waitcnt lgkmcnt(0)
	s_add_u32 s1, s12, s14
	s_addc_u32 s7, s13, s15
	s_andn2_b32 vcc_lo, exec_lo, s19
	s_cbranch_vccnz .LBB288_11
; %bb.7:
	s_mov_b32 s15, 0
	s_mov_b32 s14, 0
                                        ; implicit-def: $vgpr1_vgpr2
                                        ; implicit-def: $sgpr12_sgpr13
	s_and_saveexec_b32 s19, s0
	s_cbranch_execz .LBB288_12
; %bb.8:
	v_cmp_eq_f64_e64 s0, s[2:3], 0
	v_mov_b32_e32 v1, 0
	v_mov_b32_e32 v2, 0
	s_mul_i32 s12, s18, s6
	s_ashr_i32 s13, s12, 31
	s_and_b32 vcc_lo, exec_lo, s0
	s_cbranch_vccnz .LBB288_10
; %bb.9:
	s_lshl_b64 s[20:21], s[12:13], 3
	s_add_u32 s20, s1, s20
	s_addc_u32 s21, s7, s21
	v_mov_b32_e32 v1, s20
	v_mov_b32_e32 v2, s21
	flat_load_dwordx2 v[1:2], v[1:2]
	s_waitcnt vmcnt(0) lgkmcnt(0)
	v_mul_f64 v[1:2], s[2:3], v[1:2]
.LBB288_10:
	s_mov_b32 s14, exec_lo
	s_or_b32 exec_lo, exec_lo, s19
	s_and_b32 vcc_lo, exec_lo, s15
	s_cbranch_vccnz .LBB288_13
	s_branch .LBB288_32
.LBB288_11:
	s_mov_b32 s14, 0
                                        ; implicit-def: $vgpr1_vgpr2
                                        ; implicit-def: $sgpr12_sgpr13
	s_cbranch_execnz .LBB288_13
	s_branch .LBB288_32
.LBB288_12:
	s_or_b32 exec_lo, exec_lo, s19
	s_and_b32 vcc_lo, exec_lo, s15
	s_cbranch_vccz .LBB288_32
.LBB288_13:
	s_clause 0x2
	s_load_dword s12, s[4:5], 0x0
	s_load_dword s0, s[4:5], 0x28
	;; [unrolled: 1-line block ×3, first 2 shown]
	v_mov_b32_e32 v1, 0
	v_mov_b32_e32 v2, 0
	s_mov_b32 s15, 0
	s_mov_b32 s13, exec_lo
	s_waitcnt lgkmcnt(0)
	v_cmp_gt_i32_e32 vcc_lo, s12, v0
	s_mul_i32 s20, s0, s6
	s_ashr_i32 s0, s12, 31
	s_ashr_i32 s21, s20, 31
	s_lshr_b32 s0, s0, 22
	v_cndmask_b32_e32 v3, 0, v0, vcc_lo
	s_lshl_b64 s[20:21], s[20:21], 3
	s_add_i32 s0, s12, s0
	v_lshlrev_b32_e32 v3, 3, v3
	v_add_co_u32 v3, s4, s16, v3
	v_add_co_ci_u32_e64 v4, null, s17, 0, s4
	s_and_b32 s4, s0, 0xfffffc00
	v_add_co_u32 v3, vcc_lo, v3, s20
	v_add_co_ci_u32_e64 v4, null, s21, v4, vcc_lo
	v_cmpx_gt_i32_e64 s4, v0
	s_cbranch_execz .LBB288_17
; %bb.14:
	v_mul_lo_u32 v5, v0, s5
	v_mov_b32_e32 v1, 0
	v_mov_b32_e32 v8, v4
	;; [unrolled: 1-line block ×5, first 2 shown]
	s_lshl_b32 s16, s5, 10
	.p2align	6
.LBB288_15:                             ; =>This Inner Loop Header: Depth=1
	v_ashrrev_i32_e32 v6, 31, v5
	v_add_nc_u32_e32 v9, 0x400, v9
	v_lshlrev_b64 v[10:11], 3, v[5:6]
	v_cmp_le_i32_e64 s0, s4, v9
	v_add_nc_u32_e32 v5, s16, v5
	s_or_b32 s15, s0, s15
	v_add_co_u32 v10, vcc_lo, s10, v10
	v_add_co_ci_u32_e64 v11, null, s11, v11, vcc_lo
	flat_load_dwordx2 v[12:13], v[7:8]
	flat_load_dwordx2 v[10:11], v[10:11]
	v_add_co_u32 v7, vcc_lo, 0x2000, v7
	v_add_co_ci_u32_e64 v8, null, 0, v8, vcc_lo
	s_waitcnt vmcnt(0) lgkmcnt(0)
	v_fma_f64 v[1:2], v[12:13], v[10:11], v[1:2]
	s_andn2_b32 exec_lo, exec_lo, s15
	s_cbranch_execnz .LBB288_15
; %bb.16:
	s_or_b32 exec_lo, exec_lo, s15
.LBB288_17:
	s_or_b32 exec_lo, exec_lo, s13
	v_or_b32_e32 v5, s4, v0
	s_mov_b32 s0, exec_lo
	v_cmpx_gt_i32_e64 s12, v5
	s_cbranch_execz .LBB288_19
; %bb.18:
	v_mul_lo_u32 v5, s5, v5
	s_ashr_i32 s5, s4, 31
	s_lshl_b64 s[4:5], s[4:5], 3
	v_add_co_u32 v3, vcc_lo, v3, s4
	v_add_co_ci_u32_e64 v4, null, s5, v4, vcc_lo
	v_ashrrev_i32_e32 v6, 31, v5
	v_lshlrev_b64 v[5:6], 3, v[5:6]
	v_add_co_u32 v5, vcc_lo, s10, v5
	v_add_co_ci_u32_e64 v6, null, s11, v6, vcc_lo
	flat_load_dwordx2 v[3:4], v[3:4]
	flat_load_dwordx2 v[5:6], v[5:6]
	s_waitcnt vmcnt(0) lgkmcnt(0)
	v_fma_f64 v[1:2], v[3:4], v[5:6], v[1:2]
.LBB288_19:
	s_or_b32 exec_lo, exec_lo, s0
	v_and_b32_e32 v11, 31, v0
	v_cmp_gt_u32_e32 vcc_lo, 32, v0
	v_lshlrev_b32_e32 v5, 3, v11
	s_and_saveexec_b32 s0, vcc_lo
; %bb.20:
	v_mov_b32_e32 v3, 0
	v_mov_b32_e32 v4, v3
	ds_write_b64 v5, v[3:4]
; %bb.21:
	s_or_b32 exec_lo, exec_lo, s0
	v_mbcnt_lo_u32_b32 v10, -1, 0
	s_mov_b32 s4, exec_lo
	s_waitcnt lgkmcnt(0)
	s_barrier
	buffer_gl0_inv
	v_lshl_or_b32 v6, v10, 2, 64
	v_cmp_gt_u32_e64 s0, 24, v10
	ds_bpermute_b32 v3, v6, v1
	ds_bpermute_b32 v4, v6, v2
	s_waitcnt lgkmcnt(0)
	v_add_f64 v[1:2], v[1:2], v[3:4]
	v_cndmask_b32_e64 v3, 0, 8, s0
	v_cmp_gt_u32_e64 s0, 28, v10
	v_add_lshl_u32 v7, v3, v10, 2
	ds_bpermute_b32 v3, v7, v1
	ds_bpermute_b32 v4, v7, v2
	s_waitcnt lgkmcnt(0)
	v_add_f64 v[1:2], v[1:2], v[3:4]
	v_cndmask_b32_e64 v3, 0, 4, s0
	v_cmp_gt_u32_e64 s0, 30, v10
	v_add_lshl_u32 v8, v3, v10, 2
	ds_bpermute_b32 v3, v8, v1
	ds_bpermute_b32 v4, v8, v2
	s_waitcnt lgkmcnt(0)
	v_add_f64 v[1:2], v[1:2], v[3:4]
	v_cndmask_b32_e64 v3, 0, 2, s0
	v_cmp_ne_u32_e64 s0, 31, v10
	v_add_lshl_u32 v9, v3, v10, 2
	ds_bpermute_b32 v3, v9, v1
	ds_bpermute_b32 v4, v9, v2
	s_waitcnt lgkmcnt(0)
	v_add_f64 v[1:2], v[1:2], v[3:4]
	v_add_co_ci_u32_e64 v3, null, 0, v10, s0
	v_lshlrev_b32_e32 v10, 2, v3
	ds_bpermute_b32 v3, v10, v1
	ds_bpermute_b32 v4, v10, v2
	v_cmpx_eq_u32_e32 0, v11
	s_cbranch_execz .LBB288_23
; %bb.22:
	s_waitcnt lgkmcnt(0)
	v_add_f64 v[1:2], v[1:2], v[3:4]
	v_lshrrev_b32_e32 v3, 2, v0
	v_and_b32_e32 v3, 0xf8, v3
	ds_write_b64 v3, v[1:2]
.LBB288_23:
	s_or_b32 exec_lo, exec_lo, s4
	s_waitcnt lgkmcnt(0)
	v_mov_b32_e32 v3, 0
	v_mov_b32_e32 v4, 0
	s_barrier
	buffer_gl0_inv
	s_and_saveexec_b32 s0, vcc_lo
; %bb.24:
	ds_read_b64 v[3:4], v5
; %bb.25:
	s_or_b32 exec_lo, exec_lo, s0
	s_and_saveexec_b32 s0, vcc_lo
	s_cbranch_execz .LBB288_27
; %bb.26:
	s_waitcnt lgkmcnt(0)
	ds_bpermute_b32 v1, v6, v3
	ds_bpermute_b32 v2, v6, v4
	s_waitcnt lgkmcnt(0)
	v_add_f64 v[1:2], v[3:4], v[1:2]
	ds_bpermute_b32 v3, v7, v1
	ds_bpermute_b32 v4, v7, v2
	s_waitcnt lgkmcnt(0)
	v_add_f64 v[1:2], v[1:2], v[3:4]
	;; [unrolled: 4-line block ×5, first 2 shown]
.LBB288_27:
	s_or_b32 exec_lo, exec_lo, s0
	s_mov_b32 s0, exec_lo
                                        ; implicit-def: $vgpr1_vgpr2
                                        ; implicit-def: $sgpr12_sgpr13
	v_cmpx_eq_u32_e32 0, v0
	s_cbranch_execz .LBB288_31
; %bb.28:
	v_cmp_eq_f64_e64 s4, s[2:3], 0
	s_waitcnt lgkmcnt(0)
	v_mul_f64 v[1:2], s[8:9], v[3:4]
	s_mul_i32 s12, s18, s6
	s_ashr_i32 s13, s12, 31
	s_and_b32 vcc_lo, exec_lo, s4
	s_cbranch_vccnz .LBB288_30
; %bb.29:
	s_lshl_b64 s[4:5], s[12:13], 3
	s_add_u32 s4, s1, s4
	s_addc_u32 s5, s7, s5
	v_mov_b32_e32 v3, s4
	v_mov_b32_e32 v4, s5
	flat_load_dwordx2 v[3:4], v[3:4]
	s_waitcnt vmcnt(0) lgkmcnt(0)
	v_fma_f64 v[1:2], s[2:3], v[3:4], v[1:2]
.LBB288_30:
	s_or_b32 s14, s14, exec_lo
.LBB288_31:
	s_or_b32 exec_lo, exec_lo, s0
.LBB288_32:
	s_and_saveexec_b32 s0, s14
	s_cbranch_execz .LBB288_34
; %bb.33:
	s_lshl_b64 s[2:3], s[12:13], 3
	s_add_u32 s0, s1, s2
	s_addc_u32 s1, s7, s3
	s_waitcnt lgkmcnt(0)
	v_mov_b32_e32 v4, s1
	v_mov_b32_e32 v3, s0
	flat_store_dwordx2 v[3:4], v[1:2]
.LBB288_34:
	s_endpgm
	.section	.rodata,"a",@progbits
	.p2align	6, 0x0
	.amdhsa_kernel _ZL32rocblas_gemvt_warp_reduce_kernelILb1ELi1024EiPKdS1_KPdEviiT3_lPKT2_lT1_lS7_lS8_lS4_lPT4_lS8_li
		.amdhsa_group_segment_fixed_size 256
		.amdhsa_private_segment_fixed_size 0
		.amdhsa_kernarg_size 140
		.amdhsa_user_sgpr_count 6
		.amdhsa_user_sgpr_private_segment_buffer 1
		.amdhsa_user_sgpr_dispatch_ptr 0
		.amdhsa_user_sgpr_queue_ptr 0
		.amdhsa_user_sgpr_kernarg_segment_ptr 1
		.amdhsa_user_sgpr_dispatch_id 0
		.amdhsa_user_sgpr_flat_scratch_init 0
		.amdhsa_user_sgpr_private_segment_size 0
		.amdhsa_wavefront_size32 1
		.amdhsa_uses_dynamic_stack 0
		.amdhsa_system_sgpr_private_segment_wavefront_offset 0
		.amdhsa_system_sgpr_workgroup_id_x 1
		.amdhsa_system_sgpr_workgroup_id_y 0
		.amdhsa_system_sgpr_workgroup_id_z 1
		.amdhsa_system_sgpr_workgroup_info 0
		.amdhsa_system_vgpr_workitem_id 0
		.amdhsa_next_free_vgpr 14
		.amdhsa_next_free_sgpr 24
		.amdhsa_reserve_vcc 1
		.amdhsa_reserve_flat_scratch 0
		.amdhsa_float_round_mode_32 0
		.amdhsa_float_round_mode_16_64 0
		.amdhsa_float_denorm_mode_32 3
		.amdhsa_float_denorm_mode_16_64 3
		.amdhsa_dx10_clamp 1
		.amdhsa_ieee_mode 1
		.amdhsa_fp16_overflow 0
		.amdhsa_workgroup_processor_mode 1
		.amdhsa_memory_ordered 1
		.amdhsa_forward_progress 1
		.amdhsa_shared_vgpr_count 0
		.amdhsa_exception_fp_ieee_invalid_op 0
		.amdhsa_exception_fp_denorm_src 0
		.amdhsa_exception_fp_ieee_div_zero 0
		.amdhsa_exception_fp_ieee_overflow 0
		.amdhsa_exception_fp_ieee_underflow 0
		.amdhsa_exception_fp_ieee_inexact 0
		.amdhsa_exception_int_div_zero 0
	.end_amdhsa_kernel
	.section	.text._ZL32rocblas_gemvt_warp_reduce_kernelILb1ELi1024EiPKdS1_KPdEviiT3_lPKT2_lT1_lS7_lS8_lS4_lPT4_lS8_li,"axG",@progbits,_ZL32rocblas_gemvt_warp_reduce_kernelILb1ELi1024EiPKdS1_KPdEviiT3_lPKT2_lT1_lS7_lS8_lS4_lPT4_lS8_li,comdat
.Lfunc_end288:
	.size	_ZL32rocblas_gemvt_warp_reduce_kernelILb1ELi1024EiPKdS1_KPdEviiT3_lPKT2_lT1_lS7_lS8_lS4_lPT4_lS8_li, .Lfunc_end288-_ZL32rocblas_gemvt_warp_reduce_kernelILb1ELi1024EiPKdS1_KPdEviiT3_lPKT2_lT1_lS7_lS8_lS4_lPT4_lS8_li
                                        ; -- End function
	.set _ZL32rocblas_gemvt_warp_reduce_kernelILb1ELi1024EiPKdS1_KPdEviiT3_lPKT2_lT1_lS7_lS8_lS4_lPT4_lS8_li.num_vgpr, 14
	.set _ZL32rocblas_gemvt_warp_reduce_kernelILb1ELi1024EiPKdS1_KPdEviiT3_lPKT2_lT1_lS7_lS8_lS4_lPT4_lS8_li.num_agpr, 0
	.set _ZL32rocblas_gemvt_warp_reduce_kernelILb1ELi1024EiPKdS1_KPdEviiT3_lPKT2_lT1_lS7_lS8_lS4_lPT4_lS8_li.numbered_sgpr, 24
	.set _ZL32rocblas_gemvt_warp_reduce_kernelILb1ELi1024EiPKdS1_KPdEviiT3_lPKT2_lT1_lS7_lS8_lS4_lPT4_lS8_li.num_named_barrier, 0
	.set _ZL32rocblas_gemvt_warp_reduce_kernelILb1ELi1024EiPKdS1_KPdEviiT3_lPKT2_lT1_lS7_lS8_lS4_lPT4_lS8_li.private_seg_size, 0
	.set _ZL32rocblas_gemvt_warp_reduce_kernelILb1ELi1024EiPKdS1_KPdEviiT3_lPKT2_lT1_lS7_lS8_lS4_lPT4_lS8_li.uses_vcc, 1
	.set _ZL32rocblas_gemvt_warp_reduce_kernelILb1ELi1024EiPKdS1_KPdEviiT3_lPKT2_lT1_lS7_lS8_lS4_lPT4_lS8_li.uses_flat_scratch, 0
	.set _ZL32rocblas_gemvt_warp_reduce_kernelILb1ELi1024EiPKdS1_KPdEviiT3_lPKT2_lT1_lS7_lS8_lS4_lPT4_lS8_li.has_dyn_sized_stack, 0
	.set _ZL32rocblas_gemvt_warp_reduce_kernelILb1ELi1024EiPKdS1_KPdEviiT3_lPKT2_lT1_lS7_lS8_lS4_lPT4_lS8_li.has_recursion, 0
	.set _ZL32rocblas_gemvt_warp_reduce_kernelILb1ELi1024EiPKdS1_KPdEviiT3_lPKT2_lT1_lS7_lS8_lS4_lPT4_lS8_li.has_indirect_call, 0
	.section	.AMDGPU.csdata,"",@progbits
; Kernel info:
; codeLenInByte = 1540
; TotalNumSgprs: 26
; NumVgprs: 14
; ScratchSize: 0
; MemoryBound: 0
; FloatMode: 240
; IeeeMode: 1
; LDSByteSize: 256 bytes/workgroup (compile time only)
; SGPRBlocks: 0
; VGPRBlocks: 1
; NumSGPRsForWavesPerEU: 26
; NumVGPRsForWavesPerEU: 14
; Occupancy: 16
; WaveLimiterHint : 1
; COMPUTE_PGM_RSRC2:SCRATCH_EN: 0
; COMPUTE_PGM_RSRC2:USER_SGPR: 6
; COMPUTE_PGM_RSRC2:TRAP_HANDLER: 0
; COMPUTE_PGM_RSRC2:TGID_X_EN: 1
; COMPUTE_PGM_RSRC2:TGID_Y_EN: 0
; COMPUTE_PGM_RSRC2:TGID_Z_EN: 1
; COMPUTE_PGM_RSRC2:TIDIG_COMP_CNT: 0
	.section	.text._ZL32rocblas_gemvt_warp_reduce_kernelILb1ELi1024ElPKdS1_KPdEviiT3_lPKT2_lT1_lS7_lS8_lS4_lPT4_lS8_li,"axG",@progbits,_ZL32rocblas_gemvt_warp_reduce_kernelILb1ELi1024ElPKdS1_KPdEviiT3_lPKT2_lT1_lS7_lS8_lS4_lPT4_lS8_li,comdat
	.globl	_ZL32rocblas_gemvt_warp_reduce_kernelILb1ELi1024ElPKdS1_KPdEviiT3_lPKT2_lT1_lS7_lS8_lS4_lPT4_lS8_li ; -- Begin function _ZL32rocblas_gemvt_warp_reduce_kernelILb1ELi1024ElPKdS1_KPdEviiT3_lPKT2_lT1_lS7_lS8_lS4_lPT4_lS8_li
	.p2align	8
	.type	_ZL32rocblas_gemvt_warp_reduce_kernelILb1ELi1024ElPKdS1_KPdEviiT3_lPKT2_lT1_lS7_lS8_lS4_lPT4_lS8_li,@function
_ZL32rocblas_gemvt_warp_reduce_kernelILb1ELi1024ElPKdS1_KPdEviiT3_lPKT2_lT1_lS7_lS8_lS4_lPT4_lS8_li: ; @_ZL32rocblas_gemvt_warp_reduce_kernelILb1ELi1024ElPKdS1_KPdEviiT3_lPKT2_lT1_lS7_lS8_lS4_lPT4_lS8_li
; %bb.0:
	s_clause 0x1
	s_load_dwordx8 s[16:23], s[4:5], 0x8
	s_load_dwordx8 s[8:15], s[4:5], 0x58
	s_mov_b64 s[24:25], 0
	s_waitcnt lgkmcnt(0)
	s_mul_i32 s1, s19, s7
	s_mul_hi_u32 s2, s18, s7
	s_mul_i32 s0, s18, s7
	s_add_i32 s1, s2, s1
	s_mul_i32 s2, s11, s7
	s_lshl_b64 s[0:1], s[0:1], 3
	s_mul_hi_u32 s3, s10, s7
	s_add_u32 s0, s16, s0
	s_addc_u32 s1, s17, s1
	s_add_i32 s3, s3, s2
	s_mul_i32 s2, s10, s7
	s_lshl_b64 s[2:3], s[2:3], 3
	s_add_u32 s2, s8, s2
	s_addc_u32 s3, s9, s3
	s_load_dwordx2 s[10:11], s[0:1], 0x0
	s_load_dwordx2 s[8:9], s[2:3], 0x0
	s_waitcnt lgkmcnt(0)
	v_cmp_eq_f64_e64 s30, s[10:11], 0
	v_cmp_eq_f64_e64 s0, s[8:9], 1.0
	s_and_b32 s0, s30, s0
	s_and_b32 vcc_lo, exec_lo, s0
	s_cbranch_vccnz .LBB289_34
; %bb.1:
	s_mov_b32 s28, s7
	v_cmp_neq_f64_e64 s7, s[10:11], 0
	s_clause 0x1
	s_load_dwordx2 s[26:27], s[4:5], 0x28
	s_load_dwordx2 s[16:17], s[4:5], 0x78
	s_and_b32 vcc_lo, exec_lo, s30
	s_mov_b32 s29, 0
	s_cbranch_vccnz .LBB289_3
; %bb.2:
	s_lshl_b64 s[0:1], s[28:29], 3
	s_add_u32 s0, s20, s0
	s_addc_u32 s1, s21, s1
	s_lshl_b64 s[2:3], s[22:23], 3
	s_load_dwordx2 s[0:1], s[0:1], 0x0
	s_waitcnt lgkmcnt(0)
	s_add_u32 s24, s0, s2
	s_addc_u32 s25, s1, s3
.LBB289_3:
	s_clause 0x1
	s_load_dwordx4 s[0:3], s[4:5], 0x38
	s_load_dwordx2 s[18:19], s[4:5], 0x48
	s_andn2_b32 vcc_lo, exec_lo, s7
	s_cbranch_vccnz .LBB289_5
; %bb.4:
	s_lshl_b64 s[20:21], s[28:29], 3
	s_waitcnt lgkmcnt(0)
	s_add_u32 s0, s0, s20
	s_addc_u32 s1, s1, s21
	s_lshl_b64 s[2:3], s[2:3], 3
	s_load_dwordx2 s[0:1], s[0:1], 0x0
	s_waitcnt lgkmcnt(0)
	s_add_u32 s2, s0, s2
	s_addc_u32 s3, s1, s3
	s_branch .LBB289_6
.LBB289_5:
	s_waitcnt lgkmcnt(0)
	s_mov_b64 s[2:3], 0
.LBB289_6:
	s_lshl_b64 s[0:1], s[28:29], 3
	s_add_u32 s0, s12, s0
	s_addc_u32 s1, s13, s1
	s_lshl_b64 s[14:15], s[14:15], 3
	s_load_dwordx2 s[12:13], s[0:1], 0x0
	v_cmp_eq_u32_e64 s0, 0, v0
	s_waitcnt lgkmcnt(0)
	s_add_u32 s1, s12, s14
	s_addc_u32 s7, s13, s15
	s_andn2_b32 vcc_lo, exec_lo, s30
	s_cbranch_vccnz .LBB289_11
; %bb.7:
	s_mov_b32 s15, 0
	s_mov_b32 s14, 0
                                        ; implicit-def: $vgpr1_vgpr2
                                        ; implicit-def: $sgpr12_sgpr13
	s_and_saveexec_b32 s20, s0
	s_cbranch_execz .LBB289_12
; %bb.8:
	v_cmp_eq_f64_e64 s0, s[8:9], 0
	s_ashr_i32 s12, s6, 31
	s_mul_hi_u32 s13, s16, s6
	s_mul_i32 s12, s16, s12
	v_mov_b32_e32 v1, 0
	v_mov_b32_e32 v2, 0
	s_add_i32 s12, s13, s12
	s_mul_i32 s13, s17, s6
	s_add_i32 s13, s12, s13
	s_mul_i32 s12, s16, s6
	s_and_b32 vcc_lo, exec_lo, s0
	s_cbranch_vccnz .LBB289_10
; %bb.9:
	s_lshl_b64 s[22:23], s[12:13], 3
	s_add_u32 s22, s1, s22
	s_addc_u32 s23, s7, s23
	v_mov_b32_e32 v1, s22
	v_mov_b32_e32 v2, s23
	flat_load_dwordx2 v[1:2], v[1:2]
	s_waitcnt vmcnt(0) lgkmcnt(0)
	v_mul_f64 v[1:2], s[8:9], v[1:2]
.LBB289_10:
	s_mov_b32 s14, exec_lo
	s_or_b32 exec_lo, exec_lo, s20
	s_and_b32 vcc_lo, exec_lo, s15
	s_cbranch_vccnz .LBB289_13
	s_branch .LBB289_32
.LBB289_11:
	s_mov_b32 s14, 0
                                        ; implicit-def: $vgpr1_vgpr2
                                        ; implicit-def: $sgpr12_sgpr13
	s_cbranch_execnz .LBB289_13
	s_branch .LBB289_32
.LBB289_12:
	s_or_b32 exec_lo, exec_lo, s20
	s_and_b32 vcc_lo, exec_lo, s15
	s_cbranch_vccz .LBB289_32
.LBB289_13:
	s_load_dword s5, s[4:5], 0x0
	s_ashr_i32 s15, s6, 31
	s_mul_hi_u32 s0, s26, s6
	s_mul_i32 s13, s26, s15
	s_mul_i32 s4, s27, s6
	s_add_i32 s0, s0, s13
	s_mul_i32 s12, s26, s6
	s_add_i32 s13, s0, s4
	v_mov_b32_e32 v1, 0
	s_lshl_b64 s[12:13], s[12:13], 3
	v_mov_b32_e32 v2, 0
	s_mov_b32 s21, 0
	s_mov_b32 s20, exec_lo
	s_waitcnt lgkmcnt(0)
	v_cmp_gt_i32_e32 vcc_lo, s5, v0
	s_ashr_i32 s0, s5, 31
	s_lshr_b32 s0, s0, 22
	s_add_i32 s0, s5, s0
	v_cndmask_b32_e32 v3, 0, v0, vcc_lo
	v_lshlrev_b32_e32 v3, 3, v3
	v_add_co_u32 v3, s4, s24, v3
	v_add_co_ci_u32_e64 v4, null, s25, 0, s4
	s_and_b32 s4, s0, 0xfffffc00
	v_add_co_u32 v3, vcc_lo, v3, s12
	v_add_co_ci_u32_e64 v4, null, s13, v4, vcc_lo
	v_cmpx_gt_i32_e64 s4, v0
	s_cbranch_execz .LBB289_17
; %bb.14:
	v_mad_u64_u32 v[1:2], null, s18, v0, 0
	v_mov_b32_e32 v9, v0
	s_lshl_b64 s[12:13], s[18:19], 13
	v_mad_u64_u32 v[5:6], null, s19, v0, v[2:3]
	v_mov_b32_e32 v2, v5
	v_mov_b32_e32 v6, v4
	;; [unrolled: 1-line block ×3, first 2 shown]
	v_lshlrev_b64 v[7:8], 3, v[1:2]
	v_mov_b32_e32 v1, 0
	v_mov_b32_e32 v2, 0
	v_add_co_u32 v7, vcc_lo, s2, v7
	v_add_co_ci_u32_e64 v8, null, s3, v8, vcc_lo
	.p2align	6
.LBB289_15:                             ; =>This Inner Loop Header: Depth=1
	flat_load_dwordx2 v[10:11], v[5:6]
	flat_load_dwordx2 v[12:13], v[7:8]
	v_add_nc_u32_e32 v9, 0x400, v9
	v_add_co_u32 v5, vcc_lo, 0x2000, v5
	v_add_co_ci_u32_e64 v6, null, 0, v6, vcc_lo
	v_cmp_le_i32_e32 vcc_lo, s4, v9
	v_add_co_u32 v7, s0, v7, s12
	v_add_co_ci_u32_e64 v8, null, s13, v8, s0
	s_or_b32 s21, vcc_lo, s21
	s_waitcnt vmcnt(0) lgkmcnt(0)
	v_fma_f64 v[1:2], v[10:11], v[12:13], v[1:2]
	s_andn2_b32 exec_lo, exec_lo, s21
	s_cbranch_execnz .LBB289_15
; %bb.16:
	s_or_b32 exec_lo, exec_lo, s21
.LBB289_17:
	s_or_b32 exec_lo, exec_lo, s20
	v_or_b32_e32 v5, s4, v0
	s_mov_b32 s0, exec_lo
	v_cmpx_gt_i32_e64 s5, v5
	s_cbranch_execz .LBB289_19
; %bb.18:
	v_ashrrev_i32_e32 v7, 31, v5
	v_mul_lo_u32 v8, s19, v5
	v_mad_u64_u32 v[5:6], null, s18, v5, 0
	s_ashr_i32 s5, s4, 31
	v_mul_lo_u32 v7, s18, v7
	s_lshl_b64 s[4:5], s[4:5], 3
	v_add_co_u32 v3, vcc_lo, v3, s4
	v_add_co_ci_u32_e64 v4, null, s5, v4, vcc_lo
	v_add3_u32 v6, v6, v7, v8
	v_lshlrev_b64 v[5:6], 3, v[5:6]
	v_add_co_u32 v5, vcc_lo, s2, v5
	v_add_co_ci_u32_e64 v6, null, s3, v6, vcc_lo
	flat_load_dwordx2 v[3:4], v[3:4]
	flat_load_dwordx2 v[5:6], v[5:6]
	s_waitcnt vmcnt(0) lgkmcnt(0)
	v_fma_f64 v[1:2], v[3:4], v[5:6], v[1:2]
.LBB289_19:
	s_or_b32 exec_lo, exec_lo, s0
	v_and_b32_e32 v11, 31, v0
	v_cmp_gt_u32_e32 vcc_lo, 32, v0
	v_lshlrev_b32_e32 v5, 3, v11
	s_and_saveexec_b32 s0, vcc_lo
; %bb.20:
	v_mov_b32_e32 v3, 0
	v_mov_b32_e32 v4, v3
	ds_write_b64 v5, v[3:4]
; %bb.21:
	s_or_b32 exec_lo, exec_lo, s0
	v_mbcnt_lo_u32_b32 v10, -1, 0
	s_mov_b32 s2, exec_lo
	s_waitcnt lgkmcnt(0)
	s_barrier
	buffer_gl0_inv
	v_lshl_or_b32 v6, v10, 2, 64
	v_cmp_gt_u32_e64 s0, 24, v10
	ds_bpermute_b32 v3, v6, v1
	ds_bpermute_b32 v4, v6, v2
	s_waitcnt lgkmcnt(0)
	v_add_f64 v[1:2], v[1:2], v[3:4]
	v_cndmask_b32_e64 v3, 0, 8, s0
	v_cmp_gt_u32_e64 s0, 28, v10
	v_add_lshl_u32 v7, v3, v10, 2
	ds_bpermute_b32 v3, v7, v1
	ds_bpermute_b32 v4, v7, v2
	s_waitcnt lgkmcnt(0)
	v_add_f64 v[1:2], v[1:2], v[3:4]
	v_cndmask_b32_e64 v3, 0, 4, s0
	v_cmp_gt_u32_e64 s0, 30, v10
	v_add_lshl_u32 v8, v3, v10, 2
	ds_bpermute_b32 v3, v8, v1
	ds_bpermute_b32 v4, v8, v2
	s_waitcnt lgkmcnt(0)
	v_add_f64 v[1:2], v[1:2], v[3:4]
	v_cndmask_b32_e64 v3, 0, 2, s0
	v_cmp_ne_u32_e64 s0, 31, v10
	v_add_lshl_u32 v9, v3, v10, 2
	ds_bpermute_b32 v3, v9, v1
	ds_bpermute_b32 v4, v9, v2
	s_waitcnt lgkmcnt(0)
	v_add_f64 v[1:2], v[1:2], v[3:4]
	v_add_co_ci_u32_e64 v3, null, 0, v10, s0
	v_lshlrev_b32_e32 v10, 2, v3
	ds_bpermute_b32 v3, v10, v1
	ds_bpermute_b32 v4, v10, v2
	v_cmpx_eq_u32_e32 0, v11
	s_cbranch_execz .LBB289_23
; %bb.22:
	s_waitcnt lgkmcnt(0)
	v_add_f64 v[1:2], v[1:2], v[3:4]
	v_lshrrev_b32_e32 v3, 2, v0
	v_and_b32_e32 v3, 0xf8, v3
	ds_write_b64 v3, v[1:2]
.LBB289_23:
	s_or_b32 exec_lo, exec_lo, s2
	s_waitcnt lgkmcnt(0)
	v_mov_b32_e32 v3, 0
	v_mov_b32_e32 v4, 0
	s_barrier
	buffer_gl0_inv
	s_and_saveexec_b32 s0, vcc_lo
; %bb.24:
	ds_read_b64 v[3:4], v5
; %bb.25:
	s_or_b32 exec_lo, exec_lo, s0
	s_and_saveexec_b32 s0, vcc_lo
	s_cbranch_execz .LBB289_27
; %bb.26:
	s_waitcnt lgkmcnt(0)
	ds_bpermute_b32 v1, v6, v3
	ds_bpermute_b32 v2, v6, v4
	s_waitcnt lgkmcnt(0)
	v_add_f64 v[1:2], v[3:4], v[1:2]
	ds_bpermute_b32 v3, v7, v1
	ds_bpermute_b32 v4, v7, v2
	s_waitcnt lgkmcnt(0)
	v_add_f64 v[1:2], v[1:2], v[3:4]
	ds_bpermute_b32 v3, v8, v1
	ds_bpermute_b32 v4, v8, v2
	s_waitcnt lgkmcnt(0)
	v_add_f64 v[1:2], v[1:2], v[3:4]
	ds_bpermute_b32 v3, v9, v1
	ds_bpermute_b32 v4, v9, v2
	s_waitcnt lgkmcnt(0)
	v_add_f64 v[1:2], v[1:2], v[3:4]
	ds_bpermute_b32 v3, v10, v1
	ds_bpermute_b32 v4, v10, v2
	s_waitcnt lgkmcnt(0)
	v_add_f64 v[3:4], v[1:2], v[3:4]
.LBB289_27:
	s_or_b32 exec_lo, exec_lo, s0
	s_mov_b32 s0, exec_lo
                                        ; implicit-def: $vgpr1_vgpr2
                                        ; implicit-def: $sgpr12_sgpr13
	v_cmpx_eq_u32_e32 0, v0
	s_cbranch_execz .LBB289_31
; %bb.28:
	v_cmp_eq_f64_e64 s2, s[8:9], 0
	s_waitcnt lgkmcnt(0)
	v_mul_f64 v[1:2], s[10:11], v[3:4]
	s_mul_i32 s3, s16, s15
	s_mul_hi_u32 s4, s16, s6
	s_mul_i32 s12, s16, s6
	s_add_i32 s3, s4, s3
	s_mul_i32 s4, s17, s6
	s_add_i32 s13, s3, s4
	s_and_b32 vcc_lo, exec_lo, s2
	s_cbranch_vccnz .LBB289_30
; %bb.29:
	s_lshl_b64 s[2:3], s[12:13], 3
	s_add_u32 s2, s1, s2
	s_addc_u32 s3, s7, s3
	v_mov_b32_e32 v4, s3
	v_mov_b32_e32 v3, s2
	flat_load_dwordx2 v[3:4], v[3:4]
	s_waitcnt vmcnt(0) lgkmcnt(0)
	v_fma_f64 v[1:2], s[8:9], v[3:4], v[1:2]
.LBB289_30:
	s_or_b32 s14, s14, exec_lo
.LBB289_31:
	s_or_b32 exec_lo, exec_lo, s0
.LBB289_32:
	s_and_saveexec_b32 s0, s14
	s_cbranch_execz .LBB289_34
; %bb.33:
	s_lshl_b64 s[2:3], s[12:13], 3
	s_add_u32 s0, s1, s2
	s_addc_u32 s1, s7, s3
	s_waitcnt lgkmcnt(0)
	v_mov_b32_e32 v4, s1
	v_mov_b32_e32 v3, s0
	flat_store_dwordx2 v[3:4], v[1:2]
.LBB289_34:
	s_endpgm
	.section	.rodata,"a",@progbits
	.p2align	6, 0x0
	.amdhsa_kernel _ZL32rocblas_gemvt_warp_reduce_kernelILb1ELi1024ElPKdS1_KPdEviiT3_lPKT2_lT1_lS7_lS8_lS4_lPT4_lS8_li
		.amdhsa_group_segment_fixed_size 256
		.amdhsa_private_segment_fixed_size 0
		.amdhsa_kernarg_size 140
		.amdhsa_user_sgpr_count 6
		.amdhsa_user_sgpr_private_segment_buffer 1
		.amdhsa_user_sgpr_dispatch_ptr 0
		.amdhsa_user_sgpr_queue_ptr 0
		.amdhsa_user_sgpr_kernarg_segment_ptr 1
		.amdhsa_user_sgpr_dispatch_id 0
		.amdhsa_user_sgpr_flat_scratch_init 0
		.amdhsa_user_sgpr_private_segment_size 0
		.amdhsa_wavefront_size32 1
		.amdhsa_uses_dynamic_stack 0
		.amdhsa_system_sgpr_private_segment_wavefront_offset 0
		.amdhsa_system_sgpr_workgroup_id_x 1
		.amdhsa_system_sgpr_workgroup_id_y 0
		.amdhsa_system_sgpr_workgroup_id_z 1
		.amdhsa_system_sgpr_workgroup_info 0
		.amdhsa_system_vgpr_workitem_id 0
		.amdhsa_next_free_vgpr 14
		.amdhsa_next_free_sgpr 31
		.amdhsa_reserve_vcc 1
		.amdhsa_reserve_flat_scratch 0
		.amdhsa_float_round_mode_32 0
		.amdhsa_float_round_mode_16_64 0
		.amdhsa_float_denorm_mode_32 3
		.amdhsa_float_denorm_mode_16_64 3
		.amdhsa_dx10_clamp 1
		.amdhsa_ieee_mode 1
		.amdhsa_fp16_overflow 0
		.amdhsa_workgroup_processor_mode 1
		.amdhsa_memory_ordered 1
		.amdhsa_forward_progress 1
		.amdhsa_shared_vgpr_count 0
		.amdhsa_exception_fp_ieee_invalid_op 0
		.amdhsa_exception_fp_denorm_src 0
		.amdhsa_exception_fp_ieee_div_zero 0
		.amdhsa_exception_fp_ieee_overflow 0
		.amdhsa_exception_fp_ieee_underflow 0
		.amdhsa_exception_fp_ieee_inexact 0
		.amdhsa_exception_int_div_zero 0
	.end_amdhsa_kernel
	.section	.text._ZL32rocblas_gemvt_warp_reduce_kernelILb1ELi1024ElPKdS1_KPdEviiT3_lPKT2_lT1_lS7_lS8_lS4_lPT4_lS8_li,"axG",@progbits,_ZL32rocblas_gemvt_warp_reduce_kernelILb1ELi1024ElPKdS1_KPdEviiT3_lPKT2_lT1_lS7_lS8_lS4_lPT4_lS8_li,comdat
.Lfunc_end289:
	.size	_ZL32rocblas_gemvt_warp_reduce_kernelILb1ELi1024ElPKdS1_KPdEviiT3_lPKT2_lT1_lS7_lS8_lS4_lPT4_lS8_li, .Lfunc_end289-_ZL32rocblas_gemvt_warp_reduce_kernelILb1ELi1024ElPKdS1_KPdEviiT3_lPKT2_lT1_lS7_lS8_lS4_lPT4_lS8_li
                                        ; -- End function
	.set _ZL32rocblas_gemvt_warp_reduce_kernelILb1ELi1024ElPKdS1_KPdEviiT3_lPKT2_lT1_lS7_lS8_lS4_lPT4_lS8_li.num_vgpr, 14
	.set _ZL32rocblas_gemvt_warp_reduce_kernelILb1ELi1024ElPKdS1_KPdEviiT3_lPKT2_lT1_lS7_lS8_lS4_lPT4_lS8_li.num_agpr, 0
	.set _ZL32rocblas_gemvt_warp_reduce_kernelILb1ELi1024ElPKdS1_KPdEviiT3_lPKT2_lT1_lS7_lS8_lS4_lPT4_lS8_li.numbered_sgpr, 31
	.set _ZL32rocblas_gemvt_warp_reduce_kernelILb1ELi1024ElPKdS1_KPdEviiT3_lPKT2_lT1_lS7_lS8_lS4_lPT4_lS8_li.num_named_barrier, 0
	.set _ZL32rocblas_gemvt_warp_reduce_kernelILb1ELi1024ElPKdS1_KPdEviiT3_lPKT2_lT1_lS7_lS8_lS4_lPT4_lS8_li.private_seg_size, 0
	.set _ZL32rocblas_gemvt_warp_reduce_kernelILb1ELi1024ElPKdS1_KPdEviiT3_lPKT2_lT1_lS7_lS8_lS4_lPT4_lS8_li.uses_vcc, 1
	.set _ZL32rocblas_gemvt_warp_reduce_kernelILb1ELi1024ElPKdS1_KPdEviiT3_lPKT2_lT1_lS7_lS8_lS4_lPT4_lS8_li.uses_flat_scratch, 0
	.set _ZL32rocblas_gemvt_warp_reduce_kernelILb1ELi1024ElPKdS1_KPdEviiT3_lPKT2_lT1_lS7_lS8_lS4_lPT4_lS8_li.has_dyn_sized_stack, 0
	.set _ZL32rocblas_gemvt_warp_reduce_kernelILb1ELi1024ElPKdS1_KPdEviiT3_lPKT2_lT1_lS7_lS8_lS4_lPT4_lS8_li.has_recursion, 0
	.set _ZL32rocblas_gemvt_warp_reduce_kernelILb1ELi1024ElPKdS1_KPdEviiT3_lPKT2_lT1_lS7_lS8_lS4_lPT4_lS8_li.has_indirect_call, 0
	.section	.AMDGPU.csdata,"",@progbits
; Kernel info:
; codeLenInByte = 1624
; TotalNumSgprs: 33
; NumVgprs: 14
; ScratchSize: 0
; MemoryBound: 0
; FloatMode: 240
; IeeeMode: 1
; LDSByteSize: 256 bytes/workgroup (compile time only)
; SGPRBlocks: 0
; VGPRBlocks: 1
; NumSGPRsForWavesPerEU: 33
; NumVGPRsForWavesPerEU: 14
; Occupancy: 16
; WaveLimiterHint : 1
; COMPUTE_PGM_RSRC2:SCRATCH_EN: 0
; COMPUTE_PGM_RSRC2:USER_SGPR: 6
; COMPUTE_PGM_RSRC2:TRAP_HANDLER: 0
; COMPUTE_PGM_RSRC2:TGID_X_EN: 1
; COMPUTE_PGM_RSRC2:TGID_Y_EN: 0
; COMPUTE_PGM_RSRC2:TGID_Z_EN: 1
; COMPUTE_PGM_RSRC2:TIDIG_COMP_CNT: 0
	.section	.text._ZL32rocblas_gemvt_warp_reduce_kernelILb1ELi1024EiPKddKPdEviiT3_lPKT2_lT1_lS7_lS8_lS4_lPT4_lS8_li,"axG",@progbits,_ZL32rocblas_gemvt_warp_reduce_kernelILb1ELi1024EiPKddKPdEviiT3_lPKT2_lT1_lS7_lS8_lS4_lPT4_lS8_li,comdat
	.globl	_ZL32rocblas_gemvt_warp_reduce_kernelILb1ELi1024EiPKddKPdEviiT3_lPKT2_lT1_lS7_lS8_lS4_lPT4_lS8_li ; -- Begin function _ZL32rocblas_gemvt_warp_reduce_kernelILb1ELi1024EiPKddKPdEviiT3_lPKT2_lT1_lS7_lS8_lS4_lPT4_lS8_li
	.p2align	8
	.type	_ZL32rocblas_gemvt_warp_reduce_kernelILb1ELi1024EiPKddKPdEviiT3_lPKT2_lT1_lS7_lS8_lS4_lPT4_lS8_li,@function
_ZL32rocblas_gemvt_warp_reduce_kernelILb1ELi1024EiPKddKPdEviiT3_lPKT2_lT1_lS7_lS8_lS4_lPT4_lS8_li: ; @_ZL32rocblas_gemvt_warp_reduce_kernelILb1ELi1024EiPKddKPdEviiT3_lPKT2_lT1_lS7_lS8_lS4_lPT4_lS8_li
; %bb.0:
	s_clause 0x1
	s_load_dwordx2 s[8:9], s[4:5], 0x8
	s_load_dwordx2 s[2:3], s[4:5], 0x58
	s_waitcnt lgkmcnt(0)
	v_cmp_eq_f64_e64 s14, s[8:9], 0
	v_cmp_eq_f64_e64 s1, s[2:3], 1.0
	s_and_b32 s1, s14, s1
	s_and_b32 vcc_lo, exec_lo, s1
	s_cbranch_vccnz .LBB290_35
; %bb.1:
	s_mov_b32 s0, s7
	v_cmp_neq_f64_e64 s7, s[8:9], 0
	s_mov_b32 s1, 0
	s_and_b32 vcc_lo, exec_lo, s7
	s_cbranch_vccnz .LBB290_3
; %bb.2:
	s_mov_b32 s12, s1
	s_mov_b64 s[10:11], 0
	s_andn2_b32 vcc_lo, exec_lo, s12
	s_mov_b64 s[12:13], 0
	s_cbranch_vccz .LBB290_4
	s_branch .LBB290_5
.LBB290_3:
	s_mov_b64 s[10:11], 0
	s_mov_b64 s[12:13], 0
.LBB290_4:
	s_load_dwordx4 s[16:19], s[4:5], 0x18
	s_lshl_b64 s[12:13], s[0:1], 3
	s_waitcnt lgkmcnt(0)
	s_add_u32 s12, s16, s12
	s_addc_u32 s13, s17, s13
	s_lshl_b64 s[16:17], s[18:19], 3
	s_load_dwordx2 s[12:13], s[12:13], 0x0
	s_waitcnt lgkmcnt(0)
	s_add_u32 s12, s12, s16
	s_addc_u32 s13, s13, s17
.LBB290_5:
	s_andn2_b32 vcc_lo, exec_lo, s7
	s_cbranch_vccnz .LBB290_7
; %bb.6:
	s_load_dwordx4 s[16:19], s[4:5], 0x38
	s_lshl_b64 s[10:11], s[0:1], 3
	s_waitcnt lgkmcnt(0)
	s_add_u32 s10, s16, s10
	s_addc_u32 s11, s17, s11
	s_lshl_b64 s[16:17], s[18:19], 3
	s_load_dwordx2 s[10:11], s[10:11], 0x0
	s_waitcnt lgkmcnt(0)
	s_add_u32 s10, s10, s16
	s_addc_u32 s11, s11, s17
.LBB290_7:
	s_clause 0x1
	s_load_dwordx4 s[20:23], s[4:5], 0x68
	s_load_dword s16, s[4:5], 0x78
	s_lshl_b64 s[0:1], s[0:1], 3
	s_waitcnt lgkmcnt(0)
	s_add_u32 s0, s20, s0
	s_addc_u32 s1, s21, s1
	s_lshl_b64 s[20:21], s[22:23], 3
	s_load_dwordx2 s[18:19], s[0:1], 0x0
	v_cmp_eq_u32_e64 s0, 0, v0
	s_waitcnt lgkmcnt(0)
	s_add_u32 s1, s18, s20
	s_addc_u32 s7, s19, s21
	s_andn2_b32 vcc_lo, exec_lo, s14
	s_cbranch_vccnz .LBB290_12
; %bb.8:
	s_mov_b32 s18, 0
	s_mov_b32 s17, 0
                                        ; implicit-def: $vgpr1_vgpr2
                                        ; implicit-def: $sgpr14_sgpr15
	s_and_saveexec_b32 s19, s0
	s_cbranch_execz .LBB290_13
; %bb.9:
	v_cmp_eq_f64_e64 s0, s[2:3], 0
	v_mov_b32_e32 v1, 0
	v_mov_b32_e32 v2, 0
	s_mul_i32 s14, s16, s6
	s_ashr_i32 s15, s14, 31
	s_and_b32 vcc_lo, exec_lo, s0
	s_cbranch_vccnz .LBB290_11
; %bb.10:
	s_lshl_b64 s[20:21], s[14:15], 3
	s_add_u32 s20, s1, s20
	s_addc_u32 s21, s7, s21
	v_mov_b32_e32 v1, s20
	v_mov_b32_e32 v2, s21
	flat_load_dwordx2 v[1:2], v[1:2]
	s_waitcnt vmcnt(0) lgkmcnt(0)
	v_mul_f64 v[1:2], s[2:3], v[1:2]
.LBB290_11:
	s_mov_b32 s17, exec_lo
	s_or_b32 exec_lo, exec_lo, s19
	s_and_b32 vcc_lo, exec_lo, s18
	s_cbranch_vccnz .LBB290_14
	s_branch .LBB290_33
.LBB290_12:
	s_mov_b32 s17, 0
                                        ; implicit-def: $vgpr1_vgpr2
                                        ; implicit-def: $sgpr14_sgpr15
	s_cbranch_execnz .LBB290_14
	s_branch .LBB290_33
.LBB290_13:
	s_or_b32 exec_lo, exec_lo, s19
	s_and_b32 vcc_lo, exec_lo, s18
	s_cbranch_vccz .LBB290_33
.LBB290_14:
	s_clause 0x2
	s_load_dword s14, s[4:5], 0x0
	s_load_dword s0, s[4:5], 0x28
	;; [unrolled: 1-line block ×3, first 2 shown]
	v_mov_b32_e32 v1, 0
	v_mov_b32_e32 v2, 0
	s_waitcnt lgkmcnt(0)
	v_cmp_gt_i32_e32 vcc_lo, s14, v0
	s_mul_i32 s18, s0, s6
	s_ashr_i32 s0, s14, 31
	s_ashr_i32 s19, s18, 31
	s_lshr_b32 s0, s0, 22
	v_cndmask_b32_e32 v3, 0, v0, vcc_lo
	s_lshl_b64 s[18:19], s[18:19], 3
	s_add_i32 s0, s14, s0
	v_lshlrev_b32_e32 v3, 3, v3
	v_add_co_u32 v3, s4, s12, v3
	v_add_co_ci_u32_e64 v4, null, s13, 0, s4
	s_and_b32 s4, s0, 0xfffffc00
	v_add_co_u32 v3, vcc_lo, v3, s18
	v_add_co_ci_u32_e64 v4, null, s19, v4, vcc_lo
	s_mov_b32 s13, 0
	s_mov_b32 s12, exec_lo
	v_cmpx_gt_i32_e64 s4, v0
	s_cbranch_execz .LBB290_18
; %bb.15:
	v_mul_lo_u32 v5, v0, s5
	v_mov_b32_e32 v1, 0
	v_mov_b32_e32 v8, v4
	;; [unrolled: 1-line block ×5, first 2 shown]
	s_lshl_b32 s15, s5, 10
	.p2align	6
.LBB290_16:                             ; =>This Inner Loop Header: Depth=1
	v_ashrrev_i32_e32 v6, 31, v5
	v_add_nc_u32_e32 v9, 0x400, v9
	v_lshlrev_b64 v[10:11], 3, v[5:6]
	v_cmp_le_i32_e64 s0, s4, v9
	v_add_nc_u32_e32 v5, s15, v5
	s_or_b32 s13, s0, s13
	v_add_co_u32 v10, vcc_lo, s10, v10
	v_add_co_ci_u32_e64 v11, null, s11, v11, vcc_lo
	flat_load_dwordx2 v[12:13], v[7:8]
	flat_load_dwordx2 v[10:11], v[10:11]
	v_add_co_u32 v7, vcc_lo, 0x2000, v7
	v_add_co_ci_u32_e64 v8, null, 0, v8, vcc_lo
	s_waitcnt vmcnt(0) lgkmcnt(0)
	v_fma_f64 v[1:2], v[12:13], v[10:11], v[1:2]
	s_andn2_b32 exec_lo, exec_lo, s13
	s_cbranch_execnz .LBB290_16
; %bb.17:
	s_or_b32 exec_lo, exec_lo, s13
.LBB290_18:
	s_or_b32 exec_lo, exec_lo, s12
	v_or_b32_e32 v5, s4, v0
	s_mov_b32 s0, exec_lo
	v_cmpx_gt_i32_e64 s14, v5
	s_cbranch_execz .LBB290_20
; %bb.19:
	v_mul_lo_u32 v5, s5, v5
	s_ashr_i32 s5, s4, 31
	s_lshl_b64 s[4:5], s[4:5], 3
	v_add_co_u32 v3, vcc_lo, v3, s4
	v_add_co_ci_u32_e64 v4, null, s5, v4, vcc_lo
	v_ashrrev_i32_e32 v6, 31, v5
	v_lshlrev_b64 v[5:6], 3, v[5:6]
	v_add_co_u32 v5, vcc_lo, s10, v5
	v_add_co_ci_u32_e64 v6, null, s11, v6, vcc_lo
	flat_load_dwordx2 v[3:4], v[3:4]
	flat_load_dwordx2 v[5:6], v[5:6]
	s_waitcnt vmcnt(0) lgkmcnt(0)
	v_fma_f64 v[1:2], v[3:4], v[5:6], v[1:2]
.LBB290_20:
	s_or_b32 exec_lo, exec_lo, s0
	v_and_b32_e32 v11, 31, v0
	v_cmp_gt_u32_e32 vcc_lo, 32, v0
	v_lshlrev_b32_e32 v5, 3, v11
	s_and_saveexec_b32 s0, vcc_lo
; %bb.21:
	v_mov_b32_e32 v3, 0
	v_mov_b32_e32 v4, v3
	ds_write_b64 v5, v[3:4]
; %bb.22:
	s_or_b32 exec_lo, exec_lo, s0
	v_mbcnt_lo_u32_b32 v10, -1, 0
	s_mov_b32 s4, exec_lo
	s_waitcnt lgkmcnt(0)
	s_barrier
	buffer_gl0_inv
	v_lshl_or_b32 v6, v10, 2, 64
	v_cmp_gt_u32_e64 s0, 24, v10
	ds_bpermute_b32 v3, v6, v1
	ds_bpermute_b32 v4, v6, v2
	s_waitcnt lgkmcnt(0)
	v_add_f64 v[1:2], v[1:2], v[3:4]
	v_cndmask_b32_e64 v3, 0, 8, s0
	v_cmp_gt_u32_e64 s0, 28, v10
	v_add_lshl_u32 v7, v3, v10, 2
	ds_bpermute_b32 v3, v7, v1
	ds_bpermute_b32 v4, v7, v2
	s_waitcnt lgkmcnt(0)
	v_add_f64 v[1:2], v[1:2], v[3:4]
	v_cndmask_b32_e64 v3, 0, 4, s0
	v_cmp_gt_u32_e64 s0, 30, v10
	v_add_lshl_u32 v8, v3, v10, 2
	ds_bpermute_b32 v3, v8, v1
	ds_bpermute_b32 v4, v8, v2
	s_waitcnt lgkmcnt(0)
	v_add_f64 v[1:2], v[1:2], v[3:4]
	v_cndmask_b32_e64 v3, 0, 2, s0
	v_cmp_ne_u32_e64 s0, 31, v10
	v_add_lshl_u32 v9, v3, v10, 2
	ds_bpermute_b32 v3, v9, v1
	ds_bpermute_b32 v4, v9, v2
	s_waitcnt lgkmcnt(0)
	v_add_f64 v[1:2], v[1:2], v[3:4]
	v_add_co_ci_u32_e64 v3, null, 0, v10, s0
	v_lshlrev_b32_e32 v10, 2, v3
	ds_bpermute_b32 v3, v10, v1
	ds_bpermute_b32 v4, v10, v2
	v_cmpx_eq_u32_e32 0, v11
	s_cbranch_execz .LBB290_24
; %bb.23:
	s_waitcnt lgkmcnt(0)
	v_add_f64 v[1:2], v[1:2], v[3:4]
	v_lshrrev_b32_e32 v3, 2, v0
	v_and_b32_e32 v3, 0xf8, v3
	ds_write_b64 v3, v[1:2]
.LBB290_24:
	s_or_b32 exec_lo, exec_lo, s4
	s_waitcnt lgkmcnt(0)
	v_mov_b32_e32 v3, 0
	v_mov_b32_e32 v4, 0
	s_barrier
	buffer_gl0_inv
	s_and_saveexec_b32 s0, vcc_lo
; %bb.25:
	ds_read_b64 v[3:4], v5
; %bb.26:
	s_or_b32 exec_lo, exec_lo, s0
	s_and_saveexec_b32 s0, vcc_lo
	s_cbranch_execz .LBB290_28
; %bb.27:
	s_waitcnt lgkmcnt(0)
	ds_bpermute_b32 v1, v6, v3
	ds_bpermute_b32 v2, v6, v4
	s_waitcnt lgkmcnt(0)
	v_add_f64 v[1:2], v[3:4], v[1:2]
	ds_bpermute_b32 v3, v7, v1
	ds_bpermute_b32 v4, v7, v2
	s_waitcnt lgkmcnt(0)
	v_add_f64 v[1:2], v[1:2], v[3:4]
	;; [unrolled: 4-line block ×5, first 2 shown]
.LBB290_28:
	s_or_b32 exec_lo, exec_lo, s0
	s_mov_b32 s0, exec_lo
                                        ; implicit-def: $vgpr1_vgpr2
                                        ; implicit-def: $sgpr14_sgpr15
	v_cmpx_eq_u32_e32 0, v0
	s_cbranch_execz .LBB290_32
; %bb.29:
	v_cmp_eq_f64_e64 s4, s[2:3], 0
	s_waitcnt lgkmcnt(0)
	v_mul_f64 v[1:2], s[8:9], v[3:4]
	s_mul_i32 s14, s16, s6
	s_ashr_i32 s15, s14, 31
	s_and_b32 vcc_lo, exec_lo, s4
	s_cbranch_vccnz .LBB290_31
; %bb.30:
	s_lshl_b64 s[4:5], s[14:15], 3
	s_add_u32 s4, s1, s4
	s_addc_u32 s5, s7, s5
	v_mov_b32_e32 v3, s4
	v_mov_b32_e32 v4, s5
	flat_load_dwordx2 v[3:4], v[3:4]
	s_waitcnt vmcnt(0) lgkmcnt(0)
	v_fma_f64 v[1:2], s[2:3], v[3:4], v[1:2]
.LBB290_31:
	s_or_b32 s17, s17, exec_lo
.LBB290_32:
	s_or_b32 exec_lo, exec_lo, s0
.LBB290_33:
	s_and_saveexec_b32 s0, s17
	s_cbranch_execz .LBB290_35
; %bb.34:
	s_lshl_b64 s[2:3], s[14:15], 3
	s_add_u32 s0, s1, s2
	s_addc_u32 s1, s7, s3
	s_waitcnt lgkmcnt(0)
	v_mov_b32_e32 v4, s1
	v_mov_b32_e32 v3, s0
	flat_store_dwordx2 v[3:4], v[1:2]
.LBB290_35:
	s_endpgm
	.section	.rodata,"a",@progbits
	.p2align	6, 0x0
	.amdhsa_kernel _ZL32rocblas_gemvt_warp_reduce_kernelILb1ELi1024EiPKddKPdEviiT3_lPKT2_lT1_lS7_lS8_lS4_lPT4_lS8_li
		.amdhsa_group_segment_fixed_size 256
		.amdhsa_private_segment_fixed_size 0
		.amdhsa_kernarg_size 140
		.amdhsa_user_sgpr_count 6
		.amdhsa_user_sgpr_private_segment_buffer 1
		.amdhsa_user_sgpr_dispatch_ptr 0
		.amdhsa_user_sgpr_queue_ptr 0
		.amdhsa_user_sgpr_kernarg_segment_ptr 1
		.amdhsa_user_sgpr_dispatch_id 0
		.amdhsa_user_sgpr_flat_scratch_init 0
		.amdhsa_user_sgpr_private_segment_size 0
		.amdhsa_wavefront_size32 1
		.amdhsa_uses_dynamic_stack 0
		.amdhsa_system_sgpr_private_segment_wavefront_offset 0
		.amdhsa_system_sgpr_workgroup_id_x 1
		.amdhsa_system_sgpr_workgroup_id_y 0
		.amdhsa_system_sgpr_workgroup_id_z 1
		.amdhsa_system_sgpr_workgroup_info 0
		.amdhsa_system_vgpr_workitem_id 0
		.amdhsa_next_free_vgpr 14
		.amdhsa_next_free_sgpr 24
		.amdhsa_reserve_vcc 1
		.amdhsa_reserve_flat_scratch 0
		.amdhsa_float_round_mode_32 0
		.amdhsa_float_round_mode_16_64 0
		.amdhsa_float_denorm_mode_32 3
		.amdhsa_float_denorm_mode_16_64 3
		.amdhsa_dx10_clamp 1
		.amdhsa_ieee_mode 1
		.amdhsa_fp16_overflow 0
		.amdhsa_workgroup_processor_mode 1
		.amdhsa_memory_ordered 1
		.amdhsa_forward_progress 1
		.amdhsa_shared_vgpr_count 0
		.amdhsa_exception_fp_ieee_invalid_op 0
		.amdhsa_exception_fp_denorm_src 0
		.amdhsa_exception_fp_ieee_div_zero 0
		.amdhsa_exception_fp_ieee_overflow 0
		.amdhsa_exception_fp_ieee_underflow 0
		.amdhsa_exception_fp_ieee_inexact 0
		.amdhsa_exception_int_div_zero 0
	.end_amdhsa_kernel
	.section	.text._ZL32rocblas_gemvt_warp_reduce_kernelILb1ELi1024EiPKddKPdEviiT3_lPKT2_lT1_lS7_lS8_lS4_lPT4_lS8_li,"axG",@progbits,_ZL32rocblas_gemvt_warp_reduce_kernelILb1ELi1024EiPKddKPdEviiT3_lPKT2_lT1_lS7_lS8_lS4_lPT4_lS8_li,comdat
.Lfunc_end290:
	.size	_ZL32rocblas_gemvt_warp_reduce_kernelILb1ELi1024EiPKddKPdEviiT3_lPKT2_lT1_lS7_lS8_lS4_lPT4_lS8_li, .Lfunc_end290-_ZL32rocblas_gemvt_warp_reduce_kernelILb1ELi1024EiPKddKPdEviiT3_lPKT2_lT1_lS7_lS8_lS4_lPT4_lS8_li
                                        ; -- End function
	.set _ZL32rocblas_gemvt_warp_reduce_kernelILb1ELi1024EiPKddKPdEviiT3_lPKT2_lT1_lS7_lS8_lS4_lPT4_lS8_li.num_vgpr, 14
	.set _ZL32rocblas_gemvt_warp_reduce_kernelILb1ELi1024EiPKddKPdEviiT3_lPKT2_lT1_lS7_lS8_lS4_lPT4_lS8_li.num_agpr, 0
	.set _ZL32rocblas_gemvt_warp_reduce_kernelILb1ELi1024EiPKddKPdEviiT3_lPKT2_lT1_lS7_lS8_lS4_lPT4_lS8_li.numbered_sgpr, 24
	.set _ZL32rocblas_gemvt_warp_reduce_kernelILb1ELi1024EiPKddKPdEviiT3_lPKT2_lT1_lS7_lS8_lS4_lPT4_lS8_li.num_named_barrier, 0
	.set _ZL32rocblas_gemvt_warp_reduce_kernelILb1ELi1024EiPKddKPdEviiT3_lPKT2_lT1_lS7_lS8_lS4_lPT4_lS8_li.private_seg_size, 0
	.set _ZL32rocblas_gemvt_warp_reduce_kernelILb1ELi1024EiPKddKPdEviiT3_lPKT2_lT1_lS7_lS8_lS4_lPT4_lS8_li.uses_vcc, 1
	.set _ZL32rocblas_gemvt_warp_reduce_kernelILb1ELi1024EiPKddKPdEviiT3_lPKT2_lT1_lS7_lS8_lS4_lPT4_lS8_li.uses_flat_scratch, 0
	.set _ZL32rocblas_gemvt_warp_reduce_kernelILb1ELi1024EiPKddKPdEviiT3_lPKT2_lT1_lS7_lS8_lS4_lPT4_lS8_li.has_dyn_sized_stack, 0
	.set _ZL32rocblas_gemvt_warp_reduce_kernelILb1ELi1024EiPKddKPdEviiT3_lPKT2_lT1_lS7_lS8_lS4_lPT4_lS8_li.has_recursion, 0
	.set _ZL32rocblas_gemvt_warp_reduce_kernelILb1ELi1024EiPKddKPdEviiT3_lPKT2_lT1_lS7_lS8_lS4_lPT4_lS8_li.has_indirect_call, 0
	.section	.AMDGPU.csdata,"",@progbits
; Kernel info:
; codeLenInByte = 1540
; TotalNumSgprs: 26
; NumVgprs: 14
; ScratchSize: 0
; MemoryBound: 0
; FloatMode: 240
; IeeeMode: 1
; LDSByteSize: 256 bytes/workgroup (compile time only)
; SGPRBlocks: 0
; VGPRBlocks: 1
; NumSGPRsForWavesPerEU: 26
; NumVGPRsForWavesPerEU: 14
; Occupancy: 16
; WaveLimiterHint : 1
; COMPUTE_PGM_RSRC2:SCRATCH_EN: 0
; COMPUTE_PGM_RSRC2:USER_SGPR: 6
; COMPUTE_PGM_RSRC2:TRAP_HANDLER: 0
; COMPUTE_PGM_RSRC2:TGID_X_EN: 1
; COMPUTE_PGM_RSRC2:TGID_Y_EN: 0
; COMPUTE_PGM_RSRC2:TGID_Z_EN: 1
; COMPUTE_PGM_RSRC2:TIDIG_COMP_CNT: 0
	.section	.text._ZL32rocblas_gemvt_warp_reduce_kernelILb1ELi1024ElPKddKPdEviiT3_lPKT2_lT1_lS7_lS8_lS4_lPT4_lS8_li,"axG",@progbits,_ZL32rocblas_gemvt_warp_reduce_kernelILb1ELi1024ElPKddKPdEviiT3_lPKT2_lT1_lS7_lS8_lS4_lPT4_lS8_li,comdat
	.globl	_ZL32rocblas_gemvt_warp_reduce_kernelILb1ELi1024ElPKddKPdEviiT3_lPKT2_lT1_lS7_lS8_lS4_lPT4_lS8_li ; -- Begin function _ZL32rocblas_gemvt_warp_reduce_kernelILb1ELi1024ElPKddKPdEviiT3_lPKT2_lT1_lS7_lS8_lS4_lPT4_lS8_li
	.p2align	8
	.type	_ZL32rocblas_gemvt_warp_reduce_kernelILb1ELi1024ElPKddKPdEviiT3_lPKT2_lT1_lS7_lS8_lS4_lPT4_lS8_li,@function
_ZL32rocblas_gemvt_warp_reduce_kernelILb1ELi1024ElPKddKPdEviiT3_lPKT2_lT1_lS7_lS8_lS4_lPT4_lS8_li: ; @_ZL32rocblas_gemvt_warp_reduce_kernelILb1ELi1024ElPKddKPdEviiT3_lPKT2_lT1_lS7_lS8_lS4_lPT4_lS8_li
; %bb.0:
	s_clause 0x1
	s_load_dwordx2 s[10:11], s[4:5], 0x8
	s_load_dwordx2 s[8:9], s[4:5], 0x58
	s_waitcnt lgkmcnt(0)
	v_cmp_eq_f64_e64 s22, s[10:11], 0
	v_cmp_eq_f64_e64 s0, s[8:9], 1.0
	s_and_b32 s0, s22, s0
	s_and_b32 vcc_lo, exec_lo, s0
	s_cbranch_vccnz .LBB291_35
; %bb.1:
	s_mov_b32 s20, s7
	v_cmp_neq_f64_e64 s7, s[10:11], 0
	s_clause 0x1
	s_load_dwordx4 s[0:3], s[4:5], 0x18
	s_load_dwordx2 s[16:17], s[4:5], 0x28
	s_mov_b32 s21, 0
	s_and_b32 vcc_lo, exec_lo, s7
	s_cbranch_vccnz .LBB291_3
; %bb.2:
	s_mov_b32 s14, s21
	s_mov_b64 s[12:13], 0
	s_andn2_b32 vcc_lo, exec_lo, s14
	s_mov_b64 s[18:19], 0
	s_cbranch_vccz .LBB291_4
	s_branch .LBB291_5
.LBB291_3:
	s_mov_b64 s[12:13], 0
	s_mov_b64 s[18:19], 0
.LBB291_4:
	s_lshl_b64 s[14:15], s[20:21], 3
	s_waitcnt lgkmcnt(0)
	s_add_u32 s0, s0, s14
	s_addc_u32 s1, s1, s15
	s_lshl_b64 s[2:3], s[2:3], 3
	s_load_dwordx2 s[0:1], s[0:1], 0x0
	s_waitcnt lgkmcnt(0)
	s_add_u32 s18, s0, s2
	s_addc_u32 s19, s1, s3
.LBB291_5:
	s_waitcnt lgkmcnt(0)
	s_clause 0x1
	s_load_dwordx4 s[0:3], s[4:5], 0x38
	s_load_dwordx2 s[14:15], s[4:5], 0x48
	s_andn2_b32 vcc_lo, exec_lo, s7
	s_cbranch_vccnz .LBB291_7
; %bb.6:
	s_lshl_b64 s[12:13], s[20:21], 3
	s_waitcnt lgkmcnt(0)
	s_add_u32 s0, s0, s12
	s_addc_u32 s1, s1, s13
	s_lshl_b64 s[2:3], s[2:3], 3
	s_load_dwordx2 s[0:1], s[0:1], 0x0
	s_waitcnt lgkmcnt(0)
	s_add_u32 s12, s0, s2
	s_addc_u32 s13, s1, s3
.LBB291_7:
	s_load_dwordx4 s[24:27], s[4:5], 0x68
	s_waitcnt lgkmcnt(0)
	s_load_dwordx2 s[2:3], s[4:5], 0x78
	s_lshl_b64 s[0:1], s[20:21], 3
	s_add_u32 s0, s24, s0
	s_addc_u32 s1, s25, s1
	s_lshl_b64 s[24:25], s[26:27], 3
	s_load_dwordx2 s[20:21], s[0:1], 0x0
	v_cmp_eq_u32_e64 s0, 0, v0
	s_waitcnt lgkmcnt(0)
	s_add_u32 s1, s20, s24
	s_addc_u32 s7, s21, s25
	s_andn2_b32 vcc_lo, exec_lo, s22
	s_cbranch_vccnz .LBB291_12
; %bb.8:
	s_mov_b32 s23, 0
	s_mov_b32 s22, 0
                                        ; implicit-def: $vgpr1_vgpr2
                                        ; implicit-def: $sgpr20_sgpr21
	s_and_saveexec_b32 s24, s0
	s_cbranch_execz .LBB291_13
; %bb.9:
	v_cmp_eq_f64_e64 s0, s[8:9], 0
	s_ashr_i32 s20, s6, 31
	s_mul_hi_u32 s21, s2, s6
	s_mul_i32 s20, s2, s20
	v_mov_b32_e32 v1, 0
	v_mov_b32_e32 v2, 0
	s_add_i32 s20, s21, s20
	s_mul_i32 s21, s3, s6
	s_add_i32 s21, s20, s21
	s_mul_i32 s20, s2, s6
	s_and_b32 vcc_lo, exec_lo, s0
	s_cbranch_vccnz .LBB291_11
; %bb.10:
	s_lshl_b64 s[26:27], s[20:21], 3
	s_add_u32 s26, s1, s26
	s_addc_u32 s27, s7, s27
	v_mov_b32_e32 v1, s26
	v_mov_b32_e32 v2, s27
	flat_load_dwordx2 v[1:2], v[1:2]
	s_waitcnt vmcnt(0) lgkmcnt(0)
	v_mul_f64 v[1:2], s[8:9], v[1:2]
.LBB291_11:
	s_mov_b32 s22, exec_lo
	s_or_b32 exec_lo, exec_lo, s24
	s_and_b32 vcc_lo, exec_lo, s23
	s_cbranch_vccnz .LBB291_14
	s_branch .LBB291_33
.LBB291_12:
	s_mov_b32 s22, 0
                                        ; implicit-def: $vgpr1_vgpr2
                                        ; implicit-def: $sgpr20_sgpr21
	s_cbranch_execnz .LBB291_14
	s_branch .LBB291_33
.LBB291_13:
	s_or_b32 exec_lo, exec_lo, s24
	s_and_b32 vcc_lo, exec_lo, s23
	s_cbranch_vccz .LBB291_33
.LBB291_14:
	s_load_dword s5, s[4:5], 0x0
	s_ashr_i32 s23, s6, 31
	s_mul_hi_u32 s0, s16, s6
	s_mul_i32 s20, s16, s6
	s_mul_i32 s16, s16, s23
	;; [unrolled: 1-line block ×3, first 2 shown]
	s_add_i32 s0, s0, s16
	v_mov_b32_e32 v1, 0
	s_add_i32 s21, s0, s4
	v_mov_b32_e32 v2, 0
	s_lshl_b64 s[16:17], s[20:21], 3
	s_waitcnt lgkmcnt(0)
	v_cmp_gt_i32_e32 vcc_lo, s5, v0
	s_ashr_i32 s0, s5, 31
	s_lshr_b32 s0, s0, 22
	s_add_i32 s0, s5, s0
	v_cndmask_b32_e32 v3, 0, v0, vcc_lo
	v_lshlrev_b32_e32 v3, 3, v3
	v_add_co_u32 v3, s4, s18, v3
	v_add_co_ci_u32_e64 v4, null, s19, 0, s4
	s_and_b32 s4, s0, 0xfffffc00
	v_add_co_u32 v3, vcc_lo, v3, s16
	v_add_co_ci_u32_e64 v4, null, s17, v4, vcc_lo
	s_mov_b32 s19, 0
	s_mov_b32 s18, exec_lo
	v_cmpx_gt_i32_e64 s4, v0
	s_cbranch_execz .LBB291_18
; %bb.15:
	v_mad_u64_u32 v[1:2], null, s14, v0, 0
	v_mov_b32_e32 v9, v0
	s_lshl_b64 s[16:17], s[14:15], 13
	v_mad_u64_u32 v[5:6], null, s15, v0, v[2:3]
	v_mov_b32_e32 v2, v5
	v_mov_b32_e32 v6, v4
	;; [unrolled: 1-line block ×3, first 2 shown]
	v_lshlrev_b64 v[7:8], 3, v[1:2]
	v_mov_b32_e32 v1, 0
	v_mov_b32_e32 v2, 0
	v_add_co_u32 v7, vcc_lo, s12, v7
	v_add_co_ci_u32_e64 v8, null, s13, v8, vcc_lo
	.p2align	6
.LBB291_16:                             ; =>This Inner Loop Header: Depth=1
	flat_load_dwordx2 v[10:11], v[5:6]
	flat_load_dwordx2 v[12:13], v[7:8]
	v_add_nc_u32_e32 v9, 0x400, v9
	v_add_co_u32 v5, vcc_lo, 0x2000, v5
	v_add_co_ci_u32_e64 v6, null, 0, v6, vcc_lo
	v_cmp_le_i32_e32 vcc_lo, s4, v9
	v_add_co_u32 v7, s0, v7, s16
	v_add_co_ci_u32_e64 v8, null, s17, v8, s0
	s_or_b32 s19, vcc_lo, s19
	s_waitcnt vmcnt(0) lgkmcnt(0)
	v_fma_f64 v[1:2], v[10:11], v[12:13], v[1:2]
	s_andn2_b32 exec_lo, exec_lo, s19
	s_cbranch_execnz .LBB291_16
; %bb.17:
	s_or_b32 exec_lo, exec_lo, s19
.LBB291_18:
	s_or_b32 exec_lo, exec_lo, s18
	v_or_b32_e32 v5, s4, v0
	s_mov_b32 s0, exec_lo
	v_cmpx_gt_i32_e64 s5, v5
	s_cbranch_execz .LBB291_20
; %bb.19:
	v_ashrrev_i32_e32 v7, 31, v5
	v_mul_lo_u32 v8, s15, v5
	v_mad_u64_u32 v[5:6], null, s14, v5, 0
	s_ashr_i32 s5, s4, 31
	v_mul_lo_u32 v7, s14, v7
	s_lshl_b64 s[4:5], s[4:5], 3
	v_add_co_u32 v3, vcc_lo, v3, s4
	v_add_co_ci_u32_e64 v4, null, s5, v4, vcc_lo
	v_add3_u32 v6, v6, v7, v8
	v_lshlrev_b64 v[5:6], 3, v[5:6]
	v_add_co_u32 v5, vcc_lo, s12, v5
	v_add_co_ci_u32_e64 v6, null, s13, v6, vcc_lo
	flat_load_dwordx2 v[3:4], v[3:4]
	flat_load_dwordx2 v[5:6], v[5:6]
	s_waitcnt vmcnt(0) lgkmcnt(0)
	v_fma_f64 v[1:2], v[3:4], v[5:6], v[1:2]
.LBB291_20:
	s_or_b32 exec_lo, exec_lo, s0
	v_and_b32_e32 v11, 31, v0
	v_cmp_gt_u32_e32 vcc_lo, 32, v0
	v_lshlrev_b32_e32 v5, 3, v11
	s_and_saveexec_b32 s0, vcc_lo
; %bb.21:
	v_mov_b32_e32 v3, 0
	v_mov_b32_e32 v4, v3
	ds_write_b64 v5, v[3:4]
; %bb.22:
	s_or_b32 exec_lo, exec_lo, s0
	v_mbcnt_lo_u32_b32 v10, -1, 0
	s_mov_b32 s4, exec_lo
	s_waitcnt lgkmcnt(0)
	s_barrier
	buffer_gl0_inv
	v_lshl_or_b32 v6, v10, 2, 64
	v_cmp_gt_u32_e64 s0, 24, v10
	ds_bpermute_b32 v3, v6, v1
	ds_bpermute_b32 v4, v6, v2
	s_waitcnt lgkmcnt(0)
	v_add_f64 v[1:2], v[1:2], v[3:4]
	v_cndmask_b32_e64 v3, 0, 8, s0
	v_cmp_gt_u32_e64 s0, 28, v10
	v_add_lshl_u32 v7, v3, v10, 2
	ds_bpermute_b32 v3, v7, v1
	ds_bpermute_b32 v4, v7, v2
	s_waitcnt lgkmcnt(0)
	v_add_f64 v[1:2], v[1:2], v[3:4]
	v_cndmask_b32_e64 v3, 0, 4, s0
	v_cmp_gt_u32_e64 s0, 30, v10
	v_add_lshl_u32 v8, v3, v10, 2
	ds_bpermute_b32 v3, v8, v1
	ds_bpermute_b32 v4, v8, v2
	s_waitcnt lgkmcnt(0)
	v_add_f64 v[1:2], v[1:2], v[3:4]
	v_cndmask_b32_e64 v3, 0, 2, s0
	v_cmp_ne_u32_e64 s0, 31, v10
	v_add_lshl_u32 v9, v3, v10, 2
	ds_bpermute_b32 v3, v9, v1
	ds_bpermute_b32 v4, v9, v2
	s_waitcnt lgkmcnt(0)
	v_add_f64 v[1:2], v[1:2], v[3:4]
	v_add_co_ci_u32_e64 v3, null, 0, v10, s0
	v_lshlrev_b32_e32 v10, 2, v3
	ds_bpermute_b32 v3, v10, v1
	ds_bpermute_b32 v4, v10, v2
	v_cmpx_eq_u32_e32 0, v11
	s_cbranch_execz .LBB291_24
; %bb.23:
	s_waitcnt lgkmcnt(0)
	v_add_f64 v[1:2], v[1:2], v[3:4]
	v_lshrrev_b32_e32 v3, 2, v0
	v_and_b32_e32 v3, 0xf8, v3
	ds_write_b64 v3, v[1:2]
.LBB291_24:
	s_or_b32 exec_lo, exec_lo, s4
	s_waitcnt lgkmcnt(0)
	v_mov_b32_e32 v3, 0
	v_mov_b32_e32 v4, 0
	s_barrier
	buffer_gl0_inv
	s_and_saveexec_b32 s0, vcc_lo
; %bb.25:
	ds_read_b64 v[3:4], v5
; %bb.26:
	s_or_b32 exec_lo, exec_lo, s0
	s_and_saveexec_b32 s0, vcc_lo
	s_cbranch_execz .LBB291_28
; %bb.27:
	s_waitcnt lgkmcnt(0)
	ds_bpermute_b32 v1, v6, v3
	ds_bpermute_b32 v2, v6, v4
	s_waitcnt lgkmcnt(0)
	v_add_f64 v[1:2], v[3:4], v[1:2]
	ds_bpermute_b32 v3, v7, v1
	ds_bpermute_b32 v4, v7, v2
	s_waitcnt lgkmcnt(0)
	v_add_f64 v[1:2], v[1:2], v[3:4]
	;; [unrolled: 4-line block ×5, first 2 shown]
.LBB291_28:
	s_or_b32 exec_lo, exec_lo, s0
	s_mov_b32 s0, exec_lo
                                        ; implicit-def: $vgpr1_vgpr2
                                        ; implicit-def: $sgpr20_sgpr21
	v_cmpx_eq_u32_e32 0, v0
	s_cbranch_execz .LBB291_32
; %bb.29:
	v_cmp_eq_f64_e64 s4, s[8:9], 0
	s_waitcnt lgkmcnt(0)
	v_mul_f64 v[1:2], s[10:11], v[3:4]
	s_mul_i32 s5, s2, s23
	s_mul_hi_u32 s10, s2, s6
	s_mul_i32 s3, s3, s6
	s_add_i32 s5, s10, s5
	s_mul_i32 s20, s2, s6
	s_add_i32 s21, s5, s3
	s_and_b32 vcc_lo, exec_lo, s4
	s_cbranch_vccnz .LBB291_31
; %bb.30:
	s_lshl_b64 s[2:3], s[20:21], 3
	s_add_u32 s2, s1, s2
	s_addc_u32 s3, s7, s3
	v_mov_b32_e32 v4, s3
	v_mov_b32_e32 v3, s2
	flat_load_dwordx2 v[3:4], v[3:4]
	s_waitcnt vmcnt(0) lgkmcnt(0)
	v_fma_f64 v[1:2], s[8:9], v[3:4], v[1:2]
.LBB291_31:
	s_or_b32 s22, s22, exec_lo
.LBB291_32:
	s_or_b32 exec_lo, exec_lo, s0
.LBB291_33:
	s_and_saveexec_b32 s0, s22
	s_cbranch_execz .LBB291_35
; %bb.34:
	s_lshl_b64 s[2:3], s[20:21], 3
	s_add_u32 s0, s1, s2
	s_addc_u32 s1, s7, s3
	s_waitcnt lgkmcnt(0)
	v_mov_b32_e32 v4, s1
	v_mov_b32_e32 v3, s0
	flat_store_dwordx2 v[3:4], v[1:2]
.LBB291_35:
	s_endpgm
	.section	.rodata,"a",@progbits
	.p2align	6, 0x0
	.amdhsa_kernel _ZL32rocblas_gemvt_warp_reduce_kernelILb1ELi1024ElPKddKPdEviiT3_lPKT2_lT1_lS7_lS8_lS4_lPT4_lS8_li
		.amdhsa_group_segment_fixed_size 256
		.amdhsa_private_segment_fixed_size 0
		.amdhsa_kernarg_size 140
		.amdhsa_user_sgpr_count 6
		.amdhsa_user_sgpr_private_segment_buffer 1
		.amdhsa_user_sgpr_dispatch_ptr 0
		.amdhsa_user_sgpr_queue_ptr 0
		.amdhsa_user_sgpr_kernarg_segment_ptr 1
		.amdhsa_user_sgpr_dispatch_id 0
		.amdhsa_user_sgpr_flat_scratch_init 0
		.amdhsa_user_sgpr_private_segment_size 0
		.amdhsa_wavefront_size32 1
		.amdhsa_uses_dynamic_stack 0
		.amdhsa_system_sgpr_private_segment_wavefront_offset 0
		.amdhsa_system_sgpr_workgroup_id_x 1
		.amdhsa_system_sgpr_workgroup_id_y 0
		.amdhsa_system_sgpr_workgroup_id_z 1
		.amdhsa_system_sgpr_workgroup_info 0
		.amdhsa_system_vgpr_workitem_id 0
		.amdhsa_next_free_vgpr 14
		.amdhsa_next_free_sgpr 28
		.amdhsa_reserve_vcc 1
		.amdhsa_reserve_flat_scratch 0
		.amdhsa_float_round_mode_32 0
		.amdhsa_float_round_mode_16_64 0
		.amdhsa_float_denorm_mode_32 3
		.amdhsa_float_denorm_mode_16_64 3
		.amdhsa_dx10_clamp 1
		.amdhsa_ieee_mode 1
		.amdhsa_fp16_overflow 0
		.amdhsa_workgroup_processor_mode 1
		.amdhsa_memory_ordered 1
		.amdhsa_forward_progress 1
		.amdhsa_shared_vgpr_count 0
		.amdhsa_exception_fp_ieee_invalid_op 0
		.amdhsa_exception_fp_denorm_src 0
		.amdhsa_exception_fp_ieee_div_zero 0
		.amdhsa_exception_fp_ieee_overflow 0
		.amdhsa_exception_fp_ieee_underflow 0
		.amdhsa_exception_fp_ieee_inexact 0
		.amdhsa_exception_int_div_zero 0
	.end_amdhsa_kernel
	.section	.text._ZL32rocblas_gemvt_warp_reduce_kernelILb1ELi1024ElPKddKPdEviiT3_lPKT2_lT1_lS7_lS8_lS4_lPT4_lS8_li,"axG",@progbits,_ZL32rocblas_gemvt_warp_reduce_kernelILb1ELi1024ElPKddKPdEviiT3_lPKT2_lT1_lS7_lS8_lS4_lPT4_lS8_li,comdat
.Lfunc_end291:
	.size	_ZL32rocblas_gemvt_warp_reduce_kernelILb1ELi1024ElPKddKPdEviiT3_lPKT2_lT1_lS7_lS8_lS4_lPT4_lS8_li, .Lfunc_end291-_ZL32rocblas_gemvt_warp_reduce_kernelILb1ELi1024ElPKddKPdEviiT3_lPKT2_lT1_lS7_lS8_lS4_lPT4_lS8_li
                                        ; -- End function
	.set _ZL32rocblas_gemvt_warp_reduce_kernelILb1ELi1024ElPKddKPdEviiT3_lPKT2_lT1_lS7_lS8_lS4_lPT4_lS8_li.num_vgpr, 14
	.set _ZL32rocblas_gemvt_warp_reduce_kernelILb1ELi1024ElPKddKPdEviiT3_lPKT2_lT1_lS7_lS8_lS4_lPT4_lS8_li.num_agpr, 0
	.set _ZL32rocblas_gemvt_warp_reduce_kernelILb1ELi1024ElPKddKPdEviiT3_lPKT2_lT1_lS7_lS8_lS4_lPT4_lS8_li.numbered_sgpr, 28
	.set _ZL32rocblas_gemvt_warp_reduce_kernelILb1ELi1024ElPKddKPdEviiT3_lPKT2_lT1_lS7_lS8_lS4_lPT4_lS8_li.num_named_barrier, 0
	.set _ZL32rocblas_gemvt_warp_reduce_kernelILb1ELi1024ElPKddKPdEviiT3_lPKT2_lT1_lS7_lS8_lS4_lPT4_lS8_li.private_seg_size, 0
	.set _ZL32rocblas_gemvt_warp_reduce_kernelILb1ELi1024ElPKddKPdEviiT3_lPKT2_lT1_lS7_lS8_lS4_lPT4_lS8_li.uses_vcc, 1
	.set _ZL32rocblas_gemvt_warp_reduce_kernelILb1ELi1024ElPKddKPdEviiT3_lPKT2_lT1_lS7_lS8_lS4_lPT4_lS8_li.uses_flat_scratch, 0
	.set _ZL32rocblas_gemvt_warp_reduce_kernelILb1ELi1024ElPKddKPdEviiT3_lPKT2_lT1_lS7_lS8_lS4_lPT4_lS8_li.has_dyn_sized_stack, 0
	.set _ZL32rocblas_gemvt_warp_reduce_kernelILb1ELi1024ElPKddKPdEviiT3_lPKT2_lT1_lS7_lS8_lS4_lPT4_lS8_li.has_recursion, 0
	.set _ZL32rocblas_gemvt_warp_reduce_kernelILb1ELi1024ElPKddKPdEviiT3_lPKT2_lT1_lS7_lS8_lS4_lPT4_lS8_li.has_indirect_call, 0
	.section	.AMDGPU.csdata,"",@progbits
; Kernel info:
; codeLenInByte = 1624
; TotalNumSgprs: 30
; NumVgprs: 14
; ScratchSize: 0
; MemoryBound: 0
; FloatMode: 240
; IeeeMode: 1
; LDSByteSize: 256 bytes/workgroup (compile time only)
; SGPRBlocks: 0
; VGPRBlocks: 1
; NumSGPRsForWavesPerEU: 30
; NumVGPRsForWavesPerEU: 14
; Occupancy: 16
; WaveLimiterHint : 1
; COMPUTE_PGM_RSRC2:SCRATCH_EN: 0
; COMPUTE_PGM_RSRC2:USER_SGPR: 6
; COMPUTE_PGM_RSRC2:TRAP_HANDLER: 0
; COMPUTE_PGM_RSRC2:TGID_X_EN: 1
; COMPUTE_PGM_RSRC2:TGID_Y_EN: 0
; COMPUTE_PGM_RSRC2:TGID_Z_EN: 1
; COMPUTE_PGM_RSRC2:TIDIG_COMP_CNT: 0
	.section	.text._ZL34rocblas_gemvn_sm_mn_batched_kernelILi32ELi24EPK19rocblas_complex_numIfES3_KPS1_EviiT2_lPKT1_lilS9_lilS6_lPT3_lili,"axG",@progbits,_ZL34rocblas_gemvn_sm_mn_batched_kernelILi32ELi24EPK19rocblas_complex_numIfES3_KPS1_EviiT2_lPKT1_lilS9_lilS6_lPT3_lili,comdat
	.globl	_ZL34rocblas_gemvn_sm_mn_batched_kernelILi32ELi24EPK19rocblas_complex_numIfES3_KPS1_EviiT2_lPKT1_lilS9_lilS6_lPT3_lili ; -- Begin function _ZL34rocblas_gemvn_sm_mn_batched_kernelILi32ELi24EPK19rocblas_complex_numIfES3_KPS1_EviiT2_lPKT1_lilS9_lilS6_lPT3_lili
	.p2align	8
	.type	_ZL34rocblas_gemvn_sm_mn_batched_kernelILi32ELi24EPK19rocblas_complex_numIfES3_KPS1_EviiT2_lPKT1_lilS9_lilS6_lPT3_lili,@function
_ZL34rocblas_gemvn_sm_mn_batched_kernelILi32ELi24EPK19rocblas_complex_numIfES3_KPS1_EviiT2_lPKT1_lilS9_lilS6_lPT3_lili: ; @_ZL34rocblas_gemvn_sm_mn_batched_kernelILi32ELi24EPK19rocblas_complex_numIfES3_KPS1_EviiT2_lPKT1_lilS9_lilS6_lPT3_lili
; %bb.0:
	s_endpgm
	.section	.rodata,"a",@progbits
	.p2align	6, 0x0
	.amdhsa_kernel _ZL34rocblas_gemvn_sm_mn_batched_kernelILi32ELi24EPK19rocblas_complex_numIfES3_KPS1_EviiT2_lPKT1_lilS9_lilS6_lPT3_lili
		.amdhsa_group_segment_fixed_size 0
		.amdhsa_private_segment_fixed_size 0
		.amdhsa_kernarg_size 140
		.amdhsa_user_sgpr_count 6
		.amdhsa_user_sgpr_private_segment_buffer 1
		.amdhsa_user_sgpr_dispatch_ptr 0
		.amdhsa_user_sgpr_queue_ptr 0
		.amdhsa_user_sgpr_kernarg_segment_ptr 1
		.amdhsa_user_sgpr_dispatch_id 0
		.amdhsa_user_sgpr_flat_scratch_init 0
		.amdhsa_user_sgpr_private_segment_size 0
		.amdhsa_wavefront_size32 1
		.amdhsa_uses_dynamic_stack 0
		.amdhsa_system_sgpr_private_segment_wavefront_offset 0
		.amdhsa_system_sgpr_workgroup_id_x 1
		.amdhsa_system_sgpr_workgroup_id_y 0
		.amdhsa_system_sgpr_workgroup_id_z 0
		.amdhsa_system_sgpr_workgroup_info 0
		.amdhsa_system_vgpr_workitem_id 0
		.amdhsa_next_free_vgpr 1
		.amdhsa_next_free_sgpr 1
		.amdhsa_reserve_vcc 0
		.amdhsa_reserve_flat_scratch 0
		.amdhsa_float_round_mode_32 0
		.amdhsa_float_round_mode_16_64 0
		.amdhsa_float_denorm_mode_32 3
		.amdhsa_float_denorm_mode_16_64 3
		.amdhsa_dx10_clamp 1
		.amdhsa_ieee_mode 1
		.amdhsa_fp16_overflow 0
		.amdhsa_workgroup_processor_mode 1
		.amdhsa_memory_ordered 1
		.amdhsa_forward_progress 1
		.amdhsa_shared_vgpr_count 0
		.amdhsa_exception_fp_ieee_invalid_op 0
		.amdhsa_exception_fp_denorm_src 0
		.amdhsa_exception_fp_ieee_div_zero 0
		.amdhsa_exception_fp_ieee_overflow 0
		.amdhsa_exception_fp_ieee_underflow 0
		.amdhsa_exception_fp_ieee_inexact 0
		.amdhsa_exception_int_div_zero 0
	.end_amdhsa_kernel
	.section	.text._ZL34rocblas_gemvn_sm_mn_batched_kernelILi32ELi24EPK19rocblas_complex_numIfES3_KPS1_EviiT2_lPKT1_lilS9_lilS6_lPT3_lili,"axG",@progbits,_ZL34rocblas_gemvn_sm_mn_batched_kernelILi32ELi24EPK19rocblas_complex_numIfES3_KPS1_EviiT2_lPKT1_lilS9_lilS6_lPT3_lili,comdat
.Lfunc_end292:
	.size	_ZL34rocblas_gemvn_sm_mn_batched_kernelILi32ELi24EPK19rocblas_complex_numIfES3_KPS1_EviiT2_lPKT1_lilS9_lilS6_lPT3_lili, .Lfunc_end292-_ZL34rocblas_gemvn_sm_mn_batched_kernelILi32ELi24EPK19rocblas_complex_numIfES3_KPS1_EviiT2_lPKT1_lilS9_lilS6_lPT3_lili
                                        ; -- End function
	.set _ZL34rocblas_gemvn_sm_mn_batched_kernelILi32ELi24EPK19rocblas_complex_numIfES3_KPS1_EviiT2_lPKT1_lilS9_lilS6_lPT3_lili.num_vgpr, 0
	.set _ZL34rocblas_gemvn_sm_mn_batched_kernelILi32ELi24EPK19rocblas_complex_numIfES3_KPS1_EviiT2_lPKT1_lilS9_lilS6_lPT3_lili.num_agpr, 0
	.set _ZL34rocblas_gemvn_sm_mn_batched_kernelILi32ELi24EPK19rocblas_complex_numIfES3_KPS1_EviiT2_lPKT1_lilS9_lilS6_lPT3_lili.numbered_sgpr, 0
	.set _ZL34rocblas_gemvn_sm_mn_batched_kernelILi32ELi24EPK19rocblas_complex_numIfES3_KPS1_EviiT2_lPKT1_lilS9_lilS6_lPT3_lili.num_named_barrier, 0
	.set _ZL34rocblas_gemvn_sm_mn_batched_kernelILi32ELi24EPK19rocblas_complex_numIfES3_KPS1_EviiT2_lPKT1_lilS9_lilS6_lPT3_lili.private_seg_size, 0
	.set _ZL34rocblas_gemvn_sm_mn_batched_kernelILi32ELi24EPK19rocblas_complex_numIfES3_KPS1_EviiT2_lPKT1_lilS9_lilS6_lPT3_lili.uses_vcc, 0
	.set _ZL34rocblas_gemvn_sm_mn_batched_kernelILi32ELi24EPK19rocblas_complex_numIfES3_KPS1_EviiT2_lPKT1_lilS9_lilS6_lPT3_lili.uses_flat_scratch, 0
	.set _ZL34rocblas_gemvn_sm_mn_batched_kernelILi32ELi24EPK19rocblas_complex_numIfES3_KPS1_EviiT2_lPKT1_lilS9_lilS6_lPT3_lili.has_dyn_sized_stack, 0
	.set _ZL34rocblas_gemvn_sm_mn_batched_kernelILi32ELi24EPK19rocblas_complex_numIfES3_KPS1_EviiT2_lPKT1_lilS9_lilS6_lPT3_lili.has_recursion, 0
	.set _ZL34rocblas_gemvn_sm_mn_batched_kernelILi32ELi24EPK19rocblas_complex_numIfES3_KPS1_EviiT2_lPKT1_lilS9_lilS6_lPT3_lili.has_indirect_call, 0
	.section	.AMDGPU.csdata,"",@progbits
; Kernel info:
; codeLenInByte = 4
; TotalNumSgprs: 0
; NumVgprs: 0
; ScratchSize: 0
; MemoryBound: 0
; FloatMode: 240
; IeeeMode: 1
; LDSByteSize: 0 bytes/workgroup (compile time only)
; SGPRBlocks: 0
; VGPRBlocks: 0
; NumSGPRsForWavesPerEU: 1
; NumVGPRsForWavesPerEU: 1
; Occupancy: 16
; WaveLimiterHint : 0
; COMPUTE_PGM_RSRC2:SCRATCH_EN: 0
; COMPUTE_PGM_RSRC2:USER_SGPR: 6
; COMPUTE_PGM_RSRC2:TRAP_HANDLER: 0
; COMPUTE_PGM_RSRC2:TGID_X_EN: 1
; COMPUTE_PGM_RSRC2:TGID_Y_EN: 0
; COMPUTE_PGM_RSRC2:TGID_Z_EN: 0
; COMPUTE_PGM_RSRC2:TIDIG_COMP_CNT: 0
	.section	.text._ZL34rocblas_gemvn_sm_mn_batched_kernelILi32ELi24EPK19rocblas_complex_numIfES1_KPS1_EviiT2_lPKT1_lilS9_lilS6_lPT3_lili,"axG",@progbits,_ZL34rocblas_gemvn_sm_mn_batched_kernelILi32ELi24EPK19rocblas_complex_numIfES1_KPS1_EviiT2_lPKT1_lilS9_lilS6_lPT3_lili,comdat
	.globl	_ZL34rocblas_gemvn_sm_mn_batched_kernelILi32ELi24EPK19rocblas_complex_numIfES1_KPS1_EviiT2_lPKT1_lilS9_lilS6_lPT3_lili ; -- Begin function _ZL34rocblas_gemvn_sm_mn_batched_kernelILi32ELi24EPK19rocblas_complex_numIfES1_KPS1_EviiT2_lPKT1_lilS9_lilS6_lPT3_lili
	.p2align	8
	.type	_ZL34rocblas_gemvn_sm_mn_batched_kernelILi32ELi24EPK19rocblas_complex_numIfES1_KPS1_EviiT2_lPKT1_lilS9_lilS6_lPT3_lili,@function
_ZL34rocblas_gemvn_sm_mn_batched_kernelILi32ELi24EPK19rocblas_complex_numIfES1_KPS1_EviiT2_lPKT1_lilS9_lilS6_lPT3_lili: ; @_ZL34rocblas_gemvn_sm_mn_batched_kernelILi32ELi24EPK19rocblas_complex_numIfES1_KPS1_EviiT2_lPKT1_lilS9_lilS6_lPT3_lili
; %bb.0:
	s_endpgm
	.section	.rodata,"a",@progbits
	.p2align	6, 0x0
	.amdhsa_kernel _ZL34rocblas_gemvn_sm_mn_batched_kernelILi32ELi24EPK19rocblas_complex_numIfES1_KPS1_EviiT2_lPKT1_lilS9_lilS6_lPT3_lili
		.amdhsa_group_segment_fixed_size 0
		.amdhsa_private_segment_fixed_size 0
		.amdhsa_kernarg_size 140
		.amdhsa_user_sgpr_count 6
		.amdhsa_user_sgpr_private_segment_buffer 1
		.amdhsa_user_sgpr_dispatch_ptr 0
		.amdhsa_user_sgpr_queue_ptr 0
		.amdhsa_user_sgpr_kernarg_segment_ptr 1
		.amdhsa_user_sgpr_dispatch_id 0
		.amdhsa_user_sgpr_flat_scratch_init 0
		.amdhsa_user_sgpr_private_segment_size 0
		.amdhsa_wavefront_size32 1
		.amdhsa_uses_dynamic_stack 0
		.amdhsa_system_sgpr_private_segment_wavefront_offset 0
		.amdhsa_system_sgpr_workgroup_id_x 1
		.amdhsa_system_sgpr_workgroup_id_y 0
		.amdhsa_system_sgpr_workgroup_id_z 0
		.amdhsa_system_sgpr_workgroup_info 0
		.amdhsa_system_vgpr_workitem_id 0
		.amdhsa_next_free_vgpr 1
		.amdhsa_next_free_sgpr 1
		.amdhsa_reserve_vcc 0
		.amdhsa_reserve_flat_scratch 0
		.amdhsa_float_round_mode_32 0
		.amdhsa_float_round_mode_16_64 0
		.amdhsa_float_denorm_mode_32 3
		.amdhsa_float_denorm_mode_16_64 3
		.amdhsa_dx10_clamp 1
		.amdhsa_ieee_mode 1
		.amdhsa_fp16_overflow 0
		.amdhsa_workgroup_processor_mode 1
		.amdhsa_memory_ordered 1
		.amdhsa_forward_progress 1
		.amdhsa_shared_vgpr_count 0
		.amdhsa_exception_fp_ieee_invalid_op 0
		.amdhsa_exception_fp_denorm_src 0
		.amdhsa_exception_fp_ieee_div_zero 0
		.amdhsa_exception_fp_ieee_overflow 0
		.amdhsa_exception_fp_ieee_underflow 0
		.amdhsa_exception_fp_ieee_inexact 0
		.amdhsa_exception_int_div_zero 0
	.end_amdhsa_kernel
	.section	.text._ZL34rocblas_gemvn_sm_mn_batched_kernelILi32ELi24EPK19rocblas_complex_numIfES1_KPS1_EviiT2_lPKT1_lilS9_lilS6_lPT3_lili,"axG",@progbits,_ZL34rocblas_gemvn_sm_mn_batched_kernelILi32ELi24EPK19rocblas_complex_numIfES1_KPS1_EviiT2_lPKT1_lilS9_lilS6_lPT3_lili,comdat
.Lfunc_end293:
	.size	_ZL34rocblas_gemvn_sm_mn_batched_kernelILi32ELi24EPK19rocblas_complex_numIfES1_KPS1_EviiT2_lPKT1_lilS9_lilS6_lPT3_lili, .Lfunc_end293-_ZL34rocblas_gemvn_sm_mn_batched_kernelILi32ELi24EPK19rocblas_complex_numIfES1_KPS1_EviiT2_lPKT1_lilS9_lilS6_lPT3_lili
                                        ; -- End function
	.set _ZL34rocblas_gemvn_sm_mn_batched_kernelILi32ELi24EPK19rocblas_complex_numIfES1_KPS1_EviiT2_lPKT1_lilS9_lilS6_lPT3_lili.num_vgpr, 0
	.set _ZL34rocblas_gemvn_sm_mn_batched_kernelILi32ELi24EPK19rocblas_complex_numIfES1_KPS1_EviiT2_lPKT1_lilS9_lilS6_lPT3_lili.num_agpr, 0
	.set _ZL34rocblas_gemvn_sm_mn_batched_kernelILi32ELi24EPK19rocblas_complex_numIfES1_KPS1_EviiT2_lPKT1_lilS9_lilS6_lPT3_lili.numbered_sgpr, 0
	.set _ZL34rocblas_gemvn_sm_mn_batched_kernelILi32ELi24EPK19rocblas_complex_numIfES1_KPS1_EviiT2_lPKT1_lilS9_lilS6_lPT3_lili.num_named_barrier, 0
	.set _ZL34rocblas_gemvn_sm_mn_batched_kernelILi32ELi24EPK19rocblas_complex_numIfES1_KPS1_EviiT2_lPKT1_lilS9_lilS6_lPT3_lili.private_seg_size, 0
	.set _ZL34rocblas_gemvn_sm_mn_batched_kernelILi32ELi24EPK19rocblas_complex_numIfES1_KPS1_EviiT2_lPKT1_lilS9_lilS6_lPT3_lili.uses_vcc, 0
	.set _ZL34rocblas_gemvn_sm_mn_batched_kernelILi32ELi24EPK19rocblas_complex_numIfES1_KPS1_EviiT2_lPKT1_lilS9_lilS6_lPT3_lili.uses_flat_scratch, 0
	.set _ZL34rocblas_gemvn_sm_mn_batched_kernelILi32ELi24EPK19rocblas_complex_numIfES1_KPS1_EviiT2_lPKT1_lilS9_lilS6_lPT3_lili.has_dyn_sized_stack, 0
	.set _ZL34rocblas_gemvn_sm_mn_batched_kernelILi32ELi24EPK19rocblas_complex_numIfES1_KPS1_EviiT2_lPKT1_lilS9_lilS6_lPT3_lili.has_recursion, 0
	.set _ZL34rocblas_gemvn_sm_mn_batched_kernelILi32ELi24EPK19rocblas_complex_numIfES1_KPS1_EviiT2_lPKT1_lilS9_lilS6_lPT3_lili.has_indirect_call, 0
	.section	.AMDGPU.csdata,"",@progbits
; Kernel info:
; codeLenInByte = 4
; TotalNumSgprs: 0
; NumVgprs: 0
; ScratchSize: 0
; MemoryBound: 0
; FloatMode: 240
; IeeeMode: 1
; LDSByteSize: 0 bytes/workgroup (compile time only)
; SGPRBlocks: 0
; VGPRBlocks: 0
; NumSGPRsForWavesPerEU: 1
; NumVGPRsForWavesPerEU: 1
; Occupancy: 16
; WaveLimiterHint : 0
; COMPUTE_PGM_RSRC2:SCRATCH_EN: 0
; COMPUTE_PGM_RSRC2:USER_SGPR: 6
; COMPUTE_PGM_RSRC2:TRAP_HANDLER: 0
; COMPUTE_PGM_RSRC2:TGID_X_EN: 1
; COMPUTE_PGM_RSRC2:TGID_Y_EN: 0
; COMPUTE_PGM_RSRC2:TGID_Z_EN: 0
; COMPUTE_PGM_RSRC2:TIDIG_COMP_CNT: 0
	.section	.text._ZL20rocblas_gemvn_kernelILi64ELi4EiPK19rocblas_complex_numIfES3_KPS1_EviiT3_lPKT2_lT1_lS9_lSA_lS6_lPT4_lSA_li,"axG",@progbits,_ZL20rocblas_gemvn_kernelILi64ELi4EiPK19rocblas_complex_numIfES3_KPS1_EviiT3_lPKT2_lT1_lS9_lSA_lS6_lPT4_lSA_li,comdat
	.globl	_ZL20rocblas_gemvn_kernelILi64ELi4EiPK19rocblas_complex_numIfES3_KPS1_EviiT3_lPKT2_lT1_lS9_lSA_lS6_lPT4_lSA_li ; -- Begin function _ZL20rocblas_gemvn_kernelILi64ELi4EiPK19rocblas_complex_numIfES3_KPS1_EviiT3_lPKT2_lT1_lS9_lSA_lS6_lPT4_lSA_li
	.p2align	8
	.type	_ZL20rocblas_gemvn_kernelILi64ELi4EiPK19rocblas_complex_numIfES3_KPS1_EviiT3_lPKT2_lT1_lS9_lSA_lS6_lPT4_lSA_li,@function
_ZL20rocblas_gemvn_kernelILi64ELi4EiPK19rocblas_complex_numIfES3_KPS1_EviiT3_lPKT2_lT1_lS9_lSA_lS6_lPT4_lSA_li: ; @_ZL20rocblas_gemvn_kernelILi64ELi4EiPK19rocblas_complex_numIfES3_KPS1_EviiT3_lPKT2_lT1_lS9_lSA_lS6_lPT4_lSA_li
; %bb.0:
	s_load_dwordx2 s[2:3], s[4:5], 0x9c
	s_waitcnt lgkmcnt(0)
	s_lshr_b32 s1, s2, 16
	s_and_b32 s2, s2, 0xffff
	s_and_b32 s3, s3, 0xffff
	s_mul_i32 s1, s1, s2
	s_mul_i32 s1, s1, s3
	s_cmpk_lg_i32 s1, 0x100
	s_cbranch_scc1 .LBB294_51
; %bb.1:
	s_clause 0x1
	s_load_dwordx8 s[16:23], s[4:5], 0x8
	s_load_dwordx8 s[8:15], s[4:5], 0x58
	s_mov_b32 s0, s7
	s_waitcnt lgkmcnt(0)
	s_mul_i32 s1, s19, s7
	s_mul_hi_u32 s3, s18, s7
	s_mul_i32 s2, s18, s7
	s_add_i32 s3, s3, s1
	s_mul_i32 s1, s11, s7
	s_lshl_b64 s[2:3], s[2:3], 3
	s_add_u32 s2, s16, s2
	s_addc_u32 s3, s17, s3
	s_load_dwordx2 s[16:17], s[2:3], 0x0
	s_mul_hi_u32 s3, s10, s7
	s_mul_i32 s2, s10, s7
	s_add_i32 s3, s3, s1
	s_lshl_b64 s[2:3], s[2:3], 3
	s_add_u32 s2, s8, s2
	s_addc_u32 s3, s9, s3
	s_load_dwordx2 s[8:9], s[2:3], 0x0
	s_waitcnt lgkmcnt(0)
	v_cmp_neq_f32_e64 s1, s16, 0
	v_cmp_neq_f32_e64 s2, s17, 0
	s_or_b32 s2, s1, s2
	s_mov_b32 s1, 0
	s_and_b32 vcc_lo, exec_lo, s2
	s_mov_b32 s2, -1
	s_cbranch_vccnz .LBB294_3
; %bb.2:
	v_cmp_neq_f32_e64 s2, s8, 1.0
	v_cmp_neq_f32_e64 s3, s9, 0
	s_or_b32 s2, s2, s3
.LBB294_3:
	s_andn2_b32 vcc_lo, exec_lo, s2
	s_cbranch_vccnz .LBB294_51
; %bb.4:
	s_or_b32 s2, s16, s17
	s_mov_b64 s[24:25], 0
	s_bitset0_b32 s2, 31
	s_mov_b64 s[18:19], 0
	s_cmp_lg_u32 s2, 0
	s_cselect_b32 s3, -1, 0
	s_cmp_eq_u32 s2, 0
	s_cselect_b32 s2, -1, 0
	s_and_b32 vcc_lo, exec_lo, s2
	s_cbranch_vccnz .LBB294_6
; %bb.5:
	s_lshl_b64 s[10:11], s[0:1], 3
	s_add_u32 s10, s20, s10
	s_addc_u32 s11, s21, s11
	s_lshl_b64 s[18:19], s[22:23], 3
	s_load_dwordx2 s[10:11], s[10:11], 0x0
	s_waitcnt lgkmcnt(0)
	s_add_u32 s18, s10, s18
	s_addc_u32 s19, s11, s19
.LBB294_6:
	s_andn2_b32 vcc_lo, exec_lo, s3
	s_cbranch_vccnz .LBB294_8
; %bb.7:
	s_load_dwordx4 s[20:23], s[4:5], 0x38
	s_lshl_b64 s[10:11], s[0:1], 3
	s_waitcnt lgkmcnt(0)
	s_add_u32 s10, s20, s10
	s_addc_u32 s11, s21, s11
	s_lshl_b64 s[20:21], s[22:23], 3
	s_load_dwordx2 s[10:11], s[10:11], 0x0
	s_waitcnt lgkmcnt(0)
	s_add_u32 s24, s10, s20
	s_addc_u32 s25, s11, s21
.LBB294_8:
	s_lshl_b64 s[0:1], s[0:1], 3
	v_lshlrev_b32_e32 v54, 6, v1
	s_add_u32 s0, s12, s0
	s_addc_u32 s1, s13, s1
	s_lshl_b64 s[14:15], s[14:15], 3
	s_load_dwordx2 s[20:21], s[0:1], 0x0
	s_clause 0x1
	s_load_dwordx2 s[10:11], s[4:5], 0x0
	s_load_dword s13, s[4:5], 0x78
	v_add_nc_u32_e32 v53, v54, v0
	s_mov_b32 s1, -1
	v_cmp_gt_u32_e64 s0, 0x100, v53
	s_waitcnt lgkmcnt(0)
	s_add_u32 s7, s20, s14
	s_addc_u32 s12, s21, s15
	s_andn2_b32 vcc_lo, exec_lo, s2
	s_cbranch_vccnz .LBB294_15
; %bb.9:
	s_and_saveexec_b32 s1, s0
	s_cbranch_execz .LBB294_14
; %bb.10:
	v_lshl_or_b32 v2, s6, 8, v53
	v_mov_b32_e32 v3, 0
	s_ashr_i32 s3, s10, 31
	s_mov_b32 s2, s10
	v_cmp_gt_i64_e32 vcc_lo, s[2:3], v[2:3]
	s_and_b32 exec_lo, exec_lo, vcc_lo
	s_cbranch_execz .LBB294_14
; %bb.11:
	v_mad_u64_u32 v[4:5], null, s13, v2, 0
	s_ashr_i32 s3, s13, 31
	v_cmp_neq_f32_e64 s0, s8, 0
	v_cmp_neq_f32_e64 s2, s9, 0
	v_mad_u64_u32 v[5:6], null, s3, v2, v[5:6]
	v_mov_b32_e32 v6, v3
	s_or_b32 s0, s0, s2
	s_andn2_b32 vcc_lo, exec_lo, s0
	v_lshlrev_b64 v[4:5], 3, v[4:5]
	s_cbranch_vccnz .LBB294_13
; %bb.12:
	v_add_co_u32 v2, vcc_lo, s7, v4
	v_add_co_ci_u32_e64 v3, null, s12, v5, vcc_lo
	flat_load_dwordx2 v[2:3], v[2:3]
	s_waitcnt vmcnt(0) lgkmcnt(0)
	v_mul_f32_e32 v7, s9, v3
	v_mul_f32_e32 v6, s8, v3
	v_fma_f32 v3, s8, v2, -v7
	v_fmac_f32_e32 v6, s9, v2
.LBB294_13:
	v_add_co_u32 v7, vcc_lo, s7, v4
	v_add_co_ci_u32_e64 v8, null, s12, v5, vcc_lo
	v_mov_b32_e32 v5, v3
	flat_store_dwordx2 v[7:8], v[5:6]
.LBB294_14:
	s_or_b32 exec_lo, exec_lo, s1
	s_mov_b32 s1, 0
.LBB294_15:
	s_andn2_b32 vcc_lo, exec_lo, s1
	s_cbranch_vccnz .LBB294_51
; %bb.16:
	s_clause 0x1
	s_load_dword s14, s[4:5], 0x28
	s_load_dword s4, s[4:5], 0x48
	s_ashr_i32 s0, s11, 31
	s_lshl_b32 s5, s6, 8
	s_lshr_b32 s0, s0, 28
	v_lshlrev_b32_e32 v56, 2, v1
	v_or_b32_e32 v55, s5, v0
	v_mov_b32_e32 v3, 0
	v_mov_b32_e32 v2, 0
	;; [unrolled: 1-line block ×8, first 2 shown]
	s_add_i32 s0, s11, s0
	s_mov_b32 s15, exec_lo
	s_and_b32 s6, s0, -16
	v_cmpx_gt_i32_e64 s6, v56
	s_cbranch_execz .LBB294_28
; %bb.17:
	s_waitcnt lgkmcnt(0)
	v_mul_lo_u32 v3, s14, v56
	v_add_nc_u32_e32 v2, 64, v55
	v_add_nc_u32_e32 v4, 0x80, v55
	;; [unrolled: 1-line block ×3, first 2 shown]
	s_lshl_b32 s20, s14, 4
	s_lshl_b32 s22, s4, 4
	v_cmp_gt_i32_e64 s0, s10, v2
	v_add_nc_u32_e32 v2, 2, v56
	v_add3_u32 v57, v3, s14, v0
	v_mul_lo_u32 v3, v1, s14
	v_cmp_gt_i32_e64 s1, s10, v4
	v_add_nc_u32_e32 v4, 3, v56
	v_cmp_gt_i32_e64 s2, s10, v5
	v_mul_lo_u32 v5, v1, s4
	v_mad_u64_u32 v[10:11], null, s14, v2, v[0:1]
	v_mad_u64_u32 v[11:12], null, s14, v4, v[0:1]
	v_lshl_add_u32 v58, v3, 2, v0
	v_mov_b32_e32 v3, 0
	v_mad_u64_u32 v[12:13], null, s4, v56, s[4:5]
	v_mul_lo_u32 v59, s4, v2
	v_mul_lo_u32 v60, s4, v4
	v_lshlrev_b32_e32 v61, 2, v5
	v_mov_b32_e32 v2, v3
	v_mov_b32_e32 v5, v3
	;; [unrolled: 1-line block ×7, first 2 shown]
	s_mov_b32 s21, 0
	s_mov_b32 s23, 0
	v_cmp_gt_i32_e32 vcc_lo, s10, v55
	s_branch .LBB294_22
.LBB294_18:                             ;   in Loop: Header=BB294_22 Depth=1
	s_or_b32 exec_lo, exec_lo, s28
	s_waitcnt vmcnt(3) lgkmcnt(3)
	v_mul_f32_e32 v45, v26, v44
	v_mul_f32_e32 v44, v25, v44
	s_waitcnt vmcnt(2) lgkmcnt(2)
	v_mul_f32_e32 v46, v22, v42
	v_mul_f32_e32 v42, v21, v42
	s_waitcnt vmcnt(1) lgkmcnt(1)
	v_mul_f32_e32 v47, v16, v40
	v_fma_f32 v45, v25, v43, -v45
	v_fmac_f32_e32 v44, v26, v43
	v_mul_f32_e32 v40, v15, v40
	v_fma_f32 v46, v21, v41, -v46
	v_fmac_f32_e32 v42, v22, v41
	v_add_f32_e32 v4, v4, v45
	v_add_f32_e32 v5, v5, v44
	s_waitcnt vmcnt(0) lgkmcnt(0)
	v_mul_f32_e32 v43, v14, v38
	v_mul_f32_e32 v38, v13, v38
	v_fma_f32 v41, v15, v39, -v47
	v_add_f32_e32 v4, v46, v4
	v_fmac_f32_e32 v40, v16, v39
	v_add_f32_e32 v5, v42, v5
	v_fma_f32 v39, v13, v37, -v43
	v_fmac_f32_e32 v38, v14, v37
	v_add_f32_e32 v4, v41, v4
	v_add_f32_e32 v5, v40, v5
	;; [unrolled: 1-line block ×4, first 2 shown]
.LBB294_19:                             ;   in Loop: Header=BB294_22 Depth=1
	s_or_b32 exec_lo, exec_lo, s27
	s_waitcnt vmcnt(3) lgkmcnt(3)
	v_mul_f32_e32 v37, v26, v36
	v_mul_f32_e32 v36, v25, v36
	s_waitcnt vmcnt(2) lgkmcnt(2)
	v_mul_f32_e32 v38, v22, v34
	v_mul_f32_e32 v34, v21, v34
	s_waitcnt vmcnt(1) lgkmcnt(1)
	v_mul_f32_e32 v39, v16, v32
	v_fma_f32 v37, v25, v35, -v37
	v_fmac_f32_e32 v36, v26, v35
	v_mul_f32_e32 v32, v15, v32
	v_fma_f32 v38, v21, v33, -v38
	v_fmac_f32_e32 v34, v22, v33
	v_add_f32_e32 v6, v6, v37
	v_add_f32_e32 v7, v7, v36
	s_waitcnt vmcnt(0) lgkmcnt(0)
	v_mul_f32_e32 v35, v14, v30
	v_mul_f32_e32 v30, v13, v30
	v_fma_f32 v33, v15, v31, -v39
	v_add_f32_e32 v6, v38, v6
	v_fmac_f32_e32 v32, v16, v31
	v_add_f32_e32 v7, v34, v7
	v_fma_f32 v31, v13, v29, -v35
	v_fmac_f32_e32 v30, v14, v29
	v_add_f32_e32 v6, v33, v6
	v_add_f32_e32 v7, v32, v7
	;; [unrolled: 1-line block ×4, first 2 shown]
.LBB294_20:                             ;   in Loop: Header=BB294_22 Depth=1
	s_or_b32 exec_lo, exec_lo, s3
	s_waitcnt vmcnt(3) lgkmcnt(3)
	v_mul_f32_e32 v29, v26, v28
	v_mul_f32_e32 v28, v25, v28
	s_waitcnt vmcnt(2) lgkmcnt(2)
	v_mul_f32_e32 v30, v22, v24
	v_mul_f32_e32 v24, v21, v24
	s_waitcnt vmcnt(1) lgkmcnt(1)
	v_mul_f32_e32 v31, v16, v20
	v_fma_f32 v25, v25, v27, -v29
	v_fmac_f32_e32 v28, v26, v27
	v_mul_f32_e32 v20, v15, v20
	v_fma_f32 v21, v21, v23, -v30
	v_fmac_f32_e32 v24, v22, v23
	v_add_f32_e32 v8, v8, v25
	v_add_f32_e32 v9, v9, v28
	s_waitcnt vmcnt(0) lgkmcnt(0)
	v_mul_f32_e32 v26, v14, v18
	v_mul_f32_e32 v18, v13, v18
	v_fma_f32 v15, v15, v19, -v31
	v_add_f32_e32 v8, v21, v8
	v_fmac_f32_e32 v20, v16, v19
	v_add_f32_e32 v9, v24, v9
	v_fma_f32 v13, v13, v17, -v26
	v_fmac_f32_e32 v18, v14, v17
	v_add_f32_e32 v8, v15, v8
	v_add_f32_e32 v9, v20, v9
	;; [unrolled: 1-line block ×4, first 2 shown]
.LBB294_21:                             ;   in Loop: Header=BB294_22 Depth=1
	s_or_b32 exec_lo, exec_lo, s26
	v_add_nc_u32_e32 v56, 16, v56
	v_add_nc_u32_e32 v57, s20, v57
	;; [unrolled: 1-line block ×5, first 2 shown]
	v_cmp_le_i32_e64 s3, s6, v56
	s_add_i32 s23, s23, s22
	s_or_b32 s21, s3, s21
	s_andn2_b32 exec_lo, exec_lo, s21
	s_cbranch_execz .LBB294_27
.LBB294_22:                             ; =>This Inner Loop Header: Depth=1
	s_and_saveexec_b32 s26, vcc_lo
	s_cbranch_execz .LBB294_21
; %bb.23:                               ;   in Loop: Header=BB294_22 Depth=1
	v_add_nc_u32_e32 v13, s23, v61
	v_add_nc_u32_e32 v15, s23, v12
	;; [unrolled: 1-line block ×5, first 2 shown]
	v_ashrrev_i32_e32 v14, 31, v13
	v_ashrrev_i32_e32 v16, 31, v15
	;; [unrolled: 1-line block ×3, first 2 shown]
	v_add_nc_u32_e32 v23, s5, v57
	v_ashrrev_i32_e32 v20, 31, v19
	v_lshlrev_b64 v[13:14], 3, v[13:14]
	v_lshlrev_b64 v[15:16], 3, v[15:16]
	v_ashrrev_i32_e32 v22, 31, v21
	v_lshlrev_b64 v[17:18], 3, v[17:18]
	v_ashrrev_i32_e32 v24, 31, v23
	v_lshlrev_b64 v[19:20], 3, v[19:20]
	v_add_co_u32 v13, s3, s24, v13
	v_add_nc_u32_e32 v25, s5, v10
	v_add_co_ci_u32_e64 v14, null, s25, v14, s3
	v_add_co_u32 v15, s3, s24, v15
	v_lshlrev_b64 v[21:22], 3, v[21:22]
	v_add_nc_u32_e32 v27, s5, v11
	v_add_co_ci_u32_e64 v16, null, s25, v16, s3
	v_add_co_u32 v17, s3, s24, v17
	v_lshlrev_b64 v[23:24], 3, v[23:24]
	v_ashrrev_i32_e32 v26, 31, v25
	v_add_co_ci_u32_e64 v18, null, s25, v18, s3
	v_add_co_u32 v19, s3, s24, v19
	v_ashrrev_i32_e32 v28, 31, v27
	v_add_co_ci_u32_e64 v20, null, s25, v20, s3
	v_add_co_u32 v51, s3, s18, v21
	v_add_co_ci_u32_e64 v52, null, s19, v22, s3
	v_lshlrev_b64 v[21:22], 3, v[25:26]
	v_add_co_u32 v49, s3, s18, v23
	v_add_co_ci_u32_e64 v50, null, s19, v24, s3
	v_lshlrev_b64 v[23:24], 3, v[27:28]
	v_add_co_u32 v47, s3, s18, v21
	v_add_co_ci_u32_e64 v48, null, s19, v22, s3
	v_add_co_u32 v45, s3, s18, v23
	v_add_co_ci_u32_e64 v46, null, s19, v24, s3
	s_clause 0x3
	flat_load_dwordx2 v[25:26], v[13:14]
	flat_load_dwordx2 v[21:22], v[15:16]
	;; [unrolled: 1-line block ×4, first 2 shown]
	s_clause 0x3
	flat_load_dwordx2 v[27:28], v[51:52]
	flat_load_dwordx2 v[23:24], v[49:50]
	;; [unrolled: 1-line block ×4, first 2 shown]
	s_and_saveexec_b32 s3, s0
	s_cbranch_execz .LBB294_20
; %bb.24:                               ;   in Loop: Header=BB294_22 Depth=1
	s_clause 0x3
	flat_load_dwordx2 v[35:36], v[51:52] offset:512
	flat_load_dwordx2 v[33:34], v[49:50] offset:512
	flat_load_dwordx2 v[31:32], v[47:48] offset:512
	flat_load_dwordx2 v[29:30], v[45:46] offset:512
	s_and_saveexec_b32 s27, s1
	s_cbranch_execz .LBB294_19
; %bb.25:                               ;   in Loop: Header=BB294_22 Depth=1
	s_clause 0x3
	flat_load_dwordx2 v[43:44], v[51:52] offset:1024
	flat_load_dwordx2 v[41:42], v[49:50] offset:1024
	flat_load_dwordx2 v[39:40], v[47:48] offset:1024
	flat_load_dwordx2 v[37:38], v[45:46] offset:1024
	;; [unrolled: 8-line block ×3, first 2 shown]
	s_waitcnt vmcnt(3) lgkmcnt(3)
	v_mul_f32_e32 v62, v26, v52
	v_mul_f32_e32 v52, v25, v52
	s_waitcnt vmcnt(2) lgkmcnt(2)
	v_mul_f32_e32 v63, v22, v50
	v_mul_f32_e32 v50, v21, v50
	s_waitcnt vmcnt(1) lgkmcnt(1)
	v_mul_f32_e32 v64, v16, v48
	v_fma_f32 v62, v25, v51, -v62
	v_fmac_f32_e32 v52, v26, v51
	v_mul_f32_e32 v48, v15, v48
	v_fma_f32 v63, v21, v49, -v63
	v_fmac_f32_e32 v50, v22, v49
	v_add_f32_e32 v2, v2, v62
	v_add_f32_e32 v3, v3, v52
	s_waitcnt vmcnt(0) lgkmcnt(0)
	v_mul_f32_e32 v51, v14, v46
	v_mul_f32_e32 v46, v13, v46
	v_fma_f32 v49, v15, v47, -v64
	v_fmac_f32_e32 v48, v16, v47
	v_add_f32_e32 v2, v63, v2
	v_add_f32_e32 v3, v50, v3
	v_fma_f32 v47, v13, v45, -v51
	v_fmac_f32_e32 v46, v14, v45
	v_add_f32_e32 v2, v49, v2
	v_add_f32_e32 v3, v48, v3
	;; [unrolled: 1-line block ×4, first 2 shown]
	s_branch .LBB294_18
.LBB294_27:
	s_or_b32 exec_lo, exec_lo, s21
.LBB294_28:
	s_or_b32 exec_lo, exec_lo, s15
	s_sub_i32 s0, s11, s6
	s_cmp_lt_i32 s0, 1
	s_cbranch_scc1 .LBB294_46
; %bb.29:
	v_cmp_gt_i32_e32 vcc_lo, s11, v56
	v_mov_b32_e32 v10, 0
	v_or_b32_e32 v18, 1, v56
	v_mov_b32_e32 v11, 0
	v_mov_b32_e32 v12, 0
	;; [unrolled: 1-line block ×7, first 2 shown]
	s_and_saveexec_b32 s1, vcc_lo
	s_cbranch_execz .LBB294_37
; %bb.30:
	s_waitcnt lgkmcnt(0)
	v_mul_lo_u32 v10, v56, s4
	v_mov_b32_e32 v17, 0
	v_mov_b32_e32 v16, 0
	;; [unrolled: 1-line block ×6, first 2 shown]
	s_mov_b32 s2, exec_lo
	v_ashrrev_i32_e32 v11, 31, v10
	v_lshlrev_b64 v[10:11], 3, v[10:11]
	v_add_co_u32 v10, s0, s24, v10
	v_add_co_ci_u32_e64 v11, null, s25, v11, s0
	flat_load_dwordx2 v[10:11], v[10:11]
	v_cmpx_gt_i32_e64 s11, v18
	s_cbranch_execz .LBB294_36
; %bb.31:
	v_mul_lo_u32 v12, v18, s4
	v_or_b32_e32 v19, 2, v56
	v_mov_b32_e32 v17, 0
	v_mov_b32_e32 v16, 0
	;; [unrolled: 1-line block ×4, first 2 shown]
	s_mov_b32 s3, exec_lo
	v_ashrrev_i32_e32 v13, 31, v12
	v_lshlrev_b64 v[12:13], 3, v[12:13]
	v_add_co_u32 v12, s0, s24, v12
	v_add_co_ci_u32_e64 v13, null, s25, v13, s0
	flat_load_dwordx2 v[12:13], v[12:13]
	v_cmpx_gt_i32_e64 s11, v19
	s_cbranch_execz .LBB294_35
; %bb.32:
	v_mul_lo_u32 v14, v19, s4
	v_or_b32_e32 v19, 3, v56
	v_mov_b32_e32 v17, 0
	v_mov_b32_e32 v16, 0
	s_mov_b32 s6, exec_lo
	v_ashrrev_i32_e32 v15, 31, v14
	v_lshlrev_b64 v[14:15], 3, v[14:15]
	v_add_co_u32 v14, s0, s24, v14
	v_add_co_ci_u32_e64 v15, null, s25, v15, s0
	flat_load_dwordx2 v[14:15], v[14:15]
	v_cmpx_gt_i32_e64 s11, v19
	s_cbranch_execz .LBB294_34
; %bb.33:
	v_mul_lo_u32 v16, v19, s4
	v_ashrrev_i32_e32 v17, 31, v16
	v_lshlrev_b64 v[16:17], 3, v[16:17]
	v_add_co_u32 v16, s0, s24, v16
	v_add_co_ci_u32_e64 v17, null, s25, v17, s0
	flat_load_dwordx2 v[16:17], v[16:17]
.LBB294_34:
	s_or_b32 exec_lo, exec_lo, s6
.LBB294_35:
	s_or_b32 exec_lo, exec_lo, s3
.LBB294_36:
	s_or_b32 exec_lo, exec_lo, s2
.LBB294_37:
	s_or_b32 exec_lo, exec_lo, s1
	s_mov_b32 s1, exec_lo
	v_cmpx_gt_i32_e64 s10, v55
	s_cbranch_execz .LBB294_45
; %bb.38:
	s_waitcnt lgkmcnt(0)
	v_mul_lo_u32 v19, v56, s14
	v_mul_lo_u32 v20, v18, s14
	v_or_b32_e32 v21, 2, v56
	v_or_b32_e32 v22, 3, v56
	s_mov_b32 s0, exec_lo
	v_mul_lo_u32 v23, v21, s14
	v_cndmask_b32_e32 v19, 0, v19, vcc_lo
	v_cmp_gt_i32_e32 vcc_lo, s11, v18
	v_mul_lo_u32 v24, v22, s14
	v_add_nc_u32_e32 v18, v19, v55
	v_cndmask_b32_e32 v20, 0, v20, vcc_lo
	v_cmp_gt_i32_e32 vcc_lo, s11, v21
	v_ashrrev_i32_e32 v19, 31, v18
	v_add_nc_u32_e32 v20, v20, v55
	v_cndmask_b32_e32 v23, 0, v23, vcc_lo
	v_cmp_gt_i32_e32 vcc_lo, s11, v22
	v_lshlrev_b64 v[18:19], 3, v[18:19]
	v_ashrrev_i32_e32 v21, 31, v20
	v_add_nc_u32_e32 v22, v23, v55
	v_cndmask_b32_e32 v24, 0, v24, vcc_lo
	v_lshlrev_b64 v[20:21], 3, v[20:21]
	v_ashrrev_i32_e32 v23, 31, v22
	v_add_nc_u32_e32 v26, v24, v55
	v_add_co_u32 v24, vcc_lo, s18, v18
	v_add_co_ci_u32_e64 v25, null, s19, v19, vcc_lo
	v_ashrrev_i32_e32 v27, 31, v26
	v_add_co_u32 v20, vcc_lo, s18, v20
	v_add_co_ci_u32_e64 v21, null, s19, v21, vcc_lo
	v_lshlrev_b64 v[18:19], 3, v[22:23]
	v_lshlrev_b64 v[26:27], 3, v[26:27]
	s_clause 0x1
	flat_load_dwordx2 v[28:29], v[24:25]
	flat_load_dwordx2 v[30:31], v[20:21]
	v_add_co_u32 v22, vcc_lo, s18, v18
	v_add_co_ci_u32_e64 v23, null, s19, v19, vcc_lo
	v_add_co_u32 v18, vcc_lo, s18, v26
	v_add_co_ci_u32_e64 v19, null, s19, v27, vcc_lo
	s_clause 0x1
	flat_load_dwordx2 v[26:27], v[22:23]
	flat_load_dwordx2 v[32:33], v[18:19]
	s_waitcnt vmcnt(3) lgkmcnt(3)
	v_mul_f32_e32 v34, v11, v29
	v_mul_f32_e32 v29, v10, v29
	s_waitcnt vmcnt(2) lgkmcnt(2)
	v_mul_f32_e32 v35, v13, v31
	v_mul_f32_e32 v31, v12, v31
	v_fma_f32 v34, v10, v28, -v34
	v_fmac_f32_e32 v29, v11, v28
	v_fma_f32 v28, v12, v30, -v35
	v_fmac_f32_e32 v31, v13, v30
	v_add_f32_e32 v8, v8, v34
	v_add_f32_e32 v29, v9, v29
	s_waitcnt vmcnt(1) lgkmcnt(1)
	v_mul_f32_e32 v30, v15, v27
	v_mul_f32_e32 v27, v14, v27
	s_waitcnt vmcnt(0) lgkmcnt(0)
	v_mul_f32_e32 v35, v17, v33
	v_mul_f32_e32 v9, v16, v33
	v_fma_f32 v30, v14, v26, -v30
	v_fmac_f32_e32 v27, v15, v26
	v_add_f32_e32 v26, v28, v8
	v_add_f32_e32 v28, v31, v29
	v_add_nc_u32_e32 v29, 64, v55
	v_fma_f32 v8, v16, v32, -v35
	v_fmac_f32_e32 v9, v17, v32
	v_add_f32_e32 v26, v30, v26
	v_add_f32_e32 v27, v27, v28
	v_cmpx_gt_i32_e64 s10, v29
	s_cbranch_execz .LBB294_44
; %bb.39:
	s_clause 0x3
	flat_load_dwordx2 v[28:29], v[24:25] offset:512
	flat_load_dwordx2 v[30:31], v[20:21] offset:512
	;; [unrolled: 1-line block ×4, first 2 shown]
	s_mov_b32 s2, exec_lo
	s_waitcnt vmcnt(3) lgkmcnt(3)
	v_mul_f32_e32 v36, v11, v29
	v_mul_f32_e32 v29, v10, v29
	s_waitcnt vmcnt(2) lgkmcnt(2)
	v_mul_f32_e32 v37, v13, v31
	v_mul_f32_e32 v31, v12, v31
	s_waitcnt vmcnt(1) lgkmcnt(1)
	v_mul_f32_e32 v38, v15, v33
	v_fma_f32 v36, v10, v28, -v36
	v_fmac_f32_e32 v29, v11, v28
	v_mul_f32_e32 v33, v14, v33
	v_fma_f32 v37, v12, v30, -v37
	v_fmac_f32_e32 v31, v13, v30
	v_add_f32_e32 v6, v6, v36
	v_add_f32_e32 v29, v7, v29
	s_waitcnt vmcnt(0) lgkmcnt(0)
	v_mul_f32_e32 v28, v17, v35
	v_mul_f32_e32 v7, v16, v35
	v_fma_f32 v30, v14, v32, -v38
	v_fmac_f32_e32 v33, v15, v32
	v_add_f32_e32 v32, v37, v6
	v_add_f32_e32 v29, v31, v29
	v_add_nc_u32_e32 v31, 0x80, v55
	v_fma_f32 v6, v16, v34, -v28
	v_fmac_f32_e32 v7, v17, v34
	v_add_f32_e32 v28, v30, v32
	v_add_f32_e32 v29, v33, v29
	v_cmpx_gt_i32_e64 s10, v31
	s_cbranch_execz .LBB294_43
; %bb.40:
	s_clause 0x3
	flat_load_dwordx2 v[30:31], v[24:25] offset:1024
	flat_load_dwordx2 v[32:33], v[20:21] offset:1024
	;; [unrolled: 1-line block ×4, first 2 shown]
	s_mov_b32 s3, exec_lo
	s_waitcnt vmcnt(3) lgkmcnt(3)
	v_mul_f32_e32 v38, v11, v31
	v_mul_f32_e32 v31, v10, v31
	s_waitcnt vmcnt(2) lgkmcnt(2)
	v_mul_f32_e32 v39, v13, v33
	v_mul_f32_e32 v33, v12, v33
	s_waitcnt vmcnt(1) lgkmcnt(1)
	v_mul_f32_e32 v40, v15, v35
	v_fma_f32 v38, v10, v30, -v38
	v_fmac_f32_e32 v31, v11, v30
	v_mul_f32_e32 v35, v14, v35
	v_fma_f32 v39, v12, v32, -v39
	v_fmac_f32_e32 v33, v13, v32
	v_add_f32_e32 v4, v4, v38
	v_add_f32_e32 v31, v5, v31
	s_waitcnt vmcnt(0) lgkmcnt(0)
	v_mul_f32_e32 v30, v17, v37
	v_mul_f32_e32 v5, v16, v37
	v_fma_f32 v32, v14, v34, -v40
	v_fmac_f32_e32 v35, v15, v34
	v_add_f32_e32 v34, v39, v4
	v_add_f32_e32 v31, v33, v31
	v_add_nc_u32_e32 v33, 0xc0, v55
	v_fma_f32 v4, v16, v36, -v30
	v_fmac_f32_e32 v5, v17, v36
	v_add_f32_e32 v30, v32, v34
	v_add_f32_e32 v31, v35, v31
	v_cmpx_gt_i32_e64 s10, v33
	s_cbranch_execz .LBB294_42
; %bb.41:
	s_clause 0x3
	flat_load_dwordx2 v[24:25], v[24:25] offset:1536
	flat_load_dwordx2 v[20:21], v[20:21] offset:1536
	;; [unrolled: 1-line block ×4, first 2 shown]
	s_waitcnt vmcnt(3) lgkmcnt(3)
	v_mul_f32_e32 v32, v11, v25
	v_mul_f32_e32 v25, v10, v25
	s_waitcnt vmcnt(2) lgkmcnt(2)
	v_mul_f32_e32 v33, v13, v21
	v_mul_f32_e32 v21, v12, v21
	s_waitcnt vmcnt(1) lgkmcnt(1)
	v_mul_f32_e32 v34, v15, v23
	v_fma_f32 v10, v10, v24, -v32
	v_fmac_f32_e32 v25, v11, v24
	v_mul_f32_e32 v23, v14, v23
	v_fma_f32 v12, v12, v20, -v33
	v_fmac_f32_e32 v21, v13, v20
	v_add_f32_e32 v2, v2, v10
	v_add_f32_e32 v3, v3, v25
	s_waitcnt vmcnt(0) lgkmcnt(0)
	v_mul_f32_e32 v11, v17, v19
	v_mul_f32_e32 v10, v16, v19
	v_fma_f32 v13, v14, v22, -v34
	v_fmac_f32_e32 v23, v15, v22
	v_add_f32_e32 v2, v12, v2
	v_add_f32_e32 v3, v21, v3
	v_fma_f32 v11, v16, v18, -v11
	v_fmac_f32_e32 v10, v17, v18
	v_add_f32_e32 v2, v13, v2
	v_add_f32_e32 v3, v23, v3
	;; [unrolled: 1-line block ×4, first 2 shown]
.LBB294_42:
	s_or_b32 exec_lo, exec_lo, s3
	v_add_f32_e32 v4, v4, v30
	v_add_f32_e32 v5, v5, v31
.LBB294_43:
	s_or_b32 exec_lo, exec_lo, s2
	v_add_f32_e32 v6, v6, v28
	v_add_f32_e32 v7, v7, v29
.LBB294_44:
	s_or_b32 exec_lo, exec_lo, s0
	v_add_f32_e32 v8, v8, v26
	v_add_f32_e32 v9, v9, v27
.LBB294_45:
	s_or_b32 exec_lo, exec_lo, s1
.LBB294_46:
	v_lshlrev_b32_e32 v0, 3, v0
	s_mov_b32 s0, exec_lo
	v_lshl_or_b32 v1, v1, 11, v0
	ds_write2st64_b64 v1, v[8:9], v[6:7] offset1:1
	ds_write2st64_b64 v1, v[4:5], v[2:3] offset0:2 offset1:3
	s_waitcnt vmcnt(0) lgkmcnt(0)
	s_waitcnt_vscnt null, 0x0
	s_barrier
	buffer_gl0_inv
	v_cmpx_gt_u32_e32 0x100, v53
	s_cbranch_execz .LBB294_51
; %bb.47:
	v_lshl_add_u32 v8, v54, 3, v0
	ds_read2st64_b64 v[0:3], v8 offset1:4
	ds_read2st64_b64 v[4:7], v8 offset0:8 offset1:12
	s_waitcnt lgkmcnt(1)
	v_add_f32_e32 v0, v0, v2
	v_add_f32_e32 v1, v1, v3
	s_waitcnt lgkmcnt(0)
	v_add_f32_e32 v2, v0, v4
	v_add_f32_e32 v1, v1, v5
	v_or_b32_e32 v0, s5, v53
	v_add_f32_e32 v2, v2, v6
	v_add_f32_e32 v3, v1, v7
	v_cmp_gt_i32_e32 vcc_lo, s10, v0
	ds_write_b64 v8, v[2:3]
	s_and_b32 exec_lo, exec_lo, vcc_lo
	s_cbranch_execz .LBB294_51
; %bb.48:
	v_mul_lo_u32 v4, s13, v0
	v_mul_f32_e32 v0, s17, v3
	v_mul_f32_e32 v1, s16, v3
	v_cmp_neq_f32_e64 s0, s8, 0
	v_cmp_neq_f32_e64 s1, s9, 0
	v_fma_f32 v0, v2, s16, -v0
	v_fmac_f32_e32 v1, s17, v2
	v_ashrrev_i32_e32 v5, 31, v4
	s_or_b32 s0, s0, s1
	s_andn2_b32 vcc_lo, exec_lo, s0
	v_lshlrev_b64 v[3:4], 3, v[4:5]
	s_cbranch_vccnz .LBB294_50
; %bb.49:
	v_add_co_u32 v5, vcc_lo, s7, v3
	v_add_co_ci_u32_e64 v6, null, s12, v4, vcc_lo
	flat_load_dwordx2 v[5:6], v[5:6]
	s_waitcnt vmcnt(0) lgkmcnt(0)
	v_mul_f32_e32 v2, s9, v6
	v_mul_f32_e32 v6, s8, v6
	v_fma_f32 v2, s8, v5, -v2
	v_fmac_f32_e32 v6, s9, v5
	v_add_f32_e32 v0, v0, v2
	v_add_f32_e32 v1, v1, v6
.LBB294_50:
	v_add_co_u32 v2, vcc_lo, s7, v3
	v_add_co_ci_u32_e64 v3, null, s12, v4, vcc_lo
	flat_store_dwordx2 v[2:3], v[0:1]
.LBB294_51:
	s_endpgm
	.section	.rodata,"a",@progbits
	.p2align	6, 0x0
	.amdhsa_kernel _ZL20rocblas_gemvn_kernelILi64ELi4EiPK19rocblas_complex_numIfES3_KPS1_EviiT3_lPKT2_lT1_lS9_lSA_lS6_lPT4_lSA_li
		.amdhsa_group_segment_fixed_size 8192
		.amdhsa_private_segment_fixed_size 0
		.amdhsa_kernarg_size 400
		.amdhsa_user_sgpr_count 6
		.amdhsa_user_sgpr_private_segment_buffer 1
		.amdhsa_user_sgpr_dispatch_ptr 0
		.amdhsa_user_sgpr_queue_ptr 0
		.amdhsa_user_sgpr_kernarg_segment_ptr 1
		.amdhsa_user_sgpr_dispatch_id 0
		.amdhsa_user_sgpr_flat_scratch_init 0
		.amdhsa_user_sgpr_private_segment_size 0
		.amdhsa_wavefront_size32 1
		.amdhsa_uses_dynamic_stack 0
		.amdhsa_system_sgpr_private_segment_wavefront_offset 0
		.amdhsa_system_sgpr_workgroup_id_x 1
		.amdhsa_system_sgpr_workgroup_id_y 0
		.amdhsa_system_sgpr_workgroup_id_z 1
		.amdhsa_system_sgpr_workgroup_info 0
		.amdhsa_system_vgpr_workitem_id 1
		.amdhsa_next_free_vgpr 65
		.amdhsa_next_free_sgpr 29
		.amdhsa_reserve_vcc 1
		.amdhsa_reserve_flat_scratch 1
		.amdhsa_float_round_mode_32 0
		.amdhsa_float_round_mode_16_64 0
		.amdhsa_float_denorm_mode_32 3
		.amdhsa_float_denorm_mode_16_64 3
		.amdhsa_dx10_clamp 1
		.amdhsa_ieee_mode 1
		.amdhsa_fp16_overflow 0
		.amdhsa_workgroup_processor_mode 1
		.amdhsa_memory_ordered 1
		.amdhsa_forward_progress 1
		.amdhsa_shared_vgpr_count 0
		.amdhsa_exception_fp_ieee_invalid_op 0
		.amdhsa_exception_fp_denorm_src 0
		.amdhsa_exception_fp_ieee_div_zero 0
		.amdhsa_exception_fp_ieee_overflow 0
		.amdhsa_exception_fp_ieee_underflow 0
		.amdhsa_exception_fp_ieee_inexact 0
		.amdhsa_exception_int_div_zero 0
	.end_amdhsa_kernel
	.section	.text._ZL20rocblas_gemvn_kernelILi64ELi4EiPK19rocblas_complex_numIfES3_KPS1_EviiT3_lPKT2_lT1_lS9_lSA_lS6_lPT4_lSA_li,"axG",@progbits,_ZL20rocblas_gemvn_kernelILi64ELi4EiPK19rocblas_complex_numIfES3_KPS1_EviiT3_lPKT2_lT1_lS9_lSA_lS6_lPT4_lSA_li,comdat
.Lfunc_end294:
	.size	_ZL20rocblas_gemvn_kernelILi64ELi4EiPK19rocblas_complex_numIfES3_KPS1_EviiT3_lPKT2_lT1_lS9_lSA_lS6_lPT4_lSA_li, .Lfunc_end294-_ZL20rocblas_gemvn_kernelILi64ELi4EiPK19rocblas_complex_numIfES3_KPS1_EviiT3_lPKT2_lT1_lS9_lSA_lS6_lPT4_lSA_li
                                        ; -- End function
	.set _ZL20rocblas_gemvn_kernelILi64ELi4EiPK19rocblas_complex_numIfES3_KPS1_EviiT3_lPKT2_lT1_lS9_lSA_lS6_lPT4_lSA_li.num_vgpr, 65
	.set _ZL20rocblas_gemvn_kernelILi64ELi4EiPK19rocblas_complex_numIfES3_KPS1_EviiT3_lPKT2_lT1_lS9_lSA_lS6_lPT4_lSA_li.num_agpr, 0
	.set _ZL20rocblas_gemvn_kernelILi64ELi4EiPK19rocblas_complex_numIfES3_KPS1_EviiT3_lPKT2_lT1_lS9_lSA_lS6_lPT4_lSA_li.numbered_sgpr, 29
	.set _ZL20rocblas_gemvn_kernelILi64ELi4EiPK19rocblas_complex_numIfES3_KPS1_EviiT3_lPKT2_lT1_lS9_lSA_lS6_lPT4_lSA_li.num_named_barrier, 0
	.set _ZL20rocblas_gemvn_kernelILi64ELi4EiPK19rocblas_complex_numIfES3_KPS1_EviiT3_lPKT2_lT1_lS9_lSA_lS6_lPT4_lSA_li.private_seg_size, 0
	.set _ZL20rocblas_gemvn_kernelILi64ELi4EiPK19rocblas_complex_numIfES3_KPS1_EviiT3_lPKT2_lT1_lS9_lSA_lS6_lPT4_lSA_li.uses_vcc, 1
	.set _ZL20rocblas_gemvn_kernelILi64ELi4EiPK19rocblas_complex_numIfES3_KPS1_EviiT3_lPKT2_lT1_lS9_lSA_lS6_lPT4_lSA_li.uses_flat_scratch, 1
	.set _ZL20rocblas_gemvn_kernelILi64ELi4EiPK19rocblas_complex_numIfES3_KPS1_EviiT3_lPKT2_lT1_lS9_lSA_lS6_lPT4_lSA_li.has_dyn_sized_stack, 0
	.set _ZL20rocblas_gemvn_kernelILi64ELi4EiPK19rocblas_complex_numIfES3_KPS1_EviiT3_lPKT2_lT1_lS9_lSA_lS6_lPT4_lSA_li.has_recursion, 0
	.set _ZL20rocblas_gemvn_kernelILi64ELi4EiPK19rocblas_complex_numIfES3_KPS1_EviiT3_lPKT2_lT1_lS9_lSA_lS6_lPT4_lSA_li.has_indirect_call, 0
	.section	.AMDGPU.csdata,"",@progbits
; Kernel info:
; codeLenInByte = 3588
; TotalNumSgprs: 31
; NumVgprs: 65
; ScratchSize: 0
; MemoryBound: 0
; FloatMode: 240
; IeeeMode: 1
; LDSByteSize: 8192 bytes/workgroup (compile time only)
; SGPRBlocks: 0
; VGPRBlocks: 8
; NumSGPRsForWavesPerEU: 31
; NumVGPRsForWavesPerEU: 65
; Occupancy: 12
; WaveLimiterHint : 1
; COMPUTE_PGM_RSRC2:SCRATCH_EN: 0
; COMPUTE_PGM_RSRC2:USER_SGPR: 6
; COMPUTE_PGM_RSRC2:TRAP_HANDLER: 0
; COMPUTE_PGM_RSRC2:TGID_X_EN: 1
; COMPUTE_PGM_RSRC2:TGID_Y_EN: 0
; COMPUTE_PGM_RSRC2:TGID_Z_EN: 1
; COMPUTE_PGM_RSRC2:TIDIG_COMP_CNT: 1
	.section	.text._ZL20rocblas_gemvn_kernelILi64ELi4ElPK19rocblas_complex_numIfES3_KPS1_EviiT3_lPKT2_lT1_lS9_lSA_lS6_lPT4_lSA_li,"axG",@progbits,_ZL20rocblas_gemvn_kernelILi64ELi4ElPK19rocblas_complex_numIfES3_KPS1_EviiT3_lPKT2_lT1_lS9_lSA_lS6_lPT4_lSA_li,comdat
	.globl	_ZL20rocblas_gemvn_kernelILi64ELi4ElPK19rocblas_complex_numIfES3_KPS1_EviiT3_lPKT2_lT1_lS9_lSA_lS6_lPT4_lSA_li ; -- Begin function _ZL20rocblas_gemvn_kernelILi64ELi4ElPK19rocblas_complex_numIfES3_KPS1_EviiT3_lPKT2_lT1_lS9_lSA_lS6_lPT4_lSA_li
	.p2align	8
	.type	_ZL20rocblas_gemvn_kernelILi64ELi4ElPK19rocblas_complex_numIfES3_KPS1_EviiT3_lPKT2_lT1_lS9_lSA_lS6_lPT4_lSA_li,@function
_ZL20rocblas_gemvn_kernelILi64ELi4ElPK19rocblas_complex_numIfES3_KPS1_EviiT3_lPKT2_lT1_lS9_lSA_lS6_lPT4_lSA_li: ; @_ZL20rocblas_gemvn_kernelILi64ELi4ElPK19rocblas_complex_numIfES3_KPS1_EviiT3_lPKT2_lT1_lS9_lSA_lS6_lPT4_lSA_li
; %bb.0:
	s_load_dwordx2 s[0:1], s[4:5], 0x9c
	s_waitcnt lgkmcnt(0)
	s_lshr_b32 s2, s0, 16
	s_and_b32 s0, s0, 0xffff
	s_and_b32 s1, s1, 0xffff
	s_mul_i32 s0, s2, s0
	s_mul_i32 s0, s0, s1
	s_cmpk_lg_i32 s0, 0x100
	s_cbranch_scc1 .LBB295_51
; %bb.1:
	s_clause 0x1
	s_load_dwordx8 s[16:23], s[4:5], 0x8
	s_load_dwordx8 s[8:15], s[4:5], 0x58
	s_mov_b32 s28, s7
	s_mov_b32 s29, 0
	s_waitcnt lgkmcnt(0)
	s_mul_i32 s1, s19, s7
	s_mul_hi_u32 s2, s18, s7
	s_mul_i32 s0, s18, s7
	s_add_i32 s1, s2, s1
	s_mul_hi_u32 s2, s10, s7
	s_lshl_b64 s[0:1], s[0:1], 3
	s_add_u32 s0, s16, s0
	s_addc_u32 s1, s17, s1
	s_load_dwordx2 s[16:17], s[0:1], 0x0
	s_mul_i32 s1, s11, s7
	s_mul_i32 s0, s10, s7
	s_add_i32 s1, s2, s1
	s_lshl_b64 s[0:1], s[0:1], 3
	s_add_u32 s0, s8, s0
	s_addc_u32 s1, s9, s1
	s_load_dwordx2 s[8:9], s[0:1], 0x0
	s_waitcnt lgkmcnt(0)
	v_cmp_neq_f32_e64 s0, s16, 0
	v_cmp_neq_f32_e64 s1, s17, 0
	s_or_b32 s0, s0, s1
	s_and_b32 vcc_lo, exec_lo, s0
	s_mov_b32 s0, -1
	s_cbranch_vccnz .LBB295_3
; %bb.2:
	v_cmp_neq_f32_e64 s0, s8, 1.0
	v_cmp_neq_f32_e64 s1, s9, 0
	s_or_b32 s0, s0, s1
.LBB295_3:
	s_andn2_b32 vcc_lo, exec_lo, s0
	s_cbranch_vccnz .LBB295_51
; %bb.4:
	s_clause 0x1
	s_load_dwordx2 s[18:19], s[4:5], 0x28
	s_load_dwordx2 s[10:11], s[4:5], 0x78
	s_or_b32 s0, s16, s17
	s_mov_b64 s[26:27], 0
	s_bitset0_b32 s0, 31
	s_mov_b64 s[24:25], 0
	s_cmp_lg_u32 s0, 0
	s_cselect_b32 s30, -1, 0
	s_cmp_eq_u32 s0, 0
	s_cselect_b32 s7, -1, 0
	s_and_b32 vcc_lo, exec_lo, s7
	s_cbranch_vccnz .LBB295_6
; %bb.5:
	s_lshl_b64 s[0:1], s[28:29], 3
	s_add_u32 s0, s20, s0
	s_addc_u32 s1, s21, s1
	s_lshl_b64 s[2:3], s[22:23], 3
	s_load_dwordx2 s[0:1], s[0:1], 0x0
	s_waitcnt lgkmcnt(0)
	s_add_u32 s24, s0, s2
	s_addc_u32 s25, s1, s3
.LBB295_6:
	s_clause 0x1
	s_load_dwordx4 s[0:3], s[4:5], 0x38
	s_load_dwordx2 s[20:21], s[4:5], 0x48
	s_andn2_b32 vcc_lo, exec_lo, s30
	s_cbranch_vccnz .LBB295_8
; %bb.7:
	s_lshl_b64 s[22:23], s[28:29], 3
	s_waitcnt lgkmcnt(0)
	s_add_u32 s0, s0, s22
	s_addc_u32 s1, s1, s23
	s_lshl_b64 s[2:3], s[2:3], 3
	s_load_dwordx2 s[0:1], s[0:1], 0x0
	s_waitcnt lgkmcnt(0)
	s_add_u32 s26, s0, s2
	s_addc_u32 s27, s1, s3
.LBB295_8:
	s_waitcnt lgkmcnt(0)
	s_lshl_b64 s[0:1], s[28:29], 3
	v_lshlrev_b32_e32 v63, 6, v1
	s_add_u32 s0, s12, s0
	s_addc_u32 s1, s13, s1
	s_lshl_b64 s[14:15], s[14:15], 3
	s_load_dwordx2 s[2:3], s[0:1], 0x0
	s_load_dwordx2 s[12:13], s[4:5], 0x0
	v_add_nc_u32_e32 v62, v63, v0
	s_mov_b32 s1, -1
	v_cmp_gt_u32_e64 s0, 0x100, v62
	s_waitcnt lgkmcnt(0)
	s_add_u32 s5, s2, s14
	s_addc_u32 s28, s3, s15
	s_andn2_b32 vcc_lo, exec_lo, s7
	s_cbranch_vccnz .LBB295_15
; %bb.9:
	s_and_saveexec_b32 s1, s0
	s_cbranch_execz .LBB295_14
; %bb.10:
	v_lshl_or_b32 v2, s6, 8, v62
	v_mov_b32_e32 v3, 0
	s_ashr_i32 s3, s12, 31
	s_mov_b32 s2, s12
	v_cmp_gt_i64_e32 vcc_lo, s[2:3], v[2:3]
	s_and_b32 exec_lo, exec_lo, vcc_lo
	s_cbranch_execz .LBB295_14
; %bb.11:
	v_mad_u64_u32 v[4:5], null, s10, v2, 0
	v_cmp_neq_f32_e64 s0, s8, 0
	v_cmp_neq_f32_e64 s2, s9, 0
	s_or_b32 s0, s0, s2
	v_mad_u64_u32 v[5:6], null, s11, v2, v[5:6]
	v_mov_b32_e32 v6, v3
	s_andn2_b32 vcc_lo, exec_lo, s0
	v_lshlrev_b64 v[4:5], 3, v[4:5]
	s_cbranch_vccnz .LBB295_13
; %bb.12:
	v_add_co_u32 v2, vcc_lo, s5, v4
	v_add_co_ci_u32_e64 v3, null, s28, v5, vcc_lo
	flat_load_dwordx2 v[2:3], v[2:3]
	s_waitcnt vmcnt(0) lgkmcnt(0)
	v_mul_f32_e32 v7, s9, v3
	v_mul_f32_e32 v6, s8, v3
	v_fma_f32 v3, s8, v2, -v7
	v_fmac_f32_e32 v6, s9, v2
.LBB295_13:
	v_add_co_u32 v7, vcc_lo, s5, v4
	v_add_co_ci_u32_e64 v8, null, s28, v5, vcc_lo
	v_mov_b32_e32 v5, v3
	flat_store_dwordx2 v[7:8], v[5:6]
.LBB295_14:
	s_or_b32 exec_lo, exec_lo, s1
	s_mov_b32 s1, 0
.LBB295_15:
	s_andn2_b32 vcc_lo, exec_lo, s1
	s_cbranch_vccnz .LBB295_51
; %bb.16:
	s_ashr_i32 s0, s13, 31
	s_lshl_b32 s29, s6, 8
	s_lshr_b32 s0, s0, 28
	v_lshlrev_b32_e32 v64, 2, v1
	v_mov_b32_e32 v3, 0
	v_or_b32_e32 v4, s29, v0
	v_mov_b32_e32 v2, 0
	v_mov_b32_e32 v7, 0
	v_mov_b32_e32 v6, 0
	v_mov_b32_e32 v9, 0
	v_mov_b32_e32 v8, 0
	v_mov_b32_e32 v11, 0
	v_mov_b32_e32 v10, 0
	s_add_i32 s0, s13, s0
	s_mov_b32 s31, exec_lo
	s_and_b32 s30, s0, -16
	v_cmpx_gt_i32_e64 s30, v64
	s_cbranch_execz .LBB295_28
; %bb.17:
	v_lshlrev_b32_e32 v18, 2, v1
	v_add_nc_u32_e32 v10, 64, v4
	v_mad_u64_u32 v[2:3], null, s20, v1, 0
	v_mad_u64_u32 v[8:9], null, s18, v1, 0
	v_or_b32_e32 v14, 3, v18
	v_or_b32_e32 v19, 2, v18
	v_cmp_gt_i32_e64 s0, s12, v10
	v_mad_u64_u32 v[10:11], null, s18, v18, s[18:19]
	v_mad_u64_u32 v[6:7], null, s18, v14, 0
	v_mad_u64_u32 v[20:21], null, s18, v19, 0
	v_ashrrev_i32_e32 v5, 31, v4
	v_add_nc_u32_e32 v15, 0x80, v4
	v_mad_u64_u32 v[12:13], null, s21, v1, v[3:4]
	v_mad_u64_u32 v[13:14], null, s19, v14, v[7:8]
	v_add_nc_u32_e32 v16, 0xc0, v4
	v_cmp_gt_i32_e64 s1, s12, v15
	v_lshlrev_b64 v[14:15], 3, v[4:5]
	v_mov_b32_e32 v5, v9
	v_mov_b32_e32 v9, v11
	;; [unrolled: 1-line block ×3, first 2 shown]
	v_cmp_gt_i32_e64 s2, s12, v16
	v_mov_b32_e32 v3, v12
	v_mad_u64_u32 v[16:17], null, s19, v1, v[5:6]
	v_mad_u64_u32 v[17:18], null, s19, v18, v[9:10]
	;; [unrolled: 1-line block ×3, first 2 shown]
	v_mov_b32_e32 v7, v13
	v_add_co_u32 v5, s3, s24, v14
	v_mov_b32_e32 v9, v16
	v_mov_b32_e32 v11, v17
	v_lshlrev_b64 v[12:13], 3, v[6:7]
	v_lshlrev_b64 v[6:7], 5, v[2:3]
	v_mov_b32_e32 v21, v18
	v_mov_b32_e32 v3, 0
	v_add_co_ci_u32_e64 v65, null, s25, v15, s3
	v_lshlrev_b64 v[16:17], 5, v[8:9]
	v_add_co_u32 v14, s3, s26, v6
	v_lshlrev_b64 v[18:19], 3, v[10:11]
	v_lshlrev_b64 v[20:21], 3, v[20:21]
	v_add_co_ci_u32_e64 v15, null, s27, v7, s3
	v_mov_b32_e32 v2, v3
	v_mov_b32_e32 v7, v3
	;; [unrolled: 1-line block ×7, first 2 shown]
	s_lshl_b64 s[6:7], s[18:19], 7
	s_lshl_b64 s[14:15], s[20:21], 7
	;; [unrolled: 1-line block ×3, first 2 shown]
	s_mov_b32 s33, 0
	v_cmp_gt_i32_e32 vcc_lo, s12, v4
	s_branch .LBB295_22
.LBB295_18:                             ;   in Loop: Header=BB295_22 Depth=1
	s_or_b32 exec_lo, exec_lo, s35
	s_waitcnt vmcnt(3) lgkmcnt(3)
	v_mul_f32_e32 v54, v35, v53
	v_mul_f32_e32 v53, v34, v53
	s_waitcnt vmcnt(2) lgkmcnt(2)
	v_mul_f32_e32 v55, v31, v51
	v_mul_f32_e32 v51, v30, v51
	s_waitcnt vmcnt(1) lgkmcnt(1)
	v_mul_f32_e32 v56, v25, v49
	v_fma_f32 v54, v34, v52, -v54
	v_fmac_f32_e32 v53, v35, v52
	v_mul_f32_e32 v49, v24, v49
	v_fma_f32 v55, v30, v50, -v55
	v_fmac_f32_e32 v51, v31, v50
	v_add_f32_e32 v6, v6, v54
	v_add_f32_e32 v7, v7, v53
	s_waitcnt vmcnt(0) lgkmcnt(0)
	v_mul_f32_e32 v52, v23, v47
	v_mul_f32_e32 v47, v22, v47
	v_fma_f32 v50, v24, v48, -v56
	v_add_f32_e32 v6, v55, v6
	v_fmac_f32_e32 v49, v25, v48
	v_add_f32_e32 v7, v51, v7
	v_fma_f32 v48, v22, v46, -v52
	v_fmac_f32_e32 v47, v23, v46
	v_add_f32_e32 v6, v50, v6
	v_add_f32_e32 v7, v49, v7
	;; [unrolled: 1-line block ×4, first 2 shown]
.LBB295_19:                             ;   in Loop: Header=BB295_22 Depth=1
	s_or_b32 exec_lo, exec_lo, s34
	s_waitcnt vmcnt(3) lgkmcnt(3)
	v_mul_f32_e32 v46, v35, v45
	v_mul_f32_e32 v45, v34, v45
	s_waitcnt vmcnt(2) lgkmcnt(2)
	v_mul_f32_e32 v47, v31, v43
	v_mul_f32_e32 v43, v30, v43
	s_waitcnt vmcnt(1) lgkmcnt(1)
	v_mul_f32_e32 v48, v25, v41
	v_fma_f32 v46, v34, v44, -v46
	v_fmac_f32_e32 v45, v35, v44
	v_mul_f32_e32 v41, v24, v41
	v_fma_f32 v47, v30, v42, -v47
	v_fmac_f32_e32 v43, v31, v42
	v_add_f32_e32 v8, v8, v46
	v_add_f32_e32 v9, v9, v45
	s_waitcnt vmcnt(0) lgkmcnt(0)
	v_mul_f32_e32 v44, v23, v39
	v_mul_f32_e32 v39, v22, v39
	v_fma_f32 v42, v24, v40, -v48
	v_add_f32_e32 v8, v47, v8
	v_fmac_f32_e32 v41, v25, v40
	v_add_f32_e32 v9, v43, v9
	v_fma_f32 v40, v22, v38, -v44
	v_fmac_f32_e32 v39, v23, v38
	v_add_f32_e32 v8, v42, v8
	v_add_f32_e32 v9, v41, v9
	;; [unrolled: 1-line block ×4, first 2 shown]
.LBB295_20:                             ;   in Loop: Header=BB295_22 Depth=1
	s_or_b32 exec_lo, exec_lo, s3
	s_waitcnt vmcnt(3) lgkmcnt(3)
	v_mul_f32_e32 v38, v35, v37
	v_mul_f32_e32 v37, v34, v37
	s_waitcnt vmcnt(2) lgkmcnt(2)
	v_mul_f32_e32 v39, v31, v33
	v_mul_f32_e32 v33, v30, v33
	s_waitcnt vmcnt(1) lgkmcnt(1)
	v_mul_f32_e32 v40, v25, v29
	v_fma_f32 v34, v34, v36, -v38
	v_fmac_f32_e32 v37, v35, v36
	v_mul_f32_e32 v29, v24, v29
	v_fma_f32 v30, v30, v32, -v39
	v_fmac_f32_e32 v33, v31, v32
	v_add_f32_e32 v10, v10, v34
	v_add_f32_e32 v11, v11, v37
	s_waitcnt vmcnt(0) lgkmcnt(0)
	v_mul_f32_e32 v35, v23, v27
	v_mul_f32_e32 v27, v22, v27
	v_fma_f32 v24, v24, v28, -v40
	v_add_f32_e32 v10, v30, v10
	v_fmac_f32_e32 v29, v25, v28
	v_add_f32_e32 v11, v33, v11
	v_fma_f32 v22, v22, v26, -v35
	v_fmac_f32_e32 v27, v23, v26
	v_add_f32_e32 v10, v24, v10
	v_add_f32_e32 v11, v29, v11
	;; [unrolled: 1-line block ×4, first 2 shown]
.LBB295_21:                             ;   in Loop: Header=BB295_22 Depth=1
	s_or_b32 exec_lo, exec_lo, s4
	v_add_nc_u32_e32 v64, 16, v64
	v_add_co_u32 v5, s3, v5, s6
	v_add_co_ci_u32_e64 v65, null, s7, v65, s3
	v_cmp_le_i32_e64 s3, s30, v64
	v_add_co_u32 v14, s4, v14, s14
	v_add_co_ci_u32_e64 v15, null, s15, v15, s4
	s_or_b32 s33, s3, s33
	s_andn2_b32 exec_lo, exec_lo, s33
	s_cbranch_execz .LBB295_27
.LBB295_22:                             ; =>This Inner Loop Header: Depth=1
	s_and_saveexec_b32 s4, vcc_lo
	s_cbranch_execz .LBB295_21
; %bb.23:                               ;   in Loop: Header=BB295_22 Depth=1
	v_add_co_u32 v22, s3, v14, s22
	v_add_co_ci_u32_e64 v23, null, s23, v15, s3
	v_add_co_u32 v24, s3, v22, s22
	v_add_co_ci_u32_e64 v25, null, s23, v23, s3
	;; [unrolled: 2-line block ×7, first 2 shown]
	s_clause 0x3
	flat_load_dwordx2 v[34:35], v[14:15]
	flat_load_dwordx2 v[30:31], v[22:23]
	;; [unrolled: 1-line block ×4, first 2 shown]
	s_clause 0x3
	flat_load_dwordx2 v[36:37], v[60:61]
	flat_load_dwordx2 v[32:33], v[58:59]
	;; [unrolled: 1-line block ×4, first 2 shown]
	s_and_saveexec_b32 s3, s0
	s_cbranch_execz .LBB295_20
; %bb.24:                               ;   in Loop: Header=BB295_22 Depth=1
	s_clause 0x3
	flat_load_dwordx2 v[44:45], v[60:61] offset:512
	flat_load_dwordx2 v[42:43], v[58:59] offset:512
	flat_load_dwordx2 v[40:41], v[56:57] offset:512
	flat_load_dwordx2 v[38:39], v[54:55] offset:512
	s_and_saveexec_b32 s34, s1
	s_cbranch_execz .LBB295_19
; %bb.25:                               ;   in Loop: Header=BB295_22 Depth=1
	s_clause 0x3
	flat_load_dwordx2 v[52:53], v[60:61] offset:1024
	flat_load_dwordx2 v[50:51], v[58:59] offset:1024
	flat_load_dwordx2 v[48:49], v[56:57] offset:1024
	flat_load_dwordx2 v[46:47], v[54:55] offset:1024
	;; [unrolled: 8-line block ×3, first 2 shown]
	s_waitcnt vmcnt(3) lgkmcnt(3)
	v_mul_f32_e32 v66, v35, v61
	v_mul_f32_e32 v61, v34, v61
	s_waitcnt vmcnt(2) lgkmcnt(2)
	v_mul_f32_e32 v67, v31, v59
	v_mul_f32_e32 v59, v30, v59
	s_waitcnt vmcnt(1) lgkmcnt(1)
	v_mul_f32_e32 v68, v25, v57
	v_fma_f32 v66, v34, v60, -v66
	v_fmac_f32_e32 v61, v35, v60
	v_mul_f32_e32 v57, v24, v57
	v_fma_f32 v67, v30, v58, -v67
	v_fmac_f32_e32 v59, v31, v58
	v_add_f32_e32 v2, v2, v66
	v_add_f32_e32 v3, v3, v61
	s_waitcnt vmcnt(0) lgkmcnt(0)
	v_mul_f32_e32 v60, v23, v55
	v_mul_f32_e32 v55, v22, v55
	v_fma_f32 v58, v24, v56, -v68
	v_fmac_f32_e32 v57, v25, v56
	v_add_f32_e32 v2, v67, v2
	v_add_f32_e32 v3, v59, v3
	v_fma_f32 v56, v22, v54, -v60
	v_fmac_f32_e32 v55, v23, v54
	v_add_f32_e32 v2, v58, v2
	v_add_f32_e32 v3, v57, v3
	;; [unrolled: 1-line block ×4, first 2 shown]
	s_branch .LBB295_18
.LBB295_27:
	s_or_b32 exec_lo, exec_lo, s33
.LBB295_28:
	s_or_b32 exec_lo, exec_lo, s31
	s_sub_i32 s0, s13, s30
	s_cmp_lt_i32 s0, 1
	s_cbranch_scc1 .LBB295_46
; %bb.29:
	v_cmp_gt_i32_e32 vcc_lo, s13, v64
	v_mov_b32_e32 v12, 0
	v_or_b32_e32 v20, 1, v64
	v_mov_b32_e32 v13, 0
	v_mov_b32_e32 v14, 0
	;; [unrolled: 1-line block ×7, first 2 shown]
	s_and_saveexec_b32 s1, vcc_lo
	s_cbranch_execz .LBB295_37
; %bb.30:
	v_mad_u64_u32 v[12:13], null, s20, v64, 0
	v_mov_b32_e32 v19, 0
	v_mov_b32_e32 v18, 0
	;; [unrolled: 1-line block ×5, first 2 shown]
	s_mov_b32 s2, exec_lo
	v_mov_b32_e32 v5, v13
	v_mad_u64_u32 v[13:14], null, s21, v64, v[5:6]
	v_mov_b32_e32 v14, 0
	v_lshlrev_b64 v[12:13], 3, v[12:13]
	v_add_co_u32 v12, s0, s26, v12
	v_add_co_ci_u32_e64 v13, null, s27, v13, s0
	flat_load_dwordx2 v[12:13], v[12:13]
	v_cmpx_gt_i32_e64 s13, v20
	s_cbranch_execz .LBB295_36
; %bb.31:
	v_mad_u64_u32 v[14:15], null, s20, v20, 0
	v_mov_b32_e32 v19, 0
	v_mov_b32_e32 v18, 0
	;; [unrolled: 1-line block ×3, first 2 shown]
	s_mov_b32 s3, exec_lo
	v_mov_b32_e32 v5, v15
	v_mad_u64_u32 v[15:16], null, s21, v20, v[5:6]
	v_or_b32_e32 v5, 2, v64
	v_mov_b32_e32 v16, 0
	v_lshlrev_b64 v[14:15], 3, v[14:15]
	v_add_co_u32 v14, s0, s26, v14
	v_add_co_ci_u32_e64 v15, null, s27, v15, s0
	flat_load_dwordx2 v[14:15], v[14:15]
	v_cmpx_gt_i32_e64 s13, v5
	s_cbranch_execz .LBB295_35
; %bb.32:
	v_mad_u64_u32 v[16:17], null, s20, v5, 0
	v_mov_b32_e32 v19, 0
	s_mov_b32 s4, exec_lo
	v_mad_u64_u32 v[17:18], null, s21, v5, v[17:18]
	v_or_b32_e32 v5, 3, v64
	v_mov_b32_e32 v18, 0
	v_lshlrev_b64 v[16:17], 3, v[16:17]
	v_add_co_u32 v16, s0, s26, v16
	v_add_co_ci_u32_e64 v17, null, s27, v17, s0
	flat_load_dwordx2 v[16:17], v[16:17]
	v_cmpx_gt_i32_e64 s13, v5
	s_cbranch_execz .LBB295_34
; %bb.33:
	v_mad_u64_u32 v[18:19], null, s20, v5, 0
	v_mad_u64_u32 v[21:22], null, s21, v5, v[19:20]
	v_mov_b32_e32 v19, v21
	v_lshlrev_b64 v[18:19], 3, v[18:19]
	v_add_co_u32 v18, s0, s26, v18
	v_add_co_ci_u32_e64 v19, null, s27, v19, s0
	flat_load_dwordx2 v[18:19], v[18:19]
.LBB295_34:
	s_or_b32 exec_lo, exec_lo, s4
.LBB295_35:
	s_or_b32 exec_lo, exec_lo, s3
.LBB295_36:
	s_or_b32 exec_lo, exec_lo, s2
.LBB295_37:
	s_or_b32 exec_lo, exec_lo, s1
	s_mov_b32 s1, exec_lo
	v_cmpx_gt_i32_e64 s12, v4
	s_cbranch_execz .LBB295_45
; %bb.38:
	v_mad_u64_u32 v[21:22], null, s18, v64, 0
	v_mad_u64_u32 v[23:24], null, s18, v20, 0
	v_ashrrev_i32_e32 v5, 31, v4
	v_or_b32_e32 v32, 2, v64
	v_or_b32_e32 v33, 3, v64
	v_cndmask_b32_e32 v21, 0, v21, vcc_lo
	v_lshlrev_b64 v[28:29], 3, v[4:5]
	v_mad_u64_u32 v[25:26], null, s19, v64, v[22:23]
	v_mov_b32_e32 v5, v24
	v_mad_u64_u32 v[26:27], null, s18, v32, 0
	v_mad_u64_u32 v[30:31], null, s18, v33, 0
	v_cmp_gt_i32_e64 s0, s13, v32
	v_cndmask_b32_e32 v22, 0, v25, vcc_lo
	v_mad_u64_u32 v[24:25], null, s19, v20, v[5:6]
	v_cmp_gt_i32_e32 vcc_lo, s13, v20
	v_mov_b32_e32 v5, v27
	v_mov_b32_e32 v25, v31
	v_cndmask_b32_e32 v20, 0, v23, vcc_lo
	v_lshlrev_b64 v[22:23], 3, v[21:22]
	v_cndmask_b32_e32 v21, 0, v24, vcc_lo
	v_mad_u64_u32 v[31:32], null, s19, v32, v[5:6]
	v_add_co_u32 v5, vcc_lo, s24, v22
	v_add_co_ci_u32_e64 v24, null, s25, v23, vcc_lo
	v_lshlrev_b64 v[22:23], 3, v[20:21]
	v_add_co_u32 v20, vcc_lo, v5, v28
	v_add_co_ci_u32_e64 v21, null, v24, v29, vcc_lo
	v_cndmask_b32_e64 v24, 0, v26, s0
	v_mad_u64_u32 v[26:27], null, s19, v33, v[25:26]
	v_add_co_u32 v5, vcc_lo, s24, v22
	v_add_co_ci_u32_e64 v23, null, s25, v23, vcc_lo
	v_cmp_gt_i32_e32 vcc_lo, s13, v33
	v_cndmask_b32_e64 v25, 0, v31, s0
	v_add_co_u32 v22, s0, v5, v28
	v_add_co_ci_u32_e64 v23, null, v23, v29, s0
	v_cndmask_b32_e32 v30, 0, v30, vcc_lo
	v_cndmask_b32_e32 v31, 0, v26, vcc_lo
	v_lshlrev_b64 v[24:25], 3, v[24:25]
	s_clause 0x1
	flat_load_dwordx2 v[32:33], v[20:21]
	flat_load_dwordx2 v[34:35], v[22:23]
	s_mov_b32 s0, exec_lo
	v_lshlrev_b64 v[26:27], 3, v[30:31]
	v_add_co_u32 v5, vcc_lo, s24, v24
	v_add_co_ci_u32_e64 v24, null, s25, v25, vcc_lo
	v_add_co_u32 v25, vcc_lo, s24, v26
	v_add_co_ci_u32_e64 v30, null, s25, v27, vcc_lo
	;; [unrolled: 2-line block ×4, first 2 shown]
	s_clause 0x1
	flat_load_dwordx2 v[28:29], v[26:27]
	flat_load_dwordx2 v[30:31], v[24:25]
	s_waitcnt vmcnt(3) lgkmcnt(3)
	v_mul_f32_e32 v5, v13, v33
	v_mul_f32_e32 v33, v12, v33
	s_waitcnt vmcnt(2) lgkmcnt(2)
	v_mul_f32_e32 v36, v15, v35
	v_mul_f32_e32 v35, v14, v35
	v_fma_f32 v5, v12, v32, -v5
	v_fmac_f32_e32 v33, v13, v32
	v_fma_f32 v32, v14, v34, -v36
	v_fmac_f32_e32 v35, v15, v34
	v_add_f32_e32 v10, v10, v5
	v_add_f32_e32 v11, v11, v33
	v_add_nc_u32_e32 v33, 64, v4
	s_waitcnt vmcnt(1) lgkmcnt(1)
	v_mul_f32_e32 v34, v17, v29
	v_mul_f32_e32 v29, v16, v29
	s_waitcnt vmcnt(0) lgkmcnt(0)
	v_mul_f32_e32 v36, v19, v31
	v_mul_f32_e32 v5, v18, v31
	v_fma_f32 v31, v16, v28, -v34
	v_fmac_f32_e32 v29, v17, v28
	v_add_f32_e32 v28, v32, v10
	v_add_f32_e32 v32, v35, v11
	v_fma_f32 v10, v18, v30, -v36
	v_fmac_f32_e32 v5, v19, v30
	v_add_f32_e32 v11, v31, v28
	v_add_f32_e32 v28, v29, v32
	v_cmpx_gt_i32_e64 s12, v33
	s_cbranch_execz .LBB295_44
; %bb.39:
	s_clause 0x3
	flat_load_dwordx2 v[29:30], v[20:21] offset:512
	flat_load_dwordx2 v[31:32], v[22:23] offset:512
	;; [unrolled: 1-line block ×4, first 2 shown]
	s_mov_b32 s2, exec_lo
	s_waitcnt vmcnt(3) lgkmcnt(3)
	v_mul_f32_e32 v37, v13, v30
	v_mul_f32_e32 v30, v12, v30
	s_waitcnt vmcnt(2) lgkmcnt(2)
	v_mul_f32_e32 v38, v15, v32
	v_mul_f32_e32 v32, v14, v32
	s_waitcnt vmcnt(1) lgkmcnt(1)
	v_mul_f32_e32 v39, v17, v34
	v_fma_f32 v37, v12, v29, -v37
	v_fmac_f32_e32 v30, v13, v29
	v_mul_f32_e32 v34, v16, v34
	v_fma_f32 v38, v14, v31, -v38
	v_fmac_f32_e32 v32, v15, v31
	v_add_f32_e32 v8, v8, v37
	v_add_f32_e32 v30, v9, v30
	s_waitcnt vmcnt(0) lgkmcnt(0)
	v_mul_f32_e32 v29, v19, v36
	v_mul_f32_e32 v9, v18, v36
	v_fma_f32 v31, v16, v33, -v39
	v_fmac_f32_e32 v34, v17, v33
	v_add_f32_e32 v33, v38, v8
	v_add_f32_e32 v30, v32, v30
	v_add_nc_u32_e32 v32, 0x80, v4
	v_fma_f32 v8, v18, v35, -v29
	v_fmac_f32_e32 v9, v19, v35
	v_add_f32_e32 v29, v31, v33
	v_add_f32_e32 v30, v34, v30
	v_cmpx_gt_i32_e64 s12, v32
	s_cbranch_execz .LBB295_43
; %bb.40:
	s_clause 0x3
	flat_load_dwordx2 v[31:32], v[20:21] offset:1024
	flat_load_dwordx2 v[33:34], v[22:23] offset:1024
	;; [unrolled: 1-line block ×4, first 2 shown]
	s_mov_b32 s3, exec_lo
	s_waitcnt vmcnt(3) lgkmcnt(3)
	v_mul_f32_e32 v39, v13, v32
	v_mul_f32_e32 v32, v12, v32
	s_waitcnt vmcnt(2) lgkmcnt(2)
	v_mul_f32_e32 v40, v15, v34
	v_mul_f32_e32 v34, v14, v34
	s_waitcnt vmcnt(1) lgkmcnt(1)
	v_mul_f32_e32 v41, v17, v36
	v_fma_f32 v39, v12, v31, -v39
	v_fmac_f32_e32 v32, v13, v31
	v_mul_f32_e32 v36, v16, v36
	v_fma_f32 v40, v14, v33, -v40
	v_fmac_f32_e32 v34, v15, v33
	v_add_f32_e32 v6, v6, v39
	v_add_f32_e32 v32, v7, v32
	s_waitcnt vmcnt(0) lgkmcnt(0)
	v_mul_f32_e32 v31, v19, v38
	v_mul_f32_e32 v7, v18, v38
	v_fma_f32 v33, v16, v35, -v41
	v_fmac_f32_e32 v36, v17, v35
	v_add_f32_e32 v6, v40, v6
	v_add_f32_e32 v32, v34, v32
	v_add_nc_u32_e32 v34, 0xc0, v4
	v_fma_f32 v4, v18, v37, -v31
	v_fmac_f32_e32 v7, v19, v37
	v_add_f32_e32 v6, v33, v6
	v_add_f32_e32 v31, v36, v32
	v_cmpx_gt_i32_e64 s12, v34
	s_cbranch_execz .LBB295_42
; %bb.41:
	s_clause 0x3
	flat_load_dwordx2 v[20:21], v[20:21] offset:1536
	flat_load_dwordx2 v[22:23], v[22:23] offset:1536
	;; [unrolled: 1-line block ×4, first 2 shown]
	s_waitcnt vmcnt(3) lgkmcnt(3)
	v_mul_f32_e32 v32, v13, v21
	v_mul_f32_e32 v21, v12, v21
	s_waitcnt vmcnt(2) lgkmcnt(2)
	v_mul_f32_e32 v33, v15, v23
	v_mul_f32_e32 v23, v14, v23
	s_waitcnt vmcnt(1) lgkmcnt(1)
	v_mul_f32_e32 v34, v17, v27
	v_fma_f32 v12, v12, v20, -v32
	v_fmac_f32_e32 v21, v13, v20
	v_mul_f32_e32 v27, v16, v27
	v_fma_f32 v14, v14, v22, -v33
	v_fmac_f32_e32 v23, v15, v22
	v_add_f32_e32 v2, v2, v12
	v_add_f32_e32 v3, v3, v21
	s_waitcnt vmcnt(0) lgkmcnt(0)
	v_mul_f32_e32 v13, v19, v25
	v_mul_f32_e32 v12, v18, v25
	v_fma_f32 v15, v16, v26, -v34
	v_fmac_f32_e32 v27, v17, v26
	v_add_f32_e32 v2, v14, v2
	v_add_f32_e32 v3, v23, v3
	v_fma_f32 v13, v18, v24, -v13
	v_fmac_f32_e32 v12, v19, v24
	v_add_f32_e32 v2, v15, v2
	v_add_f32_e32 v3, v27, v3
	;; [unrolled: 1-line block ×4, first 2 shown]
.LBB295_42:
	s_or_b32 exec_lo, exec_lo, s3
	v_add_f32_e32 v6, v4, v6
	v_add_f32_e32 v7, v7, v31
.LBB295_43:
	s_or_b32 exec_lo, exec_lo, s2
	v_add_f32_e32 v8, v8, v29
	v_add_f32_e32 v9, v9, v30
.LBB295_44:
	s_or_b32 exec_lo, exec_lo, s0
	v_add_f32_e32 v10, v10, v11
	v_add_f32_e32 v11, v5, v28
.LBB295_45:
	s_or_b32 exec_lo, exec_lo, s1
.LBB295_46:
	v_lshlrev_b32_e32 v0, 3, v0
	s_mov_b32 s0, exec_lo
	v_lshl_or_b32 v1, v1, 11, v0
	ds_write2st64_b64 v1, v[10:11], v[8:9] offset1:1
	ds_write2st64_b64 v1, v[6:7], v[2:3] offset0:2 offset1:3
	s_waitcnt vmcnt(0) lgkmcnt(0)
	s_waitcnt_vscnt null, 0x0
	s_barrier
	buffer_gl0_inv
	v_cmpx_gt_u32_e32 0x100, v62
	s_cbranch_execz .LBB295_51
; %bb.47:
	v_lshl_add_u32 v8, v63, 3, v0
	ds_read2st64_b64 v[0:3], v8 offset1:4
	ds_read2st64_b64 v[4:7], v8 offset0:8 offset1:12
	s_waitcnt lgkmcnt(1)
	v_add_f32_e32 v0, v0, v2
	v_add_f32_e32 v1, v1, v3
	s_waitcnt lgkmcnt(0)
	v_add_f32_e32 v2, v0, v4
	v_add_f32_e32 v1, v1, v5
	v_or_b32_e32 v0, s29, v62
	v_add_f32_e32 v2, v2, v6
	v_add_f32_e32 v3, v1, v7
	v_cmp_gt_i32_e32 vcc_lo, s12, v0
	ds_write_b64 v8, v[2:3]
	s_and_b32 exec_lo, exec_lo, vcc_lo
	s_cbranch_execz .LBB295_51
; %bb.48:
	v_ashrrev_i32_e32 v1, 31, v0
	v_mul_lo_u32 v6, s11, v0
	v_mad_u64_u32 v[4:5], null, s10, v0, 0
	v_mul_f32_e32 v0, s17, v3
	v_mul_lo_u32 v1, s10, v1
	v_cmp_neq_f32_e64 s0, s8, 0
	v_cmp_neq_f32_e64 s1, s9, 0
	v_fma_f32 v0, v2, s16, -v0
	s_or_b32 s0, s0, s1
	v_add3_u32 v5, v5, v1, v6
	v_mul_f32_e32 v1, s16, v3
	s_andn2_b32 vcc_lo, exec_lo, s0
	v_lshlrev_b64 v[3:4], 3, v[4:5]
	v_fmac_f32_e32 v1, s17, v2
	s_cbranch_vccnz .LBB295_50
; %bb.49:
	v_add_co_u32 v5, vcc_lo, s5, v3
	v_add_co_ci_u32_e64 v6, null, s28, v4, vcc_lo
	flat_load_dwordx2 v[5:6], v[5:6]
	s_waitcnt vmcnt(0) lgkmcnt(0)
	v_mul_f32_e32 v2, s9, v6
	v_mul_f32_e32 v6, s8, v6
	v_fma_f32 v2, s8, v5, -v2
	v_fmac_f32_e32 v6, s9, v5
	v_add_f32_e32 v0, v0, v2
	v_add_f32_e32 v1, v1, v6
.LBB295_50:
	v_add_co_u32 v2, vcc_lo, s5, v3
	v_add_co_ci_u32_e64 v3, null, s28, v4, vcc_lo
	flat_store_dwordx2 v[2:3], v[0:1]
.LBB295_51:
	s_endpgm
	.section	.rodata,"a",@progbits
	.p2align	6, 0x0
	.amdhsa_kernel _ZL20rocblas_gemvn_kernelILi64ELi4ElPK19rocblas_complex_numIfES3_KPS1_EviiT3_lPKT2_lT1_lS9_lSA_lS6_lPT4_lSA_li
		.amdhsa_group_segment_fixed_size 8192
		.amdhsa_private_segment_fixed_size 0
		.amdhsa_kernarg_size 400
		.amdhsa_user_sgpr_count 6
		.amdhsa_user_sgpr_private_segment_buffer 1
		.amdhsa_user_sgpr_dispatch_ptr 0
		.amdhsa_user_sgpr_queue_ptr 0
		.amdhsa_user_sgpr_kernarg_segment_ptr 1
		.amdhsa_user_sgpr_dispatch_id 0
		.amdhsa_user_sgpr_flat_scratch_init 0
		.amdhsa_user_sgpr_private_segment_size 0
		.amdhsa_wavefront_size32 1
		.amdhsa_uses_dynamic_stack 0
		.amdhsa_system_sgpr_private_segment_wavefront_offset 0
		.amdhsa_system_sgpr_workgroup_id_x 1
		.amdhsa_system_sgpr_workgroup_id_y 0
		.amdhsa_system_sgpr_workgroup_id_z 1
		.amdhsa_system_sgpr_workgroup_info 0
		.amdhsa_system_vgpr_workitem_id 1
		.amdhsa_next_free_vgpr 69
		.amdhsa_next_free_sgpr 36
		.amdhsa_reserve_vcc 1
		.amdhsa_reserve_flat_scratch 1
		.amdhsa_float_round_mode_32 0
		.amdhsa_float_round_mode_16_64 0
		.amdhsa_float_denorm_mode_32 3
		.amdhsa_float_denorm_mode_16_64 3
		.amdhsa_dx10_clamp 1
		.amdhsa_ieee_mode 1
		.amdhsa_fp16_overflow 0
		.amdhsa_workgroup_processor_mode 1
		.amdhsa_memory_ordered 1
		.amdhsa_forward_progress 1
		.amdhsa_shared_vgpr_count 0
		.amdhsa_exception_fp_ieee_invalid_op 0
		.amdhsa_exception_fp_denorm_src 0
		.amdhsa_exception_fp_ieee_div_zero 0
		.amdhsa_exception_fp_ieee_overflow 0
		.amdhsa_exception_fp_ieee_underflow 0
		.amdhsa_exception_fp_ieee_inexact 0
		.amdhsa_exception_int_div_zero 0
	.end_amdhsa_kernel
	.section	.text._ZL20rocblas_gemvn_kernelILi64ELi4ElPK19rocblas_complex_numIfES3_KPS1_EviiT3_lPKT2_lT1_lS9_lSA_lS6_lPT4_lSA_li,"axG",@progbits,_ZL20rocblas_gemvn_kernelILi64ELi4ElPK19rocblas_complex_numIfES3_KPS1_EviiT3_lPKT2_lT1_lS9_lSA_lS6_lPT4_lSA_li,comdat
.Lfunc_end295:
	.size	_ZL20rocblas_gemvn_kernelILi64ELi4ElPK19rocblas_complex_numIfES3_KPS1_EviiT3_lPKT2_lT1_lS9_lSA_lS6_lPT4_lSA_li, .Lfunc_end295-_ZL20rocblas_gemvn_kernelILi64ELi4ElPK19rocblas_complex_numIfES3_KPS1_EviiT3_lPKT2_lT1_lS9_lSA_lS6_lPT4_lSA_li
                                        ; -- End function
	.set _ZL20rocblas_gemvn_kernelILi64ELi4ElPK19rocblas_complex_numIfES3_KPS1_EviiT3_lPKT2_lT1_lS9_lSA_lS6_lPT4_lSA_li.num_vgpr, 69
	.set _ZL20rocblas_gemvn_kernelILi64ELi4ElPK19rocblas_complex_numIfES3_KPS1_EviiT3_lPKT2_lT1_lS9_lSA_lS6_lPT4_lSA_li.num_agpr, 0
	.set _ZL20rocblas_gemvn_kernelILi64ELi4ElPK19rocblas_complex_numIfES3_KPS1_EviiT3_lPKT2_lT1_lS9_lSA_lS6_lPT4_lSA_li.numbered_sgpr, 36
	.set _ZL20rocblas_gemvn_kernelILi64ELi4ElPK19rocblas_complex_numIfES3_KPS1_EviiT3_lPKT2_lT1_lS9_lSA_lS6_lPT4_lSA_li.num_named_barrier, 0
	.set _ZL20rocblas_gemvn_kernelILi64ELi4ElPK19rocblas_complex_numIfES3_KPS1_EviiT3_lPKT2_lT1_lS9_lSA_lS6_lPT4_lSA_li.private_seg_size, 0
	.set _ZL20rocblas_gemvn_kernelILi64ELi4ElPK19rocblas_complex_numIfES3_KPS1_EviiT3_lPKT2_lT1_lS9_lSA_lS6_lPT4_lSA_li.uses_vcc, 1
	.set _ZL20rocblas_gemvn_kernelILi64ELi4ElPK19rocblas_complex_numIfES3_KPS1_EviiT3_lPKT2_lT1_lS9_lSA_lS6_lPT4_lSA_li.uses_flat_scratch, 1
	.set _ZL20rocblas_gemvn_kernelILi64ELi4ElPK19rocblas_complex_numIfES3_KPS1_EviiT3_lPKT2_lT1_lS9_lSA_lS6_lPT4_lSA_li.has_dyn_sized_stack, 0
	.set _ZL20rocblas_gemvn_kernelILi64ELi4ElPK19rocblas_complex_numIfES3_KPS1_EviiT3_lPKT2_lT1_lS9_lSA_lS6_lPT4_lSA_li.has_recursion, 0
	.set _ZL20rocblas_gemvn_kernelILi64ELi4ElPK19rocblas_complex_numIfES3_KPS1_EviiT3_lPKT2_lT1_lS9_lSA_lS6_lPT4_lSA_li.has_indirect_call, 0
	.section	.AMDGPU.csdata,"",@progbits
; Kernel info:
; codeLenInByte = 3728
; TotalNumSgprs: 38
; NumVgprs: 69
; ScratchSize: 0
; MemoryBound: 0
; FloatMode: 240
; IeeeMode: 1
; LDSByteSize: 8192 bytes/workgroup (compile time only)
; SGPRBlocks: 0
; VGPRBlocks: 8
; NumSGPRsForWavesPerEU: 38
; NumVGPRsForWavesPerEU: 69
; Occupancy: 12
; WaveLimiterHint : 1
; COMPUTE_PGM_RSRC2:SCRATCH_EN: 0
; COMPUTE_PGM_RSRC2:USER_SGPR: 6
; COMPUTE_PGM_RSRC2:TRAP_HANDLER: 0
; COMPUTE_PGM_RSRC2:TGID_X_EN: 1
; COMPUTE_PGM_RSRC2:TGID_Y_EN: 0
; COMPUTE_PGM_RSRC2:TGID_Z_EN: 1
; COMPUTE_PGM_RSRC2:TIDIG_COMP_CNT: 1
	.section	.text._ZL20rocblas_gemvn_kernelILi64ELi4EiPK19rocblas_complex_numIfES1_KPS1_EviiT3_lPKT2_lT1_lS9_lSA_lS6_lPT4_lSA_li,"axG",@progbits,_ZL20rocblas_gemvn_kernelILi64ELi4EiPK19rocblas_complex_numIfES1_KPS1_EviiT3_lPKT2_lT1_lS9_lSA_lS6_lPT4_lSA_li,comdat
	.globl	_ZL20rocblas_gemvn_kernelILi64ELi4EiPK19rocblas_complex_numIfES1_KPS1_EviiT3_lPKT2_lT1_lS9_lSA_lS6_lPT4_lSA_li ; -- Begin function _ZL20rocblas_gemvn_kernelILi64ELi4EiPK19rocblas_complex_numIfES1_KPS1_EviiT3_lPKT2_lT1_lS9_lSA_lS6_lPT4_lSA_li
	.p2align	8
	.type	_ZL20rocblas_gemvn_kernelILi64ELi4EiPK19rocblas_complex_numIfES1_KPS1_EviiT3_lPKT2_lT1_lS9_lSA_lS6_lPT4_lSA_li,@function
_ZL20rocblas_gemvn_kernelILi64ELi4EiPK19rocblas_complex_numIfES1_KPS1_EviiT3_lPKT2_lT1_lS9_lSA_lS6_lPT4_lSA_li: ; @_ZL20rocblas_gemvn_kernelILi64ELi4EiPK19rocblas_complex_numIfES1_KPS1_EviiT3_lPKT2_lT1_lS9_lSA_lS6_lPT4_lSA_li
; %bb.0:
	s_load_dwordx2 s[2:3], s[4:5], 0x9c
	s_waitcnt lgkmcnt(0)
	s_lshr_b32 s1, s2, 16
	s_and_b32 s2, s2, 0xffff
	s_and_b32 s3, s3, 0xffff
	s_mul_i32 s1, s1, s2
	s_mul_i32 s1, s1, s3
	s_cmpk_lg_i32 s1, 0x100
	s_cbranch_scc1 .LBB296_53
; %bb.1:
	s_clause 0x1
	s_load_dwordx4 s[8:11], s[4:5], 0x0
	s_load_dwordx2 s[12:13], s[4:5], 0x58
	s_mov_b32 s0, s7
	s_waitcnt lgkmcnt(0)
	v_cmp_neq_f32_e64 s1, s10, 0
	v_cmp_neq_f32_e64 s2, s11, 0
	s_or_b32 s1, s1, s2
	s_and_b32 vcc_lo, exec_lo, s1
	s_mov_b32 s1, -1
	s_cbranch_vccnz .LBB296_3
; %bb.2:
	v_cmp_neq_f32_e64 s1, s12, 1.0
	v_cmp_neq_f32_e64 s2, s13, 0
	s_or_b32 s1, s1, s2
.LBB296_3:
	s_andn2_b32 vcc_lo, exec_lo, s1
	s_cbranch_vccnz .LBB296_53
; %bb.4:
	s_or_b32 s1, s10, s11
	s_bitset0_b32 s1, 31
	s_cmp_lg_u32 s1, 0
	s_cselect_b32 s3, -1, 0
	s_cmp_eq_u32 s1, 0
	s_mov_b32 s1, 0
	s_cselect_b32 s2, -1, 0
	s_and_b32 vcc_lo, exec_lo, s3
	s_cbranch_vccnz .LBB296_6
; %bb.5:
	s_mov_b32 s7, s1
	s_mov_b64 s[16:17], 0
	s_andn2_b32 vcc_lo, exec_lo, s7
	s_mov_b64 s[14:15], 0
	s_cbranch_vccz .LBB296_7
	s_branch .LBB296_8
.LBB296_6:
	s_mov_b64 s[16:17], 0
	s_mov_b64 s[14:15], 0
.LBB296_7:
	s_load_dwordx4 s[20:23], s[4:5], 0x18
	s_lshl_b64 s[14:15], s[0:1], 3
	s_waitcnt lgkmcnt(0)
	s_add_u32 s14, s20, s14
	s_addc_u32 s15, s21, s15
	s_lshl_b64 s[18:19], s[22:23], 3
	s_load_dwordx2 s[14:15], s[14:15], 0x0
	s_waitcnt lgkmcnt(0)
	s_add_u32 s14, s14, s18
	s_addc_u32 s15, s15, s19
.LBB296_8:
	s_andn2_b32 vcc_lo, exec_lo, s3
	s_cbranch_vccnz .LBB296_10
; %bb.9:
	s_load_dwordx4 s[16:19], s[4:5], 0x38
	s_lshl_b64 s[20:21], s[0:1], 3
	s_waitcnt lgkmcnt(0)
	s_add_u32 s16, s16, s20
	s_addc_u32 s17, s17, s21
	s_lshl_b64 s[18:19], s[18:19], 3
	s_load_dwordx2 s[16:17], s[16:17], 0x0
	s_waitcnt lgkmcnt(0)
	s_add_u32 s16, s16, s18
	s_addc_u32 s17, s17, s19
.LBB296_10:
	s_clause 0x1
	s_load_dwordx4 s[20:23], s[4:5], 0x68
	s_load_dword s19, s[4:5], 0x78
	s_lshl_b64 s[0:1], s[0:1], 3
	v_lshlrev_b32_e32 v54, 6, v1
	v_add_nc_u32_e32 v53, v54, v0
	s_waitcnt lgkmcnt(0)
	s_add_u32 s0, s20, s0
	s_addc_u32 s1, s21, s1
	s_lshl_b64 s[22:23], s[22:23], 3
	s_load_dwordx2 s[20:21], s[0:1], 0x0
	v_cmp_gt_u32_e64 s0, 0x100, v53
	s_mov_b32 s1, -1
	s_waitcnt lgkmcnt(0)
	s_add_u32 s7, s20, s22
	s_addc_u32 s18, s21, s23
	s_andn2_b32 vcc_lo, exec_lo, s2
	s_cbranch_vccnz .LBB296_17
; %bb.11:
	s_and_saveexec_b32 s1, s0
	s_cbranch_execz .LBB296_16
; %bb.12:
	v_lshl_or_b32 v2, s6, 8, v53
	v_mov_b32_e32 v3, 0
	s_ashr_i32 s3, s8, 31
	s_mov_b32 s2, s8
	v_cmp_gt_i64_e32 vcc_lo, s[2:3], v[2:3]
	s_and_b32 exec_lo, exec_lo, vcc_lo
	s_cbranch_execz .LBB296_16
; %bb.13:
	v_mad_u64_u32 v[4:5], null, s19, v2, 0
	s_ashr_i32 s3, s19, 31
	v_cmp_neq_f32_e64 s0, s12, 0
	v_cmp_neq_f32_e64 s2, s13, 0
	v_mad_u64_u32 v[5:6], null, s3, v2, v[5:6]
	v_mov_b32_e32 v6, v3
	s_or_b32 s0, s0, s2
	s_andn2_b32 vcc_lo, exec_lo, s0
	v_lshlrev_b64 v[4:5], 3, v[4:5]
	s_cbranch_vccnz .LBB296_15
; %bb.14:
	v_add_co_u32 v2, vcc_lo, s7, v4
	v_add_co_ci_u32_e64 v3, null, s18, v5, vcc_lo
	flat_load_dwordx2 v[2:3], v[2:3]
	s_waitcnt vmcnt(0) lgkmcnt(0)
	v_mul_f32_e32 v7, s13, v3
	v_mul_f32_e32 v6, s12, v3
	v_fma_f32 v3, s12, v2, -v7
	v_fmac_f32_e32 v6, s13, v2
.LBB296_15:
	v_add_co_u32 v7, vcc_lo, s7, v4
	v_add_co_ci_u32_e64 v8, null, s18, v5, vcc_lo
	v_mov_b32_e32 v5, v3
	flat_store_dwordx2 v[7:8], v[5:6]
.LBB296_16:
	s_or_b32 exec_lo, exec_lo, s1
	s_mov_b32 s1, 0
.LBB296_17:
	s_andn2_b32 vcc_lo, exec_lo, s1
	s_cbranch_vccnz .LBB296_53
; %bb.18:
	s_clause 0x1
	s_load_dword s20, s[4:5], 0x28
	s_load_dword s4, s[4:5], 0x48
	s_ashr_i32 s0, s9, 31
	s_lshl_b32 s5, s6, 8
	s_lshr_b32 s0, s0, 28
	v_lshlrev_b32_e32 v56, 2, v1
	v_or_b32_e32 v55, s5, v0
	v_mov_b32_e32 v3, 0
	v_mov_b32_e32 v2, 0
	v_mov_b32_e32 v5, 0
	v_mov_b32_e32 v4, 0
	v_mov_b32_e32 v7, 0
	v_mov_b32_e32 v6, 0
	v_mov_b32_e32 v9, 0
	v_mov_b32_e32 v8, 0
	s_add_i32 s0, s9, s0
	s_mov_b32 s21, exec_lo
	s_and_b32 s6, s0, -16
	v_cmpx_gt_i32_e64 s6, v56
	s_cbranch_execz .LBB296_30
; %bb.19:
	s_waitcnt lgkmcnt(0)
	v_mul_lo_u32 v3, s20, v56
	v_add_nc_u32_e32 v2, 64, v55
	v_add_nc_u32_e32 v4, 0x80, v55
	;; [unrolled: 1-line block ×3, first 2 shown]
	s_lshl_b32 s22, s20, 4
	s_lshl_b32 s24, s4, 4
	v_cmp_gt_i32_e64 s0, s8, v2
	v_add_nc_u32_e32 v2, 2, v56
	v_add3_u32 v57, v3, s20, v0
	v_mul_lo_u32 v3, v1, s20
	v_cmp_gt_i32_e64 s1, s8, v4
	v_add_nc_u32_e32 v4, 3, v56
	v_cmp_gt_i32_e64 s2, s8, v5
	v_mul_lo_u32 v5, v1, s4
	v_mad_u64_u32 v[10:11], null, s20, v2, v[0:1]
	v_mad_u64_u32 v[11:12], null, s20, v4, v[0:1]
	v_lshl_add_u32 v58, v3, 2, v0
	v_mov_b32_e32 v3, 0
	v_mad_u64_u32 v[12:13], null, s4, v56, s[4:5]
	v_mul_lo_u32 v59, s4, v2
	v_mul_lo_u32 v60, s4, v4
	v_lshlrev_b32_e32 v61, 2, v5
	v_mov_b32_e32 v2, v3
	v_mov_b32_e32 v5, v3
	;; [unrolled: 1-line block ×7, first 2 shown]
	s_mov_b32 s23, 0
	s_mov_b32 s25, 0
	v_cmp_gt_i32_e32 vcc_lo, s8, v55
	s_branch .LBB296_24
.LBB296_20:                             ;   in Loop: Header=BB296_24 Depth=1
	s_or_b32 exec_lo, exec_lo, s28
	s_waitcnt vmcnt(3) lgkmcnt(3)
	v_mul_f32_e32 v45, v26, v44
	v_mul_f32_e32 v44, v25, v44
	s_waitcnt vmcnt(2) lgkmcnt(2)
	v_mul_f32_e32 v46, v22, v42
	v_mul_f32_e32 v42, v21, v42
	s_waitcnt vmcnt(1) lgkmcnt(1)
	v_mul_f32_e32 v47, v16, v40
	v_fma_f32 v45, v25, v43, -v45
	v_fmac_f32_e32 v44, v26, v43
	v_mul_f32_e32 v40, v15, v40
	v_fma_f32 v46, v21, v41, -v46
	v_fmac_f32_e32 v42, v22, v41
	v_add_f32_e32 v4, v4, v45
	v_add_f32_e32 v5, v5, v44
	s_waitcnt vmcnt(0) lgkmcnt(0)
	v_mul_f32_e32 v43, v14, v38
	v_mul_f32_e32 v38, v13, v38
	v_fma_f32 v41, v15, v39, -v47
	v_add_f32_e32 v4, v46, v4
	v_fmac_f32_e32 v40, v16, v39
	v_add_f32_e32 v5, v42, v5
	v_fma_f32 v39, v13, v37, -v43
	v_fmac_f32_e32 v38, v14, v37
	v_add_f32_e32 v4, v41, v4
	v_add_f32_e32 v5, v40, v5
	;; [unrolled: 1-line block ×4, first 2 shown]
.LBB296_21:                             ;   in Loop: Header=BB296_24 Depth=1
	s_or_b32 exec_lo, exec_lo, s27
	s_waitcnt vmcnt(3) lgkmcnt(3)
	v_mul_f32_e32 v37, v26, v36
	v_mul_f32_e32 v36, v25, v36
	s_waitcnt vmcnt(2) lgkmcnt(2)
	v_mul_f32_e32 v38, v22, v34
	v_mul_f32_e32 v34, v21, v34
	s_waitcnt vmcnt(1) lgkmcnt(1)
	v_mul_f32_e32 v39, v16, v32
	v_fma_f32 v37, v25, v35, -v37
	v_fmac_f32_e32 v36, v26, v35
	v_mul_f32_e32 v32, v15, v32
	v_fma_f32 v38, v21, v33, -v38
	v_fmac_f32_e32 v34, v22, v33
	v_add_f32_e32 v6, v6, v37
	v_add_f32_e32 v7, v7, v36
	s_waitcnt vmcnt(0) lgkmcnt(0)
	v_mul_f32_e32 v35, v14, v30
	v_mul_f32_e32 v30, v13, v30
	v_fma_f32 v33, v15, v31, -v39
	v_add_f32_e32 v6, v38, v6
	v_fmac_f32_e32 v32, v16, v31
	v_add_f32_e32 v7, v34, v7
	v_fma_f32 v31, v13, v29, -v35
	v_fmac_f32_e32 v30, v14, v29
	v_add_f32_e32 v6, v33, v6
	v_add_f32_e32 v7, v32, v7
	;; [unrolled: 1-line block ×4, first 2 shown]
.LBB296_22:                             ;   in Loop: Header=BB296_24 Depth=1
	s_or_b32 exec_lo, exec_lo, s3
	s_waitcnt vmcnt(3) lgkmcnt(3)
	v_mul_f32_e32 v29, v26, v28
	v_mul_f32_e32 v28, v25, v28
	s_waitcnt vmcnt(2) lgkmcnt(2)
	v_mul_f32_e32 v30, v22, v24
	v_mul_f32_e32 v24, v21, v24
	s_waitcnt vmcnt(1) lgkmcnt(1)
	v_mul_f32_e32 v31, v16, v20
	v_fma_f32 v25, v25, v27, -v29
	v_fmac_f32_e32 v28, v26, v27
	v_mul_f32_e32 v20, v15, v20
	v_fma_f32 v21, v21, v23, -v30
	v_fmac_f32_e32 v24, v22, v23
	v_add_f32_e32 v8, v8, v25
	v_add_f32_e32 v9, v9, v28
	s_waitcnt vmcnt(0) lgkmcnt(0)
	v_mul_f32_e32 v26, v14, v18
	v_mul_f32_e32 v18, v13, v18
	v_fma_f32 v15, v15, v19, -v31
	v_add_f32_e32 v8, v21, v8
	v_fmac_f32_e32 v20, v16, v19
	v_add_f32_e32 v9, v24, v9
	v_fma_f32 v13, v13, v17, -v26
	v_fmac_f32_e32 v18, v14, v17
	v_add_f32_e32 v8, v15, v8
	v_add_f32_e32 v9, v20, v9
	;; [unrolled: 1-line block ×4, first 2 shown]
.LBB296_23:                             ;   in Loop: Header=BB296_24 Depth=1
	s_or_b32 exec_lo, exec_lo, s26
	v_add_nc_u32_e32 v56, 16, v56
	v_add_nc_u32_e32 v57, s22, v57
	v_add_nc_u32_e32 v10, s22, v10
	v_add_nc_u32_e32 v11, s22, v11
	v_add_nc_u32_e32 v58, s22, v58
	v_cmp_le_i32_e64 s3, s6, v56
	s_add_i32 s25, s25, s24
	s_or_b32 s23, s3, s23
	s_andn2_b32 exec_lo, exec_lo, s23
	s_cbranch_execz .LBB296_29
.LBB296_24:                             ; =>This Inner Loop Header: Depth=1
	s_and_saveexec_b32 s26, vcc_lo
	s_cbranch_execz .LBB296_23
; %bb.25:                               ;   in Loop: Header=BB296_24 Depth=1
	v_add_nc_u32_e32 v13, s25, v61
	v_add_nc_u32_e32 v15, s25, v12
	;; [unrolled: 1-line block ×5, first 2 shown]
	v_ashrrev_i32_e32 v14, 31, v13
	v_ashrrev_i32_e32 v16, 31, v15
	;; [unrolled: 1-line block ×3, first 2 shown]
	v_add_nc_u32_e32 v23, s5, v57
	v_ashrrev_i32_e32 v20, 31, v19
	v_lshlrev_b64 v[13:14], 3, v[13:14]
	v_lshlrev_b64 v[15:16], 3, v[15:16]
	v_ashrrev_i32_e32 v22, 31, v21
	v_lshlrev_b64 v[17:18], 3, v[17:18]
	v_ashrrev_i32_e32 v24, 31, v23
	v_lshlrev_b64 v[19:20], 3, v[19:20]
	v_add_co_u32 v13, s3, s16, v13
	v_add_nc_u32_e32 v25, s5, v10
	v_add_co_ci_u32_e64 v14, null, s17, v14, s3
	v_add_co_u32 v15, s3, s16, v15
	v_lshlrev_b64 v[21:22], 3, v[21:22]
	v_add_nc_u32_e32 v27, s5, v11
	v_add_co_ci_u32_e64 v16, null, s17, v16, s3
	v_add_co_u32 v17, s3, s16, v17
	v_lshlrev_b64 v[23:24], 3, v[23:24]
	v_ashrrev_i32_e32 v26, 31, v25
	v_add_co_ci_u32_e64 v18, null, s17, v18, s3
	v_add_co_u32 v19, s3, s16, v19
	v_ashrrev_i32_e32 v28, 31, v27
	v_add_co_ci_u32_e64 v20, null, s17, v20, s3
	v_add_co_u32 v51, s3, s14, v21
	v_add_co_ci_u32_e64 v52, null, s15, v22, s3
	v_lshlrev_b64 v[21:22], 3, v[25:26]
	v_add_co_u32 v49, s3, s14, v23
	v_add_co_ci_u32_e64 v50, null, s15, v24, s3
	v_lshlrev_b64 v[23:24], 3, v[27:28]
	v_add_co_u32 v47, s3, s14, v21
	v_add_co_ci_u32_e64 v48, null, s15, v22, s3
	v_add_co_u32 v45, s3, s14, v23
	v_add_co_ci_u32_e64 v46, null, s15, v24, s3
	s_clause 0x3
	flat_load_dwordx2 v[25:26], v[13:14]
	flat_load_dwordx2 v[21:22], v[15:16]
	;; [unrolled: 1-line block ×4, first 2 shown]
	s_clause 0x3
	flat_load_dwordx2 v[27:28], v[51:52]
	flat_load_dwordx2 v[23:24], v[49:50]
	;; [unrolled: 1-line block ×4, first 2 shown]
	s_and_saveexec_b32 s3, s0
	s_cbranch_execz .LBB296_22
; %bb.26:                               ;   in Loop: Header=BB296_24 Depth=1
	s_clause 0x3
	flat_load_dwordx2 v[35:36], v[51:52] offset:512
	flat_load_dwordx2 v[33:34], v[49:50] offset:512
	flat_load_dwordx2 v[31:32], v[47:48] offset:512
	flat_load_dwordx2 v[29:30], v[45:46] offset:512
	s_and_saveexec_b32 s27, s1
	s_cbranch_execz .LBB296_21
; %bb.27:                               ;   in Loop: Header=BB296_24 Depth=1
	s_clause 0x3
	flat_load_dwordx2 v[43:44], v[51:52] offset:1024
	flat_load_dwordx2 v[41:42], v[49:50] offset:1024
	flat_load_dwordx2 v[39:40], v[47:48] offset:1024
	flat_load_dwordx2 v[37:38], v[45:46] offset:1024
	;; [unrolled: 8-line block ×3, first 2 shown]
	s_waitcnt vmcnt(3) lgkmcnt(3)
	v_mul_f32_e32 v62, v26, v52
	v_mul_f32_e32 v52, v25, v52
	s_waitcnt vmcnt(2) lgkmcnt(2)
	v_mul_f32_e32 v63, v22, v50
	v_mul_f32_e32 v50, v21, v50
	s_waitcnt vmcnt(1) lgkmcnt(1)
	v_mul_f32_e32 v64, v16, v48
	v_fma_f32 v62, v25, v51, -v62
	v_fmac_f32_e32 v52, v26, v51
	v_mul_f32_e32 v48, v15, v48
	v_fma_f32 v63, v21, v49, -v63
	v_fmac_f32_e32 v50, v22, v49
	v_add_f32_e32 v2, v2, v62
	v_add_f32_e32 v3, v3, v52
	s_waitcnt vmcnt(0) lgkmcnt(0)
	v_mul_f32_e32 v51, v14, v46
	v_mul_f32_e32 v46, v13, v46
	v_fma_f32 v49, v15, v47, -v64
	v_fmac_f32_e32 v48, v16, v47
	v_add_f32_e32 v2, v63, v2
	v_add_f32_e32 v3, v50, v3
	v_fma_f32 v47, v13, v45, -v51
	v_fmac_f32_e32 v46, v14, v45
	v_add_f32_e32 v2, v49, v2
	v_add_f32_e32 v3, v48, v3
	;; [unrolled: 1-line block ×4, first 2 shown]
	s_branch .LBB296_20
.LBB296_29:
	s_or_b32 exec_lo, exec_lo, s23
.LBB296_30:
	s_or_b32 exec_lo, exec_lo, s21
	s_sub_i32 s0, s9, s6
	s_cmp_lt_i32 s0, 1
	s_cbranch_scc1 .LBB296_48
; %bb.31:
	v_cmp_gt_i32_e32 vcc_lo, s9, v56
	v_mov_b32_e32 v10, 0
	v_or_b32_e32 v18, 1, v56
	v_mov_b32_e32 v11, 0
	v_mov_b32_e32 v12, 0
	;; [unrolled: 1-line block ×7, first 2 shown]
	s_and_saveexec_b32 s1, vcc_lo
	s_cbranch_execz .LBB296_39
; %bb.32:
	s_waitcnt lgkmcnt(0)
	v_mul_lo_u32 v10, v56, s4
	v_mov_b32_e32 v17, 0
	v_mov_b32_e32 v16, 0
	;; [unrolled: 1-line block ×6, first 2 shown]
	s_mov_b32 s2, exec_lo
	v_ashrrev_i32_e32 v11, 31, v10
	v_lshlrev_b64 v[10:11], 3, v[10:11]
	v_add_co_u32 v10, s0, s16, v10
	v_add_co_ci_u32_e64 v11, null, s17, v11, s0
	flat_load_dwordx2 v[10:11], v[10:11]
	v_cmpx_gt_i32_e64 s9, v18
	s_cbranch_execz .LBB296_38
; %bb.33:
	v_mul_lo_u32 v12, v18, s4
	v_or_b32_e32 v19, 2, v56
	v_mov_b32_e32 v17, 0
	v_mov_b32_e32 v16, 0
	;; [unrolled: 1-line block ×4, first 2 shown]
	s_mov_b32 s3, exec_lo
	v_ashrrev_i32_e32 v13, 31, v12
	v_lshlrev_b64 v[12:13], 3, v[12:13]
	v_add_co_u32 v12, s0, s16, v12
	v_add_co_ci_u32_e64 v13, null, s17, v13, s0
	flat_load_dwordx2 v[12:13], v[12:13]
	v_cmpx_gt_i32_e64 s9, v19
	s_cbranch_execz .LBB296_37
; %bb.34:
	v_mul_lo_u32 v14, v19, s4
	v_or_b32_e32 v19, 3, v56
	v_mov_b32_e32 v17, 0
	v_mov_b32_e32 v16, 0
	s_mov_b32 s6, exec_lo
	v_ashrrev_i32_e32 v15, 31, v14
	v_lshlrev_b64 v[14:15], 3, v[14:15]
	v_add_co_u32 v14, s0, s16, v14
	v_add_co_ci_u32_e64 v15, null, s17, v15, s0
	flat_load_dwordx2 v[14:15], v[14:15]
	v_cmpx_gt_i32_e64 s9, v19
	s_cbranch_execz .LBB296_36
; %bb.35:
	v_mul_lo_u32 v16, v19, s4
	v_ashrrev_i32_e32 v17, 31, v16
	v_lshlrev_b64 v[16:17], 3, v[16:17]
	v_add_co_u32 v16, s0, s16, v16
	v_add_co_ci_u32_e64 v17, null, s17, v17, s0
	flat_load_dwordx2 v[16:17], v[16:17]
.LBB296_36:
	s_or_b32 exec_lo, exec_lo, s6
.LBB296_37:
	s_or_b32 exec_lo, exec_lo, s3
.LBB296_38:
	s_or_b32 exec_lo, exec_lo, s2
.LBB296_39:
	s_or_b32 exec_lo, exec_lo, s1
	s_mov_b32 s1, exec_lo
	v_cmpx_gt_i32_e64 s8, v55
	s_cbranch_execz .LBB296_47
; %bb.40:
	s_waitcnt lgkmcnt(0)
	v_mul_lo_u32 v19, v56, s20
	v_mul_lo_u32 v20, v18, s20
	v_or_b32_e32 v21, 2, v56
	v_or_b32_e32 v22, 3, v56
	s_mov_b32 s0, exec_lo
	v_mul_lo_u32 v23, v21, s20
	v_cndmask_b32_e32 v19, 0, v19, vcc_lo
	v_cmp_gt_i32_e32 vcc_lo, s9, v18
	v_mul_lo_u32 v24, v22, s20
	v_add_nc_u32_e32 v18, v19, v55
	v_cndmask_b32_e32 v20, 0, v20, vcc_lo
	v_cmp_gt_i32_e32 vcc_lo, s9, v21
	v_ashrrev_i32_e32 v19, 31, v18
	v_add_nc_u32_e32 v20, v20, v55
	v_cndmask_b32_e32 v23, 0, v23, vcc_lo
	v_cmp_gt_i32_e32 vcc_lo, s9, v22
	v_lshlrev_b64 v[18:19], 3, v[18:19]
	v_ashrrev_i32_e32 v21, 31, v20
	v_add_nc_u32_e32 v22, v23, v55
	v_cndmask_b32_e32 v24, 0, v24, vcc_lo
	v_lshlrev_b64 v[20:21], 3, v[20:21]
	v_ashrrev_i32_e32 v23, 31, v22
	v_add_nc_u32_e32 v26, v24, v55
	v_add_co_u32 v24, vcc_lo, s14, v18
	v_add_co_ci_u32_e64 v25, null, s15, v19, vcc_lo
	v_ashrrev_i32_e32 v27, 31, v26
	v_add_co_u32 v20, vcc_lo, s14, v20
	v_add_co_ci_u32_e64 v21, null, s15, v21, vcc_lo
	v_lshlrev_b64 v[18:19], 3, v[22:23]
	v_lshlrev_b64 v[26:27], 3, v[26:27]
	s_clause 0x1
	flat_load_dwordx2 v[28:29], v[24:25]
	flat_load_dwordx2 v[30:31], v[20:21]
	v_add_co_u32 v22, vcc_lo, s14, v18
	v_add_co_ci_u32_e64 v23, null, s15, v19, vcc_lo
	v_add_co_u32 v18, vcc_lo, s14, v26
	v_add_co_ci_u32_e64 v19, null, s15, v27, vcc_lo
	s_clause 0x1
	flat_load_dwordx2 v[26:27], v[22:23]
	flat_load_dwordx2 v[32:33], v[18:19]
	s_waitcnt vmcnt(3) lgkmcnt(3)
	v_mul_f32_e32 v34, v11, v29
	v_mul_f32_e32 v29, v10, v29
	s_waitcnt vmcnt(2) lgkmcnt(2)
	v_mul_f32_e32 v35, v13, v31
	v_mul_f32_e32 v31, v12, v31
	v_fma_f32 v34, v10, v28, -v34
	v_fmac_f32_e32 v29, v11, v28
	v_fma_f32 v28, v12, v30, -v35
	v_fmac_f32_e32 v31, v13, v30
	v_add_f32_e32 v8, v8, v34
	v_add_f32_e32 v29, v9, v29
	s_waitcnt vmcnt(1) lgkmcnt(1)
	v_mul_f32_e32 v30, v15, v27
	v_mul_f32_e32 v27, v14, v27
	s_waitcnt vmcnt(0) lgkmcnt(0)
	v_mul_f32_e32 v35, v17, v33
	v_mul_f32_e32 v9, v16, v33
	v_fma_f32 v30, v14, v26, -v30
	v_fmac_f32_e32 v27, v15, v26
	v_add_f32_e32 v26, v28, v8
	v_add_f32_e32 v28, v31, v29
	v_add_nc_u32_e32 v29, 64, v55
	v_fma_f32 v8, v16, v32, -v35
	v_fmac_f32_e32 v9, v17, v32
	v_add_f32_e32 v26, v30, v26
	v_add_f32_e32 v27, v27, v28
	v_cmpx_gt_i32_e64 s8, v29
	s_cbranch_execz .LBB296_46
; %bb.41:
	s_clause 0x3
	flat_load_dwordx2 v[28:29], v[24:25] offset:512
	flat_load_dwordx2 v[30:31], v[20:21] offset:512
	;; [unrolled: 1-line block ×4, first 2 shown]
	s_mov_b32 s2, exec_lo
	s_waitcnt vmcnt(3) lgkmcnt(3)
	v_mul_f32_e32 v36, v11, v29
	v_mul_f32_e32 v29, v10, v29
	s_waitcnt vmcnt(2) lgkmcnt(2)
	v_mul_f32_e32 v37, v13, v31
	v_mul_f32_e32 v31, v12, v31
	s_waitcnt vmcnt(1) lgkmcnt(1)
	v_mul_f32_e32 v38, v15, v33
	v_fma_f32 v36, v10, v28, -v36
	v_fmac_f32_e32 v29, v11, v28
	v_mul_f32_e32 v33, v14, v33
	v_fma_f32 v37, v12, v30, -v37
	v_fmac_f32_e32 v31, v13, v30
	v_add_f32_e32 v6, v6, v36
	v_add_f32_e32 v29, v7, v29
	s_waitcnt vmcnt(0) lgkmcnt(0)
	v_mul_f32_e32 v28, v17, v35
	v_mul_f32_e32 v7, v16, v35
	v_fma_f32 v30, v14, v32, -v38
	v_fmac_f32_e32 v33, v15, v32
	v_add_f32_e32 v32, v37, v6
	v_add_f32_e32 v29, v31, v29
	v_add_nc_u32_e32 v31, 0x80, v55
	v_fma_f32 v6, v16, v34, -v28
	v_fmac_f32_e32 v7, v17, v34
	v_add_f32_e32 v28, v30, v32
	v_add_f32_e32 v29, v33, v29
	v_cmpx_gt_i32_e64 s8, v31
	s_cbranch_execz .LBB296_45
; %bb.42:
	s_clause 0x3
	flat_load_dwordx2 v[30:31], v[24:25] offset:1024
	flat_load_dwordx2 v[32:33], v[20:21] offset:1024
	;; [unrolled: 1-line block ×4, first 2 shown]
	s_mov_b32 s3, exec_lo
	s_waitcnt vmcnt(3) lgkmcnt(3)
	v_mul_f32_e32 v38, v11, v31
	v_mul_f32_e32 v31, v10, v31
	s_waitcnt vmcnt(2) lgkmcnt(2)
	v_mul_f32_e32 v39, v13, v33
	v_mul_f32_e32 v33, v12, v33
	s_waitcnt vmcnt(1) lgkmcnt(1)
	v_mul_f32_e32 v40, v15, v35
	v_fma_f32 v38, v10, v30, -v38
	v_fmac_f32_e32 v31, v11, v30
	v_mul_f32_e32 v35, v14, v35
	v_fma_f32 v39, v12, v32, -v39
	v_fmac_f32_e32 v33, v13, v32
	v_add_f32_e32 v4, v4, v38
	v_add_f32_e32 v31, v5, v31
	s_waitcnt vmcnt(0) lgkmcnt(0)
	v_mul_f32_e32 v30, v17, v37
	v_mul_f32_e32 v5, v16, v37
	v_fma_f32 v32, v14, v34, -v40
	v_fmac_f32_e32 v35, v15, v34
	v_add_f32_e32 v34, v39, v4
	v_add_f32_e32 v31, v33, v31
	v_add_nc_u32_e32 v33, 0xc0, v55
	v_fma_f32 v4, v16, v36, -v30
	v_fmac_f32_e32 v5, v17, v36
	v_add_f32_e32 v30, v32, v34
	v_add_f32_e32 v31, v35, v31
	v_cmpx_gt_i32_e64 s8, v33
	s_cbranch_execz .LBB296_44
; %bb.43:
	s_clause 0x3
	flat_load_dwordx2 v[24:25], v[24:25] offset:1536
	flat_load_dwordx2 v[20:21], v[20:21] offset:1536
	flat_load_dwordx2 v[22:23], v[22:23] offset:1536
	flat_load_dwordx2 v[18:19], v[18:19] offset:1536
	s_waitcnt vmcnt(3) lgkmcnt(3)
	v_mul_f32_e32 v32, v11, v25
	v_mul_f32_e32 v25, v10, v25
	s_waitcnt vmcnt(2) lgkmcnt(2)
	v_mul_f32_e32 v33, v13, v21
	v_mul_f32_e32 v21, v12, v21
	s_waitcnt vmcnt(1) lgkmcnt(1)
	v_mul_f32_e32 v34, v15, v23
	v_fma_f32 v10, v10, v24, -v32
	v_fmac_f32_e32 v25, v11, v24
	v_mul_f32_e32 v23, v14, v23
	v_fma_f32 v12, v12, v20, -v33
	v_fmac_f32_e32 v21, v13, v20
	v_add_f32_e32 v2, v2, v10
	v_add_f32_e32 v3, v3, v25
	s_waitcnt vmcnt(0) lgkmcnt(0)
	v_mul_f32_e32 v11, v17, v19
	v_mul_f32_e32 v10, v16, v19
	v_fma_f32 v13, v14, v22, -v34
	v_fmac_f32_e32 v23, v15, v22
	v_add_f32_e32 v2, v12, v2
	v_add_f32_e32 v3, v21, v3
	v_fma_f32 v11, v16, v18, -v11
	v_fmac_f32_e32 v10, v17, v18
	v_add_f32_e32 v2, v13, v2
	v_add_f32_e32 v3, v23, v3
	;; [unrolled: 1-line block ×4, first 2 shown]
.LBB296_44:
	s_or_b32 exec_lo, exec_lo, s3
	v_add_f32_e32 v4, v4, v30
	v_add_f32_e32 v5, v5, v31
.LBB296_45:
	s_or_b32 exec_lo, exec_lo, s2
	v_add_f32_e32 v6, v6, v28
	v_add_f32_e32 v7, v7, v29
.LBB296_46:
	s_or_b32 exec_lo, exec_lo, s0
	v_add_f32_e32 v8, v8, v26
	v_add_f32_e32 v9, v9, v27
.LBB296_47:
	s_or_b32 exec_lo, exec_lo, s1
.LBB296_48:
	v_lshlrev_b32_e32 v0, 3, v0
	s_mov_b32 s0, exec_lo
	v_lshl_or_b32 v1, v1, 11, v0
	ds_write2st64_b64 v1, v[8:9], v[6:7] offset1:1
	ds_write2st64_b64 v1, v[4:5], v[2:3] offset0:2 offset1:3
	s_waitcnt vmcnt(0) lgkmcnt(0)
	s_waitcnt_vscnt null, 0x0
	s_barrier
	buffer_gl0_inv
	v_cmpx_gt_u32_e32 0x100, v53
	s_cbranch_execz .LBB296_53
; %bb.49:
	v_lshl_add_u32 v8, v54, 3, v0
	ds_read2st64_b64 v[0:3], v8 offset1:4
	ds_read2st64_b64 v[4:7], v8 offset0:8 offset1:12
	s_waitcnt lgkmcnt(1)
	v_add_f32_e32 v0, v0, v2
	v_add_f32_e32 v1, v1, v3
	s_waitcnt lgkmcnt(0)
	v_add_f32_e32 v2, v0, v4
	v_add_f32_e32 v1, v1, v5
	v_or_b32_e32 v0, s5, v53
	v_add_f32_e32 v2, v2, v6
	v_add_f32_e32 v3, v1, v7
	v_cmp_gt_i32_e32 vcc_lo, s8, v0
	ds_write_b64 v8, v[2:3]
	s_and_b32 exec_lo, exec_lo, vcc_lo
	s_cbranch_execz .LBB296_53
; %bb.50:
	v_mul_lo_u32 v4, s19, v0
	v_mul_f32_e32 v0, s11, v3
	v_mul_f32_e32 v1, s10, v3
	v_cmp_neq_f32_e64 s0, s12, 0
	v_cmp_neq_f32_e64 s1, s13, 0
	v_fma_f32 v0, v2, s10, -v0
	v_fmac_f32_e32 v1, s11, v2
	v_ashrrev_i32_e32 v5, 31, v4
	s_or_b32 s0, s0, s1
	s_andn2_b32 vcc_lo, exec_lo, s0
	v_lshlrev_b64 v[3:4], 3, v[4:5]
	s_cbranch_vccnz .LBB296_52
; %bb.51:
	v_add_co_u32 v5, vcc_lo, s7, v3
	v_add_co_ci_u32_e64 v6, null, s18, v4, vcc_lo
	flat_load_dwordx2 v[5:6], v[5:6]
	s_waitcnt vmcnt(0) lgkmcnt(0)
	v_mul_f32_e32 v2, s13, v6
	v_mul_f32_e32 v6, s12, v6
	v_fma_f32 v2, s12, v5, -v2
	v_fmac_f32_e32 v6, s13, v5
	v_add_f32_e32 v0, v0, v2
	v_add_f32_e32 v1, v1, v6
.LBB296_52:
	v_add_co_u32 v2, vcc_lo, s7, v3
	v_add_co_ci_u32_e64 v3, null, s18, v4, vcc_lo
	flat_store_dwordx2 v[2:3], v[0:1]
.LBB296_53:
	s_endpgm
	.section	.rodata,"a",@progbits
	.p2align	6, 0x0
	.amdhsa_kernel _ZL20rocblas_gemvn_kernelILi64ELi4EiPK19rocblas_complex_numIfES1_KPS1_EviiT3_lPKT2_lT1_lS9_lSA_lS6_lPT4_lSA_li
		.amdhsa_group_segment_fixed_size 8192
		.amdhsa_private_segment_fixed_size 0
		.amdhsa_kernarg_size 400
		.amdhsa_user_sgpr_count 6
		.amdhsa_user_sgpr_private_segment_buffer 1
		.amdhsa_user_sgpr_dispatch_ptr 0
		.amdhsa_user_sgpr_queue_ptr 0
		.amdhsa_user_sgpr_kernarg_segment_ptr 1
		.amdhsa_user_sgpr_dispatch_id 0
		.amdhsa_user_sgpr_flat_scratch_init 0
		.amdhsa_user_sgpr_private_segment_size 0
		.amdhsa_wavefront_size32 1
		.amdhsa_uses_dynamic_stack 0
		.amdhsa_system_sgpr_private_segment_wavefront_offset 0
		.amdhsa_system_sgpr_workgroup_id_x 1
		.amdhsa_system_sgpr_workgroup_id_y 0
		.amdhsa_system_sgpr_workgroup_id_z 1
		.amdhsa_system_sgpr_workgroup_info 0
		.amdhsa_system_vgpr_workitem_id 1
		.amdhsa_next_free_vgpr 65
		.amdhsa_next_free_sgpr 29
		.amdhsa_reserve_vcc 1
		.amdhsa_reserve_flat_scratch 1
		.amdhsa_float_round_mode_32 0
		.amdhsa_float_round_mode_16_64 0
		.amdhsa_float_denorm_mode_32 3
		.amdhsa_float_denorm_mode_16_64 3
		.amdhsa_dx10_clamp 1
		.amdhsa_ieee_mode 1
		.amdhsa_fp16_overflow 0
		.amdhsa_workgroup_processor_mode 1
		.amdhsa_memory_ordered 1
		.amdhsa_forward_progress 1
		.amdhsa_shared_vgpr_count 0
		.amdhsa_exception_fp_ieee_invalid_op 0
		.amdhsa_exception_fp_denorm_src 0
		.amdhsa_exception_fp_ieee_div_zero 0
		.amdhsa_exception_fp_ieee_overflow 0
		.amdhsa_exception_fp_ieee_underflow 0
		.amdhsa_exception_fp_ieee_inexact 0
		.amdhsa_exception_int_div_zero 0
	.end_amdhsa_kernel
	.section	.text._ZL20rocblas_gemvn_kernelILi64ELi4EiPK19rocblas_complex_numIfES1_KPS1_EviiT3_lPKT2_lT1_lS9_lSA_lS6_lPT4_lSA_li,"axG",@progbits,_ZL20rocblas_gemvn_kernelILi64ELi4EiPK19rocblas_complex_numIfES1_KPS1_EviiT3_lPKT2_lT1_lS9_lSA_lS6_lPT4_lSA_li,comdat
.Lfunc_end296:
	.size	_ZL20rocblas_gemvn_kernelILi64ELi4EiPK19rocblas_complex_numIfES1_KPS1_EviiT3_lPKT2_lT1_lS9_lSA_lS6_lPT4_lSA_li, .Lfunc_end296-_ZL20rocblas_gemvn_kernelILi64ELi4EiPK19rocblas_complex_numIfES1_KPS1_EviiT3_lPKT2_lT1_lS9_lSA_lS6_lPT4_lSA_li
                                        ; -- End function
	.set _ZL20rocblas_gemvn_kernelILi64ELi4EiPK19rocblas_complex_numIfES1_KPS1_EviiT3_lPKT2_lT1_lS9_lSA_lS6_lPT4_lSA_li.num_vgpr, 65
	.set _ZL20rocblas_gemvn_kernelILi64ELi4EiPK19rocblas_complex_numIfES1_KPS1_EviiT3_lPKT2_lT1_lS9_lSA_lS6_lPT4_lSA_li.num_agpr, 0
	.set _ZL20rocblas_gemvn_kernelILi64ELi4EiPK19rocblas_complex_numIfES1_KPS1_EviiT3_lPKT2_lT1_lS9_lSA_lS6_lPT4_lSA_li.numbered_sgpr, 29
	.set _ZL20rocblas_gemvn_kernelILi64ELi4EiPK19rocblas_complex_numIfES1_KPS1_EviiT3_lPKT2_lT1_lS9_lSA_lS6_lPT4_lSA_li.num_named_barrier, 0
	.set _ZL20rocblas_gemvn_kernelILi64ELi4EiPK19rocblas_complex_numIfES1_KPS1_EviiT3_lPKT2_lT1_lS9_lSA_lS6_lPT4_lSA_li.private_seg_size, 0
	.set _ZL20rocblas_gemvn_kernelILi64ELi4EiPK19rocblas_complex_numIfES1_KPS1_EviiT3_lPKT2_lT1_lS9_lSA_lS6_lPT4_lSA_li.uses_vcc, 1
	.set _ZL20rocblas_gemvn_kernelILi64ELi4EiPK19rocblas_complex_numIfES1_KPS1_EviiT3_lPKT2_lT1_lS9_lSA_lS6_lPT4_lSA_li.uses_flat_scratch, 1
	.set _ZL20rocblas_gemvn_kernelILi64ELi4EiPK19rocblas_complex_numIfES1_KPS1_EviiT3_lPKT2_lT1_lS9_lSA_lS6_lPT4_lSA_li.has_dyn_sized_stack, 0
	.set _ZL20rocblas_gemvn_kernelILi64ELi4EiPK19rocblas_complex_numIfES1_KPS1_EviiT3_lPKT2_lT1_lS9_lSA_lS6_lPT4_lSA_li.has_recursion, 0
	.set _ZL20rocblas_gemvn_kernelILi64ELi4EiPK19rocblas_complex_numIfES1_KPS1_EviiT3_lPKT2_lT1_lS9_lSA_lS6_lPT4_lSA_li.has_indirect_call, 0
	.section	.AMDGPU.csdata,"",@progbits
; Kernel info:
; codeLenInByte = 3552
; TotalNumSgprs: 31
; NumVgprs: 65
; ScratchSize: 0
; MemoryBound: 0
; FloatMode: 240
; IeeeMode: 1
; LDSByteSize: 8192 bytes/workgroup (compile time only)
; SGPRBlocks: 0
; VGPRBlocks: 8
; NumSGPRsForWavesPerEU: 31
; NumVGPRsForWavesPerEU: 65
; Occupancy: 12
; WaveLimiterHint : 1
; COMPUTE_PGM_RSRC2:SCRATCH_EN: 0
; COMPUTE_PGM_RSRC2:USER_SGPR: 6
; COMPUTE_PGM_RSRC2:TRAP_HANDLER: 0
; COMPUTE_PGM_RSRC2:TGID_X_EN: 1
; COMPUTE_PGM_RSRC2:TGID_Y_EN: 0
; COMPUTE_PGM_RSRC2:TGID_Z_EN: 1
; COMPUTE_PGM_RSRC2:TIDIG_COMP_CNT: 1
	.section	.text._ZL20rocblas_gemvn_kernelILi64ELi4ElPK19rocblas_complex_numIfES1_KPS1_EviiT3_lPKT2_lT1_lS9_lSA_lS6_lPT4_lSA_li,"axG",@progbits,_ZL20rocblas_gemvn_kernelILi64ELi4ElPK19rocblas_complex_numIfES1_KPS1_EviiT3_lPKT2_lT1_lS9_lSA_lS6_lPT4_lSA_li,comdat
	.globl	_ZL20rocblas_gemvn_kernelILi64ELi4ElPK19rocblas_complex_numIfES1_KPS1_EviiT3_lPKT2_lT1_lS9_lSA_lS6_lPT4_lSA_li ; -- Begin function _ZL20rocblas_gemvn_kernelILi64ELi4ElPK19rocblas_complex_numIfES1_KPS1_EviiT3_lPKT2_lT1_lS9_lSA_lS6_lPT4_lSA_li
	.p2align	8
	.type	_ZL20rocblas_gemvn_kernelILi64ELi4ElPK19rocblas_complex_numIfES1_KPS1_EviiT3_lPKT2_lT1_lS9_lSA_lS6_lPT4_lSA_li,@function
_ZL20rocblas_gemvn_kernelILi64ELi4ElPK19rocblas_complex_numIfES1_KPS1_EviiT3_lPKT2_lT1_lS9_lSA_lS6_lPT4_lSA_li: ; @_ZL20rocblas_gemvn_kernelILi64ELi4ElPK19rocblas_complex_numIfES1_KPS1_EviiT3_lPKT2_lT1_lS9_lSA_lS6_lPT4_lSA_li
; %bb.0:
	s_load_dwordx2 s[0:1], s[4:5], 0x9c
	s_waitcnt lgkmcnt(0)
	s_lshr_b32 s2, s0, 16
	s_and_b32 s0, s0, 0xffff
	s_and_b32 s1, s1, 0xffff
	s_mul_i32 s0, s2, s0
	s_mul_i32 s0, s0, s1
	s_cmpk_lg_i32 s0, 0x100
	s_cbranch_scc1 .LBB297_53
; %bb.1:
	s_clause 0x1
	s_load_dwordx4 s[8:11], s[4:5], 0x0
	s_load_dwordx2 s[12:13], s[4:5], 0x58
	s_mov_b32 s14, s7
	s_waitcnt lgkmcnt(0)
	v_cmp_neq_f32_e64 s0, s10, 0
	v_cmp_neq_f32_e64 s1, s11, 0
	s_or_b32 s0, s0, s1
	s_and_b32 vcc_lo, exec_lo, s0
	s_mov_b32 s0, -1
	s_cbranch_vccnz .LBB297_3
; %bb.2:
	v_cmp_neq_f32_e64 s0, s12, 1.0
	v_cmp_neq_f32_e64 s1, s13, 0
	s_or_b32 s0, s0, s1
.LBB297_3:
	s_andn2_b32 vcc_lo, exec_lo, s0
	s_cbranch_vccnz .LBB297_53
; %bb.4:
	s_clause 0x1
	s_load_dwordx4 s[0:3], s[4:5], 0x18
	s_load_dwordx2 s[16:17], s[4:5], 0x28
	s_or_b32 s7, s10, s11
	s_mov_b32 s15, 0
	s_bitset0_b32 s7, 31
	s_cmp_lg_u32 s7, 0
	s_cselect_b32 s24, -1, 0
	s_cmp_eq_u32 s7, 0
	s_cselect_b32 s7, -1, 0
	s_and_b32 vcc_lo, exec_lo, s24
	s_cbranch_vccnz .LBB297_6
; %bb.5:
	s_mov_b32 s18, s15
	s_mov_b64 s[20:21], 0
	s_andn2_b32 vcc_lo, exec_lo, s18
	s_mov_b64 s[18:19], 0
	s_cbranch_vccz .LBB297_7
	s_branch .LBB297_8
.LBB297_6:
	s_mov_b64 s[20:21], 0
	s_mov_b64 s[18:19], 0
.LBB297_7:
	s_lshl_b64 s[18:19], s[14:15], 3
	s_waitcnt lgkmcnt(0)
	s_add_u32 s0, s0, s18
	s_addc_u32 s1, s1, s19
	s_lshl_b64 s[2:3], s[2:3], 3
	s_load_dwordx2 s[0:1], s[0:1], 0x0
	s_waitcnt lgkmcnt(0)
	s_add_u32 s18, s0, s2
	s_addc_u32 s19, s1, s3
.LBB297_8:
	s_waitcnt lgkmcnt(0)
	s_clause 0x1
	s_load_dwordx4 s[0:3], s[4:5], 0x38
	s_load_dwordx2 s[22:23], s[4:5], 0x48
	s_andn2_b32 vcc_lo, exec_lo, s24
	s_cbranch_vccnz .LBB297_10
; %bb.9:
	s_lshl_b64 s[20:21], s[14:15], 3
	s_waitcnt lgkmcnt(0)
	s_add_u32 s0, s0, s20
	s_addc_u32 s1, s1, s21
	s_lshl_b64 s[2:3], s[2:3], 3
	s_load_dwordx2 s[0:1], s[0:1], 0x0
	s_waitcnt lgkmcnt(0)
	s_add_u32 s20, s0, s2
	s_addc_u32 s21, s1, s3
.LBB297_10:
	s_waitcnt lgkmcnt(0)
	s_load_dwordx4 s[0:3], s[4:5], 0x68
	s_lshl_b64 s[24:25], s[14:15], 3
	s_load_dwordx2 s[14:15], s[4:5], 0x78
	v_lshlrev_b32_e32 v63, 6, v1
	v_add_nc_u32_e32 v62, v63, v0
	s_waitcnt lgkmcnt(0)
	s_add_u32 s0, s0, s24
	s_addc_u32 s1, s1, s25
	s_lshl_b64 s[2:3], s[2:3], 3
	s_load_dwordx2 s[24:25], s[0:1], 0x0
	v_cmp_gt_u32_e64 s0, 0x100, v62
	s_mov_b32 s1, -1
	s_waitcnt lgkmcnt(0)
	s_add_u32 s5, s24, s2
	s_addc_u32 s28, s25, s3
	s_andn2_b32 vcc_lo, exec_lo, s7
	s_cbranch_vccnz .LBB297_17
; %bb.11:
	s_and_saveexec_b32 s1, s0
	s_cbranch_execz .LBB297_16
; %bb.12:
	v_lshl_or_b32 v2, s6, 8, v62
	v_mov_b32_e32 v3, 0
	s_ashr_i32 s3, s8, 31
	s_mov_b32 s2, s8
	v_cmp_gt_i64_e32 vcc_lo, s[2:3], v[2:3]
	s_and_b32 exec_lo, exec_lo, vcc_lo
	s_cbranch_execz .LBB297_16
; %bb.13:
	v_mad_u64_u32 v[4:5], null, s14, v2, 0
	v_cmp_neq_f32_e64 s0, s12, 0
	v_cmp_neq_f32_e64 s2, s13, 0
	s_or_b32 s0, s0, s2
	v_mad_u64_u32 v[5:6], null, s15, v2, v[5:6]
	v_mov_b32_e32 v6, v3
	s_andn2_b32 vcc_lo, exec_lo, s0
	v_lshlrev_b64 v[4:5], 3, v[4:5]
	s_cbranch_vccnz .LBB297_15
; %bb.14:
	v_add_co_u32 v2, vcc_lo, s5, v4
	v_add_co_ci_u32_e64 v3, null, s28, v5, vcc_lo
	flat_load_dwordx2 v[2:3], v[2:3]
	s_waitcnt vmcnt(0) lgkmcnt(0)
	v_mul_f32_e32 v7, s13, v3
	v_mul_f32_e32 v6, s12, v3
	v_fma_f32 v3, s12, v2, -v7
	v_fmac_f32_e32 v6, s13, v2
.LBB297_15:
	v_add_co_u32 v7, vcc_lo, s5, v4
	v_add_co_ci_u32_e64 v8, null, s28, v5, vcc_lo
	v_mov_b32_e32 v5, v3
	flat_store_dwordx2 v[7:8], v[5:6]
.LBB297_16:
	s_or_b32 exec_lo, exec_lo, s1
	s_mov_b32 s1, 0
.LBB297_17:
	s_andn2_b32 vcc_lo, exec_lo, s1
	s_cbranch_vccnz .LBB297_53
; %bb.18:
	s_ashr_i32 s0, s9, 31
	s_lshl_b32 s29, s6, 8
	s_lshr_b32 s0, s0, 28
	v_lshlrev_b32_e32 v64, 2, v1
	v_mov_b32_e32 v3, 0
	v_or_b32_e32 v4, s29, v0
	v_mov_b32_e32 v2, 0
	v_mov_b32_e32 v7, 0
	;; [unrolled: 1-line block ×7, first 2 shown]
	s_add_i32 s0, s9, s0
	s_mov_b32 s31, exec_lo
	s_and_b32 s30, s0, -16
	v_cmpx_gt_i32_e64 s30, v64
	s_cbranch_execz .LBB297_30
; %bb.19:
	v_lshlrev_b32_e32 v18, 2, v1
	v_add_nc_u32_e32 v10, 64, v4
	v_mad_u64_u32 v[2:3], null, s22, v1, 0
	v_mad_u64_u32 v[8:9], null, s16, v1, 0
	v_or_b32_e32 v14, 3, v18
	v_or_b32_e32 v19, 2, v18
	v_cmp_gt_i32_e64 s0, s8, v10
	v_mad_u64_u32 v[10:11], null, s16, v18, s[16:17]
	v_mad_u64_u32 v[6:7], null, s16, v14, 0
	;; [unrolled: 1-line block ×3, first 2 shown]
	v_ashrrev_i32_e32 v5, 31, v4
	v_add_nc_u32_e32 v15, 0x80, v4
	v_mad_u64_u32 v[12:13], null, s23, v1, v[3:4]
	v_mad_u64_u32 v[13:14], null, s17, v14, v[7:8]
	v_add_nc_u32_e32 v16, 0xc0, v4
	v_cmp_gt_i32_e64 s1, s8, v15
	v_lshlrev_b64 v[14:15], 3, v[4:5]
	v_mov_b32_e32 v5, v9
	v_mov_b32_e32 v9, v11
	;; [unrolled: 1-line block ×3, first 2 shown]
	v_cmp_gt_i32_e64 s2, s8, v16
	v_mov_b32_e32 v3, v12
	v_mad_u64_u32 v[16:17], null, s17, v1, v[5:6]
	v_mad_u64_u32 v[17:18], null, s17, v18, v[9:10]
	;; [unrolled: 1-line block ×3, first 2 shown]
	v_mov_b32_e32 v7, v13
	v_add_co_u32 v5, s3, s18, v14
	v_mov_b32_e32 v9, v16
	v_mov_b32_e32 v11, v17
	v_lshlrev_b64 v[12:13], 3, v[6:7]
	v_lshlrev_b64 v[6:7], 5, v[2:3]
	v_mov_b32_e32 v21, v18
	v_mov_b32_e32 v3, 0
	v_add_co_ci_u32_e64 v65, null, s19, v15, s3
	v_lshlrev_b64 v[16:17], 5, v[8:9]
	v_add_co_u32 v14, s3, s20, v6
	v_lshlrev_b64 v[18:19], 3, v[10:11]
	v_lshlrev_b64 v[20:21], 3, v[20:21]
	v_add_co_ci_u32_e64 v15, null, s21, v7, s3
	v_mov_b32_e32 v2, v3
	v_mov_b32_e32 v7, v3
	;; [unrolled: 1-line block ×7, first 2 shown]
	s_lshl_b64 s[6:7], s[16:17], 7
	s_lshl_b64 s[24:25], s[22:23], 7
	s_lshl_b64 s[26:27], s[22:23], 3
	s_mov_b32 s33, 0
	v_cmp_gt_i32_e32 vcc_lo, s8, v4
	s_branch .LBB297_24
.LBB297_20:                             ;   in Loop: Header=BB297_24 Depth=1
	s_or_b32 exec_lo, exec_lo, s35
	s_waitcnt vmcnt(3) lgkmcnt(3)
	v_mul_f32_e32 v54, v35, v53
	v_mul_f32_e32 v53, v34, v53
	s_waitcnt vmcnt(2) lgkmcnt(2)
	v_mul_f32_e32 v55, v31, v51
	v_mul_f32_e32 v51, v30, v51
	s_waitcnt vmcnt(1) lgkmcnt(1)
	v_mul_f32_e32 v56, v25, v49
	v_fma_f32 v54, v34, v52, -v54
	v_fmac_f32_e32 v53, v35, v52
	v_mul_f32_e32 v49, v24, v49
	v_fma_f32 v55, v30, v50, -v55
	v_fmac_f32_e32 v51, v31, v50
	v_add_f32_e32 v6, v6, v54
	v_add_f32_e32 v7, v7, v53
	s_waitcnt vmcnt(0) lgkmcnt(0)
	v_mul_f32_e32 v52, v23, v47
	v_mul_f32_e32 v47, v22, v47
	v_fma_f32 v50, v24, v48, -v56
	v_add_f32_e32 v6, v55, v6
	v_fmac_f32_e32 v49, v25, v48
	v_add_f32_e32 v7, v51, v7
	v_fma_f32 v48, v22, v46, -v52
	v_fmac_f32_e32 v47, v23, v46
	v_add_f32_e32 v6, v50, v6
	v_add_f32_e32 v7, v49, v7
	;; [unrolled: 1-line block ×4, first 2 shown]
.LBB297_21:                             ;   in Loop: Header=BB297_24 Depth=1
	s_or_b32 exec_lo, exec_lo, s34
	s_waitcnt vmcnt(3) lgkmcnt(3)
	v_mul_f32_e32 v46, v35, v45
	v_mul_f32_e32 v45, v34, v45
	s_waitcnt vmcnt(2) lgkmcnt(2)
	v_mul_f32_e32 v47, v31, v43
	v_mul_f32_e32 v43, v30, v43
	s_waitcnt vmcnt(1) lgkmcnt(1)
	v_mul_f32_e32 v48, v25, v41
	v_fma_f32 v46, v34, v44, -v46
	v_fmac_f32_e32 v45, v35, v44
	v_mul_f32_e32 v41, v24, v41
	v_fma_f32 v47, v30, v42, -v47
	v_fmac_f32_e32 v43, v31, v42
	v_add_f32_e32 v8, v8, v46
	v_add_f32_e32 v9, v9, v45
	s_waitcnt vmcnt(0) lgkmcnt(0)
	v_mul_f32_e32 v44, v23, v39
	v_mul_f32_e32 v39, v22, v39
	v_fma_f32 v42, v24, v40, -v48
	v_add_f32_e32 v8, v47, v8
	v_fmac_f32_e32 v41, v25, v40
	v_add_f32_e32 v9, v43, v9
	v_fma_f32 v40, v22, v38, -v44
	v_fmac_f32_e32 v39, v23, v38
	v_add_f32_e32 v8, v42, v8
	v_add_f32_e32 v9, v41, v9
	;; [unrolled: 1-line block ×4, first 2 shown]
.LBB297_22:                             ;   in Loop: Header=BB297_24 Depth=1
	s_or_b32 exec_lo, exec_lo, s3
	s_waitcnt vmcnt(3) lgkmcnt(3)
	v_mul_f32_e32 v38, v35, v37
	v_mul_f32_e32 v37, v34, v37
	s_waitcnt vmcnt(2) lgkmcnt(2)
	v_mul_f32_e32 v39, v31, v33
	v_mul_f32_e32 v33, v30, v33
	s_waitcnt vmcnt(1) lgkmcnt(1)
	v_mul_f32_e32 v40, v25, v29
	v_fma_f32 v34, v34, v36, -v38
	v_fmac_f32_e32 v37, v35, v36
	v_mul_f32_e32 v29, v24, v29
	v_fma_f32 v30, v30, v32, -v39
	v_fmac_f32_e32 v33, v31, v32
	v_add_f32_e32 v10, v10, v34
	v_add_f32_e32 v11, v11, v37
	s_waitcnt vmcnt(0) lgkmcnt(0)
	v_mul_f32_e32 v35, v23, v27
	v_mul_f32_e32 v27, v22, v27
	v_fma_f32 v24, v24, v28, -v40
	v_add_f32_e32 v10, v30, v10
	v_fmac_f32_e32 v29, v25, v28
	v_add_f32_e32 v11, v33, v11
	v_fma_f32 v22, v22, v26, -v35
	v_fmac_f32_e32 v27, v23, v26
	v_add_f32_e32 v10, v24, v10
	v_add_f32_e32 v11, v29, v11
	;; [unrolled: 1-line block ×4, first 2 shown]
.LBB297_23:                             ;   in Loop: Header=BB297_24 Depth=1
	s_or_b32 exec_lo, exec_lo, s4
	v_add_nc_u32_e32 v64, 16, v64
	v_add_co_u32 v5, s3, v5, s6
	v_add_co_ci_u32_e64 v65, null, s7, v65, s3
	v_cmp_le_i32_e64 s3, s30, v64
	v_add_co_u32 v14, s4, v14, s24
	v_add_co_ci_u32_e64 v15, null, s25, v15, s4
	s_or_b32 s33, s3, s33
	s_andn2_b32 exec_lo, exec_lo, s33
	s_cbranch_execz .LBB297_29
.LBB297_24:                             ; =>This Inner Loop Header: Depth=1
	s_and_saveexec_b32 s4, vcc_lo
	s_cbranch_execz .LBB297_23
; %bb.25:                               ;   in Loop: Header=BB297_24 Depth=1
	v_add_co_u32 v22, s3, v14, s26
	v_add_co_ci_u32_e64 v23, null, s27, v15, s3
	v_add_co_u32 v24, s3, v22, s26
	v_add_co_ci_u32_e64 v25, null, s27, v23, s3
	;; [unrolled: 2-line block ×7, first 2 shown]
	s_clause 0x3
	flat_load_dwordx2 v[34:35], v[14:15]
	flat_load_dwordx2 v[30:31], v[22:23]
	;; [unrolled: 1-line block ×4, first 2 shown]
	s_clause 0x3
	flat_load_dwordx2 v[36:37], v[60:61]
	flat_load_dwordx2 v[32:33], v[58:59]
	;; [unrolled: 1-line block ×4, first 2 shown]
	s_and_saveexec_b32 s3, s0
	s_cbranch_execz .LBB297_22
; %bb.26:                               ;   in Loop: Header=BB297_24 Depth=1
	s_clause 0x3
	flat_load_dwordx2 v[44:45], v[60:61] offset:512
	flat_load_dwordx2 v[42:43], v[58:59] offset:512
	flat_load_dwordx2 v[40:41], v[56:57] offset:512
	flat_load_dwordx2 v[38:39], v[54:55] offset:512
	s_and_saveexec_b32 s34, s1
	s_cbranch_execz .LBB297_21
; %bb.27:                               ;   in Loop: Header=BB297_24 Depth=1
	s_clause 0x3
	flat_load_dwordx2 v[52:53], v[60:61] offset:1024
	flat_load_dwordx2 v[50:51], v[58:59] offset:1024
	flat_load_dwordx2 v[48:49], v[56:57] offset:1024
	flat_load_dwordx2 v[46:47], v[54:55] offset:1024
	;; [unrolled: 8-line block ×3, first 2 shown]
	s_waitcnt vmcnt(3) lgkmcnt(3)
	v_mul_f32_e32 v66, v35, v61
	v_mul_f32_e32 v61, v34, v61
	s_waitcnt vmcnt(2) lgkmcnt(2)
	v_mul_f32_e32 v67, v31, v59
	v_mul_f32_e32 v59, v30, v59
	s_waitcnt vmcnt(1) lgkmcnt(1)
	v_mul_f32_e32 v68, v25, v57
	v_fma_f32 v66, v34, v60, -v66
	v_fmac_f32_e32 v61, v35, v60
	v_mul_f32_e32 v57, v24, v57
	v_fma_f32 v67, v30, v58, -v67
	v_fmac_f32_e32 v59, v31, v58
	v_add_f32_e32 v2, v2, v66
	v_add_f32_e32 v3, v3, v61
	s_waitcnt vmcnt(0) lgkmcnt(0)
	v_mul_f32_e32 v60, v23, v55
	v_mul_f32_e32 v55, v22, v55
	v_fma_f32 v58, v24, v56, -v68
	v_fmac_f32_e32 v57, v25, v56
	v_add_f32_e32 v2, v67, v2
	v_add_f32_e32 v3, v59, v3
	v_fma_f32 v56, v22, v54, -v60
	v_fmac_f32_e32 v55, v23, v54
	v_add_f32_e32 v2, v58, v2
	v_add_f32_e32 v3, v57, v3
	;; [unrolled: 1-line block ×4, first 2 shown]
	s_branch .LBB297_20
.LBB297_29:
	s_or_b32 exec_lo, exec_lo, s33
.LBB297_30:
	s_or_b32 exec_lo, exec_lo, s31
	s_sub_i32 s0, s9, s30
	s_cmp_lt_i32 s0, 1
	s_cbranch_scc1 .LBB297_48
; %bb.31:
	v_cmp_gt_i32_e32 vcc_lo, s9, v64
	v_mov_b32_e32 v12, 0
	v_or_b32_e32 v20, 1, v64
	v_mov_b32_e32 v13, 0
	v_mov_b32_e32 v14, 0
	;; [unrolled: 1-line block ×7, first 2 shown]
	s_and_saveexec_b32 s1, vcc_lo
	s_cbranch_execz .LBB297_39
; %bb.32:
	v_mad_u64_u32 v[12:13], null, s22, v64, 0
	v_mov_b32_e32 v19, 0
	v_mov_b32_e32 v18, 0
	;; [unrolled: 1-line block ×5, first 2 shown]
	s_mov_b32 s2, exec_lo
	v_mov_b32_e32 v5, v13
	v_mad_u64_u32 v[13:14], null, s23, v64, v[5:6]
	v_mov_b32_e32 v14, 0
	v_lshlrev_b64 v[12:13], 3, v[12:13]
	v_add_co_u32 v12, s0, s20, v12
	v_add_co_ci_u32_e64 v13, null, s21, v13, s0
	flat_load_dwordx2 v[12:13], v[12:13]
	v_cmpx_gt_i32_e64 s9, v20
	s_cbranch_execz .LBB297_38
; %bb.33:
	v_mad_u64_u32 v[14:15], null, s22, v20, 0
	v_mov_b32_e32 v19, 0
	v_mov_b32_e32 v18, 0
	;; [unrolled: 1-line block ×3, first 2 shown]
	s_mov_b32 s3, exec_lo
	v_mov_b32_e32 v5, v15
	v_mad_u64_u32 v[15:16], null, s23, v20, v[5:6]
	v_or_b32_e32 v5, 2, v64
	v_mov_b32_e32 v16, 0
	v_lshlrev_b64 v[14:15], 3, v[14:15]
	v_add_co_u32 v14, s0, s20, v14
	v_add_co_ci_u32_e64 v15, null, s21, v15, s0
	flat_load_dwordx2 v[14:15], v[14:15]
	v_cmpx_gt_i32_e64 s9, v5
	s_cbranch_execz .LBB297_37
; %bb.34:
	v_mad_u64_u32 v[16:17], null, s22, v5, 0
	v_mov_b32_e32 v19, 0
	s_mov_b32 s4, exec_lo
	v_mad_u64_u32 v[17:18], null, s23, v5, v[17:18]
	v_or_b32_e32 v5, 3, v64
	v_mov_b32_e32 v18, 0
	v_lshlrev_b64 v[16:17], 3, v[16:17]
	v_add_co_u32 v16, s0, s20, v16
	v_add_co_ci_u32_e64 v17, null, s21, v17, s0
	flat_load_dwordx2 v[16:17], v[16:17]
	v_cmpx_gt_i32_e64 s9, v5
	s_cbranch_execz .LBB297_36
; %bb.35:
	v_mad_u64_u32 v[18:19], null, s22, v5, 0
	v_mad_u64_u32 v[21:22], null, s23, v5, v[19:20]
	v_mov_b32_e32 v19, v21
	v_lshlrev_b64 v[18:19], 3, v[18:19]
	v_add_co_u32 v18, s0, s20, v18
	v_add_co_ci_u32_e64 v19, null, s21, v19, s0
	flat_load_dwordx2 v[18:19], v[18:19]
.LBB297_36:
	s_or_b32 exec_lo, exec_lo, s4
.LBB297_37:
	s_or_b32 exec_lo, exec_lo, s3
.LBB297_38:
	s_or_b32 exec_lo, exec_lo, s2
.LBB297_39:
	s_or_b32 exec_lo, exec_lo, s1
	s_mov_b32 s1, exec_lo
	v_cmpx_gt_i32_e64 s8, v4
	s_cbranch_execz .LBB297_47
; %bb.40:
	v_mad_u64_u32 v[21:22], null, s16, v64, 0
	v_mad_u64_u32 v[23:24], null, s16, v20, 0
	v_ashrrev_i32_e32 v5, 31, v4
	v_or_b32_e32 v32, 2, v64
	v_or_b32_e32 v33, 3, v64
	v_cndmask_b32_e32 v21, 0, v21, vcc_lo
	v_lshlrev_b64 v[28:29], 3, v[4:5]
	v_mad_u64_u32 v[25:26], null, s17, v64, v[22:23]
	v_mov_b32_e32 v5, v24
	v_mad_u64_u32 v[26:27], null, s16, v32, 0
	v_mad_u64_u32 v[30:31], null, s16, v33, 0
	v_cmp_gt_i32_e64 s0, s9, v32
	v_cndmask_b32_e32 v22, 0, v25, vcc_lo
	v_mad_u64_u32 v[24:25], null, s17, v20, v[5:6]
	v_cmp_gt_i32_e32 vcc_lo, s9, v20
	v_mov_b32_e32 v5, v27
	v_mov_b32_e32 v25, v31
	v_cndmask_b32_e32 v20, 0, v23, vcc_lo
	v_lshlrev_b64 v[22:23], 3, v[21:22]
	v_cndmask_b32_e32 v21, 0, v24, vcc_lo
	v_mad_u64_u32 v[31:32], null, s17, v32, v[5:6]
	v_add_co_u32 v5, vcc_lo, s18, v22
	v_add_co_ci_u32_e64 v24, null, s19, v23, vcc_lo
	v_lshlrev_b64 v[22:23], 3, v[20:21]
	v_add_co_u32 v20, vcc_lo, v5, v28
	v_add_co_ci_u32_e64 v21, null, v24, v29, vcc_lo
	v_cndmask_b32_e64 v24, 0, v26, s0
	v_mad_u64_u32 v[26:27], null, s17, v33, v[25:26]
	v_add_co_u32 v5, vcc_lo, s18, v22
	v_add_co_ci_u32_e64 v23, null, s19, v23, vcc_lo
	v_cmp_gt_i32_e32 vcc_lo, s9, v33
	v_cndmask_b32_e64 v25, 0, v31, s0
	v_add_co_u32 v22, s0, v5, v28
	v_add_co_ci_u32_e64 v23, null, v23, v29, s0
	v_cndmask_b32_e32 v30, 0, v30, vcc_lo
	v_cndmask_b32_e32 v31, 0, v26, vcc_lo
	v_lshlrev_b64 v[24:25], 3, v[24:25]
	s_clause 0x1
	flat_load_dwordx2 v[32:33], v[20:21]
	flat_load_dwordx2 v[34:35], v[22:23]
	s_mov_b32 s0, exec_lo
	v_lshlrev_b64 v[26:27], 3, v[30:31]
	v_add_co_u32 v5, vcc_lo, s18, v24
	v_add_co_ci_u32_e64 v24, null, s19, v25, vcc_lo
	v_add_co_u32 v25, vcc_lo, s18, v26
	v_add_co_ci_u32_e64 v30, null, s19, v27, vcc_lo
	;; [unrolled: 2-line block ×4, first 2 shown]
	s_clause 0x1
	flat_load_dwordx2 v[28:29], v[26:27]
	flat_load_dwordx2 v[30:31], v[24:25]
	s_waitcnt vmcnt(3) lgkmcnt(3)
	v_mul_f32_e32 v5, v13, v33
	v_mul_f32_e32 v33, v12, v33
	s_waitcnt vmcnt(2) lgkmcnt(2)
	v_mul_f32_e32 v36, v15, v35
	v_mul_f32_e32 v35, v14, v35
	v_fma_f32 v5, v12, v32, -v5
	v_fmac_f32_e32 v33, v13, v32
	v_fma_f32 v32, v14, v34, -v36
	v_fmac_f32_e32 v35, v15, v34
	v_add_f32_e32 v10, v10, v5
	v_add_f32_e32 v11, v11, v33
	v_add_nc_u32_e32 v33, 64, v4
	s_waitcnt vmcnt(1) lgkmcnt(1)
	v_mul_f32_e32 v34, v17, v29
	v_mul_f32_e32 v29, v16, v29
	s_waitcnt vmcnt(0) lgkmcnt(0)
	v_mul_f32_e32 v36, v19, v31
	v_mul_f32_e32 v5, v18, v31
	v_fma_f32 v31, v16, v28, -v34
	v_fmac_f32_e32 v29, v17, v28
	v_add_f32_e32 v28, v32, v10
	v_add_f32_e32 v32, v35, v11
	v_fma_f32 v10, v18, v30, -v36
	v_fmac_f32_e32 v5, v19, v30
	v_add_f32_e32 v11, v31, v28
	v_add_f32_e32 v28, v29, v32
	v_cmpx_gt_i32_e64 s8, v33
	s_cbranch_execz .LBB297_46
; %bb.41:
	s_clause 0x3
	flat_load_dwordx2 v[29:30], v[20:21] offset:512
	flat_load_dwordx2 v[31:32], v[22:23] offset:512
	;; [unrolled: 1-line block ×4, first 2 shown]
	s_mov_b32 s2, exec_lo
	s_waitcnt vmcnt(3) lgkmcnt(3)
	v_mul_f32_e32 v37, v13, v30
	v_mul_f32_e32 v30, v12, v30
	s_waitcnt vmcnt(2) lgkmcnt(2)
	v_mul_f32_e32 v38, v15, v32
	v_mul_f32_e32 v32, v14, v32
	s_waitcnt vmcnt(1) lgkmcnt(1)
	v_mul_f32_e32 v39, v17, v34
	v_fma_f32 v37, v12, v29, -v37
	v_fmac_f32_e32 v30, v13, v29
	v_mul_f32_e32 v34, v16, v34
	v_fma_f32 v38, v14, v31, -v38
	v_fmac_f32_e32 v32, v15, v31
	v_add_f32_e32 v8, v8, v37
	v_add_f32_e32 v30, v9, v30
	s_waitcnt vmcnt(0) lgkmcnt(0)
	v_mul_f32_e32 v29, v19, v36
	v_mul_f32_e32 v9, v18, v36
	v_fma_f32 v31, v16, v33, -v39
	v_fmac_f32_e32 v34, v17, v33
	v_add_f32_e32 v33, v38, v8
	v_add_f32_e32 v30, v32, v30
	v_add_nc_u32_e32 v32, 0x80, v4
	v_fma_f32 v8, v18, v35, -v29
	v_fmac_f32_e32 v9, v19, v35
	v_add_f32_e32 v29, v31, v33
	v_add_f32_e32 v30, v34, v30
	v_cmpx_gt_i32_e64 s8, v32
	s_cbranch_execz .LBB297_45
; %bb.42:
	s_clause 0x3
	flat_load_dwordx2 v[31:32], v[20:21] offset:1024
	flat_load_dwordx2 v[33:34], v[22:23] offset:1024
	;; [unrolled: 1-line block ×4, first 2 shown]
	s_mov_b32 s3, exec_lo
	s_waitcnt vmcnt(3) lgkmcnt(3)
	v_mul_f32_e32 v39, v13, v32
	v_mul_f32_e32 v32, v12, v32
	s_waitcnt vmcnt(2) lgkmcnt(2)
	v_mul_f32_e32 v40, v15, v34
	v_mul_f32_e32 v34, v14, v34
	s_waitcnt vmcnt(1) lgkmcnt(1)
	v_mul_f32_e32 v41, v17, v36
	v_fma_f32 v39, v12, v31, -v39
	v_fmac_f32_e32 v32, v13, v31
	v_mul_f32_e32 v36, v16, v36
	v_fma_f32 v40, v14, v33, -v40
	v_fmac_f32_e32 v34, v15, v33
	v_add_f32_e32 v6, v6, v39
	v_add_f32_e32 v32, v7, v32
	s_waitcnt vmcnt(0) lgkmcnt(0)
	v_mul_f32_e32 v31, v19, v38
	v_mul_f32_e32 v7, v18, v38
	v_fma_f32 v33, v16, v35, -v41
	v_fmac_f32_e32 v36, v17, v35
	v_add_f32_e32 v6, v40, v6
	v_add_f32_e32 v32, v34, v32
	v_add_nc_u32_e32 v34, 0xc0, v4
	v_fma_f32 v4, v18, v37, -v31
	v_fmac_f32_e32 v7, v19, v37
	v_add_f32_e32 v6, v33, v6
	v_add_f32_e32 v31, v36, v32
	v_cmpx_gt_i32_e64 s8, v34
	s_cbranch_execz .LBB297_44
; %bb.43:
	s_clause 0x3
	flat_load_dwordx2 v[20:21], v[20:21] offset:1536
	flat_load_dwordx2 v[22:23], v[22:23] offset:1536
	;; [unrolled: 1-line block ×4, first 2 shown]
	s_waitcnt vmcnt(3) lgkmcnt(3)
	v_mul_f32_e32 v32, v13, v21
	v_mul_f32_e32 v21, v12, v21
	s_waitcnt vmcnt(2) lgkmcnt(2)
	v_mul_f32_e32 v33, v15, v23
	v_mul_f32_e32 v23, v14, v23
	s_waitcnt vmcnt(1) lgkmcnt(1)
	v_mul_f32_e32 v34, v17, v27
	v_fma_f32 v12, v12, v20, -v32
	v_fmac_f32_e32 v21, v13, v20
	v_mul_f32_e32 v27, v16, v27
	v_fma_f32 v14, v14, v22, -v33
	v_fmac_f32_e32 v23, v15, v22
	v_add_f32_e32 v2, v2, v12
	v_add_f32_e32 v3, v3, v21
	s_waitcnt vmcnt(0) lgkmcnt(0)
	v_mul_f32_e32 v13, v19, v25
	v_mul_f32_e32 v12, v18, v25
	v_fma_f32 v15, v16, v26, -v34
	v_fmac_f32_e32 v27, v17, v26
	v_add_f32_e32 v2, v14, v2
	v_add_f32_e32 v3, v23, v3
	v_fma_f32 v13, v18, v24, -v13
	v_fmac_f32_e32 v12, v19, v24
	v_add_f32_e32 v2, v15, v2
	v_add_f32_e32 v3, v27, v3
	;; [unrolled: 1-line block ×4, first 2 shown]
.LBB297_44:
	s_or_b32 exec_lo, exec_lo, s3
	v_add_f32_e32 v6, v4, v6
	v_add_f32_e32 v7, v7, v31
.LBB297_45:
	s_or_b32 exec_lo, exec_lo, s2
	v_add_f32_e32 v8, v8, v29
	v_add_f32_e32 v9, v9, v30
.LBB297_46:
	s_or_b32 exec_lo, exec_lo, s0
	v_add_f32_e32 v10, v10, v11
	v_add_f32_e32 v11, v5, v28
.LBB297_47:
	s_or_b32 exec_lo, exec_lo, s1
.LBB297_48:
	v_lshlrev_b32_e32 v0, 3, v0
	s_mov_b32 s0, exec_lo
	v_lshl_or_b32 v1, v1, 11, v0
	ds_write2st64_b64 v1, v[10:11], v[8:9] offset1:1
	ds_write2st64_b64 v1, v[6:7], v[2:3] offset0:2 offset1:3
	s_waitcnt vmcnt(0) lgkmcnt(0)
	s_waitcnt_vscnt null, 0x0
	s_barrier
	buffer_gl0_inv
	v_cmpx_gt_u32_e32 0x100, v62
	s_cbranch_execz .LBB297_53
; %bb.49:
	v_lshl_add_u32 v8, v63, 3, v0
	ds_read2st64_b64 v[0:3], v8 offset1:4
	ds_read2st64_b64 v[4:7], v8 offset0:8 offset1:12
	s_waitcnt lgkmcnt(1)
	v_add_f32_e32 v0, v0, v2
	v_add_f32_e32 v1, v1, v3
	s_waitcnt lgkmcnt(0)
	v_add_f32_e32 v2, v0, v4
	v_add_f32_e32 v1, v1, v5
	v_or_b32_e32 v0, s29, v62
	v_add_f32_e32 v2, v2, v6
	v_add_f32_e32 v3, v1, v7
	v_cmp_gt_i32_e32 vcc_lo, s8, v0
	ds_write_b64 v8, v[2:3]
	s_and_b32 exec_lo, exec_lo, vcc_lo
	s_cbranch_execz .LBB297_53
; %bb.50:
	v_ashrrev_i32_e32 v1, 31, v0
	v_mul_lo_u32 v6, s15, v0
	v_mad_u64_u32 v[4:5], null, s14, v0, 0
	v_mul_f32_e32 v0, s11, v3
	v_mul_lo_u32 v1, s14, v1
	v_cmp_neq_f32_e64 s0, s12, 0
	v_cmp_neq_f32_e64 s1, s13, 0
	v_fma_f32 v0, v2, s10, -v0
	s_or_b32 s0, s0, s1
	v_add3_u32 v5, v5, v1, v6
	v_mul_f32_e32 v1, s10, v3
	s_andn2_b32 vcc_lo, exec_lo, s0
	v_lshlrev_b64 v[3:4], 3, v[4:5]
	v_fmac_f32_e32 v1, s11, v2
	s_cbranch_vccnz .LBB297_52
; %bb.51:
	v_add_co_u32 v5, vcc_lo, s5, v3
	v_add_co_ci_u32_e64 v6, null, s28, v4, vcc_lo
	flat_load_dwordx2 v[5:6], v[5:6]
	s_waitcnt vmcnt(0) lgkmcnt(0)
	v_mul_f32_e32 v2, s13, v6
	v_mul_f32_e32 v6, s12, v6
	v_fma_f32 v2, s12, v5, -v2
	v_fmac_f32_e32 v6, s13, v5
	v_add_f32_e32 v0, v0, v2
	v_add_f32_e32 v1, v1, v6
.LBB297_52:
	v_add_co_u32 v2, vcc_lo, s5, v3
	v_add_co_ci_u32_e64 v3, null, s28, v4, vcc_lo
	flat_store_dwordx2 v[2:3], v[0:1]
.LBB297_53:
	s_endpgm
	.section	.rodata,"a",@progbits
	.p2align	6, 0x0
	.amdhsa_kernel _ZL20rocblas_gemvn_kernelILi64ELi4ElPK19rocblas_complex_numIfES1_KPS1_EviiT3_lPKT2_lT1_lS9_lSA_lS6_lPT4_lSA_li
		.amdhsa_group_segment_fixed_size 8192
		.amdhsa_private_segment_fixed_size 0
		.amdhsa_kernarg_size 400
		.amdhsa_user_sgpr_count 6
		.amdhsa_user_sgpr_private_segment_buffer 1
		.amdhsa_user_sgpr_dispatch_ptr 0
		.amdhsa_user_sgpr_queue_ptr 0
		.amdhsa_user_sgpr_kernarg_segment_ptr 1
		.amdhsa_user_sgpr_dispatch_id 0
		.amdhsa_user_sgpr_flat_scratch_init 0
		.amdhsa_user_sgpr_private_segment_size 0
		.amdhsa_wavefront_size32 1
		.amdhsa_uses_dynamic_stack 0
		.amdhsa_system_sgpr_private_segment_wavefront_offset 0
		.amdhsa_system_sgpr_workgroup_id_x 1
		.amdhsa_system_sgpr_workgroup_id_y 0
		.amdhsa_system_sgpr_workgroup_id_z 1
		.amdhsa_system_sgpr_workgroup_info 0
		.amdhsa_system_vgpr_workitem_id 1
		.amdhsa_next_free_vgpr 69
		.amdhsa_next_free_sgpr 36
		.amdhsa_reserve_vcc 1
		.amdhsa_reserve_flat_scratch 1
		.amdhsa_float_round_mode_32 0
		.amdhsa_float_round_mode_16_64 0
		.amdhsa_float_denorm_mode_32 3
		.amdhsa_float_denorm_mode_16_64 3
		.amdhsa_dx10_clamp 1
		.amdhsa_ieee_mode 1
		.amdhsa_fp16_overflow 0
		.amdhsa_workgroup_processor_mode 1
		.amdhsa_memory_ordered 1
		.amdhsa_forward_progress 1
		.amdhsa_shared_vgpr_count 0
		.amdhsa_exception_fp_ieee_invalid_op 0
		.amdhsa_exception_fp_denorm_src 0
		.amdhsa_exception_fp_ieee_div_zero 0
		.amdhsa_exception_fp_ieee_overflow 0
		.amdhsa_exception_fp_ieee_underflow 0
		.amdhsa_exception_fp_ieee_inexact 0
		.amdhsa_exception_int_div_zero 0
	.end_amdhsa_kernel
	.section	.text._ZL20rocblas_gemvn_kernelILi64ELi4ElPK19rocblas_complex_numIfES1_KPS1_EviiT3_lPKT2_lT1_lS9_lSA_lS6_lPT4_lSA_li,"axG",@progbits,_ZL20rocblas_gemvn_kernelILi64ELi4ElPK19rocblas_complex_numIfES1_KPS1_EviiT3_lPKT2_lT1_lS9_lSA_lS6_lPT4_lSA_li,comdat
.Lfunc_end297:
	.size	_ZL20rocblas_gemvn_kernelILi64ELi4ElPK19rocblas_complex_numIfES1_KPS1_EviiT3_lPKT2_lT1_lS9_lSA_lS6_lPT4_lSA_li, .Lfunc_end297-_ZL20rocblas_gemvn_kernelILi64ELi4ElPK19rocblas_complex_numIfES1_KPS1_EviiT3_lPKT2_lT1_lS9_lSA_lS6_lPT4_lSA_li
                                        ; -- End function
	.set _ZL20rocblas_gemvn_kernelILi64ELi4ElPK19rocblas_complex_numIfES1_KPS1_EviiT3_lPKT2_lT1_lS9_lSA_lS6_lPT4_lSA_li.num_vgpr, 69
	.set _ZL20rocblas_gemvn_kernelILi64ELi4ElPK19rocblas_complex_numIfES1_KPS1_EviiT3_lPKT2_lT1_lS9_lSA_lS6_lPT4_lSA_li.num_agpr, 0
	.set _ZL20rocblas_gemvn_kernelILi64ELi4ElPK19rocblas_complex_numIfES1_KPS1_EviiT3_lPKT2_lT1_lS9_lSA_lS6_lPT4_lSA_li.numbered_sgpr, 36
	.set _ZL20rocblas_gemvn_kernelILi64ELi4ElPK19rocblas_complex_numIfES1_KPS1_EviiT3_lPKT2_lT1_lS9_lSA_lS6_lPT4_lSA_li.num_named_barrier, 0
	.set _ZL20rocblas_gemvn_kernelILi64ELi4ElPK19rocblas_complex_numIfES1_KPS1_EviiT3_lPKT2_lT1_lS9_lSA_lS6_lPT4_lSA_li.private_seg_size, 0
	.set _ZL20rocblas_gemvn_kernelILi64ELi4ElPK19rocblas_complex_numIfES1_KPS1_EviiT3_lPKT2_lT1_lS9_lSA_lS6_lPT4_lSA_li.uses_vcc, 1
	.set _ZL20rocblas_gemvn_kernelILi64ELi4ElPK19rocblas_complex_numIfES1_KPS1_EviiT3_lPKT2_lT1_lS9_lSA_lS6_lPT4_lSA_li.uses_flat_scratch, 1
	.set _ZL20rocblas_gemvn_kernelILi64ELi4ElPK19rocblas_complex_numIfES1_KPS1_EviiT3_lPKT2_lT1_lS9_lSA_lS6_lPT4_lSA_li.has_dyn_sized_stack, 0
	.set _ZL20rocblas_gemvn_kernelILi64ELi4ElPK19rocblas_complex_numIfES1_KPS1_EviiT3_lPKT2_lT1_lS9_lSA_lS6_lPT4_lSA_li.has_recursion, 0
	.set _ZL20rocblas_gemvn_kernelILi64ELi4ElPK19rocblas_complex_numIfES1_KPS1_EviiT3_lPKT2_lT1_lS9_lSA_lS6_lPT4_lSA_li.has_indirect_call, 0
	.section	.AMDGPU.csdata,"",@progbits
; Kernel info:
; codeLenInByte = 3696
; TotalNumSgprs: 38
; NumVgprs: 69
; ScratchSize: 0
; MemoryBound: 0
; FloatMode: 240
; IeeeMode: 1
; LDSByteSize: 8192 bytes/workgroup (compile time only)
; SGPRBlocks: 0
; VGPRBlocks: 8
; NumSGPRsForWavesPerEU: 38
; NumVGPRsForWavesPerEU: 69
; Occupancy: 12
; WaveLimiterHint : 1
; COMPUTE_PGM_RSRC2:SCRATCH_EN: 0
; COMPUTE_PGM_RSRC2:USER_SGPR: 6
; COMPUTE_PGM_RSRC2:TRAP_HANDLER: 0
; COMPUTE_PGM_RSRC2:TGID_X_EN: 1
; COMPUTE_PGM_RSRC2:TGID_Y_EN: 0
; COMPUTE_PGM_RSRC2:TGID_Z_EN: 1
; COMPUTE_PGM_RSRC2:TIDIG_COMP_CNT: 1
	.section	.text._ZL20rocblas_gemvn_kernelILi32ELi16EiPK19rocblas_complex_numIfES3_KPS1_EviiT3_lPKT2_lT1_lS9_lSA_lS6_lPT4_lSA_li,"axG",@progbits,_ZL20rocblas_gemvn_kernelILi32ELi16EiPK19rocblas_complex_numIfES3_KPS1_EviiT3_lPKT2_lT1_lS9_lSA_lS6_lPT4_lSA_li,comdat
	.globl	_ZL20rocblas_gemvn_kernelILi32ELi16EiPK19rocblas_complex_numIfES3_KPS1_EviiT3_lPKT2_lT1_lS9_lSA_lS6_lPT4_lSA_li ; -- Begin function _ZL20rocblas_gemvn_kernelILi32ELi16EiPK19rocblas_complex_numIfES3_KPS1_EviiT3_lPKT2_lT1_lS9_lSA_lS6_lPT4_lSA_li
	.p2align	8
	.type	_ZL20rocblas_gemvn_kernelILi32ELi16EiPK19rocblas_complex_numIfES3_KPS1_EviiT3_lPKT2_lT1_lS9_lSA_lS6_lPT4_lSA_li,@function
_ZL20rocblas_gemvn_kernelILi32ELi16EiPK19rocblas_complex_numIfES3_KPS1_EviiT3_lPKT2_lT1_lS9_lSA_lS6_lPT4_lSA_li: ; @_ZL20rocblas_gemvn_kernelILi32ELi16EiPK19rocblas_complex_numIfES3_KPS1_EviiT3_lPKT2_lT1_lS9_lSA_lS6_lPT4_lSA_li
; %bb.0:
	s_load_dwordx2 s[2:3], s[4:5], 0x9c
	s_waitcnt lgkmcnt(0)
	s_lshr_b32 s1, s2, 16
	s_and_b32 s2, s2, 0xffff
	s_and_b32 s3, s3, 0xffff
	s_mul_i32 s1, s1, s2
	s_mul_i32 s1, s1, s3
	s_cmpk_lg_i32 s1, 0x200
	s_cbranch_scc1 .LBB298_51
; %bb.1:
	s_clause 0x1
	s_load_dwordx8 s[16:23], s[4:5], 0x8
	s_load_dwordx8 s[8:15], s[4:5], 0x58
	s_mov_b32 s0, s7
	s_waitcnt lgkmcnt(0)
	s_mul_i32 s1, s19, s7
	s_mul_hi_u32 s3, s18, s7
	s_mul_i32 s2, s18, s7
	s_add_i32 s3, s3, s1
	s_mul_i32 s1, s11, s7
	s_lshl_b64 s[2:3], s[2:3], 3
	s_add_u32 s2, s16, s2
	s_addc_u32 s3, s17, s3
	s_load_dwordx2 s[16:17], s[2:3], 0x0
	s_mul_hi_u32 s3, s10, s7
	s_mul_i32 s2, s10, s7
	s_add_i32 s3, s3, s1
	s_lshl_b64 s[2:3], s[2:3], 3
	s_add_u32 s2, s8, s2
	s_addc_u32 s3, s9, s3
	s_load_dwordx2 s[8:9], s[2:3], 0x0
	s_waitcnt lgkmcnt(0)
	v_cmp_neq_f32_e64 s1, s16, 0
	v_cmp_neq_f32_e64 s2, s17, 0
	s_or_b32 s2, s1, s2
	s_mov_b32 s1, 0
	s_and_b32 vcc_lo, exec_lo, s2
	s_mov_b32 s2, -1
	s_cbranch_vccnz .LBB298_3
; %bb.2:
	v_cmp_neq_f32_e64 s2, s8, 1.0
	v_cmp_neq_f32_e64 s3, s9, 0
	s_or_b32 s2, s2, s3
.LBB298_3:
	s_andn2_b32 vcc_lo, exec_lo, s2
	s_cbranch_vccnz .LBB298_51
; %bb.4:
	s_or_b32 s2, s16, s17
	s_mov_b64 s[24:25], 0
	s_bitset0_b32 s2, 31
	s_mov_b64 s[18:19], 0
	s_cmp_lg_u32 s2, 0
	s_cselect_b32 s3, -1, 0
	s_cmp_eq_u32 s2, 0
	s_cselect_b32 s2, -1, 0
	s_and_b32 vcc_lo, exec_lo, s2
	s_cbranch_vccnz .LBB298_6
; %bb.5:
	s_lshl_b64 s[10:11], s[0:1], 3
	s_add_u32 s10, s20, s10
	s_addc_u32 s11, s21, s11
	s_lshl_b64 s[18:19], s[22:23], 3
	s_load_dwordx2 s[10:11], s[10:11], 0x0
	s_waitcnt lgkmcnt(0)
	s_add_u32 s18, s10, s18
	s_addc_u32 s19, s11, s19
.LBB298_6:
	s_andn2_b32 vcc_lo, exec_lo, s3
	s_cbranch_vccnz .LBB298_8
; %bb.7:
	s_load_dwordx4 s[20:23], s[4:5], 0x38
	s_lshl_b64 s[10:11], s[0:1], 3
	s_waitcnt lgkmcnt(0)
	s_add_u32 s10, s20, s10
	s_addc_u32 s11, s21, s11
	s_lshl_b64 s[20:21], s[22:23], 3
	s_load_dwordx2 s[10:11], s[10:11], 0x0
	s_waitcnt lgkmcnt(0)
	s_add_u32 s24, s10, s20
	s_addc_u32 s25, s11, s21
.LBB298_8:
	s_lshl_b64 s[0:1], s[0:1], 3
	v_lshlrev_b32_e32 v54, 5, v1
	s_add_u32 s0, s12, s0
	s_addc_u32 s1, s13, s1
	s_lshl_b64 s[14:15], s[14:15], 3
	s_load_dwordx2 s[20:21], s[0:1], 0x0
	s_clause 0x1
	s_load_dwordx2 s[10:11], s[4:5], 0x0
	s_load_dword s13, s[4:5], 0x78
	v_add_nc_u32_e32 v53, v54, v0
	s_mov_b32 s1, -1
	v_cmp_gt_u32_e64 s0, 0x80, v53
	s_waitcnt lgkmcnt(0)
	s_add_u32 s7, s20, s14
	s_addc_u32 s12, s21, s15
	s_andn2_b32 vcc_lo, exec_lo, s2
	s_cbranch_vccnz .LBB298_15
; %bb.9:
	s_and_saveexec_b32 s1, s0
	s_cbranch_execz .LBB298_14
; %bb.10:
	v_lshl_or_b32 v2, s6, 7, v53
	v_mov_b32_e32 v3, 0
	s_ashr_i32 s3, s10, 31
	s_mov_b32 s2, s10
	v_cmp_gt_i64_e32 vcc_lo, s[2:3], v[2:3]
	s_and_b32 exec_lo, exec_lo, vcc_lo
	s_cbranch_execz .LBB298_14
; %bb.11:
	v_mad_u64_u32 v[4:5], null, s13, v2, 0
	s_ashr_i32 s3, s13, 31
	v_cmp_neq_f32_e64 s0, s8, 0
	v_cmp_neq_f32_e64 s2, s9, 0
	v_mad_u64_u32 v[5:6], null, s3, v2, v[5:6]
	v_mov_b32_e32 v6, v3
	s_or_b32 s0, s0, s2
	s_andn2_b32 vcc_lo, exec_lo, s0
	v_lshlrev_b64 v[4:5], 3, v[4:5]
	s_cbranch_vccnz .LBB298_13
; %bb.12:
	v_add_co_u32 v2, vcc_lo, s7, v4
	v_add_co_ci_u32_e64 v3, null, s12, v5, vcc_lo
	flat_load_dwordx2 v[2:3], v[2:3]
	s_waitcnt vmcnt(0) lgkmcnt(0)
	v_mul_f32_e32 v7, s9, v3
	v_mul_f32_e32 v6, s8, v3
	v_fma_f32 v3, s8, v2, -v7
	v_fmac_f32_e32 v6, s9, v2
.LBB298_13:
	v_add_co_u32 v7, vcc_lo, s7, v4
	v_add_co_ci_u32_e64 v8, null, s12, v5, vcc_lo
	v_mov_b32_e32 v5, v3
	flat_store_dwordx2 v[7:8], v[5:6]
.LBB298_14:
	s_or_b32 exec_lo, exec_lo, s1
	s_mov_b32 s1, 0
.LBB298_15:
	s_andn2_b32 vcc_lo, exec_lo, s1
	s_cbranch_vccnz .LBB298_51
; %bb.16:
	s_clause 0x1
	s_load_dword s14, s[4:5], 0x28
	s_load_dword s4, s[4:5], 0x48
	s_ashr_i32 s0, s11, 31
	s_lshl_b32 s5, s6, 7
	s_lshr_b32 s0, s0, 26
	v_lshlrev_b32_e32 v56, 2, v1
	v_add_nc_u32_e32 v55, s5, v0
	v_mov_b32_e32 v3, 0
	v_mov_b32_e32 v2, 0
	;; [unrolled: 1-line block ×8, first 2 shown]
	s_add_i32 s0, s11, s0
	s_mov_b32 s15, exec_lo
	s_and_b32 s6, s0, 0xffffffc0
	v_cmpx_gt_i32_e64 s6, v56
	s_cbranch_execz .LBB298_28
; %bb.17:
	s_waitcnt lgkmcnt(0)
	v_mul_lo_u32 v3, s14, v56
	v_add_nc_u32_e32 v2, 32, v55
	v_add_nc_u32_e32 v4, 64, v55
	;; [unrolled: 1-line block ×3, first 2 shown]
	s_lshl_b32 s20, s14, 6
	s_lshl_b32 s22, s4, 6
	v_cmp_gt_i32_e64 s0, s10, v2
	v_add_nc_u32_e32 v2, 2, v56
	v_add3_u32 v57, v3, s14, v0
	v_mul_lo_u32 v3, v1, s14
	v_cmp_gt_i32_e64 s1, s10, v4
	v_add_nc_u32_e32 v4, 3, v56
	v_cmp_gt_i32_e64 s2, s10, v5
	v_mul_lo_u32 v5, v1, s4
	v_mad_u64_u32 v[10:11], null, s14, v2, v[0:1]
	v_mad_u64_u32 v[11:12], null, s14, v4, v[0:1]
	v_lshl_add_u32 v58, v3, 2, v0
	v_mov_b32_e32 v3, 0
	v_mad_u64_u32 v[12:13], null, s4, v56, s[4:5]
	v_mul_lo_u32 v59, s4, v2
	v_mul_lo_u32 v60, s4, v4
	v_lshlrev_b32_e32 v61, 2, v5
	v_mov_b32_e32 v2, v3
	v_mov_b32_e32 v5, v3
	;; [unrolled: 1-line block ×7, first 2 shown]
	s_mov_b32 s21, 0
	s_mov_b32 s23, 0
	v_cmp_gt_i32_e32 vcc_lo, s10, v55
	s_branch .LBB298_22
.LBB298_18:                             ;   in Loop: Header=BB298_22 Depth=1
	s_or_b32 exec_lo, exec_lo, s28
	s_waitcnt vmcnt(3) lgkmcnt(3)
	v_mul_f32_e32 v45, v26, v44
	v_mul_f32_e32 v44, v25, v44
	s_waitcnt vmcnt(2) lgkmcnt(2)
	v_mul_f32_e32 v46, v22, v42
	v_mul_f32_e32 v42, v21, v42
	s_waitcnt vmcnt(1) lgkmcnt(1)
	v_mul_f32_e32 v47, v16, v40
	v_fma_f32 v45, v25, v43, -v45
	v_fmac_f32_e32 v44, v26, v43
	v_mul_f32_e32 v40, v15, v40
	v_fma_f32 v46, v21, v41, -v46
	v_fmac_f32_e32 v42, v22, v41
	v_add_f32_e32 v4, v4, v45
	v_add_f32_e32 v5, v5, v44
	s_waitcnt vmcnt(0) lgkmcnt(0)
	v_mul_f32_e32 v43, v14, v38
	v_mul_f32_e32 v38, v13, v38
	v_fma_f32 v41, v15, v39, -v47
	v_add_f32_e32 v4, v46, v4
	v_fmac_f32_e32 v40, v16, v39
	v_add_f32_e32 v5, v42, v5
	v_fma_f32 v39, v13, v37, -v43
	v_fmac_f32_e32 v38, v14, v37
	v_add_f32_e32 v4, v41, v4
	v_add_f32_e32 v5, v40, v5
	;; [unrolled: 1-line block ×4, first 2 shown]
.LBB298_19:                             ;   in Loop: Header=BB298_22 Depth=1
	s_or_b32 exec_lo, exec_lo, s27
	s_waitcnt vmcnt(3) lgkmcnt(3)
	v_mul_f32_e32 v37, v26, v36
	v_mul_f32_e32 v36, v25, v36
	s_waitcnt vmcnt(2) lgkmcnt(2)
	v_mul_f32_e32 v38, v22, v34
	v_mul_f32_e32 v34, v21, v34
	s_waitcnt vmcnt(1) lgkmcnt(1)
	v_mul_f32_e32 v39, v16, v32
	v_fma_f32 v37, v25, v35, -v37
	v_fmac_f32_e32 v36, v26, v35
	v_mul_f32_e32 v32, v15, v32
	v_fma_f32 v38, v21, v33, -v38
	v_fmac_f32_e32 v34, v22, v33
	v_add_f32_e32 v6, v6, v37
	v_add_f32_e32 v7, v7, v36
	s_waitcnt vmcnt(0) lgkmcnt(0)
	v_mul_f32_e32 v35, v14, v30
	v_mul_f32_e32 v30, v13, v30
	v_fma_f32 v33, v15, v31, -v39
	v_add_f32_e32 v6, v38, v6
	v_fmac_f32_e32 v32, v16, v31
	v_add_f32_e32 v7, v34, v7
	v_fma_f32 v31, v13, v29, -v35
	v_fmac_f32_e32 v30, v14, v29
	v_add_f32_e32 v6, v33, v6
	v_add_f32_e32 v7, v32, v7
	;; [unrolled: 1-line block ×4, first 2 shown]
.LBB298_20:                             ;   in Loop: Header=BB298_22 Depth=1
	s_or_b32 exec_lo, exec_lo, s3
	s_waitcnt vmcnt(3) lgkmcnt(3)
	v_mul_f32_e32 v29, v26, v28
	v_mul_f32_e32 v28, v25, v28
	s_waitcnt vmcnt(2) lgkmcnt(2)
	v_mul_f32_e32 v30, v22, v24
	v_mul_f32_e32 v24, v21, v24
	s_waitcnt vmcnt(1) lgkmcnt(1)
	v_mul_f32_e32 v31, v16, v20
	v_fma_f32 v25, v25, v27, -v29
	v_fmac_f32_e32 v28, v26, v27
	v_mul_f32_e32 v20, v15, v20
	v_fma_f32 v21, v21, v23, -v30
	v_fmac_f32_e32 v24, v22, v23
	v_add_f32_e32 v8, v8, v25
	v_add_f32_e32 v9, v9, v28
	s_waitcnt vmcnt(0) lgkmcnt(0)
	v_mul_f32_e32 v26, v14, v18
	v_mul_f32_e32 v18, v13, v18
	v_fma_f32 v15, v15, v19, -v31
	v_add_f32_e32 v8, v21, v8
	v_fmac_f32_e32 v20, v16, v19
	v_add_f32_e32 v9, v24, v9
	v_fma_f32 v13, v13, v17, -v26
	v_fmac_f32_e32 v18, v14, v17
	v_add_f32_e32 v8, v15, v8
	v_add_f32_e32 v9, v20, v9
	v_add_f32_e32 v8, v13, v8
	v_add_f32_e32 v9, v18, v9
.LBB298_21:                             ;   in Loop: Header=BB298_22 Depth=1
	s_or_b32 exec_lo, exec_lo, s26
	v_add_nc_u32_e32 v56, 64, v56
	v_add_nc_u32_e32 v57, s20, v57
	;; [unrolled: 1-line block ×5, first 2 shown]
	v_cmp_le_i32_e64 s3, s6, v56
	s_add_i32 s23, s23, s22
	s_or_b32 s21, s3, s21
	s_andn2_b32 exec_lo, exec_lo, s21
	s_cbranch_execz .LBB298_27
.LBB298_22:                             ; =>This Inner Loop Header: Depth=1
	s_and_saveexec_b32 s26, vcc_lo
	s_cbranch_execz .LBB298_21
; %bb.23:                               ;   in Loop: Header=BB298_22 Depth=1
	v_add_nc_u32_e32 v13, s23, v61
	v_add_nc_u32_e32 v15, s23, v12
	;; [unrolled: 1-line block ×5, first 2 shown]
	v_ashrrev_i32_e32 v14, 31, v13
	v_ashrrev_i32_e32 v16, 31, v15
	;; [unrolled: 1-line block ×3, first 2 shown]
	v_add_nc_u32_e32 v23, s5, v57
	v_ashrrev_i32_e32 v20, 31, v19
	v_lshlrev_b64 v[13:14], 3, v[13:14]
	v_lshlrev_b64 v[15:16], 3, v[15:16]
	v_ashrrev_i32_e32 v22, 31, v21
	v_lshlrev_b64 v[17:18], 3, v[17:18]
	v_ashrrev_i32_e32 v24, 31, v23
	v_lshlrev_b64 v[19:20], 3, v[19:20]
	v_add_co_u32 v13, s3, s24, v13
	v_add_nc_u32_e32 v25, s5, v10
	v_add_co_ci_u32_e64 v14, null, s25, v14, s3
	v_add_co_u32 v15, s3, s24, v15
	v_lshlrev_b64 v[21:22], 3, v[21:22]
	v_add_nc_u32_e32 v27, s5, v11
	v_add_co_ci_u32_e64 v16, null, s25, v16, s3
	v_add_co_u32 v17, s3, s24, v17
	v_lshlrev_b64 v[23:24], 3, v[23:24]
	v_ashrrev_i32_e32 v26, 31, v25
	v_add_co_ci_u32_e64 v18, null, s25, v18, s3
	v_add_co_u32 v19, s3, s24, v19
	v_ashrrev_i32_e32 v28, 31, v27
	v_add_co_ci_u32_e64 v20, null, s25, v20, s3
	v_add_co_u32 v51, s3, s18, v21
	v_add_co_ci_u32_e64 v52, null, s19, v22, s3
	v_lshlrev_b64 v[21:22], 3, v[25:26]
	v_add_co_u32 v49, s3, s18, v23
	v_add_co_ci_u32_e64 v50, null, s19, v24, s3
	v_lshlrev_b64 v[23:24], 3, v[27:28]
	v_add_co_u32 v47, s3, s18, v21
	v_add_co_ci_u32_e64 v48, null, s19, v22, s3
	v_add_co_u32 v45, s3, s18, v23
	v_add_co_ci_u32_e64 v46, null, s19, v24, s3
	s_clause 0x3
	flat_load_dwordx2 v[25:26], v[13:14]
	flat_load_dwordx2 v[21:22], v[15:16]
	;; [unrolled: 1-line block ×4, first 2 shown]
	s_clause 0x3
	flat_load_dwordx2 v[27:28], v[51:52]
	flat_load_dwordx2 v[23:24], v[49:50]
	;; [unrolled: 1-line block ×4, first 2 shown]
	s_and_saveexec_b32 s3, s0
	s_cbranch_execz .LBB298_20
; %bb.24:                               ;   in Loop: Header=BB298_22 Depth=1
	s_clause 0x3
	flat_load_dwordx2 v[35:36], v[51:52] offset:256
	flat_load_dwordx2 v[33:34], v[49:50] offset:256
	flat_load_dwordx2 v[31:32], v[47:48] offset:256
	flat_load_dwordx2 v[29:30], v[45:46] offset:256
	s_and_saveexec_b32 s27, s1
	s_cbranch_execz .LBB298_19
; %bb.25:                               ;   in Loop: Header=BB298_22 Depth=1
	s_clause 0x3
	flat_load_dwordx2 v[43:44], v[51:52] offset:512
	flat_load_dwordx2 v[41:42], v[49:50] offset:512
	flat_load_dwordx2 v[39:40], v[47:48] offset:512
	flat_load_dwordx2 v[37:38], v[45:46] offset:512
	;; [unrolled: 8-line block ×3, first 2 shown]
	s_waitcnt vmcnt(3) lgkmcnt(3)
	v_mul_f32_e32 v62, v26, v52
	v_mul_f32_e32 v52, v25, v52
	s_waitcnt vmcnt(2) lgkmcnt(2)
	v_mul_f32_e32 v63, v22, v50
	v_mul_f32_e32 v50, v21, v50
	s_waitcnt vmcnt(1) lgkmcnt(1)
	v_mul_f32_e32 v64, v16, v48
	v_fma_f32 v62, v25, v51, -v62
	v_fmac_f32_e32 v52, v26, v51
	v_mul_f32_e32 v48, v15, v48
	v_fma_f32 v63, v21, v49, -v63
	v_fmac_f32_e32 v50, v22, v49
	v_add_f32_e32 v2, v2, v62
	v_add_f32_e32 v3, v3, v52
	s_waitcnt vmcnt(0) lgkmcnt(0)
	v_mul_f32_e32 v51, v14, v46
	v_mul_f32_e32 v46, v13, v46
	v_fma_f32 v49, v15, v47, -v64
	v_fmac_f32_e32 v48, v16, v47
	v_add_f32_e32 v2, v63, v2
	v_add_f32_e32 v3, v50, v3
	v_fma_f32 v47, v13, v45, -v51
	v_fmac_f32_e32 v46, v14, v45
	v_add_f32_e32 v2, v49, v2
	v_add_f32_e32 v3, v48, v3
	;; [unrolled: 1-line block ×4, first 2 shown]
	s_branch .LBB298_18
.LBB298_27:
	s_or_b32 exec_lo, exec_lo, s21
.LBB298_28:
	s_or_b32 exec_lo, exec_lo, s15
	s_sub_i32 s0, s11, s6
	s_cmp_lt_i32 s0, 1
	s_cbranch_scc1 .LBB298_46
; %bb.29:
	v_cmp_gt_i32_e32 vcc_lo, s11, v56
	v_mov_b32_e32 v10, 0
	v_or_b32_e32 v18, 1, v56
	v_mov_b32_e32 v11, 0
	v_mov_b32_e32 v12, 0
	;; [unrolled: 1-line block ×7, first 2 shown]
	s_and_saveexec_b32 s1, vcc_lo
	s_cbranch_execz .LBB298_37
; %bb.30:
	s_waitcnt lgkmcnt(0)
	v_mul_lo_u32 v10, v56, s4
	v_mov_b32_e32 v17, 0
	v_mov_b32_e32 v16, 0
	;; [unrolled: 1-line block ×6, first 2 shown]
	s_mov_b32 s2, exec_lo
	v_ashrrev_i32_e32 v11, 31, v10
	v_lshlrev_b64 v[10:11], 3, v[10:11]
	v_add_co_u32 v10, s0, s24, v10
	v_add_co_ci_u32_e64 v11, null, s25, v11, s0
	flat_load_dwordx2 v[10:11], v[10:11]
	v_cmpx_gt_i32_e64 s11, v18
	s_cbranch_execz .LBB298_36
; %bb.31:
	v_mul_lo_u32 v12, v18, s4
	v_or_b32_e32 v19, 2, v56
	v_mov_b32_e32 v17, 0
	v_mov_b32_e32 v16, 0
	;; [unrolled: 1-line block ×4, first 2 shown]
	s_mov_b32 s3, exec_lo
	v_ashrrev_i32_e32 v13, 31, v12
	v_lshlrev_b64 v[12:13], 3, v[12:13]
	v_add_co_u32 v12, s0, s24, v12
	v_add_co_ci_u32_e64 v13, null, s25, v13, s0
	flat_load_dwordx2 v[12:13], v[12:13]
	v_cmpx_gt_i32_e64 s11, v19
	s_cbranch_execz .LBB298_35
; %bb.32:
	v_mul_lo_u32 v14, v19, s4
	v_or_b32_e32 v19, 3, v56
	v_mov_b32_e32 v17, 0
	v_mov_b32_e32 v16, 0
	s_mov_b32 s6, exec_lo
	v_ashrrev_i32_e32 v15, 31, v14
	v_lshlrev_b64 v[14:15], 3, v[14:15]
	v_add_co_u32 v14, s0, s24, v14
	v_add_co_ci_u32_e64 v15, null, s25, v15, s0
	flat_load_dwordx2 v[14:15], v[14:15]
	v_cmpx_gt_i32_e64 s11, v19
	s_cbranch_execz .LBB298_34
; %bb.33:
	v_mul_lo_u32 v16, v19, s4
	v_ashrrev_i32_e32 v17, 31, v16
	v_lshlrev_b64 v[16:17], 3, v[16:17]
	v_add_co_u32 v16, s0, s24, v16
	v_add_co_ci_u32_e64 v17, null, s25, v17, s0
	flat_load_dwordx2 v[16:17], v[16:17]
.LBB298_34:
	s_or_b32 exec_lo, exec_lo, s6
.LBB298_35:
	s_or_b32 exec_lo, exec_lo, s3
.LBB298_36:
	s_or_b32 exec_lo, exec_lo, s2
.LBB298_37:
	s_or_b32 exec_lo, exec_lo, s1
	s_mov_b32 s1, exec_lo
	v_cmpx_gt_i32_e64 s10, v55
	s_cbranch_execz .LBB298_45
; %bb.38:
	s_waitcnt lgkmcnt(0)
	v_mul_lo_u32 v19, v56, s14
	v_mul_lo_u32 v20, v18, s14
	v_or_b32_e32 v21, 2, v56
	v_or_b32_e32 v22, 3, v56
	s_mov_b32 s0, exec_lo
	v_mul_lo_u32 v23, v21, s14
	v_cndmask_b32_e32 v19, 0, v19, vcc_lo
	v_cmp_gt_i32_e32 vcc_lo, s11, v18
	v_mul_lo_u32 v24, v22, s14
	v_add_nc_u32_e32 v18, v19, v55
	v_cndmask_b32_e32 v20, 0, v20, vcc_lo
	v_cmp_gt_i32_e32 vcc_lo, s11, v21
	v_ashrrev_i32_e32 v19, 31, v18
	v_add_nc_u32_e32 v20, v20, v55
	v_cndmask_b32_e32 v23, 0, v23, vcc_lo
	v_cmp_gt_i32_e32 vcc_lo, s11, v22
	v_lshlrev_b64 v[18:19], 3, v[18:19]
	v_ashrrev_i32_e32 v21, 31, v20
	v_add_nc_u32_e32 v22, v23, v55
	v_cndmask_b32_e32 v24, 0, v24, vcc_lo
	v_lshlrev_b64 v[20:21], 3, v[20:21]
	v_ashrrev_i32_e32 v23, 31, v22
	v_add_nc_u32_e32 v26, v24, v55
	v_add_co_u32 v24, vcc_lo, s18, v18
	v_add_co_ci_u32_e64 v25, null, s19, v19, vcc_lo
	v_ashrrev_i32_e32 v27, 31, v26
	v_add_co_u32 v20, vcc_lo, s18, v20
	v_add_co_ci_u32_e64 v21, null, s19, v21, vcc_lo
	v_lshlrev_b64 v[18:19], 3, v[22:23]
	v_lshlrev_b64 v[26:27], 3, v[26:27]
	s_clause 0x1
	flat_load_dwordx2 v[28:29], v[24:25]
	flat_load_dwordx2 v[30:31], v[20:21]
	v_add_co_u32 v22, vcc_lo, s18, v18
	v_add_co_ci_u32_e64 v23, null, s19, v19, vcc_lo
	v_add_co_u32 v18, vcc_lo, s18, v26
	v_add_co_ci_u32_e64 v19, null, s19, v27, vcc_lo
	s_clause 0x1
	flat_load_dwordx2 v[26:27], v[22:23]
	flat_load_dwordx2 v[32:33], v[18:19]
	s_waitcnt vmcnt(3) lgkmcnt(3)
	v_mul_f32_e32 v34, v11, v29
	v_mul_f32_e32 v29, v10, v29
	s_waitcnt vmcnt(2) lgkmcnt(2)
	v_mul_f32_e32 v35, v13, v31
	v_mul_f32_e32 v31, v12, v31
	v_fma_f32 v34, v10, v28, -v34
	v_fmac_f32_e32 v29, v11, v28
	v_fma_f32 v28, v12, v30, -v35
	v_fmac_f32_e32 v31, v13, v30
	v_add_f32_e32 v8, v8, v34
	v_add_f32_e32 v29, v9, v29
	s_waitcnt vmcnt(1) lgkmcnt(1)
	v_mul_f32_e32 v30, v15, v27
	v_mul_f32_e32 v27, v14, v27
	s_waitcnt vmcnt(0) lgkmcnt(0)
	v_mul_f32_e32 v35, v17, v33
	v_mul_f32_e32 v9, v16, v33
	v_fma_f32 v30, v14, v26, -v30
	v_fmac_f32_e32 v27, v15, v26
	v_add_f32_e32 v26, v28, v8
	v_add_f32_e32 v28, v31, v29
	v_add_nc_u32_e32 v29, 32, v55
	v_fma_f32 v8, v16, v32, -v35
	v_fmac_f32_e32 v9, v17, v32
	v_add_f32_e32 v26, v30, v26
	v_add_f32_e32 v27, v27, v28
	v_cmpx_gt_i32_e64 s10, v29
	s_cbranch_execz .LBB298_44
; %bb.39:
	s_clause 0x3
	flat_load_dwordx2 v[28:29], v[24:25] offset:256
	flat_load_dwordx2 v[30:31], v[20:21] offset:256
	;; [unrolled: 1-line block ×4, first 2 shown]
	s_mov_b32 s2, exec_lo
	s_waitcnt vmcnt(3) lgkmcnt(3)
	v_mul_f32_e32 v36, v11, v29
	v_mul_f32_e32 v29, v10, v29
	s_waitcnt vmcnt(2) lgkmcnt(2)
	v_mul_f32_e32 v37, v13, v31
	v_mul_f32_e32 v31, v12, v31
	s_waitcnt vmcnt(1) lgkmcnt(1)
	v_mul_f32_e32 v38, v15, v33
	v_fma_f32 v36, v10, v28, -v36
	v_fmac_f32_e32 v29, v11, v28
	v_mul_f32_e32 v33, v14, v33
	v_fma_f32 v37, v12, v30, -v37
	v_fmac_f32_e32 v31, v13, v30
	v_add_f32_e32 v6, v6, v36
	v_add_f32_e32 v29, v7, v29
	s_waitcnt vmcnt(0) lgkmcnt(0)
	v_mul_f32_e32 v28, v17, v35
	v_mul_f32_e32 v7, v16, v35
	v_fma_f32 v30, v14, v32, -v38
	v_fmac_f32_e32 v33, v15, v32
	v_add_f32_e32 v32, v37, v6
	v_add_f32_e32 v29, v31, v29
	v_add_nc_u32_e32 v31, 64, v55
	v_fma_f32 v6, v16, v34, -v28
	v_fmac_f32_e32 v7, v17, v34
	v_add_f32_e32 v28, v30, v32
	v_add_f32_e32 v29, v33, v29
	v_cmpx_gt_i32_e64 s10, v31
	s_cbranch_execz .LBB298_43
; %bb.40:
	s_clause 0x3
	flat_load_dwordx2 v[30:31], v[24:25] offset:512
	flat_load_dwordx2 v[32:33], v[20:21] offset:512
	flat_load_dwordx2 v[34:35], v[22:23] offset:512
	flat_load_dwordx2 v[36:37], v[18:19] offset:512
	s_mov_b32 s3, exec_lo
	s_waitcnt vmcnt(3) lgkmcnt(3)
	v_mul_f32_e32 v38, v11, v31
	v_mul_f32_e32 v31, v10, v31
	s_waitcnt vmcnt(2) lgkmcnt(2)
	v_mul_f32_e32 v39, v13, v33
	v_mul_f32_e32 v33, v12, v33
	s_waitcnt vmcnt(1) lgkmcnt(1)
	v_mul_f32_e32 v40, v15, v35
	v_fma_f32 v38, v10, v30, -v38
	v_fmac_f32_e32 v31, v11, v30
	v_mul_f32_e32 v35, v14, v35
	v_fma_f32 v39, v12, v32, -v39
	v_fmac_f32_e32 v33, v13, v32
	v_add_f32_e32 v4, v4, v38
	v_add_f32_e32 v31, v5, v31
	s_waitcnt vmcnt(0) lgkmcnt(0)
	v_mul_f32_e32 v30, v17, v37
	v_mul_f32_e32 v5, v16, v37
	v_fma_f32 v32, v14, v34, -v40
	v_fmac_f32_e32 v35, v15, v34
	v_add_f32_e32 v34, v39, v4
	v_add_f32_e32 v31, v33, v31
	v_add_nc_u32_e32 v33, 0x60, v55
	v_fma_f32 v4, v16, v36, -v30
	v_fmac_f32_e32 v5, v17, v36
	v_add_f32_e32 v30, v32, v34
	v_add_f32_e32 v31, v35, v31
	v_cmpx_gt_i32_e64 s10, v33
	s_cbranch_execz .LBB298_42
; %bb.41:
	s_clause 0x3
	flat_load_dwordx2 v[24:25], v[24:25] offset:768
	flat_load_dwordx2 v[20:21], v[20:21] offset:768
	;; [unrolled: 1-line block ×4, first 2 shown]
	s_waitcnt vmcnt(3) lgkmcnt(3)
	v_mul_f32_e32 v32, v11, v25
	v_mul_f32_e32 v25, v10, v25
	s_waitcnt vmcnt(2) lgkmcnt(2)
	v_mul_f32_e32 v33, v13, v21
	v_mul_f32_e32 v21, v12, v21
	s_waitcnt vmcnt(1) lgkmcnt(1)
	v_mul_f32_e32 v34, v15, v23
	v_fma_f32 v10, v10, v24, -v32
	v_fmac_f32_e32 v25, v11, v24
	v_mul_f32_e32 v23, v14, v23
	v_fma_f32 v12, v12, v20, -v33
	v_fmac_f32_e32 v21, v13, v20
	v_add_f32_e32 v2, v2, v10
	v_add_f32_e32 v3, v3, v25
	s_waitcnt vmcnt(0) lgkmcnt(0)
	v_mul_f32_e32 v11, v17, v19
	v_mul_f32_e32 v10, v16, v19
	v_fma_f32 v13, v14, v22, -v34
	v_fmac_f32_e32 v23, v15, v22
	v_add_f32_e32 v2, v12, v2
	v_add_f32_e32 v3, v21, v3
	v_fma_f32 v11, v16, v18, -v11
	v_fmac_f32_e32 v10, v17, v18
	v_add_f32_e32 v2, v13, v2
	v_add_f32_e32 v3, v23, v3
	;; [unrolled: 1-line block ×4, first 2 shown]
.LBB298_42:
	s_or_b32 exec_lo, exec_lo, s3
	v_add_f32_e32 v4, v4, v30
	v_add_f32_e32 v5, v5, v31
.LBB298_43:
	s_or_b32 exec_lo, exec_lo, s2
	v_add_f32_e32 v6, v6, v28
	v_add_f32_e32 v7, v7, v29
.LBB298_44:
	s_or_b32 exec_lo, exec_lo, s0
	v_add_f32_e32 v8, v8, v26
	v_add_f32_e32 v9, v9, v27
.LBB298_45:
	s_or_b32 exec_lo, exec_lo, s1
.LBB298_46:
	v_lshlrev_b32_e32 v0, 3, v0
	s_mov_b32 s0, exec_lo
	v_lshl_add_u32 v1, v1, 10, v0
	ds_write2_b64 v1, v[8:9], v[6:7] offset1:32
	ds_write2_b64 v1, v[4:5], v[2:3] offset0:64 offset1:96
	s_waitcnt vmcnt(0) lgkmcnt(0)
	s_waitcnt_vscnt null, 0x0
	s_barrier
	buffer_gl0_inv
	v_cmpx_gt_u32_e32 0x80, v53
	s_cbranch_execz .LBB298_51
; %bb.47:
	v_lshl_add_u32 v12, v54, 3, v0
	ds_read2st64_b64 v[0:3], v12 offset1:2
	ds_read2st64_b64 v[4:7], v12 offset0:4 offset1:6
	ds_read2st64_b64 v[8:11], v12 offset0:8 offset1:10
	s_waitcnt lgkmcnt(2)
	v_add_f32_e32 v13, v0, v2
	v_add_f32_e32 v14, v1, v3
	ds_read2st64_b64 v[0:3], v12 offset0:12 offset1:14
	s_waitcnt lgkmcnt(2)
	v_add_f32_e32 v4, v13, v4
	v_add_f32_e32 v5, v14, v5
	v_add_f32_e32 v13, v4, v6
	v_add_f32_e32 v14, v5, v7
	ds_read2st64_b64 v[4:7], v12 offset0:16 offset1:18
	s_waitcnt lgkmcnt(2)
	v_add_f32_e32 v8, v13, v8
	v_add_f32_e32 v9, v14, v9
	;; [unrolled: 6-line block ×5, first 2 shown]
	v_add_f32_e32 v8, v8, v10
	v_add_f32_e32 v9, v9, v11
	s_waitcnt lgkmcnt(1)
	v_add_f32_e32 v0, v8, v0
	v_add_f32_e32 v1, v9, v1
	;; [unrolled: 1-line block ×4, first 2 shown]
	s_waitcnt lgkmcnt(0)
	v_add_f32_e32 v2, v0, v4
	v_add_f32_e32 v1, v1, v5
	v_or_b32_e32 v0, s5, v53
	v_add_f32_e32 v2, v2, v6
	v_add_f32_e32 v3, v1, v7
	v_cmp_gt_i32_e32 vcc_lo, s10, v0
	ds_write_b64 v12, v[2:3]
	s_and_b32 exec_lo, exec_lo, vcc_lo
	s_cbranch_execz .LBB298_51
; %bb.48:
	v_mul_lo_u32 v4, s13, v0
	v_mul_f32_e32 v0, s17, v3
	v_mul_f32_e32 v1, s16, v3
	v_cmp_neq_f32_e64 s0, s8, 0
	v_cmp_neq_f32_e64 s1, s9, 0
	v_fma_f32 v0, v2, s16, -v0
	v_fmac_f32_e32 v1, s17, v2
	v_ashrrev_i32_e32 v5, 31, v4
	s_or_b32 s0, s0, s1
	s_andn2_b32 vcc_lo, exec_lo, s0
	v_lshlrev_b64 v[3:4], 3, v[4:5]
	s_cbranch_vccnz .LBB298_50
; %bb.49:
	v_add_co_u32 v5, vcc_lo, s7, v3
	v_add_co_ci_u32_e64 v6, null, s12, v4, vcc_lo
	flat_load_dwordx2 v[5:6], v[5:6]
	s_waitcnt vmcnt(0) lgkmcnt(0)
	v_mul_f32_e32 v2, s9, v6
	v_mul_f32_e32 v6, s8, v6
	v_fma_f32 v2, s8, v5, -v2
	v_fmac_f32_e32 v6, s9, v5
	v_add_f32_e32 v0, v0, v2
	v_add_f32_e32 v1, v1, v6
.LBB298_50:
	v_add_co_u32 v2, vcc_lo, s7, v3
	v_add_co_ci_u32_e64 v3, null, s12, v4, vcc_lo
	flat_store_dwordx2 v[2:3], v[0:1]
.LBB298_51:
	s_endpgm
	.section	.rodata,"a",@progbits
	.p2align	6, 0x0
	.amdhsa_kernel _ZL20rocblas_gemvn_kernelILi32ELi16EiPK19rocblas_complex_numIfES3_KPS1_EviiT3_lPKT2_lT1_lS9_lSA_lS6_lPT4_lSA_li
		.amdhsa_group_segment_fixed_size 16384
		.amdhsa_private_segment_fixed_size 0
		.amdhsa_kernarg_size 400
		.amdhsa_user_sgpr_count 6
		.amdhsa_user_sgpr_private_segment_buffer 1
		.amdhsa_user_sgpr_dispatch_ptr 0
		.amdhsa_user_sgpr_queue_ptr 0
		.amdhsa_user_sgpr_kernarg_segment_ptr 1
		.amdhsa_user_sgpr_dispatch_id 0
		.amdhsa_user_sgpr_flat_scratch_init 0
		.amdhsa_user_sgpr_private_segment_size 0
		.amdhsa_wavefront_size32 1
		.amdhsa_uses_dynamic_stack 0
		.amdhsa_system_sgpr_private_segment_wavefront_offset 0
		.amdhsa_system_sgpr_workgroup_id_x 1
		.amdhsa_system_sgpr_workgroup_id_y 0
		.amdhsa_system_sgpr_workgroup_id_z 1
		.amdhsa_system_sgpr_workgroup_info 0
		.amdhsa_system_vgpr_workitem_id 1
		.amdhsa_next_free_vgpr 65
		.amdhsa_next_free_sgpr 29
		.amdhsa_reserve_vcc 1
		.amdhsa_reserve_flat_scratch 1
		.amdhsa_float_round_mode_32 0
		.amdhsa_float_round_mode_16_64 0
		.amdhsa_float_denorm_mode_32 3
		.amdhsa_float_denorm_mode_16_64 3
		.amdhsa_dx10_clamp 1
		.amdhsa_ieee_mode 1
		.amdhsa_fp16_overflow 0
		.amdhsa_workgroup_processor_mode 1
		.amdhsa_memory_ordered 1
		.amdhsa_forward_progress 1
		.amdhsa_shared_vgpr_count 0
		.amdhsa_exception_fp_ieee_invalid_op 0
		.amdhsa_exception_fp_denorm_src 0
		.amdhsa_exception_fp_ieee_div_zero 0
		.amdhsa_exception_fp_ieee_overflow 0
		.amdhsa_exception_fp_ieee_underflow 0
		.amdhsa_exception_fp_ieee_inexact 0
		.amdhsa_exception_int_div_zero 0
	.end_amdhsa_kernel
	.section	.text._ZL20rocblas_gemvn_kernelILi32ELi16EiPK19rocblas_complex_numIfES3_KPS1_EviiT3_lPKT2_lT1_lS9_lSA_lS6_lPT4_lSA_li,"axG",@progbits,_ZL20rocblas_gemvn_kernelILi32ELi16EiPK19rocblas_complex_numIfES3_KPS1_EviiT3_lPKT2_lT1_lS9_lSA_lS6_lPT4_lSA_li,comdat
.Lfunc_end298:
	.size	_ZL20rocblas_gemvn_kernelILi32ELi16EiPK19rocblas_complex_numIfES3_KPS1_EviiT3_lPKT2_lT1_lS9_lSA_lS6_lPT4_lSA_li, .Lfunc_end298-_ZL20rocblas_gemvn_kernelILi32ELi16EiPK19rocblas_complex_numIfES3_KPS1_EviiT3_lPKT2_lT1_lS9_lSA_lS6_lPT4_lSA_li
                                        ; -- End function
	.set _ZL20rocblas_gemvn_kernelILi32ELi16EiPK19rocblas_complex_numIfES3_KPS1_EviiT3_lPKT2_lT1_lS9_lSA_lS6_lPT4_lSA_li.num_vgpr, 65
	.set _ZL20rocblas_gemvn_kernelILi32ELi16EiPK19rocblas_complex_numIfES3_KPS1_EviiT3_lPKT2_lT1_lS9_lSA_lS6_lPT4_lSA_li.num_agpr, 0
	.set _ZL20rocblas_gemvn_kernelILi32ELi16EiPK19rocblas_complex_numIfES3_KPS1_EviiT3_lPKT2_lT1_lS9_lSA_lS6_lPT4_lSA_li.numbered_sgpr, 29
	.set _ZL20rocblas_gemvn_kernelILi32ELi16EiPK19rocblas_complex_numIfES3_KPS1_EviiT3_lPKT2_lT1_lS9_lSA_lS6_lPT4_lSA_li.num_named_barrier, 0
	.set _ZL20rocblas_gemvn_kernelILi32ELi16EiPK19rocblas_complex_numIfES3_KPS1_EviiT3_lPKT2_lT1_lS9_lSA_lS6_lPT4_lSA_li.private_seg_size, 0
	.set _ZL20rocblas_gemvn_kernelILi32ELi16EiPK19rocblas_complex_numIfES3_KPS1_EviiT3_lPKT2_lT1_lS9_lSA_lS6_lPT4_lSA_li.uses_vcc, 1
	.set _ZL20rocblas_gemvn_kernelILi32ELi16EiPK19rocblas_complex_numIfES3_KPS1_EviiT3_lPKT2_lT1_lS9_lSA_lS6_lPT4_lSA_li.uses_flat_scratch, 1
	.set _ZL20rocblas_gemvn_kernelILi32ELi16EiPK19rocblas_complex_numIfES3_KPS1_EviiT3_lPKT2_lT1_lS9_lSA_lS6_lPT4_lSA_li.has_dyn_sized_stack, 0
	.set _ZL20rocblas_gemvn_kernelILi32ELi16EiPK19rocblas_complex_numIfES3_KPS1_EviiT3_lPKT2_lT1_lS9_lSA_lS6_lPT4_lSA_li.has_recursion, 0
	.set _ZL20rocblas_gemvn_kernelILi32ELi16EiPK19rocblas_complex_numIfES3_KPS1_EviiT3_lPKT2_lT1_lS9_lSA_lS6_lPT4_lSA_li.has_indirect_call, 0
	.section	.AMDGPU.csdata,"",@progbits
; Kernel info:
; codeLenInByte = 3752
; TotalNumSgprs: 31
; NumVgprs: 65
; ScratchSize: 0
; MemoryBound: 0
; FloatMode: 240
; IeeeMode: 1
; LDSByteSize: 16384 bytes/workgroup (compile time only)
; SGPRBlocks: 0
; VGPRBlocks: 8
; NumSGPRsForWavesPerEU: 31
; NumVGPRsForWavesPerEU: 65
; Occupancy: 12
; WaveLimiterHint : 1
; COMPUTE_PGM_RSRC2:SCRATCH_EN: 0
; COMPUTE_PGM_RSRC2:USER_SGPR: 6
; COMPUTE_PGM_RSRC2:TRAP_HANDLER: 0
; COMPUTE_PGM_RSRC2:TGID_X_EN: 1
; COMPUTE_PGM_RSRC2:TGID_Y_EN: 0
; COMPUTE_PGM_RSRC2:TGID_Z_EN: 1
; COMPUTE_PGM_RSRC2:TIDIG_COMP_CNT: 1
	.section	.text._ZL20rocblas_gemvn_kernelILi32ELi16ElPK19rocblas_complex_numIfES3_KPS1_EviiT3_lPKT2_lT1_lS9_lSA_lS6_lPT4_lSA_li,"axG",@progbits,_ZL20rocblas_gemvn_kernelILi32ELi16ElPK19rocblas_complex_numIfES3_KPS1_EviiT3_lPKT2_lT1_lS9_lSA_lS6_lPT4_lSA_li,comdat
	.globl	_ZL20rocblas_gemvn_kernelILi32ELi16ElPK19rocblas_complex_numIfES3_KPS1_EviiT3_lPKT2_lT1_lS9_lSA_lS6_lPT4_lSA_li ; -- Begin function _ZL20rocblas_gemvn_kernelILi32ELi16ElPK19rocblas_complex_numIfES3_KPS1_EviiT3_lPKT2_lT1_lS9_lSA_lS6_lPT4_lSA_li
	.p2align	8
	.type	_ZL20rocblas_gemvn_kernelILi32ELi16ElPK19rocblas_complex_numIfES3_KPS1_EviiT3_lPKT2_lT1_lS9_lSA_lS6_lPT4_lSA_li,@function
_ZL20rocblas_gemvn_kernelILi32ELi16ElPK19rocblas_complex_numIfES3_KPS1_EviiT3_lPKT2_lT1_lS9_lSA_lS6_lPT4_lSA_li: ; @_ZL20rocblas_gemvn_kernelILi32ELi16ElPK19rocblas_complex_numIfES3_KPS1_EviiT3_lPKT2_lT1_lS9_lSA_lS6_lPT4_lSA_li
; %bb.0:
	s_load_dwordx2 s[0:1], s[4:5], 0x9c
	s_waitcnt lgkmcnt(0)
	s_lshr_b32 s2, s0, 16
	s_and_b32 s0, s0, 0xffff
	s_and_b32 s1, s1, 0xffff
	s_mul_i32 s0, s2, s0
	s_mul_i32 s0, s0, s1
	s_cmpk_lg_i32 s0, 0x200
	s_cbranch_scc1 .LBB299_51
; %bb.1:
	s_clause 0x1
	s_load_dwordx8 s[16:23], s[4:5], 0x8
	s_load_dwordx8 s[8:15], s[4:5], 0x58
	s_mov_b32 s28, s7
	s_mov_b32 s29, 0
	s_waitcnt lgkmcnt(0)
	s_mul_i32 s1, s19, s7
	s_mul_hi_u32 s2, s18, s7
	s_mul_i32 s0, s18, s7
	s_add_i32 s1, s2, s1
	s_mul_hi_u32 s2, s10, s7
	s_lshl_b64 s[0:1], s[0:1], 3
	s_add_u32 s0, s16, s0
	s_addc_u32 s1, s17, s1
	s_load_dwordx2 s[16:17], s[0:1], 0x0
	s_mul_i32 s1, s11, s7
	s_mul_i32 s0, s10, s7
	s_add_i32 s1, s2, s1
	s_lshl_b64 s[0:1], s[0:1], 3
	s_add_u32 s0, s8, s0
	s_addc_u32 s1, s9, s1
	s_load_dwordx2 s[8:9], s[0:1], 0x0
	s_waitcnt lgkmcnt(0)
	v_cmp_neq_f32_e64 s0, s16, 0
	v_cmp_neq_f32_e64 s1, s17, 0
	s_or_b32 s0, s0, s1
	s_and_b32 vcc_lo, exec_lo, s0
	s_mov_b32 s0, -1
	s_cbranch_vccnz .LBB299_3
; %bb.2:
	v_cmp_neq_f32_e64 s0, s8, 1.0
	v_cmp_neq_f32_e64 s1, s9, 0
	s_or_b32 s0, s0, s1
.LBB299_3:
	s_andn2_b32 vcc_lo, exec_lo, s0
	s_cbranch_vccnz .LBB299_51
; %bb.4:
	s_clause 0x1
	s_load_dwordx2 s[18:19], s[4:5], 0x28
	s_load_dwordx2 s[10:11], s[4:5], 0x78
	s_or_b32 s0, s16, s17
	s_mov_b64 s[26:27], 0
	s_bitset0_b32 s0, 31
	s_mov_b64 s[24:25], 0
	s_cmp_lg_u32 s0, 0
	s_cselect_b32 s30, -1, 0
	s_cmp_eq_u32 s0, 0
	s_cselect_b32 s7, -1, 0
	s_and_b32 vcc_lo, exec_lo, s7
	s_cbranch_vccnz .LBB299_6
; %bb.5:
	s_lshl_b64 s[0:1], s[28:29], 3
	s_add_u32 s0, s20, s0
	s_addc_u32 s1, s21, s1
	s_lshl_b64 s[2:3], s[22:23], 3
	s_load_dwordx2 s[0:1], s[0:1], 0x0
	s_waitcnt lgkmcnt(0)
	s_add_u32 s24, s0, s2
	s_addc_u32 s25, s1, s3
.LBB299_6:
	s_clause 0x1
	s_load_dwordx4 s[0:3], s[4:5], 0x38
	s_load_dwordx2 s[20:21], s[4:5], 0x48
	s_andn2_b32 vcc_lo, exec_lo, s30
	s_cbranch_vccnz .LBB299_8
; %bb.7:
	s_lshl_b64 s[22:23], s[28:29], 3
	s_waitcnt lgkmcnt(0)
	s_add_u32 s0, s0, s22
	s_addc_u32 s1, s1, s23
	s_lshl_b64 s[2:3], s[2:3], 3
	s_load_dwordx2 s[0:1], s[0:1], 0x0
	s_waitcnt lgkmcnt(0)
	s_add_u32 s26, s0, s2
	s_addc_u32 s27, s1, s3
.LBB299_8:
	s_waitcnt lgkmcnt(0)
	s_lshl_b64 s[0:1], s[28:29], 3
	v_lshlrev_b32_e32 v63, 5, v1
	s_add_u32 s0, s12, s0
	s_addc_u32 s1, s13, s1
	s_lshl_b64 s[14:15], s[14:15], 3
	s_load_dwordx2 s[2:3], s[0:1], 0x0
	s_load_dwordx2 s[12:13], s[4:5], 0x0
	v_add_nc_u32_e32 v62, v63, v0
	s_mov_b32 s1, -1
	v_cmp_gt_u32_e64 s0, 0x80, v62
	s_waitcnt lgkmcnt(0)
	s_add_u32 s5, s2, s14
	s_addc_u32 s28, s3, s15
	s_andn2_b32 vcc_lo, exec_lo, s7
	s_cbranch_vccnz .LBB299_15
; %bb.9:
	s_and_saveexec_b32 s1, s0
	s_cbranch_execz .LBB299_14
; %bb.10:
	v_lshl_or_b32 v2, s6, 7, v62
	v_mov_b32_e32 v3, 0
	s_ashr_i32 s3, s12, 31
	s_mov_b32 s2, s12
	v_cmp_gt_i64_e32 vcc_lo, s[2:3], v[2:3]
	s_and_b32 exec_lo, exec_lo, vcc_lo
	s_cbranch_execz .LBB299_14
; %bb.11:
	v_mad_u64_u32 v[4:5], null, s10, v2, 0
	v_cmp_neq_f32_e64 s0, s8, 0
	v_cmp_neq_f32_e64 s2, s9, 0
	s_or_b32 s0, s0, s2
	v_mad_u64_u32 v[5:6], null, s11, v2, v[5:6]
	v_mov_b32_e32 v6, v3
	s_andn2_b32 vcc_lo, exec_lo, s0
	v_lshlrev_b64 v[4:5], 3, v[4:5]
	s_cbranch_vccnz .LBB299_13
; %bb.12:
	v_add_co_u32 v2, vcc_lo, s5, v4
	v_add_co_ci_u32_e64 v3, null, s28, v5, vcc_lo
	flat_load_dwordx2 v[2:3], v[2:3]
	s_waitcnt vmcnt(0) lgkmcnt(0)
	v_mul_f32_e32 v7, s9, v3
	v_mul_f32_e32 v6, s8, v3
	v_fma_f32 v3, s8, v2, -v7
	v_fmac_f32_e32 v6, s9, v2
.LBB299_13:
	v_add_co_u32 v7, vcc_lo, s5, v4
	v_add_co_ci_u32_e64 v8, null, s28, v5, vcc_lo
	v_mov_b32_e32 v5, v3
	flat_store_dwordx2 v[7:8], v[5:6]
.LBB299_14:
	s_or_b32 exec_lo, exec_lo, s1
	s_mov_b32 s1, 0
.LBB299_15:
	s_andn2_b32 vcc_lo, exec_lo, s1
	s_cbranch_vccnz .LBB299_51
; %bb.16:
	s_ashr_i32 s0, s13, 31
	s_lshl_b32 s29, s6, 7
	s_lshr_b32 s0, s0, 26
	v_lshlrev_b32_e32 v64, 2, v1
	v_mov_b32_e32 v3, 0
	v_add_nc_u32_e32 v4, s29, v0
	v_mov_b32_e32 v2, 0
	v_mov_b32_e32 v7, 0
	;; [unrolled: 1-line block ×7, first 2 shown]
	s_add_i32 s30, s13, s0
	s_mov_b32 s31, exec_lo
	s_andn2_b32 s30, s30, 63
	v_cmpx_gt_i32_e64 s30, v64
	s_cbranch_execz .LBB299_28
; %bb.17:
	v_lshlrev_b32_e32 v18, 2, v1
	v_add_nc_u32_e32 v10, 32, v4
	v_mad_u64_u32 v[2:3], null, s20, v1, 0
	v_mad_u64_u32 v[8:9], null, s18, v1, 0
	v_or_b32_e32 v14, 3, v18
	v_or_b32_e32 v19, 2, v18
	v_cmp_gt_i32_e64 s0, s12, v10
	v_mad_u64_u32 v[10:11], null, s18, v18, s[18:19]
	v_mad_u64_u32 v[6:7], null, s18, v14, 0
	;; [unrolled: 1-line block ×3, first 2 shown]
	v_ashrrev_i32_e32 v5, 31, v4
	v_add_nc_u32_e32 v15, 64, v4
	v_mad_u64_u32 v[12:13], null, s21, v1, v[3:4]
	v_mad_u64_u32 v[13:14], null, s19, v14, v[7:8]
	v_add_nc_u32_e32 v16, 0x60, v4
	v_cmp_gt_i32_e64 s1, s12, v15
	v_lshlrev_b64 v[14:15], 3, v[4:5]
	v_mov_b32_e32 v5, v9
	v_mov_b32_e32 v9, v11
	;; [unrolled: 1-line block ×3, first 2 shown]
	v_cmp_gt_i32_e64 s2, s12, v16
	v_mov_b32_e32 v3, v12
	v_mad_u64_u32 v[16:17], null, s19, v1, v[5:6]
	v_mad_u64_u32 v[17:18], null, s19, v18, v[9:10]
	;; [unrolled: 1-line block ×3, first 2 shown]
	v_mov_b32_e32 v7, v13
	v_add_co_u32 v5, s3, s24, v14
	v_mov_b32_e32 v9, v16
	v_mov_b32_e32 v11, v17
	v_lshlrev_b64 v[12:13], 3, v[6:7]
	v_lshlrev_b64 v[6:7], 5, v[2:3]
	v_mov_b32_e32 v21, v18
	v_mov_b32_e32 v3, 0
	v_add_co_ci_u32_e64 v65, null, s25, v15, s3
	v_lshlrev_b64 v[16:17], 5, v[8:9]
	v_add_co_u32 v14, s3, s26, v6
	v_lshlrev_b64 v[18:19], 3, v[10:11]
	v_lshlrev_b64 v[20:21], 3, v[20:21]
	v_add_co_ci_u32_e64 v15, null, s27, v7, s3
	v_mov_b32_e32 v2, v3
	v_mov_b32_e32 v7, v3
	;; [unrolled: 1-line block ×7, first 2 shown]
	s_lshl_b64 s[6:7], s[18:19], 9
	s_lshl_b64 s[14:15], s[20:21], 9
	s_lshl_b64 s[22:23], s[20:21], 3
	s_mov_b32 s33, 0
	v_cmp_gt_i32_e32 vcc_lo, s12, v4
	s_branch .LBB299_22
.LBB299_18:                             ;   in Loop: Header=BB299_22 Depth=1
	s_or_b32 exec_lo, exec_lo, s35
	s_waitcnt vmcnt(3) lgkmcnt(3)
	v_mul_f32_e32 v54, v35, v53
	v_mul_f32_e32 v53, v34, v53
	s_waitcnt vmcnt(2) lgkmcnt(2)
	v_mul_f32_e32 v55, v31, v51
	v_mul_f32_e32 v51, v30, v51
	s_waitcnt vmcnt(1) lgkmcnt(1)
	v_mul_f32_e32 v56, v25, v49
	v_fma_f32 v54, v34, v52, -v54
	v_fmac_f32_e32 v53, v35, v52
	v_mul_f32_e32 v49, v24, v49
	v_fma_f32 v55, v30, v50, -v55
	v_fmac_f32_e32 v51, v31, v50
	v_add_f32_e32 v6, v6, v54
	v_add_f32_e32 v7, v7, v53
	s_waitcnt vmcnt(0) lgkmcnt(0)
	v_mul_f32_e32 v52, v23, v47
	v_mul_f32_e32 v47, v22, v47
	v_fma_f32 v50, v24, v48, -v56
	v_add_f32_e32 v6, v55, v6
	v_fmac_f32_e32 v49, v25, v48
	v_add_f32_e32 v7, v51, v7
	v_fma_f32 v48, v22, v46, -v52
	v_fmac_f32_e32 v47, v23, v46
	v_add_f32_e32 v6, v50, v6
	v_add_f32_e32 v7, v49, v7
	;; [unrolled: 1-line block ×4, first 2 shown]
.LBB299_19:                             ;   in Loop: Header=BB299_22 Depth=1
	s_or_b32 exec_lo, exec_lo, s34
	s_waitcnt vmcnt(3) lgkmcnt(3)
	v_mul_f32_e32 v46, v35, v45
	v_mul_f32_e32 v45, v34, v45
	s_waitcnt vmcnt(2) lgkmcnt(2)
	v_mul_f32_e32 v47, v31, v43
	v_mul_f32_e32 v43, v30, v43
	s_waitcnt vmcnt(1) lgkmcnt(1)
	v_mul_f32_e32 v48, v25, v41
	v_fma_f32 v46, v34, v44, -v46
	v_fmac_f32_e32 v45, v35, v44
	v_mul_f32_e32 v41, v24, v41
	v_fma_f32 v47, v30, v42, -v47
	v_fmac_f32_e32 v43, v31, v42
	v_add_f32_e32 v8, v8, v46
	v_add_f32_e32 v9, v9, v45
	s_waitcnt vmcnt(0) lgkmcnt(0)
	v_mul_f32_e32 v44, v23, v39
	v_mul_f32_e32 v39, v22, v39
	v_fma_f32 v42, v24, v40, -v48
	v_add_f32_e32 v8, v47, v8
	v_fmac_f32_e32 v41, v25, v40
	v_add_f32_e32 v9, v43, v9
	v_fma_f32 v40, v22, v38, -v44
	v_fmac_f32_e32 v39, v23, v38
	v_add_f32_e32 v8, v42, v8
	v_add_f32_e32 v9, v41, v9
	;; [unrolled: 1-line block ×4, first 2 shown]
.LBB299_20:                             ;   in Loop: Header=BB299_22 Depth=1
	s_or_b32 exec_lo, exec_lo, s3
	s_waitcnt vmcnt(3) lgkmcnt(3)
	v_mul_f32_e32 v38, v35, v37
	v_mul_f32_e32 v37, v34, v37
	s_waitcnt vmcnt(2) lgkmcnt(2)
	v_mul_f32_e32 v39, v31, v33
	v_mul_f32_e32 v33, v30, v33
	s_waitcnt vmcnt(1) lgkmcnt(1)
	v_mul_f32_e32 v40, v25, v29
	v_fma_f32 v34, v34, v36, -v38
	v_fmac_f32_e32 v37, v35, v36
	v_mul_f32_e32 v29, v24, v29
	v_fma_f32 v30, v30, v32, -v39
	v_fmac_f32_e32 v33, v31, v32
	v_add_f32_e32 v10, v10, v34
	v_add_f32_e32 v11, v11, v37
	s_waitcnt vmcnt(0) lgkmcnt(0)
	v_mul_f32_e32 v35, v23, v27
	v_mul_f32_e32 v27, v22, v27
	v_fma_f32 v24, v24, v28, -v40
	v_add_f32_e32 v10, v30, v10
	v_fmac_f32_e32 v29, v25, v28
	v_add_f32_e32 v11, v33, v11
	v_fma_f32 v22, v22, v26, -v35
	v_fmac_f32_e32 v27, v23, v26
	v_add_f32_e32 v10, v24, v10
	v_add_f32_e32 v11, v29, v11
	;; [unrolled: 1-line block ×4, first 2 shown]
.LBB299_21:                             ;   in Loop: Header=BB299_22 Depth=1
	s_or_b32 exec_lo, exec_lo, s4
	v_add_nc_u32_e32 v64, 64, v64
	v_add_co_u32 v5, s3, v5, s6
	v_add_co_ci_u32_e64 v65, null, s7, v65, s3
	v_cmp_le_i32_e64 s3, s30, v64
	v_add_co_u32 v14, s4, v14, s14
	v_add_co_ci_u32_e64 v15, null, s15, v15, s4
	s_or_b32 s33, s3, s33
	s_andn2_b32 exec_lo, exec_lo, s33
	s_cbranch_execz .LBB299_27
.LBB299_22:                             ; =>This Inner Loop Header: Depth=1
	s_and_saveexec_b32 s4, vcc_lo
	s_cbranch_execz .LBB299_21
; %bb.23:                               ;   in Loop: Header=BB299_22 Depth=1
	v_add_co_u32 v22, s3, v14, s22
	v_add_co_ci_u32_e64 v23, null, s23, v15, s3
	v_add_co_u32 v24, s3, v22, s22
	v_add_co_ci_u32_e64 v25, null, s23, v23, s3
	;; [unrolled: 2-line block ×7, first 2 shown]
	s_clause 0x3
	flat_load_dwordx2 v[34:35], v[14:15]
	flat_load_dwordx2 v[30:31], v[22:23]
	;; [unrolled: 1-line block ×4, first 2 shown]
	s_clause 0x3
	flat_load_dwordx2 v[36:37], v[60:61]
	flat_load_dwordx2 v[32:33], v[58:59]
	;; [unrolled: 1-line block ×4, first 2 shown]
	s_and_saveexec_b32 s3, s0
	s_cbranch_execz .LBB299_20
; %bb.24:                               ;   in Loop: Header=BB299_22 Depth=1
	s_clause 0x3
	flat_load_dwordx2 v[44:45], v[60:61] offset:256
	flat_load_dwordx2 v[42:43], v[58:59] offset:256
	flat_load_dwordx2 v[40:41], v[56:57] offset:256
	flat_load_dwordx2 v[38:39], v[54:55] offset:256
	s_and_saveexec_b32 s34, s1
	s_cbranch_execz .LBB299_19
; %bb.25:                               ;   in Loop: Header=BB299_22 Depth=1
	s_clause 0x3
	flat_load_dwordx2 v[52:53], v[60:61] offset:512
	flat_load_dwordx2 v[50:51], v[58:59] offset:512
	flat_load_dwordx2 v[48:49], v[56:57] offset:512
	flat_load_dwordx2 v[46:47], v[54:55] offset:512
	;; [unrolled: 8-line block ×3, first 2 shown]
	s_waitcnt vmcnt(3) lgkmcnt(3)
	v_mul_f32_e32 v66, v35, v61
	v_mul_f32_e32 v61, v34, v61
	s_waitcnt vmcnt(2) lgkmcnt(2)
	v_mul_f32_e32 v67, v31, v59
	v_mul_f32_e32 v59, v30, v59
	s_waitcnt vmcnt(1) lgkmcnt(1)
	v_mul_f32_e32 v68, v25, v57
	v_fma_f32 v66, v34, v60, -v66
	v_fmac_f32_e32 v61, v35, v60
	v_mul_f32_e32 v57, v24, v57
	v_fma_f32 v67, v30, v58, -v67
	v_fmac_f32_e32 v59, v31, v58
	v_add_f32_e32 v2, v2, v66
	v_add_f32_e32 v3, v3, v61
	s_waitcnt vmcnt(0) lgkmcnt(0)
	v_mul_f32_e32 v60, v23, v55
	v_mul_f32_e32 v55, v22, v55
	v_fma_f32 v58, v24, v56, -v68
	v_fmac_f32_e32 v57, v25, v56
	v_add_f32_e32 v2, v67, v2
	v_add_f32_e32 v3, v59, v3
	v_fma_f32 v56, v22, v54, -v60
	v_fmac_f32_e32 v55, v23, v54
	v_add_f32_e32 v2, v58, v2
	v_add_f32_e32 v3, v57, v3
	v_add_f32_e32 v2, v56, v2
	v_add_f32_e32 v3, v55, v3
	s_branch .LBB299_18
.LBB299_27:
	s_or_b32 exec_lo, exec_lo, s33
.LBB299_28:
	s_or_b32 exec_lo, exec_lo, s31
	s_sub_i32 s0, s13, s30
	s_cmp_lt_i32 s0, 1
	s_cbranch_scc1 .LBB299_46
; %bb.29:
	v_cmp_gt_i32_e32 vcc_lo, s13, v64
	v_mov_b32_e32 v12, 0
	v_or_b32_e32 v20, 1, v64
	v_mov_b32_e32 v13, 0
	v_mov_b32_e32 v14, 0
	;; [unrolled: 1-line block ×7, first 2 shown]
	s_and_saveexec_b32 s1, vcc_lo
	s_cbranch_execz .LBB299_37
; %bb.30:
	v_mad_u64_u32 v[12:13], null, s20, v64, 0
	v_mov_b32_e32 v19, 0
	v_mov_b32_e32 v18, 0
	;; [unrolled: 1-line block ×5, first 2 shown]
	s_mov_b32 s2, exec_lo
	v_mov_b32_e32 v5, v13
	v_mad_u64_u32 v[13:14], null, s21, v64, v[5:6]
	v_mov_b32_e32 v14, 0
	v_lshlrev_b64 v[12:13], 3, v[12:13]
	v_add_co_u32 v12, s0, s26, v12
	v_add_co_ci_u32_e64 v13, null, s27, v13, s0
	flat_load_dwordx2 v[12:13], v[12:13]
	v_cmpx_gt_i32_e64 s13, v20
	s_cbranch_execz .LBB299_36
; %bb.31:
	v_mad_u64_u32 v[14:15], null, s20, v20, 0
	v_mov_b32_e32 v19, 0
	v_mov_b32_e32 v18, 0
	v_mov_b32_e32 v17, 0
	s_mov_b32 s3, exec_lo
	v_mov_b32_e32 v5, v15
	v_mad_u64_u32 v[15:16], null, s21, v20, v[5:6]
	v_or_b32_e32 v5, 2, v64
	v_mov_b32_e32 v16, 0
	v_lshlrev_b64 v[14:15], 3, v[14:15]
	v_add_co_u32 v14, s0, s26, v14
	v_add_co_ci_u32_e64 v15, null, s27, v15, s0
	flat_load_dwordx2 v[14:15], v[14:15]
	v_cmpx_gt_i32_e64 s13, v5
	s_cbranch_execz .LBB299_35
; %bb.32:
	v_mad_u64_u32 v[16:17], null, s20, v5, 0
	v_mov_b32_e32 v19, 0
	s_mov_b32 s4, exec_lo
	v_mad_u64_u32 v[17:18], null, s21, v5, v[17:18]
	v_or_b32_e32 v5, 3, v64
	v_mov_b32_e32 v18, 0
	v_lshlrev_b64 v[16:17], 3, v[16:17]
	v_add_co_u32 v16, s0, s26, v16
	v_add_co_ci_u32_e64 v17, null, s27, v17, s0
	flat_load_dwordx2 v[16:17], v[16:17]
	v_cmpx_gt_i32_e64 s13, v5
	s_cbranch_execz .LBB299_34
; %bb.33:
	v_mad_u64_u32 v[18:19], null, s20, v5, 0
	v_mad_u64_u32 v[21:22], null, s21, v5, v[19:20]
	v_mov_b32_e32 v19, v21
	v_lshlrev_b64 v[18:19], 3, v[18:19]
	v_add_co_u32 v18, s0, s26, v18
	v_add_co_ci_u32_e64 v19, null, s27, v19, s0
	flat_load_dwordx2 v[18:19], v[18:19]
.LBB299_34:
	s_or_b32 exec_lo, exec_lo, s4
.LBB299_35:
	s_or_b32 exec_lo, exec_lo, s3
.LBB299_36:
	s_or_b32 exec_lo, exec_lo, s2
.LBB299_37:
	s_or_b32 exec_lo, exec_lo, s1
	s_mov_b32 s1, exec_lo
	v_cmpx_gt_i32_e64 s12, v4
	s_cbranch_execz .LBB299_45
; %bb.38:
	v_mad_u64_u32 v[21:22], null, s18, v64, 0
	v_mad_u64_u32 v[23:24], null, s18, v20, 0
	v_ashrrev_i32_e32 v5, 31, v4
	v_or_b32_e32 v32, 2, v64
	v_or_b32_e32 v33, 3, v64
	v_cndmask_b32_e32 v21, 0, v21, vcc_lo
	v_lshlrev_b64 v[28:29], 3, v[4:5]
	v_mad_u64_u32 v[25:26], null, s19, v64, v[22:23]
	v_mov_b32_e32 v5, v24
	v_mad_u64_u32 v[26:27], null, s18, v32, 0
	v_mad_u64_u32 v[30:31], null, s18, v33, 0
	v_cmp_gt_i32_e64 s0, s13, v32
	v_cndmask_b32_e32 v22, 0, v25, vcc_lo
	v_mad_u64_u32 v[24:25], null, s19, v20, v[5:6]
	v_cmp_gt_i32_e32 vcc_lo, s13, v20
	v_mov_b32_e32 v5, v27
	v_mov_b32_e32 v25, v31
	v_cndmask_b32_e32 v20, 0, v23, vcc_lo
	v_lshlrev_b64 v[22:23], 3, v[21:22]
	v_cndmask_b32_e32 v21, 0, v24, vcc_lo
	v_mad_u64_u32 v[31:32], null, s19, v32, v[5:6]
	v_add_co_u32 v5, vcc_lo, s24, v22
	v_add_co_ci_u32_e64 v24, null, s25, v23, vcc_lo
	v_lshlrev_b64 v[22:23], 3, v[20:21]
	v_add_co_u32 v20, vcc_lo, v5, v28
	v_add_co_ci_u32_e64 v21, null, v24, v29, vcc_lo
	v_cndmask_b32_e64 v24, 0, v26, s0
	v_mad_u64_u32 v[26:27], null, s19, v33, v[25:26]
	v_add_co_u32 v5, vcc_lo, s24, v22
	v_add_co_ci_u32_e64 v23, null, s25, v23, vcc_lo
	v_cmp_gt_i32_e32 vcc_lo, s13, v33
	v_cndmask_b32_e64 v25, 0, v31, s0
	v_add_co_u32 v22, s0, v5, v28
	v_add_co_ci_u32_e64 v23, null, v23, v29, s0
	v_cndmask_b32_e32 v30, 0, v30, vcc_lo
	v_cndmask_b32_e32 v31, 0, v26, vcc_lo
	v_lshlrev_b64 v[24:25], 3, v[24:25]
	s_clause 0x1
	flat_load_dwordx2 v[32:33], v[20:21]
	flat_load_dwordx2 v[34:35], v[22:23]
	s_mov_b32 s0, exec_lo
	v_lshlrev_b64 v[26:27], 3, v[30:31]
	v_add_co_u32 v5, vcc_lo, s24, v24
	v_add_co_ci_u32_e64 v24, null, s25, v25, vcc_lo
	v_add_co_u32 v25, vcc_lo, s24, v26
	v_add_co_ci_u32_e64 v30, null, s25, v27, vcc_lo
	;; [unrolled: 2-line block ×4, first 2 shown]
	s_clause 0x1
	flat_load_dwordx2 v[28:29], v[26:27]
	flat_load_dwordx2 v[30:31], v[24:25]
	s_waitcnt vmcnt(3) lgkmcnt(3)
	v_mul_f32_e32 v5, v13, v33
	v_mul_f32_e32 v33, v12, v33
	s_waitcnt vmcnt(2) lgkmcnt(2)
	v_mul_f32_e32 v36, v15, v35
	v_mul_f32_e32 v35, v14, v35
	v_fma_f32 v5, v12, v32, -v5
	v_fmac_f32_e32 v33, v13, v32
	v_fma_f32 v32, v14, v34, -v36
	v_fmac_f32_e32 v35, v15, v34
	v_add_f32_e32 v10, v10, v5
	v_add_f32_e32 v11, v11, v33
	v_add_nc_u32_e32 v33, 32, v4
	s_waitcnt vmcnt(1) lgkmcnt(1)
	v_mul_f32_e32 v34, v17, v29
	v_mul_f32_e32 v29, v16, v29
	s_waitcnt vmcnt(0) lgkmcnt(0)
	v_mul_f32_e32 v36, v19, v31
	v_mul_f32_e32 v5, v18, v31
	v_fma_f32 v31, v16, v28, -v34
	v_fmac_f32_e32 v29, v17, v28
	v_add_f32_e32 v28, v32, v10
	v_add_f32_e32 v32, v35, v11
	v_fma_f32 v10, v18, v30, -v36
	v_fmac_f32_e32 v5, v19, v30
	v_add_f32_e32 v11, v31, v28
	v_add_f32_e32 v28, v29, v32
	v_cmpx_gt_i32_e64 s12, v33
	s_cbranch_execz .LBB299_44
; %bb.39:
	s_clause 0x3
	flat_load_dwordx2 v[29:30], v[20:21] offset:256
	flat_load_dwordx2 v[31:32], v[22:23] offset:256
	;; [unrolled: 1-line block ×4, first 2 shown]
	s_mov_b32 s2, exec_lo
	s_waitcnt vmcnt(3) lgkmcnt(3)
	v_mul_f32_e32 v37, v13, v30
	v_mul_f32_e32 v30, v12, v30
	s_waitcnt vmcnt(2) lgkmcnt(2)
	v_mul_f32_e32 v38, v15, v32
	v_mul_f32_e32 v32, v14, v32
	s_waitcnt vmcnt(1) lgkmcnt(1)
	v_mul_f32_e32 v39, v17, v34
	v_fma_f32 v37, v12, v29, -v37
	v_fmac_f32_e32 v30, v13, v29
	v_mul_f32_e32 v34, v16, v34
	v_fma_f32 v38, v14, v31, -v38
	v_fmac_f32_e32 v32, v15, v31
	v_add_f32_e32 v8, v8, v37
	v_add_f32_e32 v30, v9, v30
	s_waitcnt vmcnt(0) lgkmcnt(0)
	v_mul_f32_e32 v29, v19, v36
	v_mul_f32_e32 v9, v18, v36
	v_fma_f32 v31, v16, v33, -v39
	v_fmac_f32_e32 v34, v17, v33
	v_add_f32_e32 v33, v38, v8
	v_add_f32_e32 v30, v32, v30
	v_add_nc_u32_e32 v32, 64, v4
	v_fma_f32 v8, v18, v35, -v29
	v_fmac_f32_e32 v9, v19, v35
	v_add_f32_e32 v29, v31, v33
	v_add_f32_e32 v30, v34, v30
	v_cmpx_gt_i32_e64 s12, v32
	s_cbranch_execz .LBB299_43
; %bb.40:
	s_clause 0x3
	flat_load_dwordx2 v[31:32], v[20:21] offset:512
	flat_load_dwordx2 v[33:34], v[22:23] offset:512
	;; [unrolled: 1-line block ×4, first 2 shown]
	s_mov_b32 s3, exec_lo
	s_waitcnt vmcnt(3) lgkmcnt(3)
	v_mul_f32_e32 v39, v13, v32
	v_mul_f32_e32 v32, v12, v32
	s_waitcnt vmcnt(2) lgkmcnt(2)
	v_mul_f32_e32 v40, v15, v34
	v_mul_f32_e32 v34, v14, v34
	s_waitcnt vmcnt(1) lgkmcnt(1)
	v_mul_f32_e32 v41, v17, v36
	v_fma_f32 v39, v12, v31, -v39
	v_fmac_f32_e32 v32, v13, v31
	v_mul_f32_e32 v36, v16, v36
	v_fma_f32 v40, v14, v33, -v40
	v_fmac_f32_e32 v34, v15, v33
	v_add_f32_e32 v6, v6, v39
	v_add_f32_e32 v32, v7, v32
	s_waitcnt vmcnt(0) lgkmcnt(0)
	v_mul_f32_e32 v31, v19, v38
	v_mul_f32_e32 v7, v18, v38
	v_fma_f32 v33, v16, v35, -v41
	v_fmac_f32_e32 v36, v17, v35
	v_add_f32_e32 v6, v40, v6
	v_add_f32_e32 v32, v34, v32
	v_add_nc_u32_e32 v34, 0x60, v4
	v_fma_f32 v4, v18, v37, -v31
	v_fmac_f32_e32 v7, v19, v37
	v_add_f32_e32 v6, v33, v6
	v_add_f32_e32 v31, v36, v32
	v_cmpx_gt_i32_e64 s12, v34
	s_cbranch_execz .LBB299_42
; %bb.41:
	s_clause 0x3
	flat_load_dwordx2 v[20:21], v[20:21] offset:768
	flat_load_dwordx2 v[22:23], v[22:23] offset:768
	;; [unrolled: 1-line block ×4, first 2 shown]
	s_waitcnt vmcnt(3) lgkmcnt(3)
	v_mul_f32_e32 v32, v13, v21
	v_mul_f32_e32 v21, v12, v21
	s_waitcnt vmcnt(2) lgkmcnt(2)
	v_mul_f32_e32 v33, v15, v23
	v_mul_f32_e32 v23, v14, v23
	s_waitcnt vmcnt(1) lgkmcnt(1)
	v_mul_f32_e32 v34, v17, v27
	v_fma_f32 v12, v12, v20, -v32
	v_fmac_f32_e32 v21, v13, v20
	v_mul_f32_e32 v27, v16, v27
	v_fma_f32 v14, v14, v22, -v33
	v_fmac_f32_e32 v23, v15, v22
	v_add_f32_e32 v2, v2, v12
	v_add_f32_e32 v3, v3, v21
	s_waitcnt vmcnt(0) lgkmcnt(0)
	v_mul_f32_e32 v13, v19, v25
	v_mul_f32_e32 v12, v18, v25
	v_fma_f32 v15, v16, v26, -v34
	v_fmac_f32_e32 v27, v17, v26
	v_add_f32_e32 v2, v14, v2
	v_add_f32_e32 v3, v23, v3
	v_fma_f32 v13, v18, v24, -v13
	v_fmac_f32_e32 v12, v19, v24
	v_add_f32_e32 v2, v15, v2
	v_add_f32_e32 v3, v27, v3
	;; [unrolled: 1-line block ×4, first 2 shown]
.LBB299_42:
	s_or_b32 exec_lo, exec_lo, s3
	v_add_f32_e32 v6, v4, v6
	v_add_f32_e32 v7, v7, v31
.LBB299_43:
	s_or_b32 exec_lo, exec_lo, s2
	v_add_f32_e32 v8, v8, v29
	v_add_f32_e32 v9, v9, v30
.LBB299_44:
	s_or_b32 exec_lo, exec_lo, s0
	v_add_f32_e32 v10, v10, v11
	v_add_f32_e32 v11, v5, v28
.LBB299_45:
	s_or_b32 exec_lo, exec_lo, s1
.LBB299_46:
	v_lshlrev_b32_e32 v0, 3, v0
	s_mov_b32 s0, exec_lo
	v_lshl_add_u32 v1, v1, 10, v0
	ds_write2_b64 v1, v[10:11], v[8:9] offset1:32
	ds_write2_b64 v1, v[6:7], v[2:3] offset0:64 offset1:96
	s_waitcnt vmcnt(0) lgkmcnt(0)
	s_waitcnt_vscnt null, 0x0
	s_barrier
	buffer_gl0_inv
	v_cmpx_gt_u32_e32 0x80, v62
	s_cbranch_execz .LBB299_51
; %bb.47:
	v_lshl_add_u32 v12, v63, 3, v0
	ds_read2st64_b64 v[0:3], v12 offset1:2
	ds_read2st64_b64 v[4:7], v12 offset0:4 offset1:6
	ds_read2st64_b64 v[8:11], v12 offset0:8 offset1:10
	s_waitcnt lgkmcnt(2)
	v_add_f32_e32 v13, v0, v2
	v_add_f32_e32 v14, v1, v3
	ds_read2st64_b64 v[0:3], v12 offset0:12 offset1:14
	s_waitcnt lgkmcnt(2)
	v_add_f32_e32 v4, v13, v4
	v_add_f32_e32 v5, v14, v5
	v_add_f32_e32 v13, v4, v6
	v_add_f32_e32 v14, v5, v7
	ds_read2st64_b64 v[4:7], v12 offset0:16 offset1:18
	s_waitcnt lgkmcnt(2)
	v_add_f32_e32 v8, v13, v8
	v_add_f32_e32 v9, v14, v9
	;; [unrolled: 6-line block ×5, first 2 shown]
	v_add_f32_e32 v8, v8, v10
	v_add_f32_e32 v9, v9, v11
	s_waitcnt lgkmcnt(1)
	v_add_f32_e32 v0, v8, v0
	v_add_f32_e32 v1, v9, v1
	v_add_f32_e32 v0, v0, v2
	v_add_f32_e32 v1, v1, v3
	s_waitcnt lgkmcnt(0)
	v_add_f32_e32 v2, v0, v4
	v_add_f32_e32 v1, v1, v5
	v_or_b32_e32 v0, s29, v62
	v_add_f32_e32 v2, v2, v6
	v_add_f32_e32 v3, v1, v7
	v_cmp_gt_i32_e32 vcc_lo, s12, v0
	ds_write_b64 v12, v[2:3]
	s_and_b32 exec_lo, exec_lo, vcc_lo
	s_cbranch_execz .LBB299_51
; %bb.48:
	v_ashrrev_i32_e32 v1, 31, v0
	v_mul_lo_u32 v6, s11, v0
	v_mad_u64_u32 v[4:5], null, s10, v0, 0
	v_mul_f32_e32 v0, s17, v3
	v_mul_lo_u32 v1, s10, v1
	v_cmp_neq_f32_e64 s0, s8, 0
	v_cmp_neq_f32_e64 s1, s9, 0
	v_fma_f32 v0, v2, s16, -v0
	s_or_b32 s0, s0, s1
	v_add3_u32 v5, v5, v1, v6
	v_mul_f32_e32 v1, s16, v3
	s_andn2_b32 vcc_lo, exec_lo, s0
	v_lshlrev_b64 v[3:4], 3, v[4:5]
	v_fmac_f32_e32 v1, s17, v2
	s_cbranch_vccnz .LBB299_50
; %bb.49:
	v_add_co_u32 v5, vcc_lo, s5, v3
	v_add_co_ci_u32_e64 v6, null, s28, v4, vcc_lo
	flat_load_dwordx2 v[5:6], v[5:6]
	s_waitcnt vmcnt(0) lgkmcnt(0)
	v_mul_f32_e32 v2, s9, v6
	v_mul_f32_e32 v6, s8, v6
	v_fma_f32 v2, s8, v5, -v2
	v_fmac_f32_e32 v6, s9, v5
	v_add_f32_e32 v0, v0, v2
	v_add_f32_e32 v1, v1, v6
.LBB299_50:
	v_add_co_u32 v2, vcc_lo, s5, v3
	v_add_co_ci_u32_e64 v3, null, s28, v4, vcc_lo
	flat_store_dwordx2 v[2:3], v[0:1]
.LBB299_51:
	s_endpgm
	.section	.rodata,"a",@progbits
	.p2align	6, 0x0
	.amdhsa_kernel _ZL20rocblas_gemvn_kernelILi32ELi16ElPK19rocblas_complex_numIfES3_KPS1_EviiT3_lPKT2_lT1_lS9_lSA_lS6_lPT4_lSA_li
		.amdhsa_group_segment_fixed_size 16384
		.amdhsa_private_segment_fixed_size 0
		.amdhsa_kernarg_size 400
		.amdhsa_user_sgpr_count 6
		.amdhsa_user_sgpr_private_segment_buffer 1
		.amdhsa_user_sgpr_dispatch_ptr 0
		.amdhsa_user_sgpr_queue_ptr 0
		.amdhsa_user_sgpr_kernarg_segment_ptr 1
		.amdhsa_user_sgpr_dispatch_id 0
		.amdhsa_user_sgpr_flat_scratch_init 0
		.amdhsa_user_sgpr_private_segment_size 0
		.amdhsa_wavefront_size32 1
		.amdhsa_uses_dynamic_stack 0
		.amdhsa_system_sgpr_private_segment_wavefront_offset 0
		.amdhsa_system_sgpr_workgroup_id_x 1
		.amdhsa_system_sgpr_workgroup_id_y 0
		.amdhsa_system_sgpr_workgroup_id_z 1
		.amdhsa_system_sgpr_workgroup_info 0
		.amdhsa_system_vgpr_workitem_id 1
		.amdhsa_next_free_vgpr 69
		.amdhsa_next_free_sgpr 36
		.amdhsa_reserve_vcc 1
		.amdhsa_reserve_flat_scratch 1
		.amdhsa_float_round_mode_32 0
		.amdhsa_float_round_mode_16_64 0
		.amdhsa_float_denorm_mode_32 3
		.amdhsa_float_denorm_mode_16_64 3
		.amdhsa_dx10_clamp 1
		.amdhsa_ieee_mode 1
		.amdhsa_fp16_overflow 0
		.amdhsa_workgroup_processor_mode 1
		.amdhsa_memory_ordered 1
		.amdhsa_forward_progress 1
		.amdhsa_shared_vgpr_count 0
		.amdhsa_exception_fp_ieee_invalid_op 0
		.amdhsa_exception_fp_denorm_src 0
		.amdhsa_exception_fp_ieee_div_zero 0
		.amdhsa_exception_fp_ieee_overflow 0
		.amdhsa_exception_fp_ieee_underflow 0
		.amdhsa_exception_fp_ieee_inexact 0
		.amdhsa_exception_int_div_zero 0
	.end_amdhsa_kernel
	.section	.text._ZL20rocblas_gemvn_kernelILi32ELi16ElPK19rocblas_complex_numIfES3_KPS1_EviiT3_lPKT2_lT1_lS9_lSA_lS6_lPT4_lSA_li,"axG",@progbits,_ZL20rocblas_gemvn_kernelILi32ELi16ElPK19rocblas_complex_numIfES3_KPS1_EviiT3_lPKT2_lT1_lS9_lSA_lS6_lPT4_lSA_li,comdat
.Lfunc_end299:
	.size	_ZL20rocblas_gemvn_kernelILi32ELi16ElPK19rocblas_complex_numIfES3_KPS1_EviiT3_lPKT2_lT1_lS9_lSA_lS6_lPT4_lSA_li, .Lfunc_end299-_ZL20rocblas_gemvn_kernelILi32ELi16ElPK19rocblas_complex_numIfES3_KPS1_EviiT3_lPKT2_lT1_lS9_lSA_lS6_lPT4_lSA_li
                                        ; -- End function
	.set _ZL20rocblas_gemvn_kernelILi32ELi16ElPK19rocblas_complex_numIfES3_KPS1_EviiT3_lPKT2_lT1_lS9_lSA_lS6_lPT4_lSA_li.num_vgpr, 69
	.set _ZL20rocblas_gemvn_kernelILi32ELi16ElPK19rocblas_complex_numIfES3_KPS1_EviiT3_lPKT2_lT1_lS9_lSA_lS6_lPT4_lSA_li.num_agpr, 0
	.set _ZL20rocblas_gemvn_kernelILi32ELi16ElPK19rocblas_complex_numIfES3_KPS1_EviiT3_lPKT2_lT1_lS9_lSA_lS6_lPT4_lSA_li.numbered_sgpr, 36
	.set _ZL20rocblas_gemvn_kernelILi32ELi16ElPK19rocblas_complex_numIfES3_KPS1_EviiT3_lPKT2_lT1_lS9_lSA_lS6_lPT4_lSA_li.num_named_barrier, 0
	.set _ZL20rocblas_gemvn_kernelILi32ELi16ElPK19rocblas_complex_numIfES3_KPS1_EviiT3_lPKT2_lT1_lS9_lSA_lS6_lPT4_lSA_li.private_seg_size, 0
	.set _ZL20rocblas_gemvn_kernelILi32ELi16ElPK19rocblas_complex_numIfES3_KPS1_EviiT3_lPKT2_lT1_lS9_lSA_lS6_lPT4_lSA_li.uses_vcc, 1
	.set _ZL20rocblas_gemvn_kernelILi32ELi16ElPK19rocblas_complex_numIfES3_KPS1_EviiT3_lPKT2_lT1_lS9_lSA_lS6_lPT4_lSA_li.uses_flat_scratch, 1
	.set _ZL20rocblas_gemvn_kernelILi32ELi16ElPK19rocblas_complex_numIfES3_KPS1_EviiT3_lPKT2_lT1_lS9_lSA_lS6_lPT4_lSA_li.has_dyn_sized_stack, 0
	.set _ZL20rocblas_gemvn_kernelILi32ELi16ElPK19rocblas_complex_numIfES3_KPS1_EviiT3_lPKT2_lT1_lS9_lSA_lS6_lPT4_lSA_li.has_recursion, 0
	.set _ZL20rocblas_gemvn_kernelILi32ELi16ElPK19rocblas_complex_numIfES3_KPS1_EviiT3_lPKT2_lT1_lS9_lSA_lS6_lPT4_lSA_li.has_indirect_call, 0
	.section	.AMDGPU.csdata,"",@progbits
; Kernel info:
; codeLenInByte = 3888
; TotalNumSgprs: 38
; NumVgprs: 69
; ScratchSize: 0
; MemoryBound: 0
; FloatMode: 240
; IeeeMode: 1
; LDSByteSize: 16384 bytes/workgroup (compile time only)
; SGPRBlocks: 0
; VGPRBlocks: 8
; NumSGPRsForWavesPerEU: 38
; NumVGPRsForWavesPerEU: 69
; Occupancy: 12
; WaveLimiterHint : 1
; COMPUTE_PGM_RSRC2:SCRATCH_EN: 0
; COMPUTE_PGM_RSRC2:USER_SGPR: 6
; COMPUTE_PGM_RSRC2:TRAP_HANDLER: 0
; COMPUTE_PGM_RSRC2:TGID_X_EN: 1
; COMPUTE_PGM_RSRC2:TGID_Y_EN: 0
; COMPUTE_PGM_RSRC2:TGID_Z_EN: 1
; COMPUTE_PGM_RSRC2:TIDIG_COMP_CNT: 1
	.section	.text._ZL20rocblas_gemvn_kernelILi32ELi16EiPK19rocblas_complex_numIfES1_KPS1_EviiT3_lPKT2_lT1_lS9_lSA_lS6_lPT4_lSA_li,"axG",@progbits,_ZL20rocblas_gemvn_kernelILi32ELi16EiPK19rocblas_complex_numIfES1_KPS1_EviiT3_lPKT2_lT1_lS9_lSA_lS6_lPT4_lSA_li,comdat
	.globl	_ZL20rocblas_gemvn_kernelILi32ELi16EiPK19rocblas_complex_numIfES1_KPS1_EviiT3_lPKT2_lT1_lS9_lSA_lS6_lPT4_lSA_li ; -- Begin function _ZL20rocblas_gemvn_kernelILi32ELi16EiPK19rocblas_complex_numIfES1_KPS1_EviiT3_lPKT2_lT1_lS9_lSA_lS6_lPT4_lSA_li
	.p2align	8
	.type	_ZL20rocblas_gemvn_kernelILi32ELi16EiPK19rocblas_complex_numIfES1_KPS1_EviiT3_lPKT2_lT1_lS9_lSA_lS6_lPT4_lSA_li,@function
_ZL20rocblas_gemvn_kernelILi32ELi16EiPK19rocblas_complex_numIfES1_KPS1_EviiT3_lPKT2_lT1_lS9_lSA_lS6_lPT4_lSA_li: ; @_ZL20rocblas_gemvn_kernelILi32ELi16EiPK19rocblas_complex_numIfES1_KPS1_EviiT3_lPKT2_lT1_lS9_lSA_lS6_lPT4_lSA_li
; %bb.0:
	s_load_dwordx2 s[2:3], s[4:5], 0x9c
	s_waitcnt lgkmcnt(0)
	s_lshr_b32 s1, s2, 16
	s_and_b32 s2, s2, 0xffff
	s_and_b32 s3, s3, 0xffff
	s_mul_i32 s1, s1, s2
	s_mul_i32 s1, s1, s3
	s_cmpk_lg_i32 s1, 0x200
	s_cbranch_scc1 .LBB300_53
; %bb.1:
	s_clause 0x1
	s_load_dwordx4 s[8:11], s[4:5], 0x0
	s_load_dwordx2 s[12:13], s[4:5], 0x58
	s_mov_b32 s0, s7
	s_waitcnt lgkmcnt(0)
	v_cmp_neq_f32_e64 s1, s10, 0
	v_cmp_neq_f32_e64 s2, s11, 0
	s_or_b32 s1, s1, s2
	s_and_b32 vcc_lo, exec_lo, s1
	s_mov_b32 s1, -1
	s_cbranch_vccnz .LBB300_3
; %bb.2:
	v_cmp_neq_f32_e64 s1, s12, 1.0
	v_cmp_neq_f32_e64 s2, s13, 0
	s_or_b32 s1, s1, s2
.LBB300_3:
	s_andn2_b32 vcc_lo, exec_lo, s1
	s_cbranch_vccnz .LBB300_53
; %bb.4:
	s_or_b32 s1, s10, s11
	s_bitset0_b32 s1, 31
	s_cmp_lg_u32 s1, 0
	s_cselect_b32 s3, -1, 0
	s_cmp_eq_u32 s1, 0
	s_mov_b32 s1, 0
	s_cselect_b32 s2, -1, 0
	s_and_b32 vcc_lo, exec_lo, s3
	s_cbranch_vccnz .LBB300_6
; %bb.5:
	s_mov_b32 s7, s1
	s_mov_b64 s[16:17], 0
	s_andn2_b32 vcc_lo, exec_lo, s7
	s_mov_b64 s[14:15], 0
	s_cbranch_vccz .LBB300_7
	s_branch .LBB300_8
.LBB300_6:
	s_mov_b64 s[16:17], 0
	s_mov_b64 s[14:15], 0
.LBB300_7:
	s_load_dwordx4 s[20:23], s[4:5], 0x18
	s_lshl_b64 s[14:15], s[0:1], 3
	s_waitcnt lgkmcnt(0)
	s_add_u32 s14, s20, s14
	s_addc_u32 s15, s21, s15
	s_lshl_b64 s[18:19], s[22:23], 3
	s_load_dwordx2 s[14:15], s[14:15], 0x0
	s_waitcnt lgkmcnt(0)
	s_add_u32 s14, s14, s18
	s_addc_u32 s15, s15, s19
.LBB300_8:
	s_andn2_b32 vcc_lo, exec_lo, s3
	s_cbranch_vccnz .LBB300_10
; %bb.9:
	s_load_dwordx4 s[16:19], s[4:5], 0x38
	s_lshl_b64 s[20:21], s[0:1], 3
	s_waitcnt lgkmcnt(0)
	s_add_u32 s16, s16, s20
	s_addc_u32 s17, s17, s21
	s_lshl_b64 s[18:19], s[18:19], 3
	s_load_dwordx2 s[16:17], s[16:17], 0x0
	s_waitcnt lgkmcnt(0)
	s_add_u32 s16, s16, s18
	s_addc_u32 s17, s17, s19
.LBB300_10:
	s_clause 0x1
	s_load_dwordx4 s[20:23], s[4:5], 0x68
	s_load_dword s19, s[4:5], 0x78
	s_lshl_b64 s[0:1], s[0:1], 3
	v_lshlrev_b32_e32 v54, 5, v1
	v_add_nc_u32_e32 v53, v54, v0
	s_waitcnt lgkmcnt(0)
	s_add_u32 s0, s20, s0
	s_addc_u32 s1, s21, s1
	s_lshl_b64 s[22:23], s[22:23], 3
	s_load_dwordx2 s[20:21], s[0:1], 0x0
	v_cmp_gt_u32_e64 s0, 0x80, v53
	s_mov_b32 s1, -1
	s_waitcnt lgkmcnt(0)
	s_add_u32 s7, s20, s22
	s_addc_u32 s18, s21, s23
	s_andn2_b32 vcc_lo, exec_lo, s2
	s_cbranch_vccnz .LBB300_17
; %bb.11:
	s_and_saveexec_b32 s1, s0
	s_cbranch_execz .LBB300_16
; %bb.12:
	v_lshl_or_b32 v2, s6, 7, v53
	v_mov_b32_e32 v3, 0
	s_ashr_i32 s3, s8, 31
	s_mov_b32 s2, s8
	v_cmp_gt_i64_e32 vcc_lo, s[2:3], v[2:3]
	s_and_b32 exec_lo, exec_lo, vcc_lo
	s_cbranch_execz .LBB300_16
; %bb.13:
	v_mad_u64_u32 v[4:5], null, s19, v2, 0
	s_ashr_i32 s3, s19, 31
	v_cmp_neq_f32_e64 s0, s12, 0
	v_cmp_neq_f32_e64 s2, s13, 0
	v_mad_u64_u32 v[5:6], null, s3, v2, v[5:6]
	v_mov_b32_e32 v6, v3
	s_or_b32 s0, s0, s2
	s_andn2_b32 vcc_lo, exec_lo, s0
	v_lshlrev_b64 v[4:5], 3, v[4:5]
	s_cbranch_vccnz .LBB300_15
; %bb.14:
	v_add_co_u32 v2, vcc_lo, s7, v4
	v_add_co_ci_u32_e64 v3, null, s18, v5, vcc_lo
	flat_load_dwordx2 v[2:3], v[2:3]
	s_waitcnt vmcnt(0) lgkmcnt(0)
	v_mul_f32_e32 v7, s13, v3
	v_mul_f32_e32 v6, s12, v3
	v_fma_f32 v3, s12, v2, -v7
	v_fmac_f32_e32 v6, s13, v2
.LBB300_15:
	v_add_co_u32 v7, vcc_lo, s7, v4
	v_add_co_ci_u32_e64 v8, null, s18, v5, vcc_lo
	v_mov_b32_e32 v5, v3
	flat_store_dwordx2 v[7:8], v[5:6]
.LBB300_16:
	s_or_b32 exec_lo, exec_lo, s1
	s_mov_b32 s1, 0
.LBB300_17:
	s_andn2_b32 vcc_lo, exec_lo, s1
	s_cbranch_vccnz .LBB300_53
; %bb.18:
	s_clause 0x1
	s_load_dword s20, s[4:5], 0x28
	s_load_dword s4, s[4:5], 0x48
	s_ashr_i32 s0, s9, 31
	s_lshl_b32 s5, s6, 7
	s_lshr_b32 s0, s0, 26
	v_lshlrev_b32_e32 v56, 2, v1
	v_add_nc_u32_e32 v55, s5, v0
	v_mov_b32_e32 v3, 0
	v_mov_b32_e32 v2, 0
	;; [unrolled: 1-line block ×8, first 2 shown]
	s_add_i32 s0, s9, s0
	s_mov_b32 s21, exec_lo
	s_and_b32 s6, s0, 0xffffffc0
	v_cmpx_gt_i32_e64 s6, v56
	s_cbranch_execz .LBB300_30
; %bb.19:
	s_waitcnt lgkmcnt(0)
	v_mul_lo_u32 v3, s20, v56
	v_add_nc_u32_e32 v2, 32, v55
	v_add_nc_u32_e32 v4, 64, v55
	;; [unrolled: 1-line block ×3, first 2 shown]
	s_lshl_b32 s22, s20, 6
	s_lshl_b32 s24, s4, 6
	v_cmp_gt_i32_e64 s0, s8, v2
	v_add_nc_u32_e32 v2, 2, v56
	v_add3_u32 v57, v3, s20, v0
	v_mul_lo_u32 v3, v1, s20
	v_cmp_gt_i32_e64 s1, s8, v4
	v_add_nc_u32_e32 v4, 3, v56
	v_cmp_gt_i32_e64 s2, s8, v5
	v_mul_lo_u32 v5, v1, s4
	v_mad_u64_u32 v[10:11], null, s20, v2, v[0:1]
	v_mad_u64_u32 v[11:12], null, s20, v4, v[0:1]
	v_lshl_add_u32 v58, v3, 2, v0
	v_mov_b32_e32 v3, 0
	v_mad_u64_u32 v[12:13], null, s4, v56, s[4:5]
	v_mul_lo_u32 v59, s4, v2
	v_mul_lo_u32 v60, s4, v4
	v_lshlrev_b32_e32 v61, 2, v5
	v_mov_b32_e32 v2, v3
	v_mov_b32_e32 v5, v3
	;; [unrolled: 1-line block ×7, first 2 shown]
	s_mov_b32 s23, 0
	s_mov_b32 s25, 0
	v_cmp_gt_i32_e32 vcc_lo, s8, v55
	s_branch .LBB300_24
.LBB300_20:                             ;   in Loop: Header=BB300_24 Depth=1
	s_or_b32 exec_lo, exec_lo, s28
	s_waitcnt vmcnt(3) lgkmcnt(3)
	v_mul_f32_e32 v45, v26, v44
	v_mul_f32_e32 v44, v25, v44
	s_waitcnt vmcnt(2) lgkmcnt(2)
	v_mul_f32_e32 v46, v22, v42
	v_mul_f32_e32 v42, v21, v42
	s_waitcnt vmcnt(1) lgkmcnt(1)
	v_mul_f32_e32 v47, v16, v40
	v_fma_f32 v45, v25, v43, -v45
	v_fmac_f32_e32 v44, v26, v43
	v_mul_f32_e32 v40, v15, v40
	v_fma_f32 v46, v21, v41, -v46
	v_fmac_f32_e32 v42, v22, v41
	v_add_f32_e32 v4, v4, v45
	v_add_f32_e32 v5, v5, v44
	s_waitcnt vmcnt(0) lgkmcnt(0)
	v_mul_f32_e32 v43, v14, v38
	v_mul_f32_e32 v38, v13, v38
	v_fma_f32 v41, v15, v39, -v47
	v_add_f32_e32 v4, v46, v4
	v_fmac_f32_e32 v40, v16, v39
	v_add_f32_e32 v5, v42, v5
	v_fma_f32 v39, v13, v37, -v43
	v_fmac_f32_e32 v38, v14, v37
	v_add_f32_e32 v4, v41, v4
	v_add_f32_e32 v5, v40, v5
	v_add_f32_e32 v4, v39, v4
	v_add_f32_e32 v5, v38, v5
.LBB300_21:                             ;   in Loop: Header=BB300_24 Depth=1
	s_or_b32 exec_lo, exec_lo, s27
	s_waitcnt vmcnt(3) lgkmcnt(3)
	v_mul_f32_e32 v37, v26, v36
	v_mul_f32_e32 v36, v25, v36
	s_waitcnt vmcnt(2) lgkmcnt(2)
	v_mul_f32_e32 v38, v22, v34
	v_mul_f32_e32 v34, v21, v34
	s_waitcnt vmcnt(1) lgkmcnt(1)
	v_mul_f32_e32 v39, v16, v32
	v_fma_f32 v37, v25, v35, -v37
	v_fmac_f32_e32 v36, v26, v35
	v_mul_f32_e32 v32, v15, v32
	v_fma_f32 v38, v21, v33, -v38
	v_fmac_f32_e32 v34, v22, v33
	v_add_f32_e32 v6, v6, v37
	v_add_f32_e32 v7, v7, v36
	s_waitcnt vmcnt(0) lgkmcnt(0)
	v_mul_f32_e32 v35, v14, v30
	v_mul_f32_e32 v30, v13, v30
	v_fma_f32 v33, v15, v31, -v39
	v_add_f32_e32 v6, v38, v6
	v_fmac_f32_e32 v32, v16, v31
	v_add_f32_e32 v7, v34, v7
	v_fma_f32 v31, v13, v29, -v35
	v_fmac_f32_e32 v30, v14, v29
	v_add_f32_e32 v6, v33, v6
	v_add_f32_e32 v7, v32, v7
	;; [unrolled: 1-line block ×4, first 2 shown]
.LBB300_22:                             ;   in Loop: Header=BB300_24 Depth=1
	s_or_b32 exec_lo, exec_lo, s3
	s_waitcnt vmcnt(3) lgkmcnt(3)
	v_mul_f32_e32 v29, v26, v28
	v_mul_f32_e32 v28, v25, v28
	s_waitcnt vmcnt(2) lgkmcnt(2)
	v_mul_f32_e32 v30, v22, v24
	v_mul_f32_e32 v24, v21, v24
	s_waitcnt vmcnt(1) lgkmcnt(1)
	v_mul_f32_e32 v31, v16, v20
	v_fma_f32 v25, v25, v27, -v29
	v_fmac_f32_e32 v28, v26, v27
	v_mul_f32_e32 v20, v15, v20
	v_fma_f32 v21, v21, v23, -v30
	v_fmac_f32_e32 v24, v22, v23
	v_add_f32_e32 v8, v8, v25
	v_add_f32_e32 v9, v9, v28
	s_waitcnt vmcnt(0) lgkmcnt(0)
	v_mul_f32_e32 v26, v14, v18
	v_mul_f32_e32 v18, v13, v18
	v_fma_f32 v15, v15, v19, -v31
	v_add_f32_e32 v8, v21, v8
	v_fmac_f32_e32 v20, v16, v19
	v_add_f32_e32 v9, v24, v9
	v_fma_f32 v13, v13, v17, -v26
	v_fmac_f32_e32 v18, v14, v17
	v_add_f32_e32 v8, v15, v8
	v_add_f32_e32 v9, v20, v9
	;; [unrolled: 1-line block ×4, first 2 shown]
.LBB300_23:                             ;   in Loop: Header=BB300_24 Depth=1
	s_or_b32 exec_lo, exec_lo, s26
	v_add_nc_u32_e32 v56, 64, v56
	v_add_nc_u32_e32 v57, s22, v57
	;; [unrolled: 1-line block ×5, first 2 shown]
	v_cmp_le_i32_e64 s3, s6, v56
	s_add_i32 s25, s25, s24
	s_or_b32 s23, s3, s23
	s_andn2_b32 exec_lo, exec_lo, s23
	s_cbranch_execz .LBB300_29
.LBB300_24:                             ; =>This Inner Loop Header: Depth=1
	s_and_saveexec_b32 s26, vcc_lo
	s_cbranch_execz .LBB300_23
; %bb.25:                               ;   in Loop: Header=BB300_24 Depth=1
	v_add_nc_u32_e32 v13, s25, v61
	v_add_nc_u32_e32 v15, s25, v12
	;; [unrolled: 1-line block ×5, first 2 shown]
	v_ashrrev_i32_e32 v14, 31, v13
	v_ashrrev_i32_e32 v16, 31, v15
	;; [unrolled: 1-line block ×3, first 2 shown]
	v_add_nc_u32_e32 v23, s5, v57
	v_ashrrev_i32_e32 v20, 31, v19
	v_lshlrev_b64 v[13:14], 3, v[13:14]
	v_lshlrev_b64 v[15:16], 3, v[15:16]
	v_ashrrev_i32_e32 v22, 31, v21
	v_lshlrev_b64 v[17:18], 3, v[17:18]
	v_ashrrev_i32_e32 v24, 31, v23
	v_lshlrev_b64 v[19:20], 3, v[19:20]
	v_add_co_u32 v13, s3, s16, v13
	v_add_nc_u32_e32 v25, s5, v10
	v_add_co_ci_u32_e64 v14, null, s17, v14, s3
	v_add_co_u32 v15, s3, s16, v15
	v_lshlrev_b64 v[21:22], 3, v[21:22]
	v_add_nc_u32_e32 v27, s5, v11
	v_add_co_ci_u32_e64 v16, null, s17, v16, s3
	v_add_co_u32 v17, s3, s16, v17
	v_lshlrev_b64 v[23:24], 3, v[23:24]
	v_ashrrev_i32_e32 v26, 31, v25
	v_add_co_ci_u32_e64 v18, null, s17, v18, s3
	v_add_co_u32 v19, s3, s16, v19
	v_ashrrev_i32_e32 v28, 31, v27
	v_add_co_ci_u32_e64 v20, null, s17, v20, s3
	v_add_co_u32 v51, s3, s14, v21
	v_add_co_ci_u32_e64 v52, null, s15, v22, s3
	v_lshlrev_b64 v[21:22], 3, v[25:26]
	v_add_co_u32 v49, s3, s14, v23
	v_add_co_ci_u32_e64 v50, null, s15, v24, s3
	v_lshlrev_b64 v[23:24], 3, v[27:28]
	v_add_co_u32 v47, s3, s14, v21
	v_add_co_ci_u32_e64 v48, null, s15, v22, s3
	v_add_co_u32 v45, s3, s14, v23
	v_add_co_ci_u32_e64 v46, null, s15, v24, s3
	s_clause 0x3
	flat_load_dwordx2 v[25:26], v[13:14]
	flat_load_dwordx2 v[21:22], v[15:16]
	;; [unrolled: 1-line block ×4, first 2 shown]
	s_clause 0x3
	flat_load_dwordx2 v[27:28], v[51:52]
	flat_load_dwordx2 v[23:24], v[49:50]
	;; [unrolled: 1-line block ×4, first 2 shown]
	s_and_saveexec_b32 s3, s0
	s_cbranch_execz .LBB300_22
; %bb.26:                               ;   in Loop: Header=BB300_24 Depth=1
	s_clause 0x3
	flat_load_dwordx2 v[35:36], v[51:52] offset:256
	flat_load_dwordx2 v[33:34], v[49:50] offset:256
	flat_load_dwordx2 v[31:32], v[47:48] offset:256
	flat_load_dwordx2 v[29:30], v[45:46] offset:256
	s_and_saveexec_b32 s27, s1
	s_cbranch_execz .LBB300_21
; %bb.27:                               ;   in Loop: Header=BB300_24 Depth=1
	s_clause 0x3
	flat_load_dwordx2 v[43:44], v[51:52] offset:512
	flat_load_dwordx2 v[41:42], v[49:50] offset:512
	flat_load_dwordx2 v[39:40], v[47:48] offset:512
	flat_load_dwordx2 v[37:38], v[45:46] offset:512
	s_and_saveexec_b32 s28, s2
	s_cbranch_execz .LBB300_20
; %bb.28:                               ;   in Loop: Header=BB300_24 Depth=1
	s_clause 0x3
	flat_load_dwordx2 v[51:52], v[51:52] offset:768
	flat_load_dwordx2 v[49:50], v[49:50] offset:768
	flat_load_dwordx2 v[47:48], v[47:48] offset:768
	flat_load_dwordx2 v[45:46], v[45:46] offset:768
	s_waitcnt vmcnt(3) lgkmcnt(3)
	v_mul_f32_e32 v62, v26, v52
	v_mul_f32_e32 v52, v25, v52
	s_waitcnt vmcnt(2) lgkmcnt(2)
	v_mul_f32_e32 v63, v22, v50
	v_mul_f32_e32 v50, v21, v50
	s_waitcnt vmcnt(1) lgkmcnt(1)
	v_mul_f32_e32 v64, v16, v48
	v_fma_f32 v62, v25, v51, -v62
	v_fmac_f32_e32 v52, v26, v51
	v_mul_f32_e32 v48, v15, v48
	v_fma_f32 v63, v21, v49, -v63
	v_fmac_f32_e32 v50, v22, v49
	v_add_f32_e32 v2, v2, v62
	v_add_f32_e32 v3, v3, v52
	s_waitcnt vmcnt(0) lgkmcnt(0)
	v_mul_f32_e32 v51, v14, v46
	v_mul_f32_e32 v46, v13, v46
	v_fma_f32 v49, v15, v47, -v64
	v_fmac_f32_e32 v48, v16, v47
	v_add_f32_e32 v2, v63, v2
	v_add_f32_e32 v3, v50, v3
	v_fma_f32 v47, v13, v45, -v51
	v_fmac_f32_e32 v46, v14, v45
	v_add_f32_e32 v2, v49, v2
	v_add_f32_e32 v3, v48, v3
	;; [unrolled: 1-line block ×4, first 2 shown]
	s_branch .LBB300_20
.LBB300_29:
	s_or_b32 exec_lo, exec_lo, s23
.LBB300_30:
	s_or_b32 exec_lo, exec_lo, s21
	s_sub_i32 s0, s9, s6
	s_cmp_lt_i32 s0, 1
	s_cbranch_scc1 .LBB300_48
; %bb.31:
	v_cmp_gt_i32_e32 vcc_lo, s9, v56
	v_mov_b32_e32 v10, 0
	v_or_b32_e32 v18, 1, v56
	v_mov_b32_e32 v11, 0
	v_mov_b32_e32 v12, 0
	;; [unrolled: 1-line block ×7, first 2 shown]
	s_and_saveexec_b32 s1, vcc_lo
	s_cbranch_execz .LBB300_39
; %bb.32:
	s_waitcnt lgkmcnt(0)
	v_mul_lo_u32 v10, v56, s4
	v_mov_b32_e32 v17, 0
	v_mov_b32_e32 v16, 0
	v_mov_b32_e32 v15, 0
	v_mov_b32_e32 v14, 0
	v_mov_b32_e32 v13, 0
	v_mov_b32_e32 v12, 0
	s_mov_b32 s2, exec_lo
	v_ashrrev_i32_e32 v11, 31, v10
	v_lshlrev_b64 v[10:11], 3, v[10:11]
	v_add_co_u32 v10, s0, s16, v10
	v_add_co_ci_u32_e64 v11, null, s17, v11, s0
	flat_load_dwordx2 v[10:11], v[10:11]
	v_cmpx_gt_i32_e64 s9, v18
	s_cbranch_execz .LBB300_38
; %bb.33:
	v_mul_lo_u32 v12, v18, s4
	v_or_b32_e32 v19, 2, v56
	v_mov_b32_e32 v17, 0
	v_mov_b32_e32 v16, 0
	;; [unrolled: 1-line block ×4, first 2 shown]
	s_mov_b32 s3, exec_lo
	v_ashrrev_i32_e32 v13, 31, v12
	v_lshlrev_b64 v[12:13], 3, v[12:13]
	v_add_co_u32 v12, s0, s16, v12
	v_add_co_ci_u32_e64 v13, null, s17, v13, s0
	flat_load_dwordx2 v[12:13], v[12:13]
	v_cmpx_gt_i32_e64 s9, v19
	s_cbranch_execz .LBB300_37
; %bb.34:
	v_mul_lo_u32 v14, v19, s4
	v_or_b32_e32 v19, 3, v56
	v_mov_b32_e32 v17, 0
	v_mov_b32_e32 v16, 0
	s_mov_b32 s6, exec_lo
	v_ashrrev_i32_e32 v15, 31, v14
	v_lshlrev_b64 v[14:15], 3, v[14:15]
	v_add_co_u32 v14, s0, s16, v14
	v_add_co_ci_u32_e64 v15, null, s17, v15, s0
	flat_load_dwordx2 v[14:15], v[14:15]
	v_cmpx_gt_i32_e64 s9, v19
	s_cbranch_execz .LBB300_36
; %bb.35:
	v_mul_lo_u32 v16, v19, s4
	v_ashrrev_i32_e32 v17, 31, v16
	v_lshlrev_b64 v[16:17], 3, v[16:17]
	v_add_co_u32 v16, s0, s16, v16
	v_add_co_ci_u32_e64 v17, null, s17, v17, s0
	flat_load_dwordx2 v[16:17], v[16:17]
.LBB300_36:
	s_or_b32 exec_lo, exec_lo, s6
.LBB300_37:
	s_or_b32 exec_lo, exec_lo, s3
.LBB300_38:
	s_or_b32 exec_lo, exec_lo, s2
.LBB300_39:
	s_or_b32 exec_lo, exec_lo, s1
	s_mov_b32 s1, exec_lo
	v_cmpx_gt_i32_e64 s8, v55
	s_cbranch_execz .LBB300_47
; %bb.40:
	s_waitcnt lgkmcnt(0)
	v_mul_lo_u32 v19, v56, s20
	v_mul_lo_u32 v20, v18, s20
	v_or_b32_e32 v21, 2, v56
	v_or_b32_e32 v22, 3, v56
	s_mov_b32 s0, exec_lo
	v_mul_lo_u32 v23, v21, s20
	v_cndmask_b32_e32 v19, 0, v19, vcc_lo
	v_cmp_gt_i32_e32 vcc_lo, s9, v18
	v_mul_lo_u32 v24, v22, s20
	v_add_nc_u32_e32 v18, v19, v55
	v_cndmask_b32_e32 v20, 0, v20, vcc_lo
	v_cmp_gt_i32_e32 vcc_lo, s9, v21
	v_ashrrev_i32_e32 v19, 31, v18
	v_add_nc_u32_e32 v20, v20, v55
	v_cndmask_b32_e32 v23, 0, v23, vcc_lo
	v_cmp_gt_i32_e32 vcc_lo, s9, v22
	v_lshlrev_b64 v[18:19], 3, v[18:19]
	v_ashrrev_i32_e32 v21, 31, v20
	v_add_nc_u32_e32 v22, v23, v55
	v_cndmask_b32_e32 v24, 0, v24, vcc_lo
	v_lshlrev_b64 v[20:21], 3, v[20:21]
	v_ashrrev_i32_e32 v23, 31, v22
	v_add_nc_u32_e32 v26, v24, v55
	v_add_co_u32 v24, vcc_lo, s14, v18
	v_add_co_ci_u32_e64 v25, null, s15, v19, vcc_lo
	v_ashrrev_i32_e32 v27, 31, v26
	v_add_co_u32 v20, vcc_lo, s14, v20
	v_add_co_ci_u32_e64 v21, null, s15, v21, vcc_lo
	v_lshlrev_b64 v[18:19], 3, v[22:23]
	v_lshlrev_b64 v[26:27], 3, v[26:27]
	s_clause 0x1
	flat_load_dwordx2 v[28:29], v[24:25]
	flat_load_dwordx2 v[30:31], v[20:21]
	v_add_co_u32 v22, vcc_lo, s14, v18
	v_add_co_ci_u32_e64 v23, null, s15, v19, vcc_lo
	v_add_co_u32 v18, vcc_lo, s14, v26
	v_add_co_ci_u32_e64 v19, null, s15, v27, vcc_lo
	s_clause 0x1
	flat_load_dwordx2 v[26:27], v[22:23]
	flat_load_dwordx2 v[32:33], v[18:19]
	s_waitcnt vmcnt(3) lgkmcnt(3)
	v_mul_f32_e32 v34, v11, v29
	v_mul_f32_e32 v29, v10, v29
	s_waitcnt vmcnt(2) lgkmcnt(2)
	v_mul_f32_e32 v35, v13, v31
	v_mul_f32_e32 v31, v12, v31
	v_fma_f32 v34, v10, v28, -v34
	v_fmac_f32_e32 v29, v11, v28
	v_fma_f32 v28, v12, v30, -v35
	v_fmac_f32_e32 v31, v13, v30
	v_add_f32_e32 v8, v8, v34
	v_add_f32_e32 v29, v9, v29
	s_waitcnt vmcnt(1) lgkmcnt(1)
	v_mul_f32_e32 v30, v15, v27
	v_mul_f32_e32 v27, v14, v27
	s_waitcnt vmcnt(0) lgkmcnt(0)
	v_mul_f32_e32 v35, v17, v33
	v_mul_f32_e32 v9, v16, v33
	v_fma_f32 v30, v14, v26, -v30
	v_fmac_f32_e32 v27, v15, v26
	v_add_f32_e32 v26, v28, v8
	v_add_f32_e32 v28, v31, v29
	v_add_nc_u32_e32 v29, 32, v55
	v_fma_f32 v8, v16, v32, -v35
	v_fmac_f32_e32 v9, v17, v32
	v_add_f32_e32 v26, v30, v26
	v_add_f32_e32 v27, v27, v28
	v_cmpx_gt_i32_e64 s8, v29
	s_cbranch_execz .LBB300_46
; %bb.41:
	s_clause 0x3
	flat_load_dwordx2 v[28:29], v[24:25] offset:256
	flat_load_dwordx2 v[30:31], v[20:21] offset:256
	;; [unrolled: 1-line block ×4, first 2 shown]
	s_mov_b32 s2, exec_lo
	s_waitcnt vmcnt(3) lgkmcnt(3)
	v_mul_f32_e32 v36, v11, v29
	v_mul_f32_e32 v29, v10, v29
	s_waitcnt vmcnt(2) lgkmcnt(2)
	v_mul_f32_e32 v37, v13, v31
	v_mul_f32_e32 v31, v12, v31
	s_waitcnt vmcnt(1) lgkmcnt(1)
	v_mul_f32_e32 v38, v15, v33
	v_fma_f32 v36, v10, v28, -v36
	v_fmac_f32_e32 v29, v11, v28
	v_mul_f32_e32 v33, v14, v33
	v_fma_f32 v37, v12, v30, -v37
	v_fmac_f32_e32 v31, v13, v30
	v_add_f32_e32 v6, v6, v36
	v_add_f32_e32 v29, v7, v29
	s_waitcnt vmcnt(0) lgkmcnt(0)
	v_mul_f32_e32 v28, v17, v35
	v_mul_f32_e32 v7, v16, v35
	v_fma_f32 v30, v14, v32, -v38
	v_fmac_f32_e32 v33, v15, v32
	v_add_f32_e32 v32, v37, v6
	v_add_f32_e32 v29, v31, v29
	v_add_nc_u32_e32 v31, 64, v55
	v_fma_f32 v6, v16, v34, -v28
	v_fmac_f32_e32 v7, v17, v34
	v_add_f32_e32 v28, v30, v32
	v_add_f32_e32 v29, v33, v29
	v_cmpx_gt_i32_e64 s8, v31
	s_cbranch_execz .LBB300_45
; %bb.42:
	s_clause 0x3
	flat_load_dwordx2 v[30:31], v[24:25] offset:512
	flat_load_dwordx2 v[32:33], v[20:21] offset:512
	;; [unrolled: 1-line block ×4, first 2 shown]
	s_mov_b32 s3, exec_lo
	s_waitcnt vmcnt(3) lgkmcnt(3)
	v_mul_f32_e32 v38, v11, v31
	v_mul_f32_e32 v31, v10, v31
	s_waitcnt vmcnt(2) lgkmcnt(2)
	v_mul_f32_e32 v39, v13, v33
	v_mul_f32_e32 v33, v12, v33
	s_waitcnt vmcnt(1) lgkmcnt(1)
	v_mul_f32_e32 v40, v15, v35
	v_fma_f32 v38, v10, v30, -v38
	v_fmac_f32_e32 v31, v11, v30
	v_mul_f32_e32 v35, v14, v35
	v_fma_f32 v39, v12, v32, -v39
	v_fmac_f32_e32 v33, v13, v32
	v_add_f32_e32 v4, v4, v38
	v_add_f32_e32 v31, v5, v31
	s_waitcnt vmcnt(0) lgkmcnt(0)
	v_mul_f32_e32 v30, v17, v37
	v_mul_f32_e32 v5, v16, v37
	v_fma_f32 v32, v14, v34, -v40
	v_fmac_f32_e32 v35, v15, v34
	v_add_f32_e32 v34, v39, v4
	v_add_f32_e32 v31, v33, v31
	v_add_nc_u32_e32 v33, 0x60, v55
	v_fma_f32 v4, v16, v36, -v30
	v_fmac_f32_e32 v5, v17, v36
	v_add_f32_e32 v30, v32, v34
	v_add_f32_e32 v31, v35, v31
	v_cmpx_gt_i32_e64 s8, v33
	s_cbranch_execz .LBB300_44
; %bb.43:
	s_clause 0x3
	flat_load_dwordx2 v[24:25], v[24:25] offset:768
	flat_load_dwordx2 v[20:21], v[20:21] offset:768
	;; [unrolled: 1-line block ×4, first 2 shown]
	s_waitcnt vmcnt(3) lgkmcnt(3)
	v_mul_f32_e32 v32, v11, v25
	v_mul_f32_e32 v25, v10, v25
	s_waitcnt vmcnt(2) lgkmcnt(2)
	v_mul_f32_e32 v33, v13, v21
	v_mul_f32_e32 v21, v12, v21
	s_waitcnt vmcnt(1) lgkmcnt(1)
	v_mul_f32_e32 v34, v15, v23
	v_fma_f32 v10, v10, v24, -v32
	v_fmac_f32_e32 v25, v11, v24
	v_mul_f32_e32 v23, v14, v23
	v_fma_f32 v12, v12, v20, -v33
	v_fmac_f32_e32 v21, v13, v20
	v_add_f32_e32 v2, v2, v10
	v_add_f32_e32 v3, v3, v25
	s_waitcnt vmcnt(0) lgkmcnt(0)
	v_mul_f32_e32 v11, v17, v19
	v_mul_f32_e32 v10, v16, v19
	v_fma_f32 v13, v14, v22, -v34
	v_fmac_f32_e32 v23, v15, v22
	v_add_f32_e32 v2, v12, v2
	v_add_f32_e32 v3, v21, v3
	v_fma_f32 v11, v16, v18, -v11
	v_fmac_f32_e32 v10, v17, v18
	v_add_f32_e32 v2, v13, v2
	v_add_f32_e32 v3, v23, v3
	;; [unrolled: 1-line block ×4, first 2 shown]
.LBB300_44:
	s_or_b32 exec_lo, exec_lo, s3
	v_add_f32_e32 v4, v4, v30
	v_add_f32_e32 v5, v5, v31
.LBB300_45:
	s_or_b32 exec_lo, exec_lo, s2
	v_add_f32_e32 v6, v6, v28
	v_add_f32_e32 v7, v7, v29
.LBB300_46:
	s_or_b32 exec_lo, exec_lo, s0
	v_add_f32_e32 v8, v8, v26
	v_add_f32_e32 v9, v9, v27
.LBB300_47:
	s_or_b32 exec_lo, exec_lo, s1
.LBB300_48:
	v_lshlrev_b32_e32 v0, 3, v0
	s_mov_b32 s0, exec_lo
	v_lshl_add_u32 v1, v1, 10, v0
	ds_write2_b64 v1, v[8:9], v[6:7] offset1:32
	ds_write2_b64 v1, v[4:5], v[2:3] offset0:64 offset1:96
	s_waitcnt vmcnt(0) lgkmcnt(0)
	s_waitcnt_vscnt null, 0x0
	s_barrier
	buffer_gl0_inv
	v_cmpx_gt_u32_e32 0x80, v53
	s_cbranch_execz .LBB300_53
; %bb.49:
	v_lshl_add_u32 v12, v54, 3, v0
	ds_read2st64_b64 v[0:3], v12 offset1:2
	ds_read2st64_b64 v[4:7], v12 offset0:4 offset1:6
	ds_read2st64_b64 v[8:11], v12 offset0:8 offset1:10
	s_waitcnt lgkmcnt(2)
	v_add_f32_e32 v13, v0, v2
	v_add_f32_e32 v14, v1, v3
	ds_read2st64_b64 v[0:3], v12 offset0:12 offset1:14
	s_waitcnt lgkmcnt(2)
	v_add_f32_e32 v4, v13, v4
	v_add_f32_e32 v5, v14, v5
	v_add_f32_e32 v13, v4, v6
	v_add_f32_e32 v14, v5, v7
	ds_read2st64_b64 v[4:7], v12 offset0:16 offset1:18
	s_waitcnt lgkmcnt(2)
	v_add_f32_e32 v8, v13, v8
	v_add_f32_e32 v9, v14, v9
	;; [unrolled: 6-line block ×5, first 2 shown]
	v_add_f32_e32 v8, v8, v10
	v_add_f32_e32 v9, v9, v11
	s_waitcnt lgkmcnt(1)
	v_add_f32_e32 v0, v8, v0
	v_add_f32_e32 v1, v9, v1
	;; [unrolled: 1-line block ×4, first 2 shown]
	s_waitcnt lgkmcnt(0)
	v_add_f32_e32 v2, v0, v4
	v_add_f32_e32 v1, v1, v5
	v_or_b32_e32 v0, s5, v53
	v_add_f32_e32 v2, v2, v6
	v_add_f32_e32 v3, v1, v7
	v_cmp_gt_i32_e32 vcc_lo, s8, v0
	ds_write_b64 v12, v[2:3]
	s_and_b32 exec_lo, exec_lo, vcc_lo
	s_cbranch_execz .LBB300_53
; %bb.50:
	v_mul_lo_u32 v4, s19, v0
	v_mul_f32_e32 v0, s11, v3
	v_mul_f32_e32 v1, s10, v3
	v_cmp_neq_f32_e64 s0, s12, 0
	v_cmp_neq_f32_e64 s1, s13, 0
	v_fma_f32 v0, v2, s10, -v0
	v_fmac_f32_e32 v1, s11, v2
	v_ashrrev_i32_e32 v5, 31, v4
	s_or_b32 s0, s0, s1
	s_andn2_b32 vcc_lo, exec_lo, s0
	v_lshlrev_b64 v[3:4], 3, v[4:5]
	s_cbranch_vccnz .LBB300_52
; %bb.51:
	v_add_co_u32 v5, vcc_lo, s7, v3
	v_add_co_ci_u32_e64 v6, null, s18, v4, vcc_lo
	flat_load_dwordx2 v[5:6], v[5:6]
	s_waitcnt vmcnt(0) lgkmcnt(0)
	v_mul_f32_e32 v2, s13, v6
	v_mul_f32_e32 v6, s12, v6
	v_fma_f32 v2, s12, v5, -v2
	v_fmac_f32_e32 v6, s13, v5
	v_add_f32_e32 v0, v0, v2
	v_add_f32_e32 v1, v1, v6
.LBB300_52:
	v_add_co_u32 v2, vcc_lo, s7, v3
	v_add_co_ci_u32_e64 v3, null, s18, v4, vcc_lo
	flat_store_dwordx2 v[2:3], v[0:1]
.LBB300_53:
	s_endpgm
	.section	.rodata,"a",@progbits
	.p2align	6, 0x0
	.amdhsa_kernel _ZL20rocblas_gemvn_kernelILi32ELi16EiPK19rocblas_complex_numIfES1_KPS1_EviiT3_lPKT2_lT1_lS9_lSA_lS6_lPT4_lSA_li
		.amdhsa_group_segment_fixed_size 16384
		.amdhsa_private_segment_fixed_size 0
		.amdhsa_kernarg_size 400
		.amdhsa_user_sgpr_count 6
		.amdhsa_user_sgpr_private_segment_buffer 1
		.amdhsa_user_sgpr_dispatch_ptr 0
		.amdhsa_user_sgpr_queue_ptr 0
		.amdhsa_user_sgpr_kernarg_segment_ptr 1
		.amdhsa_user_sgpr_dispatch_id 0
		.amdhsa_user_sgpr_flat_scratch_init 0
		.amdhsa_user_sgpr_private_segment_size 0
		.amdhsa_wavefront_size32 1
		.amdhsa_uses_dynamic_stack 0
		.amdhsa_system_sgpr_private_segment_wavefront_offset 0
		.amdhsa_system_sgpr_workgroup_id_x 1
		.amdhsa_system_sgpr_workgroup_id_y 0
		.amdhsa_system_sgpr_workgroup_id_z 1
		.amdhsa_system_sgpr_workgroup_info 0
		.amdhsa_system_vgpr_workitem_id 1
		.amdhsa_next_free_vgpr 65
		.amdhsa_next_free_sgpr 29
		.amdhsa_reserve_vcc 1
		.amdhsa_reserve_flat_scratch 1
		.amdhsa_float_round_mode_32 0
		.amdhsa_float_round_mode_16_64 0
		.amdhsa_float_denorm_mode_32 3
		.amdhsa_float_denorm_mode_16_64 3
		.amdhsa_dx10_clamp 1
		.amdhsa_ieee_mode 1
		.amdhsa_fp16_overflow 0
		.amdhsa_workgroup_processor_mode 1
		.amdhsa_memory_ordered 1
		.amdhsa_forward_progress 1
		.amdhsa_shared_vgpr_count 0
		.amdhsa_exception_fp_ieee_invalid_op 0
		.amdhsa_exception_fp_denorm_src 0
		.amdhsa_exception_fp_ieee_div_zero 0
		.amdhsa_exception_fp_ieee_overflow 0
		.amdhsa_exception_fp_ieee_underflow 0
		.amdhsa_exception_fp_ieee_inexact 0
		.amdhsa_exception_int_div_zero 0
	.end_amdhsa_kernel
	.section	.text._ZL20rocblas_gemvn_kernelILi32ELi16EiPK19rocblas_complex_numIfES1_KPS1_EviiT3_lPKT2_lT1_lS9_lSA_lS6_lPT4_lSA_li,"axG",@progbits,_ZL20rocblas_gemvn_kernelILi32ELi16EiPK19rocblas_complex_numIfES1_KPS1_EviiT3_lPKT2_lT1_lS9_lSA_lS6_lPT4_lSA_li,comdat
.Lfunc_end300:
	.size	_ZL20rocblas_gemvn_kernelILi32ELi16EiPK19rocblas_complex_numIfES1_KPS1_EviiT3_lPKT2_lT1_lS9_lSA_lS6_lPT4_lSA_li, .Lfunc_end300-_ZL20rocblas_gemvn_kernelILi32ELi16EiPK19rocblas_complex_numIfES1_KPS1_EviiT3_lPKT2_lT1_lS9_lSA_lS6_lPT4_lSA_li
                                        ; -- End function
	.set _ZL20rocblas_gemvn_kernelILi32ELi16EiPK19rocblas_complex_numIfES1_KPS1_EviiT3_lPKT2_lT1_lS9_lSA_lS6_lPT4_lSA_li.num_vgpr, 65
	.set _ZL20rocblas_gemvn_kernelILi32ELi16EiPK19rocblas_complex_numIfES1_KPS1_EviiT3_lPKT2_lT1_lS9_lSA_lS6_lPT4_lSA_li.num_agpr, 0
	.set _ZL20rocblas_gemvn_kernelILi32ELi16EiPK19rocblas_complex_numIfES1_KPS1_EviiT3_lPKT2_lT1_lS9_lSA_lS6_lPT4_lSA_li.numbered_sgpr, 29
	.set _ZL20rocblas_gemvn_kernelILi32ELi16EiPK19rocblas_complex_numIfES1_KPS1_EviiT3_lPKT2_lT1_lS9_lSA_lS6_lPT4_lSA_li.num_named_barrier, 0
	.set _ZL20rocblas_gemvn_kernelILi32ELi16EiPK19rocblas_complex_numIfES1_KPS1_EviiT3_lPKT2_lT1_lS9_lSA_lS6_lPT4_lSA_li.private_seg_size, 0
	.set _ZL20rocblas_gemvn_kernelILi32ELi16EiPK19rocblas_complex_numIfES1_KPS1_EviiT3_lPKT2_lT1_lS9_lSA_lS6_lPT4_lSA_li.uses_vcc, 1
	.set _ZL20rocblas_gemvn_kernelILi32ELi16EiPK19rocblas_complex_numIfES1_KPS1_EviiT3_lPKT2_lT1_lS9_lSA_lS6_lPT4_lSA_li.uses_flat_scratch, 1
	.set _ZL20rocblas_gemvn_kernelILi32ELi16EiPK19rocblas_complex_numIfES1_KPS1_EviiT3_lPKT2_lT1_lS9_lSA_lS6_lPT4_lSA_li.has_dyn_sized_stack, 0
	.set _ZL20rocblas_gemvn_kernelILi32ELi16EiPK19rocblas_complex_numIfES1_KPS1_EviiT3_lPKT2_lT1_lS9_lSA_lS6_lPT4_lSA_li.has_recursion, 0
	.set _ZL20rocblas_gemvn_kernelILi32ELi16EiPK19rocblas_complex_numIfES1_KPS1_EviiT3_lPKT2_lT1_lS9_lSA_lS6_lPT4_lSA_li.has_indirect_call, 0
	.section	.AMDGPU.csdata,"",@progbits
; Kernel info:
; codeLenInByte = 3716
; TotalNumSgprs: 31
; NumVgprs: 65
; ScratchSize: 0
; MemoryBound: 0
; FloatMode: 240
; IeeeMode: 1
; LDSByteSize: 16384 bytes/workgroup (compile time only)
; SGPRBlocks: 0
; VGPRBlocks: 8
; NumSGPRsForWavesPerEU: 31
; NumVGPRsForWavesPerEU: 65
; Occupancy: 12
; WaveLimiterHint : 1
; COMPUTE_PGM_RSRC2:SCRATCH_EN: 0
; COMPUTE_PGM_RSRC2:USER_SGPR: 6
; COMPUTE_PGM_RSRC2:TRAP_HANDLER: 0
; COMPUTE_PGM_RSRC2:TGID_X_EN: 1
; COMPUTE_PGM_RSRC2:TGID_Y_EN: 0
; COMPUTE_PGM_RSRC2:TGID_Z_EN: 1
; COMPUTE_PGM_RSRC2:TIDIG_COMP_CNT: 1
	.section	.text._ZL20rocblas_gemvn_kernelILi32ELi16ElPK19rocblas_complex_numIfES1_KPS1_EviiT3_lPKT2_lT1_lS9_lSA_lS6_lPT4_lSA_li,"axG",@progbits,_ZL20rocblas_gemvn_kernelILi32ELi16ElPK19rocblas_complex_numIfES1_KPS1_EviiT3_lPKT2_lT1_lS9_lSA_lS6_lPT4_lSA_li,comdat
	.globl	_ZL20rocblas_gemvn_kernelILi32ELi16ElPK19rocblas_complex_numIfES1_KPS1_EviiT3_lPKT2_lT1_lS9_lSA_lS6_lPT4_lSA_li ; -- Begin function _ZL20rocblas_gemvn_kernelILi32ELi16ElPK19rocblas_complex_numIfES1_KPS1_EviiT3_lPKT2_lT1_lS9_lSA_lS6_lPT4_lSA_li
	.p2align	8
	.type	_ZL20rocblas_gemvn_kernelILi32ELi16ElPK19rocblas_complex_numIfES1_KPS1_EviiT3_lPKT2_lT1_lS9_lSA_lS6_lPT4_lSA_li,@function
_ZL20rocblas_gemvn_kernelILi32ELi16ElPK19rocblas_complex_numIfES1_KPS1_EviiT3_lPKT2_lT1_lS9_lSA_lS6_lPT4_lSA_li: ; @_ZL20rocblas_gemvn_kernelILi32ELi16ElPK19rocblas_complex_numIfES1_KPS1_EviiT3_lPKT2_lT1_lS9_lSA_lS6_lPT4_lSA_li
; %bb.0:
	s_load_dwordx2 s[0:1], s[4:5], 0x9c
	s_waitcnt lgkmcnt(0)
	s_lshr_b32 s2, s0, 16
	s_and_b32 s0, s0, 0xffff
	s_and_b32 s1, s1, 0xffff
	s_mul_i32 s0, s2, s0
	s_mul_i32 s0, s0, s1
	s_cmpk_lg_i32 s0, 0x200
	s_cbranch_scc1 .LBB301_53
; %bb.1:
	s_clause 0x1
	s_load_dwordx4 s[8:11], s[4:5], 0x0
	s_load_dwordx2 s[12:13], s[4:5], 0x58
	s_mov_b32 s14, s7
	s_waitcnt lgkmcnt(0)
	v_cmp_neq_f32_e64 s0, s10, 0
	v_cmp_neq_f32_e64 s1, s11, 0
	s_or_b32 s0, s0, s1
	s_and_b32 vcc_lo, exec_lo, s0
	s_mov_b32 s0, -1
	s_cbranch_vccnz .LBB301_3
; %bb.2:
	v_cmp_neq_f32_e64 s0, s12, 1.0
	v_cmp_neq_f32_e64 s1, s13, 0
	s_or_b32 s0, s0, s1
.LBB301_3:
	s_andn2_b32 vcc_lo, exec_lo, s0
	s_cbranch_vccnz .LBB301_53
; %bb.4:
	s_clause 0x1
	s_load_dwordx4 s[0:3], s[4:5], 0x18
	s_load_dwordx2 s[16:17], s[4:5], 0x28
	s_or_b32 s7, s10, s11
	s_mov_b32 s15, 0
	s_bitset0_b32 s7, 31
	s_cmp_lg_u32 s7, 0
	s_cselect_b32 s24, -1, 0
	s_cmp_eq_u32 s7, 0
	s_cselect_b32 s7, -1, 0
	s_and_b32 vcc_lo, exec_lo, s24
	s_cbranch_vccnz .LBB301_6
; %bb.5:
	s_mov_b32 s18, s15
	s_mov_b64 s[20:21], 0
	s_andn2_b32 vcc_lo, exec_lo, s18
	s_mov_b64 s[18:19], 0
	s_cbranch_vccz .LBB301_7
	s_branch .LBB301_8
.LBB301_6:
	s_mov_b64 s[20:21], 0
	s_mov_b64 s[18:19], 0
.LBB301_7:
	s_lshl_b64 s[18:19], s[14:15], 3
	s_waitcnt lgkmcnt(0)
	s_add_u32 s0, s0, s18
	s_addc_u32 s1, s1, s19
	s_lshl_b64 s[2:3], s[2:3], 3
	s_load_dwordx2 s[0:1], s[0:1], 0x0
	s_waitcnt lgkmcnt(0)
	s_add_u32 s18, s0, s2
	s_addc_u32 s19, s1, s3
.LBB301_8:
	s_waitcnt lgkmcnt(0)
	s_clause 0x1
	s_load_dwordx4 s[0:3], s[4:5], 0x38
	s_load_dwordx2 s[22:23], s[4:5], 0x48
	s_andn2_b32 vcc_lo, exec_lo, s24
	s_cbranch_vccnz .LBB301_10
; %bb.9:
	s_lshl_b64 s[20:21], s[14:15], 3
	s_waitcnt lgkmcnt(0)
	s_add_u32 s0, s0, s20
	s_addc_u32 s1, s1, s21
	s_lshl_b64 s[2:3], s[2:3], 3
	s_load_dwordx2 s[0:1], s[0:1], 0x0
	s_waitcnt lgkmcnt(0)
	s_add_u32 s20, s0, s2
	s_addc_u32 s21, s1, s3
.LBB301_10:
	s_waitcnt lgkmcnt(0)
	s_load_dwordx4 s[0:3], s[4:5], 0x68
	s_lshl_b64 s[24:25], s[14:15], 3
	s_load_dwordx2 s[14:15], s[4:5], 0x78
	v_lshlrev_b32_e32 v63, 5, v1
	v_add_nc_u32_e32 v62, v63, v0
	s_waitcnt lgkmcnt(0)
	s_add_u32 s0, s0, s24
	s_addc_u32 s1, s1, s25
	s_lshl_b64 s[2:3], s[2:3], 3
	s_load_dwordx2 s[24:25], s[0:1], 0x0
	v_cmp_gt_u32_e64 s0, 0x80, v62
	s_mov_b32 s1, -1
	s_waitcnt lgkmcnt(0)
	s_add_u32 s5, s24, s2
	s_addc_u32 s28, s25, s3
	s_andn2_b32 vcc_lo, exec_lo, s7
	s_cbranch_vccnz .LBB301_17
; %bb.11:
	s_and_saveexec_b32 s1, s0
	s_cbranch_execz .LBB301_16
; %bb.12:
	v_lshl_or_b32 v2, s6, 7, v62
	v_mov_b32_e32 v3, 0
	s_ashr_i32 s3, s8, 31
	s_mov_b32 s2, s8
	v_cmp_gt_i64_e32 vcc_lo, s[2:3], v[2:3]
	s_and_b32 exec_lo, exec_lo, vcc_lo
	s_cbranch_execz .LBB301_16
; %bb.13:
	v_mad_u64_u32 v[4:5], null, s14, v2, 0
	v_cmp_neq_f32_e64 s0, s12, 0
	v_cmp_neq_f32_e64 s2, s13, 0
	s_or_b32 s0, s0, s2
	v_mad_u64_u32 v[5:6], null, s15, v2, v[5:6]
	v_mov_b32_e32 v6, v3
	s_andn2_b32 vcc_lo, exec_lo, s0
	v_lshlrev_b64 v[4:5], 3, v[4:5]
	s_cbranch_vccnz .LBB301_15
; %bb.14:
	v_add_co_u32 v2, vcc_lo, s5, v4
	v_add_co_ci_u32_e64 v3, null, s28, v5, vcc_lo
	flat_load_dwordx2 v[2:3], v[2:3]
	s_waitcnt vmcnt(0) lgkmcnt(0)
	v_mul_f32_e32 v7, s13, v3
	v_mul_f32_e32 v6, s12, v3
	v_fma_f32 v3, s12, v2, -v7
	v_fmac_f32_e32 v6, s13, v2
.LBB301_15:
	v_add_co_u32 v7, vcc_lo, s5, v4
	v_add_co_ci_u32_e64 v8, null, s28, v5, vcc_lo
	v_mov_b32_e32 v5, v3
	flat_store_dwordx2 v[7:8], v[5:6]
.LBB301_16:
	s_or_b32 exec_lo, exec_lo, s1
	s_mov_b32 s1, 0
.LBB301_17:
	s_andn2_b32 vcc_lo, exec_lo, s1
	s_cbranch_vccnz .LBB301_53
; %bb.18:
	s_ashr_i32 s0, s9, 31
	s_lshl_b32 s29, s6, 7
	s_lshr_b32 s0, s0, 26
	v_lshlrev_b32_e32 v64, 2, v1
	v_mov_b32_e32 v3, 0
	v_add_nc_u32_e32 v4, s29, v0
	v_mov_b32_e32 v2, 0
	v_mov_b32_e32 v7, 0
	;; [unrolled: 1-line block ×7, first 2 shown]
	s_add_i32 s30, s9, s0
	s_mov_b32 s31, exec_lo
	s_andn2_b32 s30, s30, 63
	v_cmpx_gt_i32_e64 s30, v64
	s_cbranch_execz .LBB301_30
; %bb.19:
	v_lshlrev_b32_e32 v18, 2, v1
	v_add_nc_u32_e32 v10, 32, v4
	v_mad_u64_u32 v[2:3], null, s22, v1, 0
	v_mad_u64_u32 v[8:9], null, s16, v1, 0
	v_or_b32_e32 v14, 3, v18
	v_or_b32_e32 v19, 2, v18
	v_cmp_gt_i32_e64 s0, s8, v10
	v_mad_u64_u32 v[10:11], null, s16, v18, s[16:17]
	v_mad_u64_u32 v[6:7], null, s16, v14, 0
	;; [unrolled: 1-line block ×3, first 2 shown]
	v_ashrrev_i32_e32 v5, 31, v4
	v_add_nc_u32_e32 v15, 64, v4
	v_mad_u64_u32 v[12:13], null, s23, v1, v[3:4]
	v_mad_u64_u32 v[13:14], null, s17, v14, v[7:8]
	v_add_nc_u32_e32 v16, 0x60, v4
	v_cmp_gt_i32_e64 s1, s8, v15
	v_lshlrev_b64 v[14:15], 3, v[4:5]
	v_mov_b32_e32 v5, v9
	v_mov_b32_e32 v9, v11
	;; [unrolled: 1-line block ×3, first 2 shown]
	v_cmp_gt_i32_e64 s2, s8, v16
	v_mov_b32_e32 v3, v12
	v_mad_u64_u32 v[16:17], null, s17, v1, v[5:6]
	v_mad_u64_u32 v[17:18], null, s17, v18, v[9:10]
	;; [unrolled: 1-line block ×3, first 2 shown]
	v_mov_b32_e32 v7, v13
	v_add_co_u32 v5, s3, s18, v14
	v_mov_b32_e32 v9, v16
	v_mov_b32_e32 v11, v17
	v_lshlrev_b64 v[12:13], 3, v[6:7]
	v_lshlrev_b64 v[6:7], 5, v[2:3]
	v_mov_b32_e32 v21, v18
	v_mov_b32_e32 v3, 0
	v_add_co_ci_u32_e64 v65, null, s19, v15, s3
	v_lshlrev_b64 v[16:17], 5, v[8:9]
	v_add_co_u32 v14, s3, s20, v6
	v_lshlrev_b64 v[18:19], 3, v[10:11]
	v_lshlrev_b64 v[20:21], 3, v[20:21]
	v_add_co_ci_u32_e64 v15, null, s21, v7, s3
	v_mov_b32_e32 v2, v3
	v_mov_b32_e32 v7, v3
	;; [unrolled: 1-line block ×7, first 2 shown]
	s_lshl_b64 s[6:7], s[16:17], 9
	s_lshl_b64 s[24:25], s[22:23], 9
	;; [unrolled: 1-line block ×3, first 2 shown]
	s_mov_b32 s33, 0
	v_cmp_gt_i32_e32 vcc_lo, s8, v4
	s_branch .LBB301_24
.LBB301_20:                             ;   in Loop: Header=BB301_24 Depth=1
	s_or_b32 exec_lo, exec_lo, s35
	s_waitcnt vmcnt(3) lgkmcnt(3)
	v_mul_f32_e32 v54, v35, v53
	v_mul_f32_e32 v53, v34, v53
	s_waitcnt vmcnt(2) lgkmcnt(2)
	v_mul_f32_e32 v55, v31, v51
	v_mul_f32_e32 v51, v30, v51
	s_waitcnt vmcnt(1) lgkmcnt(1)
	v_mul_f32_e32 v56, v25, v49
	v_fma_f32 v54, v34, v52, -v54
	v_fmac_f32_e32 v53, v35, v52
	v_mul_f32_e32 v49, v24, v49
	v_fma_f32 v55, v30, v50, -v55
	v_fmac_f32_e32 v51, v31, v50
	v_add_f32_e32 v6, v6, v54
	v_add_f32_e32 v7, v7, v53
	s_waitcnt vmcnt(0) lgkmcnt(0)
	v_mul_f32_e32 v52, v23, v47
	v_mul_f32_e32 v47, v22, v47
	v_fma_f32 v50, v24, v48, -v56
	v_add_f32_e32 v6, v55, v6
	v_fmac_f32_e32 v49, v25, v48
	v_add_f32_e32 v7, v51, v7
	v_fma_f32 v48, v22, v46, -v52
	v_fmac_f32_e32 v47, v23, v46
	v_add_f32_e32 v6, v50, v6
	v_add_f32_e32 v7, v49, v7
	;; [unrolled: 1-line block ×4, first 2 shown]
.LBB301_21:                             ;   in Loop: Header=BB301_24 Depth=1
	s_or_b32 exec_lo, exec_lo, s34
	s_waitcnt vmcnt(3) lgkmcnt(3)
	v_mul_f32_e32 v46, v35, v45
	v_mul_f32_e32 v45, v34, v45
	s_waitcnt vmcnt(2) lgkmcnt(2)
	v_mul_f32_e32 v47, v31, v43
	v_mul_f32_e32 v43, v30, v43
	s_waitcnt vmcnt(1) lgkmcnt(1)
	v_mul_f32_e32 v48, v25, v41
	v_fma_f32 v46, v34, v44, -v46
	v_fmac_f32_e32 v45, v35, v44
	v_mul_f32_e32 v41, v24, v41
	v_fma_f32 v47, v30, v42, -v47
	v_fmac_f32_e32 v43, v31, v42
	v_add_f32_e32 v8, v8, v46
	v_add_f32_e32 v9, v9, v45
	s_waitcnt vmcnt(0) lgkmcnt(0)
	v_mul_f32_e32 v44, v23, v39
	v_mul_f32_e32 v39, v22, v39
	v_fma_f32 v42, v24, v40, -v48
	v_add_f32_e32 v8, v47, v8
	v_fmac_f32_e32 v41, v25, v40
	v_add_f32_e32 v9, v43, v9
	v_fma_f32 v40, v22, v38, -v44
	v_fmac_f32_e32 v39, v23, v38
	v_add_f32_e32 v8, v42, v8
	v_add_f32_e32 v9, v41, v9
	;; [unrolled: 1-line block ×4, first 2 shown]
.LBB301_22:                             ;   in Loop: Header=BB301_24 Depth=1
	s_or_b32 exec_lo, exec_lo, s3
	s_waitcnt vmcnt(3) lgkmcnt(3)
	v_mul_f32_e32 v38, v35, v37
	v_mul_f32_e32 v37, v34, v37
	s_waitcnt vmcnt(2) lgkmcnt(2)
	v_mul_f32_e32 v39, v31, v33
	v_mul_f32_e32 v33, v30, v33
	s_waitcnt vmcnt(1) lgkmcnt(1)
	v_mul_f32_e32 v40, v25, v29
	v_fma_f32 v34, v34, v36, -v38
	v_fmac_f32_e32 v37, v35, v36
	v_mul_f32_e32 v29, v24, v29
	v_fma_f32 v30, v30, v32, -v39
	v_fmac_f32_e32 v33, v31, v32
	v_add_f32_e32 v10, v10, v34
	v_add_f32_e32 v11, v11, v37
	s_waitcnt vmcnt(0) lgkmcnt(0)
	v_mul_f32_e32 v35, v23, v27
	v_mul_f32_e32 v27, v22, v27
	v_fma_f32 v24, v24, v28, -v40
	v_add_f32_e32 v10, v30, v10
	v_fmac_f32_e32 v29, v25, v28
	v_add_f32_e32 v11, v33, v11
	v_fma_f32 v22, v22, v26, -v35
	v_fmac_f32_e32 v27, v23, v26
	v_add_f32_e32 v10, v24, v10
	v_add_f32_e32 v11, v29, v11
	;; [unrolled: 1-line block ×4, first 2 shown]
.LBB301_23:                             ;   in Loop: Header=BB301_24 Depth=1
	s_or_b32 exec_lo, exec_lo, s4
	v_add_nc_u32_e32 v64, 64, v64
	v_add_co_u32 v5, s3, v5, s6
	v_add_co_ci_u32_e64 v65, null, s7, v65, s3
	v_cmp_le_i32_e64 s3, s30, v64
	v_add_co_u32 v14, s4, v14, s24
	v_add_co_ci_u32_e64 v15, null, s25, v15, s4
	s_or_b32 s33, s3, s33
	s_andn2_b32 exec_lo, exec_lo, s33
	s_cbranch_execz .LBB301_29
.LBB301_24:                             ; =>This Inner Loop Header: Depth=1
	s_and_saveexec_b32 s4, vcc_lo
	s_cbranch_execz .LBB301_23
; %bb.25:                               ;   in Loop: Header=BB301_24 Depth=1
	v_add_co_u32 v22, s3, v14, s26
	v_add_co_ci_u32_e64 v23, null, s27, v15, s3
	v_add_co_u32 v24, s3, v22, s26
	v_add_co_ci_u32_e64 v25, null, s27, v23, s3
	;; [unrolled: 2-line block ×7, first 2 shown]
	s_clause 0x3
	flat_load_dwordx2 v[34:35], v[14:15]
	flat_load_dwordx2 v[30:31], v[22:23]
	;; [unrolled: 1-line block ×4, first 2 shown]
	s_clause 0x3
	flat_load_dwordx2 v[36:37], v[60:61]
	flat_load_dwordx2 v[32:33], v[58:59]
	;; [unrolled: 1-line block ×4, first 2 shown]
	s_and_saveexec_b32 s3, s0
	s_cbranch_execz .LBB301_22
; %bb.26:                               ;   in Loop: Header=BB301_24 Depth=1
	s_clause 0x3
	flat_load_dwordx2 v[44:45], v[60:61] offset:256
	flat_load_dwordx2 v[42:43], v[58:59] offset:256
	flat_load_dwordx2 v[40:41], v[56:57] offset:256
	flat_load_dwordx2 v[38:39], v[54:55] offset:256
	s_and_saveexec_b32 s34, s1
	s_cbranch_execz .LBB301_21
; %bb.27:                               ;   in Loop: Header=BB301_24 Depth=1
	s_clause 0x3
	flat_load_dwordx2 v[52:53], v[60:61] offset:512
	flat_load_dwordx2 v[50:51], v[58:59] offset:512
	flat_load_dwordx2 v[48:49], v[56:57] offset:512
	flat_load_dwordx2 v[46:47], v[54:55] offset:512
	;; [unrolled: 8-line block ×3, first 2 shown]
	s_waitcnt vmcnt(3) lgkmcnt(3)
	v_mul_f32_e32 v66, v35, v61
	v_mul_f32_e32 v61, v34, v61
	s_waitcnt vmcnt(2) lgkmcnt(2)
	v_mul_f32_e32 v67, v31, v59
	v_mul_f32_e32 v59, v30, v59
	s_waitcnt vmcnt(1) lgkmcnt(1)
	v_mul_f32_e32 v68, v25, v57
	v_fma_f32 v66, v34, v60, -v66
	v_fmac_f32_e32 v61, v35, v60
	v_mul_f32_e32 v57, v24, v57
	v_fma_f32 v67, v30, v58, -v67
	v_fmac_f32_e32 v59, v31, v58
	v_add_f32_e32 v2, v2, v66
	v_add_f32_e32 v3, v3, v61
	s_waitcnt vmcnt(0) lgkmcnt(0)
	v_mul_f32_e32 v60, v23, v55
	v_mul_f32_e32 v55, v22, v55
	v_fma_f32 v58, v24, v56, -v68
	v_fmac_f32_e32 v57, v25, v56
	v_add_f32_e32 v2, v67, v2
	v_add_f32_e32 v3, v59, v3
	v_fma_f32 v56, v22, v54, -v60
	v_fmac_f32_e32 v55, v23, v54
	v_add_f32_e32 v2, v58, v2
	v_add_f32_e32 v3, v57, v3
	;; [unrolled: 1-line block ×4, first 2 shown]
	s_branch .LBB301_20
.LBB301_29:
	s_or_b32 exec_lo, exec_lo, s33
.LBB301_30:
	s_or_b32 exec_lo, exec_lo, s31
	s_sub_i32 s0, s9, s30
	s_cmp_lt_i32 s0, 1
	s_cbranch_scc1 .LBB301_48
; %bb.31:
	v_cmp_gt_i32_e32 vcc_lo, s9, v64
	v_mov_b32_e32 v12, 0
	v_or_b32_e32 v20, 1, v64
	v_mov_b32_e32 v13, 0
	v_mov_b32_e32 v14, 0
	;; [unrolled: 1-line block ×7, first 2 shown]
	s_and_saveexec_b32 s1, vcc_lo
	s_cbranch_execz .LBB301_39
; %bb.32:
	v_mad_u64_u32 v[12:13], null, s22, v64, 0
	v_mov_b32_e32 v19, 0
	v_mov_b32_e32 v18, 0
	;; [unrolled: 1-line block ×5, first 2 shown]
	s_mov_b32 s2, exec_lo
	v_mov_b32_e32 v5, v13
	v_mad_u64_u32 v[13:14], null, s23, v64, v[5:6]
	v_mov_b32_e32 v14, 0
	v_lshlrev_b64 v[12:13], 3, v[12:13]
	v_add_co_u32 v12, s0, s20, v12
	v_add_co_ci_u32_e64 v13, null, s21, v13, s0
	flat_load_dwordx2 v[12:13], v[12:13]
	v_cmpx_gt_i32_e64 s9, v20
	s_cbranch_execz .LBB301_38
; %bb.33:
	v_mad_u64_u32 v[14:15], null, s22, v20, 0
	v_mov_b32_e32 v19, 0
	v_mov_b32_e32 v18, 0
	;; [unrolled: 1-line block ×3, first 2 shown]
	s_mov_b32 s3, exec_lo
	v_mov_b32_e32 v5, v15
	v_mad_u64_u32 v[15:16], null, s23, v20, v[5:6]
	v_or_b32_e32 v5, 2, v64
	v_mov_b32_e32 v16, 0
	v_lshlrev_b64 v[14:15], 3, v[14:15]
	v_add_co_u32 v14, s0, s20, v14
	v_add_co_ci_u32_e64 v15, null, s21, v15, s0
	flat_load_dwordx2 v[14:15], v[14:15]
	v_cmpx_gt_i32_e64 s9, v5
	s_cbranch_execz .LBB301_37
; %bb.34:
	v_mad_u64_u32 v[16:17], null, s22, v5, 0
	v_mov_b32_e32 v19, 0
	s_mov_b32 s4, exec_lo
	v_mad_u64_u32 v[17:18], null, s23, v5, v[17:18]
	v_or_b32_e32 v5, 3, v64
	v_mov_b32_e32 v18, 0
	v_lshlrev_b64 v[16:17], 3, v[16:17]
	v_add_co_u32 v16, s0, s20, v16
	v_add_co_ci_u32_e64 v17, null, s21, v17, s0
	flat_load_dwordx2 v[16:17], v[16:17]
	v_cmpx_gt_i32_e64 s9, v5
	s_cbranch_execz .LBB301_36
; %bb.35:
	v_mad_u64_u32 v[18:19], null, s22, v5, 0
	v_mad_u64_u32 v[21:22], null, s23, v5, v[19:20]
	v_mov_b32_e32 v19, v21
	v_lshlrev_b64 v[18:19], 3, v[18:19]
	v_add_co_u32 v18, s0, s20, v18
	v_add_co_ci_u32_e64 v19, null, s21, v19, s0
	flat_load_dwordx2 v[18:19], v[18:19]
.LBB301_36:
	s_or_b32 exec_lo, exec_lo, s4
.LBB301_37:
	s_or_b32 exec_lo, exec_lo, s3
.LBB301_38:
	s_or_b32 exec_lo, exec_lo, s2
.LBB301_39:
	s_or_b32 exec_lo, exec_lo, s1
	s_mov_b32 s1, exec_lo
	v_cmpx_gt_i32_e64 s8, v4
	s_cbranch_execz .LBB301_47
; %bb.40:
	v_mad_u64_u32 v[21:22], null, s16, v64, 0
	v_mad_u64_u32 v[23:24], null, s16, v20, 0
	v_ashrrev_i32_e32 v5, 31, v4
	v_or_b32_e32 v32, 2, v64
	v_or_b32_e32 v33, 3, v64
	v_cndmask_b32_e32 v21, 0, v21, vcc_lo
	v_lshlrev_b64 v[28:29], 3, v[4:5]
	v_mad_u64_u32 v[25:26], null, s17, v64, v[22:23]
	v_mov_b32_e32 v5, v24
	v_mad_u64_u32 v[26:27], null, s16, v32, 0
	v_mad_u64_u32 v[30:31], null, s16, v33, 0
	v_cmp_gt_i32_e64 s0, s9, v32
	v_cndmask_b32_e32 v22, 0, v25, vcc_lo
	v_mad_u64_u32 v[24:25], null, s17, v20, v[5:6]
	v_cmp_gt_i32_e32 vcc_lo, s9, v20
	v_mov_b32_e32 v5, v27
	v_mov_b32_e32 v25, v31
	v_cndmask_b32_e32 v20, 0, v23, vcc_lo
	v_lshlrev_b64 v[22:23], 3, v[21:22]
	v_cndmask_b32_e32 v21, 0, v24, vcc_lo
	v_mad_u64_u32 v[31:32], null, s17, v32, v[5:6]
	v_add_co_u32 v5, vcc_lo, s18, v22
	v_add_co_ci_u32_e64 v24, null, s19, v23, vcc_lo
	v_lshlrev_b64 v[22:23], 3, v[20:21]
	v_add_co_u32 v20, vcc_lo, v5, v28
	v_add_co_ci_u32_e64 v21, null, v24, v29, vcc_lo
	v_cndmask_b32_e64 v24, 0, v26, s0
	v_mad_u64_u32 v[26:27], null, s17, v33, v[25:26]
	v_add_co_u32 v5, vcc_lo, s18, v22
	v_add_co_ci_u32_e64 v23, null, s19, v23, vcc_lo
	v_cmp_gt_i32_e32 vcc_lo, s9, v33
	v_cndmask_b32_e64 v25, 0, v31, s0
	v_add_co_u32 v22, s0, v5, v28
	v_add_co_ci_u32_e64 v23, null, v23, v29, s0
	v_cndmask_b32_e32 v30, 0, v30, vcc_lo
	v_cndmask_b32_e32 v31, 0, v26, vcc_lo
	v_lshlrev_b64 v[24:25], 3, v[24:25]
	s_clause 0x1
	flat_load_dwordx2 v[32:33], v[20:21]
	flat_load_dwordx2 v[34:35], v[22:23]
	s_mov_b32 s0, exec_lo
	v_lshlrev_b64 v[26:27], 3, v[30:31]
	v_add_co_u32 v5, vcc_lo, s18, v24
	v_add_co_ci_u32_e64 v24, null, s19, v25, vcc_lo
	v_add_co_u32 v25, vcc_lo, s18, v26
	v_add_co_ci_u32_e64 v30, null, s19, v27, vcc_lo
	;; [unrolled: 2-line block ×4, first 2 shown]
	s_clause 0x1
	flat_load_dwordx2 v[28:29], v[26:27]
	flat_load_dwordx2 v[30:31], v[24:25]
	s_waitcnt vmcnt(3) lgkmcnt(3)
	v_mul_f32_e32 v5, v13, v33
	v_mul_f32_e32 v33, v12, v33
	s_waitcnt vmcnt(2) lgkmcnt(2)
	v_mul_f32_e32 v36, v15, v35
	v_mul_f32_e32 v35, v14, v35
	v_fma_f32 v5, v12, v32, -v5
	v_fmac_f32_e32 v33, v13, v32
	v_fma_f32 v32, v14, v34, -v36
	v_fmac_f32_e32 v35, v15, v34
	v_add_f32_e32 v10, v10, v5
	v_add_f32_e32 v11, v11, v33
	v_add_nc_u32_e32 v33, 32, v4
	s_waitcnt vmcnt(1) lgkmcnt(1)
	v_mul_f32_e32 v34, v17, v29
	v_mul_f32_e32 v29, v16, v29
	s_waitcnt vmcnt(0) lgkmcnt(0)
	v_mul_f32_e32 v36, v19, v31
	v_mul_f32_e32 v5, v18, v31
	v_fma_f32 v31, v16, v28, -v34
	v_fmac_f32_e32 v29, v17, v28
	v_add_f32_e32 v28, v32, v10
	v_add_f32_e32 v32, v35, v11
	v_fma_f32 v10, v18, v30, -v36
	v_fmac_f32_e32 v5, v19, v30
	v_add_f32_e32 v11, v31, v28
	v_add_f32_e32 v28, v29, v32
	v_cmpx_gt_i32_e64 s8, v33
	s_cbranch_execz .LBB301_46
; %bb.41:
	s_clause 0x3
	flat_load_dwordx2 v[29:30], v[20:21] offset:256
	flat_load_dwordx2 v[31:32], v[22:23] offset:256
	;; [unrolled: 1-line block ×4, first 2 shown]
	s_mov_b32 s2, exec_lo
	s_waitcnt vmcnt(3) lgkmcnt(3)
	v_mul_f32_e32 v37, v13, v30
	v_mul_f32_e32 v30, v12, v30
	s_waitcnt vmcnt(2) lgkmcnt(2)
	v_mul_f32_e32 v38, v15, v32
	v_mul_f32_e32 v32, v14, v32
	s_waitcnt vmcnt(1) lgkmcnt(1)
	v_mul_f32_e32 v39, v17, v34
	v_fma_f32 v37, v12, v29, -v37
	v_fmac_f32_e32 v30, v13, v29
	v_mul_f32_e32 v34, v16, v34
	v_fma_f32 v38, v14, v31, -v38
	v_fmac_f32_e32 v32, v15, v31
	v_add_f32_e32 v8, v8, v37
	v_add_f32_e32 v30, v9, v30
	s_waitcnt vmcnt(0) lgkmcnt(0)
	v_mul_f32_e32 v29, v19, v36
	v_mul_f32_e32 v9, v18, v36
	v_fma_f32 v31, v16, v33, -v39
	v_fmac_f32_e32 v34, v17, v33
	v_add_f32_e32 v33, v38, v8
	v_add_f32_e32 v30, v32, v30
	v_add_nc_u32_e32 v32, 64, v4
	v_fma_f32 v8, v18, v35, -v29
	v_fmac_f32_e32 v9, v19, v35
	v_add_f32_e32 v29, v31, v33
	v_add_f32_e32 v30, v34, v30
	v_cmpx_gt_i32_e64 s8, v32
	s_cbranch_execz .LBB301_45
; %bb.42:
	s_clause 0x3
	flat_load_dwordx2 v[31:32], v[20:21] offset:512
	flat_load_dwordx2 v[33:34], v[22:23] offset:512
	;; [unrolled: 1-line block ×4, first 2 shown]
	s_mov_b32 s3, exec_lo
	s_waitcnt vmcnt(3) lgkmcnt(3)
	v_mul_f32_e32 v39, v13, v32
	v_mul_f32_e32 v32, v12, v32
	s_waitcnt vmcnt(2) lgkmcnt(2)
	v_mul_f32_e32 v40, v15, v34
	v_mul_f32_e32 v34, v14, v34
	s_waitcnt vmcnt(1) lgkmcnt(1)
	v_mul_f32_e32 v41, v17, v36
	v_fma_f32 v39, v12, v31, -v39
	v_fmac_f32_e32 v32, v13, v31
	v_mul_f32_e32 v36, v16, v36
	v_fma_f32 v40, v14, v33, -v40
	v_fmac_f32_e32 v34, v15, v33
	v_add_f32_e32 v6, v6, v39
	v_add_f32_e32 v32, v7, v32
	s_waitcnt vmcnt(0) lgkmcnt(0)
	v_mul_f32_e32 v31, v19, v38
	v_mul_f32_e32 v7, v18, v38
	v_fma_f32 v33, v16, v35, -v41
	v_fmac_f32_e32 v36, v17, v35
	v_add_f32_e32 v6, v40, v6
	v_add_f32_e32 v32, v34, v32
	v_add_nc_u32_e32 v34, 0x60, v4
	v_fma_f32 v4, v18, v37, -v31
	v_fmac_f32_e32 v7, v19, v37
	v_add_f32_e32 v6, v33, v6
	v_add_f32_e32 v31, v36, v32
	v_cmpx_gt_i32_e64 s8, v34
	s_cbranch_execz .LBB301_44
; %bb.43:
	s_clause 0x3
	flat_load_dwordx2 v[20:21], v[20:21] offset:768
	flat_load_dwordx2 v[22:23], v[22:23] offset:768
	;; [unrolled: 1-line block ×4, first 2 shown]
	s_waitcnt vmcnt(3) lgkmcnt(3)
	v_mul_f32_e32 v32, v13, v21
	v_mul_f32_e32 v21, v12, v21
	s_waitcnt vmcnt(2) lgkmcnt(2)
	v_mul_f32_e32 v33, v15, v23
	v_mul_f32_e32 v23, v14, v23
	s_waitcnt vmcnt(1) lgkmcnt(1)
	v_mul_f32_e32 v34, v17, v27
	v_fma_f32 v12, v12, v20, -v32
	v_fmac_f32_e32 v21, v13, v20
	v_mul_f32_e32 v27, v16, v27
	v_fma_f32 v14, v14, v22, -v33
	v_fmac_f32_e32 v23, v15, v22
	v_add_f32_e32 v2, v2, v12
	v_add_f32_e32 v3, v3, v21
	s_waitcnt vmcnt(0) lgkmcnt(0)
	v_mul_f32_e32 v13, v19, v25
	v_mul_f32_e32 v12, v18, v25
	v_fma_f32 v15, v16, v26, -v34
	v_fmac_f32_e32 v27, v17, v26
	v_add_f32_e32 v2, v14, v2
	v_add_f32_e32 v3, v23, v3
	v_fma_f32 v13, v18, v24, -v13
	v_fmac_f32_e32 v12, v19, v24
	v_add_f32_e32 v2, v15, v2
	v_add_f32_e32 v3, v27, v3
	;; [unrolled: 1-line block ×4, first 2 shown]
.LBB301_44:
	s_or_b32 exec_lo, exec_lo, s3
	v_add_f32_e32 v6, v4, v6
	v_add_f32_e32 v7, v7, v31
.LBB301_45:
	s_or_b32 exec_lo, exec_lo, s2
	v_add_f32_e32 v8, v8, v29
	v_add_f32_e32 v9, v9, v30
.LBB301_46:
	s_or_b32 exec_lo, exec_lo, s0
	v_add_f32_e32 v10, v10, v11
	v_add_f32_e32 v11, v5, v28
.LBB301_47:
	s_or_b32 exec_lo, exec_lo, s1
.LBB301_48:
	v_lshlrev_b32_e32 v0, 3, v0
	s_mov_b32 s0, exec_lo
	v_lshl_add_u32 v1, v1, 10, v0
	ds_write2_b64 v1, v[10:11], v[8:9] offset1:32
	ds_write2_b64 v1, v[6:7], v[2:3] offset0:64 offset1:96
	s_waitcnt vmcnt(0) lgkmcnt(0)
	s_waitcnt_vscnt null, 0x0
	s_barrier
	buffer_gl0_inv
	v_cmpx_gt_u32_e32 0x80, v62
	s_cbranch_execz .LBB301_53
; %bb.49:
	v_lshl_add_u32 v12, v63, 3, v0
	ds_read2st64_b64 v[0:3], v12 offset1:2
	ds_read2st64_b64 v[4:7], v12 offset0:4 offset1:6
	ds_read2st64_b64 v[8:11], v12 offset0:8 offset1:10
	s_waitcnt lgkmcnt(2)
	v_add_f32_e32 v13, v0, v2
	v_add_f32_e32 v14, v1, v3
	ds_read2st64_b64 v[0:3], v12 offset0:12 offset1:14
	s_waitcnt lgkmcnt(2)
	v_add_f32_e32 v4, v13, v4
	v_add_f32_e32 v5, v14, v5
	v_add_f32_e32 v13, v4, v6
	v_add_f32_e32 v14, v5, v7
	ds_read2st64_b64 v[4:7], v12 offset0:16 offset1:18
	s_waitcnt lgkmcnt(2)
	v_add_f32_e32 v8, v13, v8
	v_add_f32_e32 v9, v14, v9
	;; [unrolled: 6-line block ×5, first 2 shown]
	v_add_f32_e32 v8, v8, v10
	v_add_f32_e32 v9, v9, v11
	s_waitcnt lgkmcnt(1)
	v_add_f32_e32 v0, v8, v0
	v_add_f32_e32 v1, v9, v1
	;; [unrolled: 1-line block ×4, first 2 shown]
	s_waitcnt lgkmcnt(0)
	v_add_f32_e32 v2, v0, v4
	v_add_f32_e32 v1, v1, v5
	v_or_b32_e32 v0, s29, v62
	v_add_f32_e32 v2, v2, v6
	v_add_f32_e32 v3, v1, v7
	v_cmp_gt_i32_e32 vcc_lo, s8, v0
	ds_write_b64 v12, v[2:3]
	s_and_b32 exec_lo, exec_lo, vcc_lo
	s_cbranch_execz .LBB301_53
; %bb.50:
	v_ashrrev_i32_e32 v1, 31, v0
	v_mul_lo_u32 v6, s15, v0
	v_mad_u64_u32 v[4:5], null, s14, v0, 0
	v_mul_f32_e32 v0, s11, v3
	v_mul_lo_u32 v1, s14, v1
	v_cmp_neq_f32_e64 s0, s12, 0
	v_cmp_neq_f32_e64 s1, s13, 0
	v_fma_f32 v0, v2, s10, -v0
	s_or_b32 s0, s0, s1
	v_add3_u32 v5, v5, v1, v6
	v_mul_f32_e32 v1, s10, v3
	s_andn2_b32 vcc_lo, exec_lo, s0
	v_lshlrev_b64 v[3:4], 3, v[4:5]
	v_fmac_f32_e32 v1, s11, v2
	s_cbranch_vccnz .LBB301_52
; %bb.51:
	v_add_co_u32 v5, vcc_lo, s5, v3
	v_add_co_ci_u32_e64 v6, null, s28, v4, vcc_lo
	flat_load_dwordx2 v[5:6], v[5:6]
	s_waitcnt vmcnt(0) lgkmcnt(0)
	v_mul_f32_e32 v2, s13, v6
	v_mul_f32_e32 v6, s12, v6
	v_fma_f32 v2, s12, v5, -v2
	v_fmac_f32_e32 v6, s13, v5
	v_add_f32_e32 v0, v0, v2
	v_add_f32_e32 v1, v1, v6
.LBB301_52:
	v_add_co_u32 v2, vcc_lo, s5, v3
	v_add_co_ci_u32_e64 v3, null, s28, v4, vcc_lo
	flat_store_dwordx2 v[2:3], v[0:1]
.LBB301_53:
	s_endpgm
	.section	.rodata,"a",@progbits
	.p2align	6, 0x0
	.amdhsa_kernel _ZL20rocblas_gemvn_kernelILi32ELi16ElPK19rocblas_complex_numIfES1_KPS1_EviiT3_lPKT2_lT1_lS9_lSA_lS6_lPT4_lSA_li
		.amdhsa_group_segment_fixed_size 16384
		.amdhsa_private_segment_fixed_size 0
		.amdhsa_kernarg_size 400
		.amdhsa_user_sgpr_count 6
		.amdhsa_user_sgpr_private_segment_buffer 1
		.amdhsa_user_sgpr_dispatch_ptr 0
		.amdhsa_user_sgpr_queue_ptr 0
		.amdhsa_user_sgpr_kernarg_segment_ptr 1
		.amdhsa_user_sgpr_dispatch_id 0
		.amdhsa_user_sgpr_flat_scratch_init 0
		.amdhsa_user_sgpr_private_segment_size 0
		.amdhsa_wavefront_size32 1
		.amdhsa_uses_dynamic_stack 0
		.amdhsa_system_sgpr_private_segment_wavefront_offset 0
		.amdhsa_system_sgpr_workgroup_id_x 1
		.amdhsa_system_sgpr_workgroup_id_y 0
		.amdhsa_system_sgpr_workgroup_id_z 1
		.amdhsa_system_sgpr_workgroup_info 0
		.amdhsa_system_vgpr_workitem_id 1
		.amdhsa_next_free_vgpr 69
		.amdhsa_next_free_sgpr 36
		.amdhsa_reserve_vcc 1
		.amdhsa_reserve_flat_scratch 1
		.amdhsa_float_round_mode_32 0
		.amdhsa_float_round_mode_16_64 0
		.amdhsa_float_denorm_mode_32 3
		.amdhsa_float_denorm_mode_16_64 3
		.amdhsa_dx10_clamp 1
		.amdhsa_ieee_mode 1
		.amdhsa_fp16_overflow 0
		.amdhsa_workgroup_processor_mode 1
		.amdhsa_memory_ordered 1
		.amdhsa_forward_progress 1
		.amdhsa_shared_vgpr_count 0
		.amdhsa_exception_fp_ieee_invalid_op 0
		.amdhsa_exception_fp_denorm_src 0
		.amdhsa_exception_fp_ieee_div_zero 0
		.amdhsa_exception_fp_ieee_overflow 0
		.amdhsa_exception_fp_ieee_underflow 0
		.amdhsa_exception_fp_ieee_inexact 0
		.amdhsa_exception_int_div_zero 0
	.end_amdhsa_kernel
	.section	.text._ZL20rocblas_gemvn_kernelILi32ELi16ElPK19rocblas_complex_numIfES1_KPS1_EviiT3_lPKT2_lT1_lS9_lSA_lS6_lPT4_lSA_li,"axG",@progbits,_ZL20rocblas_gemvn_kernelILi32ELi16ElPK19rocblas_complex_numIfES1_KPS1_EviiT3_lPKT2_lT1_lS9_lSA_lS6_lPT4_lSA_li,comdat
.Lfunc_end301:
	.size	_ZL20rocblas_gemvn_kernelILi32ELi16ElPK19rocblas_complex_numIfES1_KPS1_EviiT3_lPKT2_lT1_lS9_lSA_lS6_lPT4_lSA_li, .Lfunc_end301-_ZL20rocblas_gemvn_kernelILi32ELi16ElPK19rocblas_complex_numIfES1_KPS1_EviiT3_lPKT2_lT1_lS9_lSA_lS6_lPT4_lSA_li
                                        ; -- End function
	.set _ZL20rocblas_gemvn_kernelILi32ELi16ElPK19rocblas_complex_numIfES1_KPS1_EviiT3_lPKT2_lT1_lS9_lSA_lS6_lPT4_lSA_li.num_vgpr, 69
	.set _ZL20rocblas_gemvn_kernelILi32ELi16ElPK19rocblas_complex_numIfES1_KPS1_EviiT3_lPKT2_lT1_lS9_lSA_lS6_lPT4_lSA_li.num_agpr, 0
	.set _ZL20rocblas_gemvn_kernelILi32ELi16ElPK19rocblas_complex_numIfES1_KPS1_EviiT3_lPKT2_lT1_lS9_lSA_lS6_lPT4_lSA_li.numbered_sgpr, 36
	.set _ZL20rocblas_gemvn_kernelILi32ELi16ElPK19rocblas_complex_numIfES1_KPS1_EviiT3_lPKT2_lT1_lS9_lSA_lS6_lPT4_lSA_li.num_named_barrier, 0
	.set _ZL20rocblas_gemvn_kernelILi32ELi16ElPK19rocblas_complex_numIfES1_KPS1_EviiT3_lPKT2_lT1_lS9_lSA_lS6_lPT4_lSA_li.private_seg_size, 0
	.set _ZL20rocblas_gemvn_kernelILi32ELi16ElPK19rocblas_complex_numIfES1_KPS1_EviiT3_lPKT2_lT1_lS9_lSA_lS6_lPT4_lSA_li.uses_vcc, 1
	.set _ZL20rocblas_gemvn_kernelILi32ELi16ElPK19rocblas_complex_numIfES1_KPS1_EviiT3_lPKT2_lT1_lS9_lSA_lS6_lPT4_lSA_li.uses_flat_scratch, 1
	.set _ZL20rocblas_gemvn_kernelILi32ELi16ElPK19rocblas_complex_numIfES1_KPS1_EviiT3_lPKT2_lT1_lS9_lSA_lS6_lPT4_lSA_li.has_dyn_sized_stack, 0
	.set _ZL20rocblas_gemvn_kernelILi32ELi16ElPK19rocblas_complex_numIfES1_KPS1_EviiT3_lPKT2_lT1_lS9_lSA_lS6_lPT4_lSA_li.has_recursion, 0
	.set _ZL20rocblas_gemvn_kernelILi32ELi16ElPK19rocblas_complex_numIfES1_KPS1_EviiT3_lPKT2_lT1_lS9_lSA_lS6_lPT4_lSA_li.has_indirect_call, 0
	.section	.AMDGPU.csdata,"",@progbits
; Kernel info:
; codeLenInByte = 3856
; TotalNumSgprs: 38
; NumVgprs: 69
; ScratchSize: 0
; MemoryBound: 0
; FloatMode: 240
; IeeeMode: 1
; LDSByteSize: 16384 bytes/workgroup (compile time only)
; SGPRBlocks: 0
; VGPRBlocks: 8
; NumSGPRsForWavesPerEU: 38
; NumVGPRsForWavesPerEU: 69
; Occupancy: 12
; WaveLimiterHint : 1
; COMPUTE_PGM_RSRC2:SCRATCH_EN: 0
; COMPUTE_PGM_RSRC2:USER_SGPR: 6
; COMPUTE_PGM_RSRC2:TRAP_HANDLER: 0
; COMPUTE_PGM_RSRC2:TGID_X_EN: 1
; COMPUTE_PGM_RSRC2:TGID_Y_EN: 0
; COMPUTE_PGM_RSRC2:TGID_Z_EN: 1
; COMPUTE_PGM_RSRC2:TIDIG_COMP_CNT: 1
	.section	.text._ZL20rocblas_gemvn_kernelILi64ELi16EiPK19rocblas_complex_numIfES3_KPS1_EviiT3_lPKT2_lT1_lS9_lSA_lS6_lPT4_lSA_li,"axG",@progbits,_ZL20rocblas_gemvn_kernelILi64ELi16EiPK19rocblas_complex_numIfES3_KPS1_EviiT3_lPKT2_lT1_lS9_lSA_lS6_lPT4_lSA_li,comdat
	.globl	_ZL20rocblas_gemvn_kernelILi64ELi16EiPK19rocblas_complex_numIfES3_KPS1_EviiT3_lPKT2_lT1_lS9_lSA_lS6_lPT4_lSA_li ; -- Begin function _ZL20rocblas_gemvn_kernelILi64ELi16EiPK19rocblas_complex_numIfES3_KPS1_EviiT3_lPKT2_lT1_lS9_lSA_lS6_lPT4_lSA_li
	.p2align	8
	.type	_ZL20rocblas_gemvn_kernelILi64ELi16EiPK19rocblas_complex_numIfES3_KPS1_EviiT3_lPKT2_lT1_lS9_lSA_lS6_lPT4_lSA_li,@function
_ZL20rocblas_gemvn_kernelILi64ELi16EiPK19rocblas_complex_numIfES3_KPS1_EviiT3_lPKT2_lT1_lS9_lSA_lS6_lPT4_lSA_li: ; @_ZL20rocblas_gemvn_kernelILi64ELi16EiPK19rocblas_complex_numIfES3_KPS1_EviiT3_lPKT2_lT1_lS9_lSA_lS6_lPT4_lSA_li
; %bb.0:
	s_load_dwordx2 s[2:3], s[4:5], 0x9c
	s_waitcnt lgkmcnt(0)
	s_lshr_b32 s1, s2, 16
	s_and_b32 s2, s2, 0xffff
	s_and_b32 s3, s3, 0xffff
	s_mul_i32 s1, s1, s2
	s_mul_i32 s1, s1, s3
	s_cmpk_lg_i32 s1, 0x400
	s_cbranch_scc1 .LBB302_51
; %bb.1:
	s_clause 0x1
	s_load_dwordx8 s[16:23], s[4:5], 0x8
	s_load_dwordx8 s[8:15], s[4:5], 0x58
	s_mov_b32 s0, s7
	s_waitcnt lgkmcnt(0)
	s_mul_i32 s1, s19, s7
	s_mul_hi_u32 s3, s18, s7
	s_mul_i32 s2, s18, s7
	s_add_i32 s3, s3, s1
	s_mul_i32 s1, s11, s7
	s_lshl_b64 s[2:3], s[2:3], 3
	s_add_u32 s2, s16, s2
	s_addc_u32 s3, s17, s3
	s_load_dwordx2 s[16:17], s[2:3], 0x0
	s_mul_hi_u32 s3, s10, s7
	s_mul_i32 s2, s10, s7
	s_add_i32 s3, s3, s1
	s_lshl_b64 s[2:3], s[2:3], 3
	s_add_u32 s2, s8, s2
	s_addc_u32 s3, s9, s3
	s_load_dwordx2 s[8:9], s[2:3], 0x0
	s_waitcnt lgkmcnt(0)
	v_cmp_neq_f32_e64 s1, s16, 0
	v_cmp_neq_f32_e64 s2, s17, 0
	s_or_b32 s2, s1, s2
	s_mov_b32 s1, 0
	s_and_b32 vcc_lo, exec_lo, s2
	s_mov_b32 s2, -1
	s_cbranch_vccnz .LBB302_3
; %bb.2:
	v_cmp_neq_f32_e64 s2, s8, 1.0
	v_cmp_neq_f32_e64 s3, s9, 0
	s_or_b32 s2, s2, s3
.LBB302_3:
	s_andn2_b32 vcc_lo, exec_lo, s2
	s_cbranch_vccnz .LBB302_51
; %bb.4:
	s_or_b32 s2, s16, s17
	s_mov_b64 s[24:25], 0
	s_bitset0_b32 s2, 31
	s_mov_b64 s[18:19], 0
	s_cmp_lg_u32 s2, 0
	s_cselect_b32 s3, -1, 0
	s_cmp_eq_u32 s2, 0
	s_cselect_b32 s2, -1, 0
	s_and_b32 vcc_lo, exec_lo, s2
	s_cbranch_vccnz .LBB302_6
; %bb.5:
	s_lshl_b64 s[10:11], s[0:1], 3
	s_add_u32 s10, s20, s10
	s_addc_u32 s11, s21, s11
	s_lshl_b64 s[18:19], s[22:23], 3
	s_load_dwordx2 s[10:11], s[10:11], 0x0
	s_waitcnt lgkmcnt(0)
	s_add_u32 s18, s10, s18
	s_addc_u32 s19, s11, s19
.LBB302_6:
	s_andn2_b32 vcc_lo, exec_lo, s3
	s_cbranch_vccnz .LBB302_8
; %bb.7:
	s_load_dwordx4 s[20:23], s[4:5], 0x38
	s_lshl_b64 s[10:11], s[0:1], 3
	s_waitcnt lgkmcnt(0)
	s_add_u32 s10, s20, s10
	s_addc_u32 s11, s21, s11
	s_lshl_b64 s[20:21], s[22:23], 3
	s_load_dwordx2 s[10:11], s[10:11], 0x0
	s_waitcnt lgkmcnt(0)
	s_add_u32 s24, s10, s20
	s_addc_u32 s25, s11, s21
.LBB302_8:
	s_lshl_b64 s[0:1], s[0:1], 3
	v_lshlrev_b32_e32 v54, 6, v1
	s_add_u32 s0, s12, s0
	s_addc_u32 s1, s13, s1
	s_lshl_b64 s[14:15], s[14:15], 3
	s_load_dwordx2 s[20:21], s[0:1], 0x0
	s_clause 0x1
	s_load_dwordx2 s[10:11], s[4:5], 0x0
	s_load_dword s13, s[4:5], 0x78
	v_add_nc_u32_e32 v53, v54, v0
	s_mov_b32 s1, -1
	v_cmp_gt_u32_e64 s0, 0x100, v53
	s_waitcnt lgkmcnt(0)
	s_add_u32 s7, s20, s14
	s_addc_u32 s12, s21, s15
	s_andn2_b32 vcc_lo, exec_lo, s2
	s_cbranch_vccnz .LBB302_15
; %bb.9:
	s_and_saveexec_b32 s1, s0
	s_cbranch_execz .LBB302_14
; %bb.10:
	v_lshl_or_b32 v2, s6, 8, v53
	v_mov_b32_e32 v3, 0
	s_ashr_i32 s3, s10, 31
	s_mov_b32 s2, s10
	v_cmp_gt_i64_e32 vcc_lo, s[2:3], v[2:3]
	s_and_b32 exec_lo, exec_lo, vcc_lo
	s_cbranch_execz .LBB302_14
; %bb.11:
	v_mad_u64_u32 v[4:5], null, s13, v2, 0
	s_ashr_i32 s3, s13, 31
	v_cmp_neq_f32_e64 s0, s8, 0
	v_cmp_neq_f32_e64 s2, s9, 0
	v_mad_u64_u32 v[5:6], null, s3, v2, v[5:6]
	v_mov_b32_e32 v6, v3
	s_or_b32 s0, s0, s2
	s_andn2_b32 vcc_lo, exec_lo, s0
	v_lshlrev_b64 v[4:5], 3, v[4:5]
	s_cbranch_vccnz .LBB302_13
; %bb.12:
	v_add_co_u32 v2, vcc_lo, s7, v4
	v_add_co_ci_u32_e64 v3, null, s12, v5, vcc_lo
	flat_load_dwordx2 v[2:3], v[2:3]
	s_waitcnt vmcnt(0) lgkmcnt(0)
	v_mul_f32_e32 v7, s9, v3
	v_mul_f32_e32 v6, s8, v3
	v_fma_f32 v3, s8, v2, -v7
	v_fmac_f32_e32 v6, s9, v2
.LBB302_13:
	v_add_co_u32 v7, vcc_lo, s7, v4
	v_add_co_ci_u32_e64 v8, null, s12, v5, vcc_lo
	v_mov_b32_e32 v5, v3
	flat_store_dwordx2 v[7:8], v[5:6]
.LBB302_14:
	s_or_b32 exec_lo, exec_lo, s1
	s_mov_b32 s1, 0
.LBB302_15:
	s_andn2_b32 vcc_lo, exec_lo, s1
	s_cbranch_vccnz .LBB302_51
; %bb.16:
	s_clause 0x1
	s_load_dword s14, s[4:5], 0x28
	s_load_dword s4, s[4:5], 0x48
	s_ashr_i32 s0, s11, 31
	s_lshl_b32 s5, s6, 8
	s_lshr_b32 s0, s0, 26
	v_lshlrev_b32_e32 v56, 2, v1
	v_add_nc_u32_e32 v55, s5, v0
	v_mov_b32_e32 v3, 0
	v_mov_b32_e32 v2, 0
	;; [unrolled: 1-line block ×8, first 2 shown]
	s_add_i32 s0, s11, s0
	s_mov_b32 s15, exec_lo
	s_and_b32 s6, s0, 0xffffffc0
	v_cmpx_gt_i32_e64 s6, v56
	s_cbranch_execz .LBB302_28
; %bb.17:
	s_waitcnt lgkmcnt(0)
	v_mul_lo_u32 v3, s14, v56
	v_add_nc_u32_e32 v2, 64, v55
	v_add_nc_u32_e32 v4, 0x80, v55
	;; [unrolled: 1-line block ×3, first 2 shown]
	s_lshl_b32 s20, s14, 6
	s_lshl_b32 s22, s4, 6
	v_cmp_gt_i32_e64 s0, s10, v2
	v_add_nc_u32_e32 v2, 2, v56
	v_add3_u32 v57, v3, s14, v0
	v_mul_lo_u32 v3, v1, s14
	v_cmp_gt_i32_e64 s1, s10, v4
	v_add_nc_u32_e32 v4, 3, v56
	v_cmp_gt_i32_e64 s2, s10, v5
	v_mul_lo_u32 v5, v1, s4
	v_mad_u64_u32 v[10:11], null, s14, v2, v[0:1]
	v_mad_u64_u32 v[11:12], null, s14, v4, v[0:1]
	v_lshl_add_u32 v58, v3, 2, v0
	v_mov_b32_e32 v3, 0
	v_mad_u64_u32 v[12:13], null, s4, v56, s[4:5]
	v_mul_lo_u32 v59, s4, v2
	v_mul_lo_u32 v60, s4, v4
	v_lshlrev_b32_e32 v61, 2, v5
	v_mov_b32_e32 v2, v3
	v_mov_b32_e32 v5, v3
	;; [unrolled: 1-line block ×7, first 2 shown]
	s_mov_b32 s21, 0
	s_mov_b32 s23, 0
	v_cmp_gt_i32_e32 vcc_lo, s10, v55
	s_branch .LBB302_22
.LBB302_18:                             ;   in Loop: Header=BB302_22 Depth=1
	s_or_b32 exec_lo, exec_lo, s28
	s_waitcnt vmcnt(3) lgkmcnt(3)
	v_mul_f32_e32 v45, v26, v44
	v_mul_f32_e32 v44, v25, v44
	s_waitcnt vmcnt(2) lgkmcnt(2)
	v_mul_f32_e32 v46, v22, v42
	v_mul_f32_e32 v42, v21, v42
	s_waitcnt vmcnt(1) lgkmcnt(1)
	v_mul_f32_e32 v47, v16, v40
	v_fma_f32 v45, v25, v43, -v45
	v_fmac_f32_e32 v44, v26, v43
	v_mul_f32_e32 v40, v15, v40
	v_fma_f32 v46, v21, v41, -v46
	v_fmac_f32_e32 v42, v22, v41
	v_add_f32_e32 v4, v4, v45
	v_add_f32_e32 v5, v5, v44
	s_waitcnt vmcnt(0) lgkmcnt(0)
	v_mul_f32_e32 v43, v14, v38
	v_mul_f32_e32 v38, v13, v38
	v_fma_f32 v41, v15, v39, -v47
	v_add_f32_e32 v4, v46, v4
	v_fmac_f32_e32 v40, v16, v39
	v_add_f32_e32 v5, v42, v5
	v_fma_f32 v39, v13, v37, -v43
	v_fmac_f32_e32 v38, v14, v37
	v_add_f32_e32 v4, v41, v4
	v_add_f32_e32 v5, v40, v5
	;; [unrolled: 1-line block ×4, first 2 shown]
.LBB302_19:                             ;   in Loop: Header=BB302_22 Depth=1
	s_or_b32 exec_lo, exec_lo, s27
	s_waitcnt vmcnt(3) lgkmcnt(3)
	v_mul_f32_e32 v37, v26, v36
	v_mul_f32_e32 v36, v25, v36
	s_waitcnt vmcnt(2) lgkmcnt(2)
	v_mul_f32_e32 v38, v22, v34
	v_mul_f32_e32 v34, v21, v34
	s_waitcnt vmcnt(1) lgkmcnt(1)
	v_mul_f32_e32 v39, v16, v32
	v_fma_f32 v37, v25, v35, -v37
	v_fmac_f32_e32 v36, v26, v35
	v_mul_f32_e32 v32, v15, v32
	v_fma_f32 v38, v21, v33, -v38
	v_fmac_f32_e32 v34, v22, v33
	v_add_f32_e32 v6, v6, v37
	v_add_f32_e32 v7, v7, v36
	s_waitcnt vmcnt(0) lgkmcnt(0)
	v_mul_f32_e32 v35, v14, v30
	v_mul_f32_e32 v30, v13, v30
	v_fma_f32 v33, v15, v31, -v39
	v_add_f32_e32 v6, v38, v6
	v_fmac_f32_e32 v32, v16, v31
	v_add_f32_e32 v7, v34, v7
	v_fma_f32 v31, v13, v29, -v35
	v_fmac_f32_e32 v30, v14, v29
	v_add_f32_e32 v6, v33, v6
	v_add_f32_e32 v7, v32, v7
	;; [unrolled: 1-line block ×4, first 2 shown]
.LBB302_20:                             ;   in Loop: Header=BB302_22 Depth=1
	s_or_b32 exec_lo, exec_lo, s3
	s_waitcnt vmcnt(3) lgkmcnt(3)
	v_mul_f32_e32 v29, v26, v28
	v_mul_f32_e32 v28, v25, v28
	s_waitcnt vmcnt(2) lgkmcnt(2)
	v_mul_f32_e32 v30, v22, v24
	v_mul_f32_e32 v24, v21, v24
	s_waitcnt vmcnt(1) lgkmcnt(1)
	v_mul_f32_e32 v31, v16, v20
	v_fma_f32 v25, v25, v27, -v29
	v_fmac_f32_e32 v28, v26, v27
	v_mul_f32_e32 v20, v15, v20
	v_fma_f32 v21, v21, v23, -v30
	v_fmac_f32_e32 v24, v22, v23
	v_add_f32_e32 v8, v8, v25
	v_add_f32_e32 v9, v9, v28
	s_waitcnt vmcnt(0) lgkmcnt(0)
	v_mul_f32_e32 v26, v14, v18
	v_mul_f32_e32 v18, v13, v18
	v_fma_f32 v15, v15, v19, -v31
	v_add_f32_e32 v8, v21, v8
	v_fmac_f32_e32 v20, v16, v19
	v_add_f32_e32 v9, v24, v9
	v_fma_f32 v13, v13, v17, -v26
	v_fmac_f32_e32 v18, v14, v17
	v_add_f32_e32 v8, v15, v8
	v_add_f32_e32 v9, v20, v9
	;; [unrolled: 1-line block ×4, first 2 shown]
.LBB302_21:                             ;   in Loop: Header=BB302_22 Depth=1
	s_or_b32 exec_lo, exec_lo, s26
	v_add_nc_u32_e32 v56, 64, v56
	v_add_nc_u32_e32 v57, s20, v57
	;; [unrolled: 1-line block ×5, first 2 shown]
	v_cmp_le_i32_e64 s3, s6, v56
	s_add_i32 s23, s23, s22
	s_or_b32 s21, s3, s21
	s_andn2_b32 exec_lo, exec_lo, s21
	s_cbranch_execz .LBB302_27
.LBB302_22:                             ; =>This Inner Loop Header: Depth=1
	s_and_saveexec_b32 s26, vcc_lo
	s_cbranch_execz .LBB302_21
; %bb.23:                               ;   in Loop: Header=BB302_22 Depth=1
	v_add_nc_u32_e32 v13, s23, v61
	v_add_nc_u32_e32 v15, s23, v12
	;; [unrolled: 1-line block ×5, first 2 shown]
	v_ashrrev_i32_e32 v14, 31, v13
	v_ashrrev_i32_e32 v16, 31, v15
	;; [unrolled: 1-line block ×3, first 2 shown]
	v_add_nc_u32_e32 v23, s5, v57
	v_ashrrev_i32_e32 v20, 31, v19
	v_lshlrev_b64 v[13:14], 3, v[13:14]
	v_lshlrev_b64 v[15:16], 3, v[15:16]
	v_ashrrev_i32_e32 v22, 31, v21
	v_lshlrev_b64 v[17:18], 3, v[17:18]
	v_ashrrev_i32_e32 v24, 31, v23
	v_lshlrev_b64 v[19:20], 3, v[19:20]
	v_add_co_u32 v13, s3, s24, v13
	v_add_nc_u32_e32 v25, s5, v10
	v_add_co_ci_u32_e64 v14, null, s25, v14, s3
	v_add_co_u32 v15, s3, s24, v15
	v_lshlrev_b64 v[21:22], 3, v[21:22]
	v_add_nc_u32_e32 v27, s5, v11
	v_add_co_ci_u32_e64 v16, null, s25, v16, s3
	v_add_co_u32 v17, s3, s24, v17
	v_lshlrev_b64 v[23:24], 3, v[23:24]
	v_ashrrev_i32_e32 v26, 31, v25
	v_add_co_ci_u32_e64 v18, null, s25, v18, s3
	v_add_co_u32 v19, s3, s24, v19
	v_ashrrev_i32_e32 v28, 31, v27
	v_add_co_ci_u32_e64 v20, null, s25, v20, s3
	v_add_co_u32 v51, s3, s18, v21
	v_add_co_ci_u32_e64 v52, null, s19, v22, s3
	v_lshlrev_b64 v[21:22], 3, v[25:26]
	v_add_co_u32 v49, s3, s18, v23
	v_add_co_ci_u32_e64 v50, null, s19, v24, s3
	v_lshlrev_b64 v[23:24], 3, v[27:28]
	v_add_co_u32 v47, s3, s18, v21
	v_add_co_ci_u32_e64 v48, null, s19, v22, s3
	v_add_co_u32 v45, s3, s18, v23
	v_add_co_ci_u32_e64 v46, null, s19, v24, s3
	s_clause 0x3
	flat_load_dwordx2 v[25:26], v[13:14]
	flat_load_dwordx2 v[21:22], v[15:16]
	;; [unrolled: 1-line block ×4, first 2 shown]
	s_clause 0x3
	flat_load_dwordx2 v[27:28], v[51:52]
	flat_load_dwordx2 v[23:24], v[49:50]
	;; [unrolled: 1-line block ×4, first 2 shown]
	s_and_saveexec_b32 s3, s0
	s_cbranch_execz .LBB302_20
; %bb.24:                               ;   in Loop: Header=BB302_22 Depth=1
	s_clause 0x3
	flat_load_dwordx2 v[35:36], v[51:52] offset:512
	flat_load_dwordx2 v[33:34], v[49:50] offset:512
	flat_load_dwordx2 v[31:32], v[47:48] offset:512
	flat_load_dwordx2 v[29:30], v[45:46] offset:512
	s_and_saveexec_b32 s27, s1
	s_cbranch_execz .LBB302_19
; %bb.25:                               ;   in Loop: Header=BB302_22 Depth=1
	s_clause 0x3
	flat_load_dwordx2 v[43:44], v[51:52] offset:1024
	flat_load_dwordx2 v[41:42], v[49:50] offset:1024
	flat_load_dwordx2 v[39:40], v[47:48] offset:1024
	flat_load_dwordx2 v[37:38], v[45:46] offset:1024
	;; [unrolled: 8-line block ×3, first 2 shown]
	s_waitcnt vmcnt(3) lgkmcnt(3)
	v_mul_f32_e32 v62, v26, v52
	v_mul_f32_e32 v52, v25, v52
	s_waitcnt vmcnt(2) lgkmcnt(2)
	v_mul_f32_e32 v63, v22, v50
	v_mul_f32_e32 v50, v21, v50
	s_waitcnt vmcnt(1) lgkmcnt(1)
	v_mul_f32_e32 v64, v16, v48
	v_fma_f32 v62, v25, v51, -v62
	v_fmac_f32_e32 v52, v26, v51
	v_mul_f32_e32 v48, v15, v48
	v_fma_f32 v63, v21, v49, -v63
	v_fmac_f32_e32 v50, v22, v49
	v_add_f32_e32 v2, v2, v62
	v_add_f32_e32 v3, v3, v52
	s_waitcnt vmcnt(0) lgkmcnt(0)
	v_mul_f32_e32 v51, v14, v46
	v_mul_f32_e32 v46, v13, v46
	v_fma_f32 v49, v15, v47, -v64
	v_fmac_f32_e32 v48, v16, v47
	v_add_f32_e32 v2, v63, v2
	v_add_f32_e32 v3, v50, v3
	v_fma_f32 v47, v13, v45, -v51
	v_fmac_f32_e32 v46, v14, v45
	v_add_f32_e32 v2, v49, v2
	v_add_f32_e32 v3, v48, v3
	v_add_f32_e32 v2, v47, v2
	v_add_f32_e32 v3, v46, v3
	s_branch .LBB302_18
.LBB302_27:
	s_or_b32 exec_lo, exec_lo, s21
.LBB302_28:
	s_or_b32 exec_lo, exec_lo, s15
	s_sub_i32 s0, s11, s6
	s_cmp_lt_i32 s0, 1
	s_cbranch_scc1 .LBB302_46
; %bb.29:
	v_cmp_gt_i32_e32 vcc_lo, s11, v56
	v_mov_b32_e32 v10, 0
	v_or_b32_e32 v18, 1, v56
	v_mov_b32_e32 v11, 0
	v_mov_b32_e32 v12, 0
	;; [unrolled: 1-line block ×7, first 2 shown]
	s_and_saveexec_b32 s1, vcc_lo
	s_cbranch_execz .LBB302_37
; %bb.30:
	s_waitcnt lgkmcnt(0)
	v_mul_lo_u32 v10, v56, s4
	v_mov_b32_e32 v17, 0
	v_mov_b32_e32 v16, 0
	;; [unrolled: 1-line block ×6, first 2 shown]
	s_mov_b32 s2, exec_lo
	v_ashrrev_i32_e32 v11, 31, v10
	v_lshlrev_b64 v[10:11], 3, v[10:11]
	v_add_co_u32 v10, s0, s24, v10
	v_add_co_ci_u32_e64 v11, null, s25, v11, s0
	flat_load_dwordx2 v[10:11], v[10:11]
	v_cmpx_gt_i32_e64 s11, v18
	s_cbranch_execz .LBB302_36
; %bb.31:
	v_mul_lo_u32 v12, v18, s4
	v_or_b32_e32 v19, 2, v56
	v_mov_b32_e32 v17, 0
	v_mov_b32_e32 v16, 0
	;; [unrolled: 1-line block ×4, first 2 shown]
	s_mov_b32 s3, exec_lo
	v_ashrrev_i32_e32 v13, 31, v12
	v_lshlrev_b64 v[12:13], 3, v[12:13]
	v_add_co_u32 v12, s0, s24, v12
	v_add_co_ci_u32_e64 v13, null, s25, v13, s0
	flat_load_dwordx2 v[12:13], v[12:13]
	v_cmpx_gt_i32_e64 s11, v19
	s_cbranch_execz .LBB302_35
; %bb.32:
	v_mul_lo_u32 v14, v19, s4
	v_or_b32_e32 v19, 3, v56
	v_mov_b32_e32 v17, 0
	v_mov_b32_e32 v16, 0
	s_mov_b32 s6, exec_lo
	v_ashrrev_i32_e32 v15, 31, v14
	v_lshlrev_b64 v[14:15], 3, v[14:15]
	v_add_co_u32 v14, s0, s24, v14
	v_add_co_ci_u32_e64 v15, null, s25, v15, s0
	flat_load_dwordx2 v[14:15], v[14:15]
	v_cmpx_gt_i32_e64 s11, v19
	s_cbranch_execz .LBB302_34
; %bb.33:
	v_mul_lo_u32 v16, v19, s4
	v_ashrrev_i32_e32 v17, 31, v16
	v_lshlrev_b64 v[16:17], 3, v[16:17]
	v_add_co_u32 v16, s0, s24, v16
	v_add_co_ci_u32_e64 v17, null, s25, v17, s0
	flat_load_dwordx2 v[16:17], v[16:17]
.LBB302_34:
	s_or_b32 exec_lo, exec_lo, s6
.LBB302_35:
	s_or_b32 exec_lo, exec_lo, s3
.LBB302_36:
	s_or_b32 exec_lo, exec_lo, s2
.LBB302_37:
	s_or_b32 exec_lo, exec_lo, s1
	s_mov_b32 s1, exec_lo
	v_cmpx_gt_i32_e64 s10, v55
	s_cbranch_execz .LBB302_45
; %bb.38:
	s_waitcnt lgkmcnt(0)
	v_mul_lo_u32 v19, v56, s14
	v_mul_lo_u32 v20, v18, s14
	v_or_b32_e32 v21, 2, v56
	v_or_b32_e32 v22, 3, v56
	s_mov_b32 s0, exec_lo
	v_mul_lo_u32 v23, v21, s14
	v_cndmask_b32_e32 v19, 0, v19, vcc_lo
	v_cmp_gt_i32_e32 vcc_lo, s11, v18
	v_mul_lo_u32 v24, v22, s14
	v_add_nc_u32_e32 v18, v19, v55
	v_cndmask_b32_e32 v20, 0, v20, vcc_lo
	v_cmp_gt_i32_e32 vcc_lo, s11, v21
	v_ashrrev_i32_e32 v19, 31, v18
	v_add_nc_u32_e32 v20, v20, v55
	v_cndmask_b32_e32 v23, 0, v23, vcc_lo
	v_cmp_gt_i32_e32 vcc_lo, s11, v22
	v_lshlrev_b64 v[18:19], 3, v[18:19]
	v_ashrrev_i32_e32 v21, 31, v20
	v_add_nc_u32_e32 v22, v23, v55
	v_cndmask_b32_e32 v24, 0, v24, vcc_lo
	v_lshlrev_b64 v[20:21], 3, v[20:21]
	v_ashrrev_i32_e32 v23, 31, v22
	v_add_nc_u32_e32 v26, v24, v55
	v_add_co_u32 v24, vcc_lo, s18, v18
	v_add_co_ci_u32_e64 v25, null, s19, v19, vcc_lo
	v_ashrrev_i32_e32 v27, 31, v26
	v_add_co_u32 v20, vcc_lo, s18, v20
	v_add_co_ci_u32_e64 v21, null, s19, v21, vcc_lo
	v_lshlrev_b64 v[18:19], 3, v[22:23]
	v_lshlrev_b64 v[26:27], 3, v[26:27]
	s_clause 0x1
	flat_load_dwordx2 v[28:29], v[24:25]
	flat_load_dwordx2 v[30:31], v[20:21]
	v_add_co_u32 v22, vcc_lo, s18, v18
	v_add_co_ci_u32_e64 v23, null, s19, v19, vcc_lo
	v_add_co_u32 v18, vcc_lo, s18, v26
	v_add_co_ci_u32_e64 v19, null, s19, v27, vcc_lo
	s_clause 0x1
	flat_load_dwordx2 v[26:27], v[22:23]
	flat_load_dwordx2 v[32:33], v[18:19]
	s_waitcnt vmcnt(3) lgkmcnt(3)
	v_mul_f32_e32 v34, v11, v29
	v_mul_f32_e32 v29, v10, v29
	s_waitcnt vmcnt(2) lgkmcnt(2)
	v_mul_f32_e32 v35, v13, v31
	v_mul_f32_e32 v31, v12, v31
	v_fma_f32 v34, v10, v28, -v34
	v_fmac_f32_e32 v29, v11, v28
	v_fma_f32 v28, v12, v30, -v35
	v_fmac_f32_e32 v31, v13, v30
	v_add_f32_e32 v8, v8, v34
	v_add_f32_e32 v29, v9, v29
	s_waitcnt vmcnt(1) lgkmcnt(1)
	v_mul_f32_e32 v30, v15, v27
	v_mul_f32_e32 v27, v14, v27
	s_waitcnt vmcnt(0) lgkmcnt(0)
	v_mul_f32_e32 v35, v17, v33
	v_mul_f32_e32 v9, v16, v33
	v_fma_f32 v30, v14, v26, -v30
	v_fmac_f32_e32 v27, v15, v26
	v_add_f32_e32 v26, v28, v8
	v_add_f32_e32 v28, v31, v29
	v_add_nc_u32_e32 v29, 64, v55
	v_fma_f32 v8, v16, v32, -v35
	v_fmac_f32_e32 v9, v17, v32
	v_add_f32_e32 v26, v30, v26
	v_add_f32_e32 v27, v27, v28
	v_cmpx_gt_i32_e64 s10, v29
	s_cbranch_execz .LBB302_44
; %bb.39:
	s_clause 0x3
	flat_load_dwordx2 v[28:29], v[24:25] offset:512
	flat_load_dwordx2 v[30:31], v[20:21] offset:512
	;; [unrolled: 1-line block ×4, first 2 shown]
	s_mov_b32 s2, exec_lo
	s_waitcnt vmcnt(3) lgkmcnt(3)
	v_mul_f32_e32 v36, v11, v29
	v_mul_f32_e32 v29, v10, v29
	s_waitcnt vmcnt(2) lgkmcnt(2)
	v_mul_f32_e32 v37, v13, v31
	v_mul_f32_e32 v31, v12, v31
	s_waitcnt vmcnt(1) lgkmcnt(1)
	v_mul_f32_e32 v38, v15, v33
	v_fma_f32 v36, v10, v28, -v36
	v_fmac_f32_e32 v29, v11, v28
	v_mul_f32_e32 v33, v14, v33
	v_fma_f32 v37, v12, v30, -v37
	v_fmac_f32_e32 v31, v13, v30
	v_add_f32_e32 v6, v6, v36
	v_add_f32_e32 v29, v7, v29
	s_waitcnt vmcnt(0) lgkmcnt(0)
	v_mul_f32_e32 v28, v17, v35
	v_mul_f32_e32 v7, v16, v35
	v_fma_f32 v30, v14, v32, -v38
	v_fmac_f32_e32 v33, v15, v32
	v_add_f32_e32 v32, v37, v6
	v_add_f32_e32 v29, v31, v29
	v_add_nc_u32_e32 v31, 0x80, v55
	v_fma_f32 v6, v16, v34, -v28
	v_fmac_f32_e32 v7, v17, v34
	v_add_f32_e32 v28, v30, v32
	v_add_f32_e32 v29, v33, v29
	v_cmpx_gt_i32_e64 s10, v31
	s_cbranch_execz .LBB302_43
; %bb.40:
	s_clause 0x3
	flat_load_dwordx2 v[30:31], v[24:25] offset:1024
	flat_load_dwordx2 v[32:33], v[20:21] offset:1024
	;; [unrolled: 1-line block ×4, first 2 shown]
	s_mov_b32 s3, exec_lo
	s_waitcnt vmcnt(3) lgkmcnt(3)
	v_mul_f32_e32 v38, v11, v31
	v_mul_f32_e32 v31, v10, v31
	s_waitcnt vmcnt(2) lgkmcnt(2)
	v_mul_f32_e32 v39, v13, v33
	v_mul_f32_e32 v33, v12, v33
	s_waitcnt vmcnt(1) lgkmcnt(1)
	v_mul_f32_e32 v40, v15, v35
	v_fma_f32 v38, v10, v30, -v38
	v_fmac_f32_e32 v31, v11, v30
	v_mul_f32_e32 v35, v14, v35
	v_fma_f32 v39, v12, v32, -v39
	v_fmac_f32_e32 v33, v13, v32
	v_add_f32_e32 v4, v4, v38
	v_add_f32_e32 v31, v5, v31
	s_waitcnt vmcnt(0) lgkmcnt(0)
	v_mul_f32_e32 v30, v17, v37
	v_mul_f32_e32 v5, v16, v37
	v_fma_f32 v32, v14, v34, -v40
	v_fmac_f32_e32 v35, v15, v34
	v_add_f32_e32 v34, v39, v4
	v_add_f32_e32 v31, v33, v31
	v_add_nc_u32_e32 v33, 0xc0, v55
	v_fma_f32 v4, v16, v36, -v30
	v_fmac_f32_e32 v5, v17, v36
	v_add_f32_e32 v30, v32, v34
	v_add_f32_e32 v31, v35, v31
	v_cmpx_gt_i32_e64 s10, v33
	s_cbranch_execz .LBB302_42
; %bb.41:
	s_clause 0x3
	flat_load_dwordx2 v[24:25], v[24:25] offset:1536
	flat_load_dwordx2 v[20:21], v[20:21] offset:1536
	;; [unrolled: 1-line block ×4, first 2 shown]
	s_waitcnt vmcnt(3) lgkmcnt(3)
	v_mul_f32_e32 v32, v11, v25
	v_mul_f32_e32 v25, v10, v25
	s_waitcnt vmcnt(2) lgkmcnt(2)
	v_mul_f32_e32 v33, v13, v21
	v_mul_f32_e32 v21, v12, v21
	s_waitcnt vmcnt(1) lgkmcnt(1)
	v_mul_f32_e32 v34, v15, v23
	v_fma_f32 v10, v10, v24, -v32
	v_fmac_f32_e32 v25, v11, v24
	v_mul_f32_e32 v23, v14, v23
	v_fma_f32 v12, v12, v20, -v33
	v_fmac_f32_e32 v21, v13, v20
	v_add_f32_e32 v2, v2, v10
	v_add_f32_e32 v3, v3, v25
	s_waitcnt vmcnt(0) lgkmcnt(0)
	v_mul_f32_e32 v11, v17, v19
	v_mul_f32_e32 v10, v16, v19
	v_fma_f32 v13, v14, v22, -v34
	v_fmac_f32_e32 v23, v15, v22
	v_add_f32_e32 v2, v12, v2
	v_add_f32_e32 v3, v21, v3
	v_fma_f32 v11, v16, v18, -v11
	v_fmac_f32_e32 v10, v17, v18
	v_add_f32_e32 v2, v13, v2
	v_add_f32_e32 v3, v23, v3
	;; [unrolled: 1-line block ×4, first 2 shown]
.LBB302_42:
	s_or_b32 exec_lo, exec_lo, s3
	v_add_f32_e32 v4, v4, v30
	v_add_f32_e32 v5, v5, v31
.LBB302_43:
	s_or_b32 exec_lo, exec_lo, s2
	v_add_f32_e32 v6, v6, v28
	v_add_f32_e32 v7, v7, v29
.LBB302_44:
	s_or_b32 exec_lo, exec_lo, s0
	v_add_f32_e32 v8, v8, v26
	v_add_f32_e32 v9, v9, v27
.LBB302_45:
	s_or_b32 exec_lo, exec_lo, s1
.LBB302_46:
	v_lshlrev_b32_e32 v0, 3, v0
	s_mov_b32 s0, exec_lo
	v_lshl_add_u32 v1, v1, 11, v0
	ds_write2st64_b64 v1, v[8:9], v[6:7] offset1:1
	ds_write2st64_b64 v1, v[4:5], v[2:3] offset0:2 offset1:3
	s_waitcnt vmcnt(0) lgkmcnt(0)
	s_waitcnt_vscnt null, 0x0
	s_barrier
	buffer_gl0_inv
	v_cmpx_gt_u32_e32 0x100, v53
	s_cbranch_execz .LBB302_51
; %bb.47:
	v_lshl_add_u32 v12, v54, 3, v0
	ds_read2st64_b64 v[0:3], v12 offset1:4
	ds_read2st64_b64 v[4:7], v12 offset0:8 offset1:12
	ds_read2st64_b64 v[8:11], v12 offset0:16 offset1:20
	s_waitcnt lgkmcnt(2)
	v_add_f32_e32 v13, v0, v2
	v_add_f32_e32 v14, v1, v3
	ds_read2st64_b64 v[0:3], v12 offset0:24 offset1:28
	s_waitcnt lgkmcnt(2)
	v_add_f32_e32 v4, v13, v4
	v_add_f32_e32 v5, v14, v5
	v_add_f32_e32 v13, v4, v6
	v_add_f32_e32 v14, v5, v7
	ds_read2st64_b64 v[4:7], v12 offset0:32 offset1:36
	s_waitcnt lgkmcnt(2)
	v_add_f32_e32 v8, v13, v8
	v_add_f32_e32 v9, v14, v9
	;; [unrolled: 6-line block ×5, first 2 shown]
	v_add_f32_e32 v8, v8, v10
	v_add_f32_e32 v9, v9, v11
	s_waitcnt lgkmcnt(1)
	v_add_f32_e32 v0, v8, v0
	v_add_f32_e32 v1, v9, v1
	;; [unrolled: 1-line block ×4, first 2 shown]
	s_waitcnt lgkmcnt(0)
	v_add_f32_e32 v2, v0, v4
	v_add_f32_e32 v1, v1, v5
	v_or_b32_e32 v0, s5, v53
	v_add_f32_e32 v2, v2, v6
	v_add_f32_e32 v3, v1, v7
	v_cmp_gt_i32_e32 vcc_lo, s10, v0
	ds_write_b64 v12, v[2:3]
	s_and_b32 exec_lo, exec_lo, vcc_lo
	s_cbranch_execz .LBB302_51
; %bb.48:
	v_mul_lo_u32 v4, s13, v0
	v_mul_f32_e32 v0, s17, v3
	v_mul_f32_e32 v1, s16, v3
	v_cmp_neq_f32_e64 s0, s8, 0
	v_cmp_neq_f32_e64 s1, s9, 0
	v_fma_f32 v0, v2, s16, -v0
	v_fmac_f32_e32 v1, s17, v2
	v_ashrrev_i32_e32 v5, 31, v4
	s_or_b32 s0, s0, s1
	s_andn2_b32 vcc_lo, exec_lo, s0
	v_lshlrev_b64 v[3:4], 3, v[4:5]
	s_cbranch_vccnz .LBB302_50
; %bb.49:
	v_add_co_u32 v5, vcc_lo, s7, v3
	v_add_co_ci_u32_e64 v6, null, s12, v4, vcc_lo
	flat_load_dwordx2 v[5:6], v[5:6]
	s_waitcnt vmcnt(0) lgkmcnt(0)
	v_mul_f32_e32 v2, s9, v6
	v_mul_f32_e32 v6, s8, v6
	v_fma_f32 v2, s8, v5, -v2
	v_fmac_f32_e32 v6, s9, v5
	v_add_f32_e32 v0, v0, v2
	v_add_f32_e32 v1, v1, v6
.LBB302_50:
	v_add_co_u32 v2, vcc_lo, s7, v3
	v_add_co_ci_u32_e64 v3, null, s12, v4, vcc_lo
	flat_store_dwordx2 v[2:3], v[0:1]
.LBB302_51:
	s_endpgm
	.section	.rodata,"a",@progbits
	.p2align	6, 0x0
	.amdhsa_kernel _ZL20rocblas_gemvn_kernelILi64ELi16EiPK19rocblas_complex_numIfES3_KPS1_EviiT3_lPKT2_lT1_lS9_lSA_lS6_lPT4_lSA_li
		.amdhsa_group_segment_fixed_size 32768
		.amdhsa_private_segment_fixed_size 0
		.amdhsa_kernarg_size 400
		.amdhsa_user_sgpr_count 6
		.amdhsa_user_sgpr_private_segment_buffer 1
		.amdhsa_user_sgpr_dispatch_ptr 0
		.amdhsa_user_sgpr_queue_ptr 0
		.amdhsa_user_sgpr_kernarg_segment_ptr 1
		.amdhsa_user_sgpr_dispatch_id 0
		.amdhsa_user_sgpr_flat_scratch_init 0
		.amdhsa_user_sgpr_private_segment_size 0
		.amdhsa_wavefront_size32 1
		.amdhsa_uses_dynamic_stack 0
		.amdhsa_system_sgpr_private_segment_wavefront_offset 0
		.amdhsa_system_sgpr_workgroup_id_x 1
		.amdhsa_system_sgpr_workgroup_id_y 0
		.amdhsa_system_sgpr_workgroup_id_z 1
		.amdhsa_system_sgpr_workgroup_info 0
		.amdhsa_system_vgpr_workitem_id 1
		.amdhsa_next_free_vgpr 65
		.amdhsa_next_free_sgpr 29
		.amdhsa_reserve_vcc 1
		.amdhsa_reserve_flat_scratch 1
		.amdhsa_float_round_mode_32 0
		.amdhsa_float_round_mode_16_64 0
		.amdhsa_float_denorm_mode_32 3
		.amdhsa_float_denorm_mode_16_64 3
		.amdhsa_dx10_clamp 1
		.amdhsa_ieee_mode 1
		.amdhsa_fp16_overflow 0
		.amdhsa_workgroup_processor_mode 1
		.amdhsa_memory_ordered 1
		.amdhsa_forward_progress 1
		.amdhsa_shared_vgpr_count 0
		.amdhsa_exception_fp_ieee_invalid_op 0
		.amdhsa_exception_fp_denorm_src 0
		.amdhsa_exception_fp_ieee_div_zero 0
		.amdhsa_exception_fp_ieee_overflow 0
		.amdhsa_exception_fp_ieee_underflow 0
		.amdhsa_exception_fp_ieee_inexact 0
		.amdhsa_exception_int_div_zero 0
	.end_amdhsa_kernel
	.section	.text._ZL20rocblas_gemvn_kernelILi64ELi16EiPK19rocblas_complex_numIfES3_KPS1_EviiT3_lPKT2_lT1_lS9_lSA_lS6_lPT4_lSA_li,"axG",@progbits,_ZL20rocblas_gemvn_kernelILi64ELi16EiPK19rocblas_complex_numIfES3_KPS1_EviiT3_lPKT2_lT1_lS9_lSA_lS6_lPT4_lSA_li,comdat
.Lfunc_end302:
	.size	_ZL20rocblas_gemvn_kernelILi64ELi16EiPK19rocblas_complex_numIfES3_KPS1_EviiT3_lPKT2_lT1_lS9_lSA_lS6_lPT4_lSA_li, .Lfunc_end302-_ZL20rocblas_gemvn_kernelILi64ELi16EiPK19rocblas_complex_numIfES3_KPS1_EviiT3_lPKT2_lT1_lS9_lSA_lS6_lPT4_lSA_li
                                        ; -- End function
	.set _ZL20rocblas_gemvn_kernelILi64ELi16EiPK19rocblas_complex_numIfES3_KPS1_EviiT3_lPKT2_lT1_lS9_lSA_lS6_lPT4_lSA_li.num_vgpr, 65
	.set _ZL20rocblas_gemvn_kernelILi64ELi16EiPK19rocblas_complex_numIfES3_KPS1_EviiT3_lPKT2_lT1_lS9_lSA_lS6_lPT4_lSA_li.num_agpr, 0
	.set _ZL20rocblas_gemvn_kernelILi64ELi16EiPK19rocblas_complex_numIfES3_KPS1_EviiT3_lPKT2_lT1_lS9_lSA_lS6_lPT4_lSA_li.numbered_sgpr, 29
	.set _ZL20rocblas_gemvn_kernelILi64ELi16EiPK19rocblas_complex_numIfES3_KPS1_EviiT3_lPKT2_lT1_lS9_lSA_lS6_lPT4_lSA_li.num_named_barrier, 0
	.set _ZL20rocblas_gemvn_kernelILi64ELi16EiPK19rocblas_complex_numIfES3_KPS1_EviiT3_lPKT2_lT1_lS9_lSA_lS6_lPT4_lSA_li.private_seg_size, 0
	.set _ZL20rocblas_gemvn_kernelILi64ELi16EiPK19rocblas_complex_numIfES3_KPS1_EviiT3_lPKT2_lT1_lS9_lSA_lS6_lPT4_lSA_li.uses_vcc, 1
	.set _ZL20rocblas_gemvn_kernelILi64ELi16EiPK19rocblas_complex_numIfES3_KPS1_EviiT3_lPKT2_lT1_lS9_lSA_lS6_lPT4_lSA_li.uses_flat_scratch, 1
	.set _ZL20rocblas_gemvn_kernelILi64ELi16EiPK19rocblas_complex_numIfES3_KPS1_EviiT3_lPKT2_lT1_lS9_lSA_lS6_lPT4_lSA_li.has_dyn_sized_stack, 0
	.set _ZL20rocblas_gemvn_kernelILi64ELi16EiPK19rocblas_complex_numIfES3_KPS1_EviiT3_lPKT2_lT1_lS9_lSA_lS6_lPT4_lSA_li.has_recursion, 0
	.set _ZL20rocblas_gemvn_kernelILi64ELi16EiPK19rocblas_complex_numIfES3_KPS1_EviiT3_lPKT2_lT1_lS9_lSA_lS6_lPT4_lSA_li.has_indirect_call, 0
	.section	.AMDGPU.csdata,"",@progbits
; Kernel info:
; codeLenInByte = 3760
; TotalNumSgprs: 31
; NumVgprs: 65
; ScratchSize: 0
; MemoryBound: 0
; FloatMode: 240
; IeeeMode: 1
; LDSByteSize: 32768 bytes/workgroup (compile time only)
; SGPRBlocks: 0
; VGPRBlocks: 8
; NumSGPRsForWavesPerEU: 31
; NumVGPRsForWavesPerEU: 65
; Occupancy: 12
; WaveLimiterHint : 1
; COMPUTE_PGM_RSRC2:SCRATCH_EN: 0
; COMPUTE_PGM_RSRC2:USER_SGPR: 6
; COMPUTE_PGM_RSRC2:TRAP_HANDLER: 0
; COMPUTE_PGM_RSRC2:TGID_X_EN: 1
; COMPUTE_PGM_RSRC2:TGID_Y_EN: 0
; COMPUTE_PGM_RSRC2:TGID_Z_EN: 1
; COMPUTE_PGM_RSRC2:TIDIG_COMP_CNT: 1
	.section	.text._ZL20rocblas_gemvn_kernelILi64ELi16ElPK19rocblas_complex_numIfES3_KPS1_EviiT3_lPKT2_lT1_lS9_lSA_lS6_lPT4_lSA_li,"axG",@progbits,_ZL20rocblas_gemvn_kernelILi64ELi16ElPK19rocblas_complex_numIfES3_KPS1_EviiT3_lPKT2_lT1_lS9_lSA_lS6_lPT4_lSA_li,comdat
	.globl	_ZL20rocblas_gemvn_kernelILi64ELi16ElPK19rocblas_complex_numIfES3_KPS1_EviiT3_lPKT2_lT1_lS9_lSA_lS6_lPT4_lSA_li ; -- Begin function _ZL20rocblas_gemvn_kernelILi64ELi16ElPK19rocblas_complex_numIfES3_KPS1_EviiT3_lPKT2_lT1_lS9_lSA_lS6_lPT4_lSA_li
	.p2align	8
	.type	_ZL20rocblas_gemvn_kernelILi64ELi16ElPK19rocblas_complex_numIfES3_KPS1_EviiT3_lPKT2_lT1_lS9_lSA_lS6_lPT4_lSA_li,@function
_ZL20rocblas_gemvn_kernelILi64ELi16ElPK19rocblas_complex_numIfES3_KPS1_EviiT3_lPKT2_lT1_lS9_lSA_lS6_lPT4_lSA_li: ; @_ZL20rocblas_gemvn_kernelILi64ELi16ElPK19rocblas_complex_numIfES3_KPS1_EviiT3_lPKT2_lT1_lS9_lSA_lS6_lPT4_lSA_li
; %bb.0:
	s_load_dwordx2 s[0:1], s[4:5], 0x9c
	s_waitcnt lgkmcnt(0)
	s_lshr_b32 s2, s0, 16
	s_and_b32 s0, s0, 0xffff
	s_and_b32 s1, s1, 0xffff
	s_mul_i32 s0, s2, s0
	s_mul_i32 s0, s0, s1
	s_cmpk_lg_i32 s0, 0x400
	s_cbranch_scc1 .LBB303_51
; %bb.1:
	s_clause 0x1
	s_load_dwordx8 s[16:23], s[4:5], 0x8
	s_load_dwordx8 s[8:15], s[4:5], 0x58
	s_mov_b32 s28, s7
	s_mov_b32 s29, 0
	s_waitcnt lgkmcnt(0)
	s_mul_i32 s1, s19, s7
	s_mul_hi_u32 s2, s18, s7
	s_mul_i32 s0, s18, s7
	s_add_i32 s1, s2, s1
	s_mul_hi_u32 s2, s10, s7
	s_lshl_b64 s[0:1], s[0:1], 3
	s_add_u32 s0, s16, s0
	s_addc_u32 s1, s17, s1
	s_load_dwordx2 s[16:17], s[0:1], 0x0
	s_mul_i32 s1, s11, s7
	s_mul_i32 s0, s10, s7
	s_add_i32 s1, s2, s1
	s_lshl_b64 s[0:1], s[0:1], 3
	s_add_u32 s0, s8, s0
	s_addc_u32 s1, s9, s1
	s_load_dwordx2 s[8:9], s[0:1], 0x0
	s_waitcnt lgkmcnt(0)
	v_cmp_neq_f32_e64 s0, s16, 0
	v_cmp_neq_f32_e64 s1, s17, 0
	s_or_b32 s0, s0, s1
	s_and_b32 vcc_lo, exec_lo, s0
	s_mov_b32 s0, -1
	s_cbranch_vccnz .LBB303_3
; %bb.2:
	v_cmp_neq_f32_e64 s0, s8, 1.0
	v_cmp_neq_f32_e64 s1, s9, 0
	s_or_b32 s0, s0, s1
.LBB303_3:
	s_andn2_b32 vcc_lo, exec_lo, s0
	s_cbranch_vccnz .LBB303_51
; %bb.4:
	s_clause 0x1
	s_load_dwordx2 s[18:19], s[4:5], 0x28
	s_load_dwordx2 s[10:11], s[4:5], 0x78
	s_or_b32 s0, s16, s17
	s_mov_b64 s[26:27], 0
	s_bitset0_b32 s0, 31
	s_mov_b64 s[24:25], 0
	s_cmp_lg_u32 s0, 0
	s_cselect_b32 s30, -1, 0
	s_cmp_eq_u32 s0, 0
	s_cselect_b32 s7, -1, 0
	s_and_b32 vcc_lo, exec_lo, s7
	s_cbranch_vccnz .LBB303_6
; %bb.5:
	s_lshl_b64 s[0:1], s[28:29], 3
	s_add_u32 s0, s20, s0
	s_addc_u32 s1, s21, s1
	s_lshl_b64 s[2:3], s[22:23], 3
	s_load_dwordx2 s[0:1], s[0:1], 0x0
	s_waitcnt lgkmcnt(0)
	s_add_u32 s24, s0, s2
	s_addc_u32 s25, s1, s3
.LBB303_6:
	s_clause 0x1
	s_load_dwordx4 s[0:3], s[4:5], 0x38
	s_load_dwordx2 s[20:21], s[4:5], 0x48
	s_andn2_b32 vcc_lo, exec_lo, s30
	s_cbranch_vccnz .LBB303_8
; %bb.7:
	s_lshl_b64 s[22:23], s[28:29], 3
	s_waitcnt lgkmcnt(0)
	s_add_u32 s0, s0, s22
	s_addc_u32 s1, s1, s23
	s_lshl_b64 s[2:3], s[2:3], 3
	s_load_dwordx2 s[0:1], s[0:1], 0x0
	s_waitcnt lgkmcnt(0)
	s_add_u32 s26, s0, s2
	s_addc_u32 s27, s1, s3
.LBB303_8:
	s_waitcnt lgkmcnt(0)
	s_lshl_b64 s[0:1], s[28:29], 3
	v_lshlrev_b32_e32 v63, 6, v1
	s_add_u32 s0, s12, s0
	s_addc_u32 s1, s13, s1
	s_lshl_b64 s[14:15], s[14:15], 3
	s_load_dwordx2 s[2:3], s[0:1], 0x0
	s_load_dwordx2 s[12:13], s[4:5], 0x0
	v_add_nc_u32_e32 v62, v63, v0
	s_mov_b32 s1, -1
	v_cmp_gt_u32_e64 s0, 0x100, v62
	s_waitcnt lgkmcnt(0)
	s_add_u32 s5, s2, s14
	s_addc_u32 s28, s3, s15
	s_andn2_b32 vcc_lo, exec_lo, s7
	s_cbranch_vccnz .LBB303_15
; %bb.9:
	s_and_saveexec_b32 s1, s0
	s_cbranch_execz .LBB303_14
; %bb.10:
	v_lshl_or_b32 v2, s6, 8, v62
	v_mov_b32_e32 v3, 0
	s_ashr_i32 s3, s12, 31
	s_mov_b32 s2, s12
	v_cmp_gt_i64_e32 vcc_lo, s[2:3], v[2:3]
	s_and_b32 exec_lo, exec_lo, vcc_lo
	s_cbranch_execz .LBB303_14
; %bb.11:
	v_mad_u64_u32 v[4:5], null, s10, v2, 0
	v_cmp_neq_f32_e64 s0, s8, 0
	v_cmp_neq_f32_e64 s2, s9, 0
	s_or_b32 s0, s0, s2
	v_mad_u64_u32 v[5:6], null, s11, v2, v[5:6]
	v_mov_b32_e32 v6, v3
	s_andn2_b32 vcc_lo, exec_lo, s0
	v_lshlrev_b64 v[4:5], 3, v[4:5]
	s_cbranch_vccnz .LBB303_13
; %bb.12:
	v_add_co_u32 v2, vcc_lo, s5, v4
	v_add_co_ci_u32_e64 v3, null, s28, v5, vcc_lo
	flat_load_dwordx2 v[2:3], v[2:3]
	s_waitcnt vmcnt(0) lgkmcnt(0)
	v_mul_f32_e32 v7, s9, v3
	v_mul_f32_e32 v6, s8, v3
	v_fma_f32 v3, s8, v2, -v7
	v_fmac_f32_e32 v6, s9, v2
.LBB303_13:
	v_add_co_u32 v7, vcc_lo, s5, v4
	v_add_co_ci_u32_e64 v8, null, s28, v5, vcc_lo
	v_mov_b32_e32 v5, v3
	flat_store_dwordx2 v[7:8], v[5:6]
.LBB303_14:
	s_or_b32 exec_lo, exec_lo, s1
	s_mov_b32 s1, 0
.LBB303_15:
	s_andn2_b32 vcc_lo, exec_lo, s1
	s_cbranch_vccnz .LBB303_51
; %bb.16:
	s_ashr_i32 s0, s13, 31
	s_lshl_b32 s29, s6, 8
	s_lshr_b32 s0, s0, 26
	v_lshlrev_b32_e32 v64, 2, v1
	v_mov_b32_e32 v3, 0
	v_add_nc_u32_e32 v4, s29, v0
	v_mov_b32_e32 v2, 0
	v_mov_b32_e32 v7, 0
	v_mov_b32_e32 v6, 0
	v_mov_b32_e32 v9, 0
	v_mov_b32_e32 v8, 0
	v_mov_b32_e32 v11, 0
	v_mov_b32_e32 v10, 0
	s_add_i32 s30, s13, s0
	s_mov_b32 s31, exec_lo
	s_andn2_b32 s30, s30, 63
	v_cmpx_gt_i32_e64 s30, v64
	s_cbranch_execz .LBB303_28
; %bb.17:
	v_lshlrev_b32_e32 v18, 2, v1
	v_add_nc_u32_e32 v10, 64, v4
	v_mad_u64_u32 v[2:3], null, s20, v1, 0
	v_mad_u64_u32 v[8:9], null, s18, v1, 0
	v_or_b32_e32 v14, 3, v18
	v_or_b32_e32 v19, 2, v18
	v_cmp_gt_i32_e64 s0, s12, v10
	v_mad_u64_u32 v[10:11], null, s18, v18, s[18:19]
	v_mad_u64_u32 v[6:7], null, s18, v14, 0
	;; [unrolled: 1-line block ×3, first 2 shown]
	v_ashrrev_i32_e32 v5, 31, v4
	v_add_nc_u32_e32 v15, 0x80, v4
	v_mad_u64_u32 v[12:13], null, s21, v1, v[3:4]
	v_mad_u64_u32 v[13:14], null, s19, v14, v[7:8]
	v_add_nc_u32_e32 v16, 0xc0, v4
	v_cmp_gt_i32_e64 s1, s12, v15
	v_lshlrev_b64 v[14:15], 3, v[4:5]
	v_mov_b32_e32 v5, v9
	v_mov_b32_e32 v9, v11
	;; [unrolled: 1-line block ×3, first 2 shown]
	v_cmp_gt_i32_e64 s2, s12, v16
	v_mov_b32_e32 v3, v12
	v_mad_u64_u32 v[16:17], null, s19, v1, v[5:6]
	v_mad_u64_u32 v[17:18], null, s19, v18, v[9:10]
	;; [unrolled: 1-line block ×3, first 2 shown]
	v_mov_b32_e32 v7, v13
	v_add_co_u32 v5, s3, s24, v14
	v_mov_b32_e32 v9, v16
	v_mov_b32_e32 v11, v17
	v_lshlrev_b64 v[12:13], 3, v[6:7]
	v_lshlrev_b64 v[6:7], 5, v[2:3]
	v_mov_b32_e32 v21, v18
	v_mov_b32_e32 v3, 0
	v_add_co_ci_u32_e64 v65, null, s25, v15, s3
	v_lshlrev_b64 v[16:17], 5, v[8:9]
	v_add_co_u32 v14, s3, s26, v6
	v_lshlrev_b64 v[18:19], 3, v[10:11]
	v_lshlrev_b64 v[20:21], 3, v[20:21]
	v_add_co_ci_u32_e64 v15, null, s27, v7, s3
	v_mov_b32_e32 v2, v3
	v_mov_b32_e32 v7, v3
	;; [unrolled: 1-line block ×7, first 2 shown]
	s_lshl_b64 s[6:7], s[18:19], 9
	s_lshl_b64 s[14:15], s[20:21], 9
	;; [unrolled: 1-line block ×3, first 2 shown]
	s_mov_b32 s33, 0
	v_cmp_gt_i32_e32 vcc_lo, s12, v4
	s_branch .LBB303_22
.LBB303_18:                             ;   in Loop: Header=BB303_22 Depth=1
	s_or_b32 exec_lo, exec_lo, s35
	s_waitcnt vmcnt(3) lgkmcnt(3)
	v_mul_f32_e32 v54, v35, v53
	v_mul_f32_e32 v53, v34, v53
	s_waitcnt vmcnt(2) lgkmcnt(2)
	v_mul_f32_e32 v55, v31, v51
	v_mul_f32_e32 v51, v30, v51
	s_waitcnt vmcnt(1) lgkmcnt(1)
	v_mul_f32_e32 v56, v25, v49
	v_fma_f32 v54, v34, v52, -v54
	v_fmac_f32_e32 v53, v35, v52
	v_mul_f32_e32 v49, v24, v49
	v_fma_f32 v55, v30, v50, -v55
	v_fmac_f32_e32 v51, v31, v50
	v_add_f32_e32 v6, v6, v54
	v_add_f32_e32 v7, v7, v53
	s_waitcnt vmcnt(0) lgkmcnt(0)
	v_mul_f32_e32 v52, v23, v47
	v_mul_f32_e32 v47, v22, v47
	v_fma_f32 v50, v24, v48, -v56
	v_add_f32_e32 v6, v55, v6
	v_fmac_f32_e32 v49, v25, v48
	v_add_f32_e32 v7, v51, v7
	v_fma_f32 v48, v22, v46, -v52
	v_fmac_f32_e32 v47, v23, v46
	v_add_f32_e32 v6, v50, v6
	v_add_f32_e32 v7, v49, v7
	v_add_f32_e32 v6, v48, v6
	v_add_f32_e32 v7, v47, v7
.LBB303_19:                             ;   in Loop: Header=BB303_22 Depth=1
	s_or_b32 exec_lo, exec_lo, s34
	s_waitcnt vmcnt(3) lgkmcnt(3)
	v_mul_f32_e32 v46, v35, v45
	v_mul_f32_e32 v45, v34, v45
	s_waitcnt vmcnt(2) lgkmcnt(2)
	v_mul_f32_e32 v47, v31, v43
	v_mul_f32_e32 v43, v30, v43
	s_waitcnt vmcnt(1) lgkmcnt(1)
	v_mul_f32_e32 v48, v25, v41
	v_fma_f32 v46, v34, v44, -v46
	v_fmac_f32_e32 v45, v35, v44
	v_mul_f32_e32 v41, v24, v41
	v_fma_f32 v47, v30, v42, -v47
	v_fmac_f32_e32 v43, v31, v42
	v_add_f32_e32 v8, v8, v46
	v_add_f32_e32 v9, v9, v45
	s_waitcnt vmcnt(0) lgkmcnt(0)
	v_mul_f32_e32 v44, v23, v39
	v_mul_f32_e32 v39, v22, v39
	v_fma_f32 v42, v24, v40, -v48
	v_add_f32_e32 v8, v47, v8
	v_fmac_f32_e32 v41, v25, v40
	v_add_f32_e32 v9, v43, v9
	v_fma_f32 v40, v22, v38, -v44
	v_fmac_f32_e32 v39, v23, v38
	v_add_f32_e32 v8, v42, v8
	v_add_f32_e32 v9, v41, v9
	;; [unrolled: 1-line block ×4, first 2 shown]
.LBB303_20:                             ;   in Loop: Header=BB303_22 Depth=1
	s_or_b32 exec_lo, exec_lo, s3
	s_waitcnt vmcnt(3) lgkmcnt(3)
	v_mul_f32_e32 v38, v35, v37
	v_mul_f32_e32 v37, v34, v37
	s_waitcnt vmcnt(2) lgkmcnt(2)
	v_mul_f32_e32 v39, v31, v33
	v_mul_f32_e32 v33, v30, v33
	s_waitcnt vmcnt(1) lgkmcnt(1)
	v_mul_f32_e32 v40, v25, v29
	v_fma_f32 v34, v34, v36, -v38
	v_fmac_f32_e32 v37, v35, v36
	v_mul_f32_e32 v29, v24, v29
	v_fma_f32 v30, v30, v32, -v39
	v_fmac_f32_e32 v33, v31, v32
	v_add_f32_e32 v10, v10, v34
	v_add_f32_e32 v11, v11, v37
	s_waitcnt vmcnt(0) lgkmcnt(0)
	v_mul_f32_e32 v35, v23, v27
	v_mul_f32_e32 v27, v22, v27
	v_fma_f32 v24, v24, v28, -v40
	v_add_f32_e32 v10, v30, v10
	v_fmac_f32_e32 v29, v25, v28
	v_add_f32_e32 v11, v33, v11
	v_fma_f32 v22, v22, v26, -v35
	v_fmac_f32_e32 v27, v23, v26
	v_add_f32_e32 v10, v24, v10
	v_add_f32_e32 v11, v29, v11
	;; [unrolled: 1-line block ×4, first 2 shown]
.LBB303_21:                             ;   in Loop: Header=BB303_22 Depth=1
	s_or_b32 exec_lo, exec_lo, s4
	v_add_nc_u32_e32 v64, 64, v64
	v_add_co_u32 v5, s3, v5, s6
	v_add_co_ci_u32_e64 v65, null, s7, v65, s3
	v_cmp_le_i32_e64 s3, s30, v64
	v_add_co_u32 v14, s4, v14, s14
	v_add_co_ci_u32_e64 v15, null, s15, v15, s4
	s_or_b32 s33, s3, s33
	s_andn2_b32 exec_lo, exec_lo, s33
	s_cbranch_execz .LBB303_27
.LBB303_22:                             ; =>This Inner Loop Header: Depth=1
	s_and_saveexec_b32 s4, vcc_lo
	s_cbranch_execz .LBB303_21
; %bb.23:                               ;   in Loop: Header=BB303_22 Depth=1
	v_add_co_u32 v22, s3, v14, s22
	v_add_co_ci_u32_e64 v23, null, s23, v15, s3
	v_add_co_u32 v24, s3, v22, s22
	v_add_co_ci_u32_e64 v25, null, s23, v23, s3
	;; [unrolled: 2-line block ×7, first 2 shown]
	s_clause 0x3
	flat_load_dwordx2 v[34:35], v[14:15]
	flat_load_dwordx2 v[30:31], v[22:23]
	;; [unrolled: 1-line block ×4, first 2 shown]
	s_clause 0x3
	flat_load_dwordx2 v[36:37], v[60:61]
	flat_load_dwordx2 v[32:33], v[58:59]
	;; [unrolled: 1-line block ×4, first 2 shown]
	s_and_saveexec_b32 s3, s0
	s_cbranch_execz .LBB303_20
; %bb.24:                               ;   in Loop: Header=BB303_22 Depth=1
	s_clause 0x3
	flat_load_dwordx2 v[44:45], v[60:61] offset:512
	flat_load_dwordx2 v[42:43], v[58:59] offset:512
	flat_load_dwordx2 v[40:41], v[56:57] offset:512
	flat_load_dwordx2 v[38:39], v[54:55] offset:512
	s_and_saveexec_b32 s34, s1
	s_cbranch_execz .LBB303_19
; %bb.25:                               ;   in Loop: Header=BB303_22 Depth=1
	s_clause 0x3
	flat_load_dwordx2 v[52:53], v[60:61] offset:1024
	flat_load_dwordx2 v[50:51], v[58:59] offset:1024
	flat_load_dwordx2 v[48:49], v[56:57] offset:1024
	flat_load_dwordx2 v[46:47], v[54:55] offset:1024
	s_and_saveexec_b32 s35, s2
	s_cbranch_execz .LBB303_18
; %bb.26:                               ;   in Loop: Header=BB303_22 Depth=1
	s_clause 0x3
	flat_load_dwordx2 v[60:61], v[60:61] offset:1536
	flat_load_dwordx2 v[58:59], v[58:59] offset:1536
	flat_load_dwordx2 v[56:57], v[56:57] offset:1536
	flat_load_dwordx2 v[54:55], v[54:55] offset:1536
	s_waitcnt vmcnt(3) lgkmcnt(3)
	v_mul_f32_e32 v66, v35, v61
	v_mul_f32_e32 v61, v34, v61
	s_waitcnt vmcnt(2) lgkmcnt(2)
	v_mul_f32_e32 v67, v31, v59
	v_mul_f32_e32 v59, v30, v59
	s_waitcnt vmcnt(1) lgkmcnt(1)
	v_mul_f32_e32 v68, v25, v57
	v_fma_f32 v66, v34, v60, -v66
	v_fmac_f32_e32 v61, v35, v60
	v_mul_f32_e32 v57, v24, v57
	v_fma_f32 v67, v30, v58, -v67
	v_fmac_f32_e32 v59, v31, v58
	v_add_f32_e32 v2, v2, v66
	v_add_f32_e32 v3, v3, v61
	s_waitcnt vmcnt(0) lgkmcnt(0)
	v_mul_f32_e32 v60, v23, v55
	v_mul_f32_e32 v55, v22, v55
	v_fma_f32 v58, v24, v56, -v68
	v_fmac_f32_e32 v57, v25, v56
	v_add_f32_e32 v2, v67, v2
	v_add_f32_e32 v3, v59, v3
	v_fma_f32 v56, v22, v54, -v60
	v_fmac_f32_e32 v55, v23, v54
	v_add_f32_e32 v2, v58, v2
	v_add_f32_e32 v3, v57, v3
	;; [unrolled: 1-line block ×4, first 2 shown]
	s_branch .LBB303_18
.LBB303_27:
	s_or_b32 exec_lo, exec_lo, s33
.LBB303_28:
	s_or_b32 exec_lo, exec_lo, s31
	s_sub_i32 s0, s13, s30
	s_cmp_lt_i32 s0, 1
	s_cbranch_scc1 .LBB303_46
; %bb.29:
	v_cmp_gt_i32_e32 vcc_lo, s13, v64
	v_mov_b32_e32 v12, 0
	v_or_b32_e32 v20, 1, v64
	v_mov_b32_e32 v13, 0
	v_mov_b32_e32 v14, 0
	;; [unrolled: 1-line block ×7, first 2 shown]
	s_and_saveexec_b32 s1, vcc_lo
	s_cbranch_execz .LBB303_37
; %bb.30:
	v_mad_u64_u32 v[12:13], null, s20, v64, 0
	v_mov_b32_e32 v19, 0
	v_mov_b32_e32 v18, 0
	;; [unrolled: 1-line block ×5, first 2 shown]
	s_mov_b32 s2, exec_lo
	v_mov_b32_e32 v5, v13
	v_mad_u64_u32 v[13:14], null, s21, v64, v[5:6]
	v_mov_b32_e32 v14, 0
	v_lshlrev_b64 v[12:13], 3, v[12:13]
	v_add_co_u32 v12, s0, s26, v12
	v_add_co_ci_u32_e64 v13, null, s27, v13, s0
	flat_load_dwordx2 v[12:13], v[12:13]
	v_cmpx_gt_i32_e64 s13, v20
	s_cbranch_execz .LBB303_36
; %bb.31:
	v_mad_u64_u32 v[14:15], null, s20, v20, 0
	v_mov_b32_e32 v19, 0
	v_mov_b32_e32 v18, 0
	;; [unrolled: 1-line block ×3, first 2 shown]
	s_mov_b32 s3, exec_lo
	v_mov_b32_e32 v5, v15
	v_mad_u64_u32 v[15:16], null, s21, v20, v[5:6]
	v_or_b32_e32 v5, 2, v64
	v_mov_b32_e32 v16, 0
	v_lshlrev_b64 v[14:15], 3, v[14:15]
	v_add_co_u32 v14, s0, s26, v14
	v_add_co_ci_u32_e64 v15, null, s27, v15, s0
	flat_load_dwordx2 v[14:15], v[14:15]
	v_cmpx_gt_i32_e64 s13, v5
	s_cbranch_execz .LBB303_35
; %bb.32:
	v_mad_u64_u32 v[16:17], null, s20, v5, 0
	v_mov_b32_e32 v19, 0
	s_mov_b32 s4, exec_lo
	v_mad_u64_u32 v[17:18], null, s21, v5, v[17:18]
	v_or_b32_e32 v5, 3, v64
	v_mov_b32_e32 v18, 0
	v_lshlrev_b64 v[16:17], 3, v[16:17]
	v_add_co_u32 v16, s0, s26, v16
	v_add_co_ci_u32_e64 v17, null, s27, v17, s0
	flat_load_dwordx2 v[16:17], v[16:17]
	v_cmpx_gt_i32_e64 s13, v5
	s_cbranch_execz .LBB303_34
; %bb.33:
	v_mad_u64_u32 v[18:19], null, s20, v5, 0
	v_mad_u64_u32 v[21:22], null, s21, v5, v[19:20]
	v_mov_b32_e32 v19, v21
	v_lshlrev_b64 v[18:19], 3, v[18:19]
	v_add_co_u32 v18, s0, s26, v18
	v_add_co_ci_u32_e64 v19, null, s27, v19, s0
	flat_load_dwordx2 v[18:19], v[18:19]
.LBB303_34:
	s_or_b32 exec_lo, exec_lo, s4
.LBB303_35:
	s_or_b32 exec_lo, exec_lo, s3
.LBB303_36:
	s_or_b32 exec_lo, exec_lo, s2
.LBB303_37:
	s_or_b32 exec_lo, exec_lo, s1
	s_mov_b32 s1, exec_lo
	v_cmpx_gt_i32_e64 s12, v4
	s_cbranch_execz .LBB303_45
; %bb.38:
	v_mad_u64_u32 v[21:22], null, s18, v64, 0
	v_mad_u64_u32 v[23:24], null, s18, v20, 0
	v_ashrrev_i32_e32 v5, 31, v4
	v_or_b32_e32 v32, 2, v64
	v_or_b32_e32 v33, 3, v64
	v_cndmask_b32_e32 v21, 0, v21, vcc_lo
	v_lshlrev_b64 v[28:29], 3, v[4:5]
	v_mad_u64_u32 v[25:26], null, s19, v64, v[22:23]
	v_mov_b32_e32 v5, v24
	v_mad_u64_u32 v[26:27], null, s18, v32, 0
	v_mad_u64_u32 v[30:31], null, s18, v33, 0
	v_cmp_gt_i32_e64 s0, s13, v32
	v_cndmask_b32_e32 v22, 0, v25, vcc_lo
	v_mad_u64_u32 v[24:25], null, s19, v20, v[5:6]
	v_cmp_gt_i32_e32 vcc_lo, s13, v20
	v_mov_b32_e32 v5, v27
	v_mov_b32_e32 v25, v31
	v_cndmask_b32_e32 v20, 0, v23, vcc_lo
	v_lshlrev_b64 v[22:23], 3, v[21:22]
	v_cndmask_b32_e32 v21, 0, v24, vcc_lo
	v_mad_u64_u32 v[31:32], null, s19, v32, v[5:6]
	v_add_co_u32 v5, vcc_lo, s24, v22
	v_add_co_ci_u32_e64 v24, null, s25, v23, vcc_lo
	v_lshlrev_b64 v[22:23], 3, v[20:21]
	v_add_co_u32 v20, vcc_lo, v5, v28
	v_add_co_ci_u32_e64 v21, null, v24, v29, vcc_lo
	v_cndmask_b32_e64 v24, 0, v26, s0
	v_mad_u64_u32 v[26:27], null, s19, v33, v[25:26]
	v_add_co_u32 v5, vcc_lo, s24, v22
	v_add_co_ci_u32_e64 v23, null, s25, v23, vcc_lo
	v_cmp_gt_i32_e32 vcc_lo, s13, v33
	v_cndmask_b32_e64 v25, 0, v31, s0
	v_add_co_u32 v22, s0, v5, v28
	v_add_co_ci_u32_e64 v23, null, v23, v29, s0
	v_cndmask_b32_e32 v30, 0, v30, vcc_lo
	v_cndmask_b32_e32 v31, 0, v26, vcc_lo
	v_lshlrev_b64 v[24:25], 3, v[24:25]
	s_clause 0x1
	flat_load_dwordx2 v[32:33], v[20:21]
	flat_load_dwordx2 v[34:35], v[22:23]
	s_mov_b32 s0, exec_lo
	v_lshlrev_b64 v[26:27], 3, v[30:31]
	v_add_co_u32 v5, vcc_lo, s24, v24
	v_add_co_ci_u32_e64 v24, null, s25, v25, vcc_lo
	v_add_co_u32 v25, vcc_lo, s24, v26
	v_add_co_ci_u32_e64 v30, null, s25, v27, vcc_lo
	v_add_co_u32 v26, vcc_lo, v5, v28
	v_add_co_ci_u32_e64 v27, null, v24, v29, vcc_lo
	v_add_co_u32 v24, vcc_lo, v25, v28
	v_add_co_ci_u32_e64 v25, null, v30, v29, vcc_lo
	s_clause 0x1
	flat_load_dwordx2 v[28:29], v[26:27]
	flat_load_dwordx2 v[30:31], v[24:25]
	s_waitcnt vmcnt(3) lgkmcnt(3)
	v_mul_f32_e32 v5, v13, v33
	v_mul_f32_e32 v33, v12, v33
	s_waitcnt vmcnt(2) lgkmcnt(2)
	v_mul_f32_e32 v36, v15, v35
	v_mul_f32_e32 v35, v14, v35
	v_fma_f32 v5, v12, v32, -v5
	v_fmac_f32_e32 v33, v13, v32
	v_fma_f32 v32, v14, v34, -v36
	v_fmac_f32_e32 v35, v15, v34
	v_add_f32_e32 v10, v10, v5
	v_add_f32_e32 v11, v11, v33
	v_add_nc_u32_e32 v33, 64, v4
	s_waitcnt vmcnt(1) lgkmcnt(1)
	v_mul_f32_e32 v34, v17, v29
	v_mul_f32_e32 v29, v16, v29
	s_waitcnt vmcnt(0) lgkmcnt(0)
	v_mul_f32_e32 v36, v19, v31
	v_mul_f32_e32 v5, v18, v31
	v_fma_f32 v31, v16, v28, -v34
	v_fmac_f32_e32 v29, v17, v28
	v_add_f32_e32 v28, v32, v10
	v_add_f32_e32 v32, v35, v11
	v_fma_f32 v10, v18, v30, -v36
	v_fmac_f32_e32 v5, v19, v30
	v_add_f32_e32 v11, v31, v28
	v_add_f32_e32 v28, v29, v32
	v_cmpx_gt_i32_e64 s12, v33
	s_cbranch_execz .LBB303_44
; %bb.39:
	s_clause 0x3
	flat_load_dwordx2 v[29:30], v[20:21] offset:512
	flat_load_dwordx2 v[31:32], v[22:23] offset:512
	;; [unrolled: 1-line block ×4, first 2 shown]
	s_mov_b32 s2, exec_lo
	s_waitcnt vmcnt(3) lgkmcnt(3)
	v_mul_f32_e32 v37, v13, v30
	v_mul_f32_e32 v30, v12, v30
	s_waitcnt vmcnt(2) lgkmcnt(2)
	v_mul_f32_e32 v38, v15, v32
	v_mul_f32_e32 v32, v14, v32
	s_waitcnt vmcnt(1) lgkmcnt(1)
	v_mul_f32_e32 v39, v17, v34
	v_fma_f32 v37, v12, v29, -v37
	v_fmac_f32_e32 v30, v13, v29
	v_mul_f32_e32 v34, v16, v34
	v_fma_f32 v38, v14, v31, -v38
	v_fmac_f32_e32 v32, v15, v31
	v_add_f32_e32 v8, v8, v37
	v_add_f32_e32 v30, v9, v30
	s_waitcnt vmcnt(0) lgkmcnt(0)
	v_mul_f32_e32 v29, v19, v36
	v_mul_f32_e32 v9, v18, v36
	v_fma_f32 v31, v16, v33, -v39
	v_fmac_f32_e32 v34, v17, v33
	v_add_f32_e32 v33, v38, v8
	v_add_f32_e32 v30, v32, v30
	v_add_nc_u32_e32 v32, 0x80, v4
	v_fma_f32 v8, v18, v35, -v29
	v_fmac_f32_e32 v9, v19, v35
	v_add_f32_e32 v29, v31, v33
	v_add_f32_e32 v30, v34, v30
	v_cmpx_gt_i32_e64 s12, v32
	s_cbranch_execz .LBB303_43
; %bb.40:
	s_clause 0x3
	flat_load_dwordx2 v[31:32], v[20:21] offset:1024
	flat_load_dwordx2 v[33:34], v[22:23] offset:1024
	;; [unrolled: 1-line block ×4, first 2 shown]
	s_mov_b32 s3, exec_lo
	s_waitcnt vmcnt(3) lgkmcnt(3)
	v_mul_f32_e32 v39, v13, v32
	v_mul_f32_e32 v32, v12, v32
	s_waitcnt vmcnt(2) lgkmcnt(2)
	v_mul_f32_e32 v40, v15, v34
	v_mul_f32_e32 v34, v14, v34
	s_waitcnt vmcnt(1) lgkmcnt(1)
	v_mul_f32_e32 v41, v17, v36
	v_fma_f32 v39, v12, v31, -v39
	v_fmac_f32_e32 v32, v13, v31
	v_mul_f32_e32 v36, v16, v36
	v_fma_f32 v40, v14, v33, -v40
	v_fmac_f32_e32 v34, v15, v33
	v_add_f32_e32 v6, v6, v39
	v_add_f32_e32 v32, v7, v32
	s_waitcnt vmcnt(0) lgkmcnt(0)
	v_mul_f32_e32 v31, v19, v38
	v_mul_f32_e32 v7, v18, v38
	v_fma_f32 v33, v16, v35, -v41
	v_fmac_f32_e32 v36, v17, v35
	v_add_f32_e32 v6, v40, v6
	v_add_f32_e32 v32, v34, v32
	v_add_nc_u32_e32 v34, 0xc0, v4
	v_fma_f32 v4, v18, v37, -v31
	v_fmac_f32_e32 v7, v19, v37
	v_add_f32_e32 v6, v33, v6
	v_add_f32_e32 v31, v36, v32
	v_cmpx_gt_i32_e64 s12, v34
	s_cbranch_execz .LBB303_42
; %bb.41:
	s_clause 0x3
	flat_load_dwordx2 v[20:21], v[20:21] offset:1536
	flat_load_dwordx2 v[22:23], v[22:23] offset:1536
	;; [unrolled: 1-line block ×4, first 2 shown]
	s_waitcnt vmcnt(3) lgkmcnt(3)
	v_mul_f32_e32 v32, v13, v21
	v_mul_f32_e32 v21, v12, v21
	s_waitcnt vmcnt(2) lgkmcnt(2)
	v_mul_f32_e32 v33, v15, v23
	v_mul_f32_e32 v23, v14, v23
	s_waitcnt vmcnt(1) lgkmcnt(1)
	v_mul_f32_e32 v34, v17, v27
	v_fma_f32 v12, v12, v20, -v32
	v_fmac_f32_e32 v21, v13, v20
	v_mul_f32_e32 v27, v16, v27
	v_fma_f32 v14, v14, v22, -v33
	v_fmac_f32_e32 v23, v15, v22
	v_add_f32_e32 v2, v2, v12
	v_add_f32_e32 v3, v3, v21
	s_waitcnt vmcnt(0) lgkmcnt(0)
	v_mul_f32_e32 v13, v19, v25
	v_mul_f32_e32 v12, v18, v25
	v_fma_f32 v15, v16, v26, -v34
	v_fmac_f32_e32 v27, v17, v26
	v_add_f32_e32 v2, v14, v2
	v_add_f32_e32 v3, v23, v3
	v_fma_f32 v13, v18, v24, -v13
	v_fmac_f32_e32 v12, v19, v24
	v_add_f32_e32 v2, v15, v2
	v_add_f32_e32 v3, v27, v3
	;; [unrolled: 1-line block ×4, first 2 shown]
.LBB303_42:
	s_or_b32 exec_lo, exec_lo, s3
	v_add_f32_e32 v6, v4, v6
	v_add_f32_e32 v7, v7, v31
.LBB303_43:
	s_or_b32 exec_lo, exec_lo, s2
	v_add_f32_e32 v8, v8, v29
	v_add_f32_e32 v9, v9, v30
.LBB303_44:
	s_or_b32 exec_lo, exec_lo, s0
	v_add_f32_e32 v10, v10, v11
	v_add_f32_e32 v11, v5, v28
.LBB303_45:
	s_or_b32 exec_lo, exec_lo, s1
.LBB303_46:
	v_lshlrev_b32_e32 v0, 3, v0
	s_mov_b32 s0, exec_lo
	v_lshl_add_u32 v1, v1, 11, v0
	ds_write2st64_b64 v1, v[10:11], v[8:9] offset1:1
	ds_write2st64_b64 v1, v[6:7], v[2:3] offset0:2 offset1:3
	s_waitcnt vmcnt(0) lgkmcnt(0)
	s_waitcnt_vscnt null, 0x0
	s_barrier
	buffer_gl0_inv
	v_cmpx_gt_u32_e32 0x100, v62
	s_cbranch_execz .LBB303_51
; %bb.47:
	v_lshl_add_u32 v12, v63, 3, v0
	ds_read2st64_b64 v[0:3], v12 offset1:4
	ds_read2st64_b64 v[4:7], v12 offset0:8 offset1:12
	ds_read2st64_b64 v[8:11], v12 offset0:16 offset1:20
	s_waitcnt lgkmcnt(2)
	v_add_f32_e32 v13, v0, v2
	v_add_f32_e32 v14, v1, v3
	ds_read2st64_b64 v[0:3], v12 offset0:24 offset1:28
	s_waitcnt lgkmcnt(2)
	v_add_f32_e32 v4, v13, v4
	v_add_f32_e32 v5, v14, v5
	v_add_f32_e32 v13, v4, v6
	v_add_f32_e32 v14, v5, v7
	ds_read2st64_b64 v[4:7], v12 offset0:32 offset1:36
	s_waitcnt lgkmcnt(2)
	v_add_f32_e32 v8, v13, v8
	v_add_f32_e32 v9, v14, v9
	;; [unrolled: 6-line block ×5, first 2 shown]
	v_add_f32_e32 v8, v8, v10
	v_add_f32_e32 v9, v9, v11
	s_waitcnt lgkmcnt(1)
	v_add_f32_e32 v0, v8, v0
	v_add_f32_e32 v1, v9, v1
	;; [unrolled: 1-line block ×4, first 2 shown]
	s_waitcnt lgkmcnt(0)
	v_add_f32_e32 v2, v0, v4
	v_add_f32_e32 v1, v1, v5
	v_or_b32_e32 v0, s29, v62
	v_add_f32_e32 v2, v2, v6
	v_add_f32_e32 v3, v1, v7
	v_cmp_gt_i32_e32 vcc_lo, s12, v0
	ds_write_b64 v12, v[2:3]
	s_and_b32 exec_lo, exec_lo, vcc_lo
	s_cbranch_execz .LBB303_51
; %bb.48:
	v_ashrrev_i32_e32 v1, 31, v0
	v_mul_lo_u32 v6, s11, v0
	v_mad_u64_u32 v[4:5], null, s10, v0, 0
	v_mul_f32_e32 v0, s17, v3
	v_mul_lo_u32 v1, s10, v1
	v_cmp_neq_f32_e64 s0, s8, 0
	v_cmp_neq_f32_e64 s1, s9, 0
	v_fma_f32 v0, v2, s16, -v0
	s_or_b32 s0, s0, s1
	v_add3_u32 v5, v5, v1, v6
	v_mul_f32_e32 v1, s16, v3
	s_andn2_b32 vcc_lo, exec_lo, s0
	v_lshlrev_b64 v[3:4], 3, v[4:5]
	v_fmac_f32_e32 v1, s17, v2
	s_cbranch_vccnz .LBB303_50
; %bb.49:
	v_add_co_u32 v5, vcc_lo, s5, v3
	v_add_co_ci_u32_e64 v6, null, s28, v4, vcc_lo
	flat_load_dwordx2 v[5:6], v[5:6]
	s_waitcnt vmcnt(0) lgkmcnt(0)
	v_mul_f32_e32 v2, s9, v6
	v_mul_f32_e32 v6, s8, v6
	v_fma_f32 v2, s8, v5, -v2
	v_fmac_f32_e32 v6, s9, v5
	v_add_f32_e32 v0, v0, v2
	v_add_f32_e32 v1, v1, v6
.LBB303_50:
	v_add_co_u32 v2, vcc_lo, s5, v3
	v_add_co_ci_u32_e64 v3, null, s28, v4, vcc_lo
	flat_store_dwordx2 v[2:3], v[0:1]
.LBB303_51:
	s_endpgm
	.section	.rodata,"a",@progbits
	.p2align	6, 0x0
	.amdhsa_kernel _ZL20rocblas_gemvn_kernelILi64ELi16ElPK19rocblas_complex_numIfES3_KPS1_EviiT3_lPKT2_lT1_lS9_lSA_lS6_lPT4_lSA_li
		.amdhsa_group_segment_fixed_size 32768
		.amdhsa_private_segment_fixed_size 0
		.amdhsa_kernarg_size 400
		.amdhsa_user_sgpr_count 6
		.amdhsa_user_sgpr_private_segment_buffer 1
		.amdhsa_user_sgpr_dispatch_ptr 0
		.amdhsa_user_sgpr_queue_ptr 0
		.amdhsa_user_sgpr_kernarg_segment_ptr 1
		.amdhsa_user_sgpr_dispatch_id 0
		.amdhsa_user_sgpr_flat_scratch_init 0
		.amdhsa_user_sgpr_private_segment_size 0
		.amdhsa_wavefront_size32 1
		.amdhsa_uses_dynamic_stack 0
		.amdhsa_system_sgpr_private_segment_wavefront_offset 0
		.amdhsa_system_sgpr_workgroup_id_x 1
		.amdhsa_system_sgpr_workgroup_id_y 0
		.amdhsa_system_sgpr_workgroup_id_z 1
		.amdhsa_system_sgpr_workgroup_info 0
		.amdhsa_system_vgpr_workitem_id 1
		.amdhsa_next_free_vgpr 69
		.amdhsa_next_free_sgpr 36
		.amdhsa_reserve_vcc 1
		.amdhsa_reserve_flat_scratch 1
		.amdhsa_float_round_mode_32 0
		.amdhsa_float_round_mode_16_64 0
		.amdhsa_float_denorm_mode_32 3
		.amdhsa_float_denorm_mode_16_64 3
		.amdhsa_dx10_clamp 1
		.amdhsa_ieee_mode 1
		.amdhsa_fp16_overflow 0
		.amdhsa_workgroup_processor_mode 1
		.amdhsa_memory_ordered 1
		.amdhsa_forward_progress 1
		.amdhsa_shared_vgpr_count 0
		.amdhsa_exception_fp_ieee_invalid_op 0
		.amdhsa_exception_fp_denorm_src 0
		.amdhsa_exception_fp_ieee_div_zero 0
		.amdhsa_exception_fp_ieee_overflow 0
		.amdhsa_exception_fp_ieee_underflow 0
		.amdhsa_exception_fp_ieee_inexact 0
		.amdhsa_exception_int_div_zero 0
	.end_amdhsa_kernel
	.section	.text._ZL20rocblas_gemvn_kernelILi64ELi16ElPK19rocblas_complex_numIfES3_KPS1_EviiT3_lPKT2_lT1_lS9_lSA_lS6_lPT4_lSA_li,"axG",@progbits,_ZL20rocblas_gemvn_kernelILi64ELi16ElPK19rocblas_complex_numIfES3_KPS1_EviiT3_lPKT2_lT1_lS9_lSA_lS6_lPT4_lSA_li,comdat
.Lfunc_end303:
	.size	_ZL20rocblas_gemvn_kernelILi64ELi16ElPK19rocblas_complex_numIfES3_KPS1_EviiT3_lPKT2_lT1_lS9_lSA_lS6_lPT4_lSA_li, .Lfunc_end303-_ZL20rocblas_gemvn_kernelILi64ELi16ElPK19rocblas_complex_numIfES3_KPS1_EviiT3_lPKT2_lT1_lS9_lSA_lS6_lPT4_lSA_li
                                        ; -- End function
	.set _ZL20rocblas_gemvn_kernelILi64ELi16ElPK19rocblas_complex_numIfES3_KPS1_EviiT3_lPKT2_lT1_lS9_lSA_lS6_lPT4_lSA_li.num_vgpr, 69
	.set _ZL20rocblas_gemvn_kernelILi64ELi16ElPK19rocblas_complex_numIfES3_KPS1_EviiT3_lPKT2_lT1_lS9_lSA_lS6_lPT4_lSA_li.num_agpr, 0
	.set _ZL20rocblas_gemvn_kernelILi64ELi16ElPK19rocblas_complex_numIfES3_KPS1_EviiT3_lPKT2_lT1_lS9_lSA_lS6_lPT4_lSA_li.numbered_sgpr, 36
	.set _ZL20rocblas_gemvn_kernelILi64ELi16ElPK19rocblas_complex_numIfES3_KPS1_EviiT3_lPKT2_lT1_lS9_lSA_lS6_lPT4_lSA_li.num_named_barrier, 0
	.set _ZL20rocblas_gemvn_kernelILi64ELi16ElPK19rocblas_complex_numIfES3_KPS1_EviiT3_lPKT2_lT1_lS9_lSA_lS6_lPT4_lSA_li.private_seg_size, 0
	.set _ZL20rocblas_gemvn_kernelILi64ELi16ElPK19rocblas_complex_numIfES3_KPS1_EviiT3_lPKT2_lT1_lS9_lSA_lS6_lPT4_lSA_li.uses_vcc, 1
	.set _ZL20rocblas_gemvn_kernelILi64ELi16ElPK19rocblas_complex_numIfES3_KPS1_EviiT3_lPKT2_lT1_lS9_lSA_lS6_lPT4_lSA_li.uses_flat_scratch, 1
	.set _ZL20rocblas_gemvn_kernelILi64ELi16ElPK19rocblas_complex_numIfES3_KPS1_EviiT3_lPKT2_lT1_lS9_lSA_lS6_lPT4_lSA_li.has_dyn_sized_stack, 0
	.set _ZL20rocblas_gemvn_kernelILi64ELi16ElPK19rocblas_complex_numIfES3_KPS1_EviiT3_lPKT2_lT1_lS9_lSA_lS6_lPT4_lSA_li.has_recursion, 0
	.set _ZL20rocblas_gemvn_kernelILi64ELi16ElPK19rocblas_complex_numIfES3_KPS1_EviiT3_lPKT2_lT1_lS9_lSA_lS6_lPT4_lSA_li.has_indirect_call, 0
	.section	.AMDGPU.csdata,"",@progbits
; Kernel info:
; codeLenInByte = 3896
; TotalNumSgprs: 38
; NumVgprs: 69
; ScratchSize: 0
; MemoryBound: 0
; FloatMode: 240
; IeeeMode: 1
; LDSByteSize: 32768 bytes/workgroup (compile time only)
; SGPRBlocks: 0
; VGPRBlocks: 8
; NumSGPRsForWavesPerEU: 38
; NumVGPRsForWavesPerEU: 69
; Occupancy: 12
; WaveLimiterHint : 1
; COMPUTE_PGM_RSRC2:SCRATCH_EN: 0
; COMPUTE_PGM_RSRC2:USER_SGPR: 6
; COMPUTE_PGM_RSRC2:TRAP_HANDLER: 0
; COMPUTE_PGM_RSRC2:TGID_X_EN: 1
; COMPUTE_PGM_RSRC2:TGID_Y_EN: 0
; COMPUTE_PGM_RSRC2:TGID_Z_EN: 1
; COMPUTE_PGM_RSRC2:TIDIG_COMP_CNT: 1
	.section	.text._ZL20rocblas_gemvn_kernelILi64ELi16EiPK19rocblas_complex_numIfES1_KPS1_EviiT3_lPKT2_lT1_lS9_lSA_lS6_lPT4_lSA_li,"axG",@progbits,_ZL20rocblas_gemvn_kernelILi64ELi16EiPK19rocblas_complex_numIfES1_KPS1_EviiT3_lPKT2_lT1_lS9_lSA_lS6_lPT4_lSA_li,comdat
	.globl	_ZL20rocblas_gemvn_kernelILi64ELi16EiPK19rocblas_complex_numIfES1_KPS1_EviiT3_lPKT2_lT1_lS9_lSA_lS6_lPT4_lSA_li ; -- Begin function _ZL20rocblas_gemvn_kernelILi64ELi16EiPK19rocblas_complex_numIfES1_KPS1_EviiT3_lPKT2_lT1_lS9_lSA_lS6_lPT4_lSA_li
	.p2align	8
	.type	_ZL20rocblas_gemvn_kernelILi64ELi16EiPK19rocblas_complex_numIfES1_KPS1_EviiT3_lPKT2_lT1_lS9_lSA_lS6_lPT4_lSA_li,@function
_ZL20rocblas_gemvn_kernelILi64ELi16EiPK19rocblas_complex_numIfES1_KPS1_EviiT3_lPKT2_lT1_lS9_lSA_lS6_lPT4_lSA_li: ; @_ZL20rocblas_gemvn_kernelILi64ELi16EiPK19rocblas_complex_numIfES1_KPS1_EviiT3_lPKT2_lT1_lS9_lSA_lS6_lPT4_lSA_li
; %bb.0:
	s_load_dwordx2 s[2:3], s[4:5], 0x9c
	s_waitcnt lgkmcnt(0)
	s_lshr_b32 s1, s2, 16
	s_and_b32 s2, s2, 0xffff
	s_and_b32 s3, s3, 0xffff
	s_mul_i32 s1, s1, s2
	s_mul_i32 s1, s1, s3
	s_cmpk_lg_i32 s1, 0x400
	s_cbranch_scc1 .LBB304_53
; %bb.1:
	s_clause 0x1
	s_load_dwordx4 s[8:11], s[4:5], 0x0
	s_load_dwordx2 s[12:13], s[4:5], 0x58
	s_mov_b32 s0, s7
	s_waitcnt lgkmcnt(0)
	v_cmp_neq_f32_e64 s1, s10, 0
	v_cmp_neq_f32_e64 s2, s11, 0
	s_or_b32 s1, s1, s2
	s_and_b32 vcc_lo, exec_lo, s1
	s_mov_b32 s1, -1
	s_cbranch_vccnz .LBB304_3
; %bb.2:
	v_cmp_neq_f32_e64 s1, s12, 1.0
	v_cmp_neq_f32_e64 s2, s13, 0
	s_or_b32 s1, s1, s2
.LBB304_3:
	s_andn2_b32 vcc_lo, exec_lo, s1
	s_cbranch_vccnz .LBB304_53
; %bb.4:
	s_or_b32 s1, s10, s11
	s_bitset0_b32 s1, 31
	s_cmp_lg_u32 s1, 0
	s_cselect_b32 s3, -1, 0
	s_cmp_eq_u32 s1, 0
	s_mov_b32 s1, 0
	s_cselect_b32 s2, -1, 0
	s_and_b32 vcc_lo, exec_lo, s3
	s_cbranch_vccnz .LBB304_6
; %bb.5:
	s_mov_b32 s7, s1
	s_mov_b64 s[16:17], 0
	s_andn2_b32 vcc_lo, exec_lo, s7
	s_mov_b64 s[14:15], 0
	s_cbranch_vccz .LBB304_7
	s_branch .LBB304_8
.LBB304_6:
	s_mov_b64 s[16:17], 0
	s_mov_b64 s[14:15], 0
.LBB304_7:
	s_load_dwordx4 s[20:23], s[4:5], 0x18
	s_lshl_b64 s[14:15], s[0:1], 3
	s_waitcnt lgkmcnt(0)
	s_add_u32 s14, s20, s14
	s_addc_u32 s15, s21, s15
	s_lshl_b64 s[18:19], s[22:23], 3
	s_load_dwordx2 s[14:15], s[14:15], 0x0
	s_waitcnt lgkmcnt(0)
	s_add_u32 s14, s14, s18
	s_addc_u32 s15, s15, s19
.LBB304_8:
	s_andn2_b32 vcc_lo, exec_lo, s3
	s_cbranch_vccnz .LBB304_10
; %bb.9:
	s_load_dwordx4 s[16:19], s[4:5], 0x38
	s_lshl_b64 s[20:21], s[0:1], 3
	s_waitcnt lgkmcnt(0)
	s_add_u32 s16, s16, s20
	s_addc_u32 s17, s17, s21
	s_lshl_b64 s[18:19], s[18:19], 3
	s_load_dwordx2 s[16:17], s[16:17], 0x0
	s_waitcnt lgkmcnt(0)
	s_add_u32 s16, s16, s18
	s_addc_u32 s17, s17, s19
.LBB304_10:
	s_clause 0x1
	s_load_dwordx4 s[20:23], s[4:5], 0x68
	s_load_dword s19, s[4:5], 0x78
	s_lshl_b64 s[0:1], s[0:1], 3
	v_lshlrev_b32_e32 v54, 6, v1
	v_add_nc_u32_e32 v53, v54, v0
	s_waitcnt lgkmcnt(0)
	s_add_u32 s0, s20, s0
	s_addc_u32 s1, s21, s1
	s_lshl_b64 s[22:23], s[22:23], 3
	s_load_dwordx2 s[20:21], s[0:1], 0x0
	v_cmp_gt_u32_e64 s0, 0x100, v53
	s_mov_b32 s1, -1
	s_waitcnt lgkmcnt(0)
	s_add_u32 s7, s20, s22
	s_addc_u32 s18, s21, s23
	s_andn2_b32 vcc_lo, exec_lo, s2
	s_cbranch_vccnz .LBB304_17
; %bb.11:
	s_and_saveexec_b32 s1, s0
	s_cbranch_execz .LBB304_16
; %bb.12:
	v_lshl_or_b32 v2, s6, 8, v53
	v_mov_b32_e32 v3, 0
	s_ashr_i32 s3, s8, 31
	s_mov_b32 s2, s8
	v_cmp_gt_i64_e32 vcc_lo, s[2:3], v[2:3]
	s_and_b32 exec_lo, exec_lo, vcc_lo
	s_cbranch_execz .LBB304_16
; %bb.13:
	v_mad_u64_u32 v[4:5], null, s19, v2, 0
	s_ashr_i32 s3, s19, 31
	v_cmp_neq_f32_e64 s0, s12, 0
	v_cmp_neq_f32_e64 s2, s13, 0
	v_mad_u64_u32 v[5:6], null, s3, v2, v[5:6]
	v_mov_b32_e32 v6, v3
	s_or_b32 s0, s0, s2
	s_andn2_b32 vcc_lo, exec_lo, s0
	v_lshlrev_b64 v[4:5], 3, v[4:5]
	s_cbranch_vccnz .LBB304_15
; %bb.14:
	v_add_co_u32 v2, vcc_lo, s7, v4
	v_add_co_ci_u32_e64 v3, null, s18, v5, vcc_lo
	flat_load_dwordx2 v[2:3], v[2:3]
	s_waitcnt vmcnt(0) lgkmcnt(0)
	v_mul_f32_e32 v7, s13, v3
	v_mul_f32_e32 v6, s12, v3
	v_fma_f32 v3, s12, v2, -v7
	v_fmac_f32_e32 v6, s13, v2
.LBB304_15:
	v_add_co_u32 v7, vcc_lo, s7, v4
	v_add_co_ci_u32_e64 v8, null, s18, v5, vcc_lo
	v_mov_b32_e32 v5, v3
	flat_store_dwordx2 v[7:8], v[5:6]
.LBB304_16:
	s_or_b32 exec_lo, exec_lo, s1
	s_mov_b32 s1, 0
.LBB304_17:
	s_andn2_b32 vcc_lo, exec_lo, s1
	s_cbranch_vccnz .LBB304_53
; %bb.18:
	s_clause 0x1
	s_load_dword s20, s[4:5], 0x28
	s_load_dword s4, s[4:5], 0x48
	s_ashr_i32 s0, s9, 31
	s_lshl_b32 s5, s6, 8
	s_lshr_b32 s0, s0, 26
	v_lshlrev_b32_e32 v56, 2, v1
	v_add_nc_u32_e32 v55, s5, v0
	v_mov_b32_e32 v3, 0
	v_mov_b32_e32 v2, 0
	;; [unrolled: 1-line block ×8, first 2 shown]
	s_add_i32 s0, s9, s0
	s_mov_b32 s21, exec_lo
	s_and_b32 s6, s0, 0xffffffc0
	v_cmpx_gt_i32_e64 s6, v56
	s_cbranch_execz .LBB304_30
; %bb.19:
	s_waitcnt lgkmcnt(0)
	v_mul_lo_u32 v3, s20, v56
	v_add_nc_u32_e32 v2, 64, v55
	v_add_nc_u32_e32 v4, 0x80, v55
	;; [unrolled: 1-line block ×3, first 2 shown]
	s_lshl_b32 s22, s20, 6
	s_lshl_b32 s24, s4, 6
	v_cmp_gt_i32_e64 s0, s8, v2
	v_add_nc_u32_e32 v2, 2, v56
	v_add3_u32 v57, v3, s20, v0
	v_mul_lo_u32 v3, v1, s20
	v_cmp_gt_i32_e64 s1, s8, v4
	v_add_nc_u32_e32 v4, 3, v56
	v_cmp_gt_i32_e64 s2, s8, v5
	v_mul_lo_u32 v5, v1, s4
	v_mad_u64_u32 v[10:11], null, s20, v2, v[0:1]
	v_mad_u64_u32 v[11:12], null, s20, v4, v[0:1]
	v_lshl_add_u32 v58, v3, 2, v0
	v_mov_b32_e32 v3, 0
	v_mad_u64_u32 v[12:13], null, s4, v56, s[4:5]
	v_mul_lo_u32 v59, s4, v2
	v_mul_lo_u32 v60, s4, v4
	v_lshlrev_b32_e32 v61, 2, v5
	v_mov_b32_e32 v2, v3
	v_mov_b32_e32 v5, v3
	;; [unrolled: 1-line block ×7, first 2 shown]
	s_mov_b32 s23, 0
	s_mov_b32 s25, 0
	v_cmp_gt_i32_e32 vcc_lo, s8, v55
	s_branch .LBB304_24
.LBB304_20:                             ;   in Loop: Header=BB304_24 Depth=1
	s_or_b32 exec_lo, exec_lo, s28
	s_waitcnt vmcnt(3) lgkmcnt(3)
	v_mul_f32_e32 v45, v26, v44
	v_mul_f32_e32 v44, v25, v44
	s_waitcnt vmcnt(2) lgkmcnt(2)
	v_mul_f32_e32 v46, v22, v42
	v_mul_f32_e32 v42, v21, v42
	s_waitcnt vmcnt(1) lgkmcnt(1)
	v_mul_f32_e32 v47, v16, v40
	v_fma_f32 v45, v25, v43, -v45
	v_fmac_f32_e32 v44, v26, v43
	v_mul_f32_e32 v40, v15, v40
	v_fma_f32 v46, v21, v41, -v46
	v_fmac_f32_e32 v42, v22, v41
	v_add_f32_e32 v4, v4, v45
	v_add_f32_e32 v5, v5, v44
	s_waitcnt vmcnt(0) lgkmcnt(0)
	v_mul_f32_e32 v43, v14, v38
	v_mul_f32_e32 v38, v13, v38
	v_fma_f32 v41, v15, v39, -v47
	v_add_f32_e32 v4, v46, v4
	v_fmac_f32_e32 v40, v16, v39
	v_add_f32_e32 v5, v42, v5
	v_fma_f32 v39, v13, v37, -v43
	v_fmac_f32_e32 v38, v14, v37
	v_add_f32_e32 v4, v41, v4
	v_add_f32_e32 v5, v40, v5
	v_add_f32_e32 v4, v39, v4
	v_add_f32_e32 v5, v38, v5
.LBB304_21:                             ;   in Loop: Header=BB304_24 Depth=1
	s_or_b32 exec_lo, exec_lo, s27
	s_waitcnt vmcnt(3) lgkmcnt(3)
	v_mul_f32_e32 v37, v26, v36
	v_mul_f32_e32 v36, v25, v36
	s_waitcnt vmcnt(2) lgkmcnt(2)
	v_mul_f32_e32 v38, v22, v34
	v_mul_f32_e32 v34, v21, v34
	s_waitcnt vmcnt(1) lgkmcnt(1)
	v_mul_f32_e32 v39, v16, v32
	v_fma_f32 v37, v25, v35, -v37
	v_fmac_f32_e32 v36, v26, v35
	v_mul_f32_e32 v32, v15, v32
	v_fma_f32 v38, v21, v33, -v38
	v_fmac_f32_e32 v34, v22, v33
	v_add_f32_e32 v6, v6, v37
	v_add_f32_e32 v7, v7, v36
	s_waitcnt vmcnt(0) lgkmcnt(0)
	v_mul_f32_e32 v35, v14, v30
	v_mul_f32_e32 v30, v13, v30
	v_fma_f32 v33, v15, v31, -v39
	v_add_f32_e32 v6, v38, v6
	v_fmac_f32_e32 v32, v16, v31
	v_add_f32_e32 v7, v34, v7
	v_fma_f32 v31, v13, v29, -v35
	v_fmac_f32_e32 v30, v14, v29
	v_add_f32_e32 v6, v33, v6
	v_add_f32_e32 v7, v32, v7
	;; [unrolled: 1-line block ×4, first 2 shown]
.LBB304_22:                             ;   in Loop: Header=BB304_24 Depth=1
	s_or_b32 exec_lo, exec_lo, s3
	s_waitcnt vmcnt(3) lgkmcnt(3)
	v_mul_f32_e32 v29, v26, v28
	v_mul_f32_e32 v28, v25, v28
	s_waitcnt vmcnt(2) lgkmcnt(2)
	v_mul_f32_e32 v30, v22, v24
	v_mul_f32_e32 v24, v21, v24
	s_waitcnt vmcnt(1) lgkmcnt(1)
	v_mul_f32_e32 v31, v16, v20
	v_fma_f32 v25, v25, v27, -v29
	v_fmac_f32_e32 v28, v26, v27
	v_mul_f32_e32 v20, v15, v20
	v_fma_f32 v21, v21, v23, -v30
	v_fmac_f32_e32 v24, v22, v23
	v_add_f32_e32 v8, v8, v25
	v_add_f32_e32 v9, v9, v28
	s_waitcnt vmcnt(0) lgkmcnt(0)
	v_mul_f32_e32 v26, v14, v18
	v_mul_f32_e32 v18, v13, v18
	v_fma_f32 v15, v15, v19, -v31
	v_add_f32_e32 v8, v21, v8
	v_fmac_f32_e32 v20, v16, v19
	v_add_f32_e32 v9, v24, v9
	v_fma_f32 v13, v13, v17, -v26
	v_fmac_f32_e32 v18, v14, v17
	v_add_f32_e32 v8, v15, v8
	v_add_f32_e32 v9, v20, v9
	;; [unrolled: 1-line block ×4, first 2 shown]
.LBB304_23:                             ;   in Loop: Header=BB304_24 Depth=1
	s_or_b32 exec_lo, exec_lo, s26
	v_add_nc_u32_e32 v56, 64, v56
	v_add_nc_u32_e32 v57, s22, v57
	;; [unrolled: 1-line block ×5, first 2 shown]
	v_cmp_le_i32_e64 s3, s6, v56
	s_add_i32 s25, s25, s24
	s_or_b32 s23, s3, s23
	s_andn2_b32 exec_lo, exec_lo, s23
	s_cbranch_execz .LBB304_29
.LBB304_24:                             ; =>This Inner Loop Header: Depth=1
	s_and_saveexec_b32 s26, vcc_lo
	s_cbranch_execz .LBB304_23
; %bb.25:                               ;   in Loop: Header=BB304_24 Depth=1
	v_add_nc_u32_e32 v13, s25, v61
	v_add_nc_u32_e32 v15, s25, v12
	;; [unrolled: 1-line block ×5, first 2 shown]
	v_ashrrev_i32_e32 v14, 31, v13
	v_ashrrev_i32_e32 v16, 31, v15
	v_ashrrev_i32_e32 v18, 31, v17
	v_add_nc_u32_e32 v23, s5, v57
	v_ashrrev_i32_e32 v20, 31, v19
	v_lshlrev_b64 v[13:14], 3, v[13:14]
	v_lshlrev_b64 v[15:16], 3, v[15:16]
	v_ashrrev_i32_e32 v22, 31, v21
	v_lshlrev_b64 v[17:18], 3, v[17:18]
	v_ashrrev_i32_e32 v24, 31, v23
	v_lshlrev_b64 v[19:20], 3, v[19:20]
	v_add_co_u32 v13, s3, s16, v13
	v_add_nc_u32_e32 v25, s5, v10
	v_add_co_ci_u32_e64 v14, null, s17, v14, s3
	v_add_co_u32 v15, s3, s16, v15
	v_lshlrev_b64 v[21:22], 3, v[21:22]
	v_add_nc_u32_e32 v27, s5, v11
	v_add_co_ci_u32_e64 v16, null, s17, v16, s3
	v_add_co_u32 v17, s3, s16, v17
	v_lshlrev_b64 v[23:24], 3, v[23:24]
	v_ashrrev_i32_e32 v26, 31, v25
	v_add_co_ci_u32_e64 v18, null, s17, v18, s3
	v_add_co_u32 v19, s3, s16, v19
	v_ashrrev_i32_e32 v28, 31, v27
	v_add_co_ci_u32_e64 v20, null, s17, v20, s3
	v_add_co_u32 v51, s3, s14, v21
	v_add_co_ci_u32_e64 v52, null, s15, v22, s3
	v_lshlrev_b64 v[21:22], 3, v[25:26]
	v_add_co_u32 v49, s3, s14, v23
	v_add_co_ci_u32_e64 v50, null, s15, v24, s3
	v_lshlrev_b64 v[23:24], 3, v[27:28]
	v_add_co_u32 v47, s3, s14, v21
	v_add_co_ci_u32_e64 v48, null, s15, v22, s3
	v_add_co_u32 v45, s3, s14, v23
	v_add_co_ci_u32_e64 v46, null, s15, v24, s3
	s_clause 0x3
	flat_load_dwordx2 v[25:26], v[13:14]
	flat_load_dwordx2 v[21:22], v[15:16]
	;; [unrolled: 1-line block ×4, first 2 shown]
	s_clause 0x3
	flat_load_dwordx2 v[27:28], v[51:52]
	flat_load_dwordx2 v[23:24], v[49:50]
	;; [unrolled: 1-line block ×4, first 2 shown]
	s_and_saveexec_b32 s3, s0
	s_cbranch_execz .LBB304_22
; %bb.26:                               ;   in Loop: Header=BB304_24 Depth=1
	s_clause 0x3
	flat_load_dwordx2 v[35:36], v[51:52] offset:512
	flat_load_dwordx2 v[33:34], v[49:50] offset:512
	flat_load_dwordx2 v[31:32], v[47:48] offset:512
	flat_load_dwordx2 v[29:30], v[45:46] offset:512
	s_and_saveexec_b32 s27, s1
	s_cbranch_execz .LBB304_21
; %bb.27:                               ;   in Loop: Header=BB304_24 Depth=1
	s_clause 0x3
	flat_load_dwordx2 v[43:44], v[51:52] offset:1024
	flat_load_dwordx2 v[41:42], v[49:50] offset:1024
	flat_load_dwordx2 v[39:40], v[47:48] offset:1024
	flat_load_dwordx2 v[37:38], v[45:46] offset:1024
	;; [unrolled: 8-line block ×3, first 2 shown]
	s_waitcnt vmcnt(3) lgkmcnt(3)
	v_mul_f32_e32 v62, v26, v52
	v_mul_f32_e32 v52, v25, v52
	s_waitcnt vmcnt(2) lgkmcnt(2)
	v_mul_f32_e32 v63, v22, v50
	v_mul_f32_e32 v50, v21, v50
	s_waitcnt vmcnt(1) lgkmcnt(1)
	v_mul_f32_e32 v64, v16, v48
	v_fma_f32 v62, v25, v51, -v62
	v_fmac_f32_e32 v52, v26, v51
	v_mul_f32_e32 v48, v15, v48
	v_fma_f32 v63, v21, v49, -v63
	v_fmac_f32_e32 v50, v22, v49
	v_add_f32_e32 v2, v2, v62
	v_add_f32_e32 v3, v3, v52
	s_waitcnt vmcnt(0) lgkmcnt(0)
	v_mul_f32_e32 v51, v14, v46
	v_mul_f32_e32 v46, v13, v46
	v_fma_f32 v49, v15, v47, -v64
	v_fmac_f32_e32 v48, v16, v47
	v_add_f32_e32 v2, v63, v2
	v_add_f32_e32 v3, v50, v3
	v_fma_f32 v47, v13, v45, -v51
	v_fmac_f32_e32 v46, v14, v45
	v_add_f32_e32 v2, v49, v2
	v_add_f32_e32 v3, v48, v3
	;; [unrolled: 1-line block ×4, first 2 shown]
	s_branch .LBB304_20
.LBB304_29:
	s_or_b32 exec_lo, exec_lo, s23
.LBB304_30:
	s_or_b32 exec_lo, exec_lo, s21
	s_sub_i32 s0, s9, s6
	s_cmp_lt_i32 s0, 1
	s_cbranch_scc1 .LBB304_48
; %bb.31:
	v_cmp_gt_i32_e32 vcc_lo, s9, v56
	v_mov_b32_e32 v10, 0
	v_or_b32_e32 v18, 1, v56
	v_mov_b32_e32 v11, 0
	v_mov_b32_e32 v12, 0
	;; [unrolled: 1-line block ×7, first 2 shown]
	s_and_saveexec_b32 s1, vcc_lo
	s_cbranch_execz .LBB304_39
; %bb.32:
	s_waitcnt lgkmcnt(0)
	v_mul_lo_u32 v10, v56, s4
	v_mov_b32_e32 v17, 0
	v_mov_b32_e32 v16, 0
	;; [unrolled: 1-line block ×6, first 2 shown]
	s_mov_b32 s2, exec_lo
	v_ashrrev_i32_e32 v11, 31, v10
	v_lshlrev_b64 v[10:11], 3, v[10:11]
	v_add_co_u32 v10, s0, s16, v10
	v_add_co_ci_u32_e64 v11, null, s17, v11, s0
	flat_load_dwordx2 v[10:11], v[10:11]
	v_cmpx_gt_i32_e64 s9, v18
	s_cbranch_execz .LBB304_38
; %bb.33:
	v_mul_lo_u32 v12, v18, s4
	v_or_b32_e32 v19, 2, v56
	v_mov_b32_e32 v17, 0
	v_mov_b32_e32 v16, 0
	;; [unrolled: 1-line block ×4, first 2 shown]
	s_mov_b32 s3, exec_lo
	v_ashrrev_i32_e32 v13, 31, v12
	v_lshlrev_b64 v[12:13], 3, v[12:13]
	v_add_co_u32 v12, s0, s16, v12
	v_add_co_ci_u32_e64 v13, null, s17, v13, s0
	flat_load_dwordx2 v[12:13], v[12:13]
	v_cmpx_gt_i32_e64 s9, v19
	s_cbranch_execz .LBB304_37
; %bb.34:
	v_mul_lo_u32 v14, v19, s4
	v_or_b32_e32 v19, 3, v56
	v_mov_b32_e32 v17, 0
	v_mov_b32_e32 v16, 0
	s_mov_b32 s6, exec_lo
	v_ashrrev_i32_e32 v15, 31, v14
	v_lshlrev_b64 v[14:15], 3, v[14:15]
	v_add_co_u32 v14, s0, s16, v14
	v_add_co_ci_u32_e64 v15, null, s17, v15, s0
	flat_load_dwordx2 v[14:15], v[14:15]
	v_cmpx_gt_i32_e64 s9, v19
	s_cbranch_execz .LBB304_36
; %bb.35:
	v_mul_lo_u32 v16, v19, s4
	v_ashrrev_i32_e32 v17, 31, v16
	v_lshlrev_b64 v[16:17], 3, v[16:17]
	v_add_co_u32 v16, s0, s16, v16
	v_add_co_ci_u32_e64 v17, null, s17, v17, s0
	flat_load_dwordx2 v[16:17], v[16:17]
.LBB304_36:
	s_or_b32 exec_lo, exec_lo, s6
.LBB304_37:
	s_or_b32 exec_lo, exec_lo, s3
.LBB304_38:
	s_or_b32 exec_lo, exec_lo, s2
.LBB304_39:
	s_or_b32 exec_lo, exec_lo, s1
	s_mov_b32 s1, exec_lo
	v_cmpx_gt_i32_e64 s8, v55
	s_cbranch_execz .LBB304_47
; %bb.40:
	s_waitcnt lgkmcnt(0)
	v_mul_lo_u32 v19, v56, s20
	v_mul_lo_u32 v20, v18, s20
	v_or_b32_e32 v21, 2, v56
	v_or_b32_e32 v22, 3, v56
	s_mov_b32 s0, exec_lo
	v_mul_lo_u32 v23, v21, s20
	v_cndmask_b32_e32 v19, 0, v19, vcc_lo
	v_cmp_gt_i32_e32 vcc_lo, s9, v18
	v_mul_lo_u32 v24, v22, s20
	v_add_nc_u32_e32 v18, v19, v55
	v_cndmask_b32_e32 v20, 0, v20, vcc_lo
	v_cmp_gt_i32_e32 vcc_lo, s9, v21
	v_ashrrev_i32_e32 v19, 31, v18
	v_add_nc_u32_e32 v20, v20, v55
	v_cndmask_b32_e32 v23, 0, v23, vcc_lo
	v_cmp_gt_i32_e32 vcc_lo, s9, v22
	v_lshlrev_b64 v[18:19], 3, v[18:19]
	v_ashrrev_i32_e32 v21, 31, v20
	v_add_nc_u32_e32 v22, v23, v55
	v_cndmask_b32_e32 v24, 0, v24, vcc_lo
	v_lshlrev_b64 v[20:21], 3, v[20:21]
	v_ashrrev_i32_e32 v23, 31, v22
	v_add_nc_u32_e32 v26, v24, v55
	v_add_co_u32 v24, vcc_lo, s14, v18
	v_add_co_ci_u32_e64 v25, null, s15, v19, vcc_lo
	v_ashrrev_i32_e32 v27, 31, v26
	v_add_co_u32 v20, vcc_lo, s14, v20
	v_add_co_ci_u32_e64 v21, null, s15, v21, vcc_lo
	v_lshlrev_b64 v[18:19], 3, v[22:23]
	v_lshlrev_b64 v[26:27], 3, v[26:27]
	s_clause 0x1
	flat_load_dwordx2 v[28:29], v[24:25]
	flat_load_dwordx2 v[30:31], v[20:21]
	v_add_co_u32 v22, vcc_lo, s14, v18
	v_add_co_ci_u32_e64 v23, null, s15, v19, vcc_lo
	v_add_co_u32 v18, vcc_lo, s14, v26
	v_add_co_ci_u32_e64 v19, null, s15, v27, vcc_lo
	s_clause 0x1
	flat_load_dwordx2 v[26:27], v[22:23]
	flat_load_dwordx2 v[32:33], v[18:19]
	s_waitcnt vmcnt(3) lgkmcnt(3)
	v_mul_f32_e32 v34, v11, v29
	v_mul_f32_e32 v29, v10, v29
	s_waitcnt vmcnt(2) lgkmcnt(2)
	v_mul_f32_e32 v35, v13, v31
	v_mul_f32_e32 v31, v12, v31
	v_fma_f32 v34, v10, v28, -v34
	v_fmac_f32_e32 v29, v11, v28
	v_fma_f32 v28, v12, v30, -v35
	v_fmac_f32_e32 v31, v13, v30
	v_add_f32_e32 v8, v8, v34
	v_add_f32_e32 v29, v9, v29
	s_waitcnt vmcnt(1) lgkmcnt(1)
	v_mul_f32_e32 v30, v15, v27
	v_mul_f32_e32 v27, v14, v27
	s_waitcnt vmcnt(0) lgkmcnt(0)
	v_mul_f32_e32 v35, v17, v33
	v_mul_f32_e32 v9, v16, v33
	v_fma_f32 v30, v14, v26, -v30
	v_fmac_f32_e32 v27, v15, v26
	v_add_f32_e32 v26, v28, v8
	v_add_f32_e32 v28, v31, v29
	v_add_nc_u32_e32 v29, 64, v55
	v_fma_f32 v8, v16, v32, -v35
	v_fmac_f32_e32 v9, v17, v32
	v_add_f32_e32 v26, v30, v26
	v_add_f32_e32 v27, v27, v28
	v_cmpx_gt_i32_e64 s8, v29
	s_cbranch_execz .LBB304_46
; %bb.41:
	s_clause 0x3
	flat_load_dwordx2 v[28:29], v[24:25] offset:512
	flat_load_dwordx2 v[30:31], v[20:21] offset:512
	;; [unrolled: 1-line block ×4, first 2 shown]
	s_mov_b32 s2, exec_lo
	s_waitcnt vmcnt(3) lgkmcnt(3)
	v_mul_f32_e32 v36, v11, v29
	v_mul_f32_e32 v29, v10, v29
	s_waitcnt vmcnt(2) lgkmcnt(2)
	v_mul_f32_e32 v37, v13, v31
	v_mul_f32_e32 v31, v12, v31
	s_waitcnt vmcnt(1) lgkmcnt(1)
	v_mul_f32_e32 v38, v15, v33
	v_fma_f32 v36, v10, v28, -v36
	v_fmac_f32_e32 v29, v11, v28
	v_mul_f32_e32 v33, v14, v33
	v_fma_f32 v37, v12, v30, -v37
	v_fmac_f32_e32 v31, v13, v30
	v_add_f32_e32 v6, v6, v36
	v_add_f32_e32 v29, v7, v29
	s_waitcnt vmcnt(0) lgkmcnt(0)
	v_mul_f32_e32 v28, v17, v35
	v_mul_f32_e32 v7, v16, v35
	v_fma_f32 v30, v14, v32, -v38
	v_fmac_f32_e32 v33, v15, v32
	v_add_f32_e32 v32, v37, v6
	v_add_f32_e32 v29, v31, v29
	v_add_nc_u32_e32 v31, 0x80, v55
	v_fma_f32 v6, v16, v34, -v28
	v_fmac_f32_e32 v7, v17, v34
	v_add_f32_e32 v28, v30, v32
	v_add_f32_e32 v29, v33, v29
	v_cmpx_gt_i32_e64 s8, v31
	s_cbranch_execz .LBB304_45
; %bb.42:
	s_clause 0x3
	flat_load_dwordx2 v[30:31], v[24:25] offset:1024
	flat_load_dwordx2 v[32:33], v[20:21] offset:1024
	;; [unrolled: 1-line block ×4, first 2 shown]
	s_mov_b32 s3, exec_lo
	s_waitcnt vmcnt(3) lgkmcnt(3)
	v_mul_f32_e32 v38, v11, v31
	v_mul_f32_e32 v31, v10, v31
	s_waitcnt vmcnt(2) lgkmcnt(2)
	v_mul_f32_e32 v39, v13, v33
	v_mul_f32_e32 v33, v12, v33
	s_waitcnt vmcnt(1) lgkmcnt(1)
	v_mul_f32_e32 v40, v15, v35
	v_fma_f32 v38, v10, v30, -v38
	v_fmac_f32_e32 v31, v11, v30
	v_mul_f32_e32 v35, v14, v35
	v_fma_f32 v39, v12, v32, -v39
	v_fmac_f32_e32 v33, v13, v32
	v_add_f32_e32 v4, v4, v38
	v_add_f32_e32 v31, v5, v31
	s_waitcnt vmcnt(0) lgkmcnt(0)
	v_mul_f32_e32 v30, v17, v37
	v_mul_f32_e32 v5, v16, v37
	v_fma_f32 v32, v14, v34, -v40
	v_fmac_f32_e32 v35, v15, v34
	v_add_f32_e32 v34, v39, v4
	v_add_f32_e32 v31, v33, v31
	v_add_nc_u32_e32 v33, 0xc0, v55
	v_fma_f32 v4, v16, v36, -v30
	v_fmac_f32_e32 v5, v17, v36
	v_add_f32_e32 v30, v32, v34
	v_add_f32_e32 v31, v35, v31
	v_cmpx_gt_i32_e64 s8, v33
	s_cbranch_execz .LBB304_44
; %bb.43:
	s_clause 0x3
	flat_load_dwordx2 v[24:25], v[24:25] offset:1536
	flat_load_dwordx2 v[20:21], v[20:21] offset:1536
	flat_load_dwordx2 v[22:23], v[22:23] offset:1536
	flat_load_dwordx2 v[18:19], v[18:19] offset:1536
	s_waitcnt vmcnt(3) lgkmcnt(3)
	v_mul_f32_e32 v32, v11, v25
	v_mul_f32_e32 v25, v10, v25
	s_waitcnt vmcnt(2) lgkmcnt(2)
	v_mul_f32_e32 v33, v13, v21
	v_mul_f32_e32 v21, v12, v21
	s_waitcnt vmcnt(1) lgkmcnt(1)
	v_mul_f32_e32 v34, v15, v23
	v_fma_f32 v10, v10, v24, -v32
	v_fmac_f32_e32 v25, v11, v24
	v_mul_f32_e32 v23, v14, v23
	v_fma_f32 v12, v12, v20, -v33
	v_fmac_f32_e32 v21, v13, v20
	v_add_f32_e32 v2, v2, v10
	v_add_f32_e32 v3, v3, v25
	s_waitcnt vmcnt(0) lgkmcnt(0)
	v_mul_f32_e32 v11, v17, v19
	v_mul_f32_e32 v10, v16, v19
	v_fma_f32 v13, v14, v22, -v34
	v_fmac_f32_e32 v23, v15, v22
	v_add_f32_e32 v2, v12, v2
	v_add_f32_e32 v3, v21, v3
	v_fma_f32 v11, v16, v18, -v11
	v_fmac_f32_e32 v10, v17, v18
	v_add_f32_e32 v2, v13, v2
	v_add_f32_e32 v3, v23, v3
	;; [unrolled: 1-line block ×4, first 2 shown]
.LBB304_44:
	s_or_b32 exec_lo, exec_lo, s3
	v_add_f32_e32 v4, v4, v30
	v_add_f32_e32 v5, v5, v31
.LBB304_45:
	s_or_b32 exec_lo, exec_lo, s2
	v_add_f32_e32 v6, v6, v28
	v_add_f32_e32 v7, v7, v29
.LBB304_46:
	s_or_b32 exec_lo, exec_lo, s0
	v_add_f32_e32 v8, v8, v26
	v_add_f32_e32 v9, v9, v27
.LBB304_47:
	s_or_b32 exec_lo, exec_lo, s1
.LBB304_48:
	v_lshlrev_b32_e32 v0, 3, v0
	s_mov_b32 s0, exec_lo
	v_lshl_add_u32 v1, v1, 11, v0
	ds_write2st64_b64 v1, v[8:9], v[6:7] offset1:1
	ds_write2st64_b64 v1, v[4:5], v[2:3] offset0:2 offset1:3
	s_waitcnt vmcnt(0) lgkmcnt(0)
	s_waitcnt_vscnt null, 0x0
	s_barrier
	buffer_gl0_inv
	v_cmpx_gt_u32_e32 0x100, v53
	s_cbranch_execz .LBB304_53
; %bb.49:
	v_lshl_add_u32 v12, v54, 3, v0
	ds_read2st64_b64 v[0:3], v12 offset1:4
	ds_read2st64_b64 v[4:7], v12 offset0:8 offset1:12
	ds_read2st64_b64 v[8:11], v12 offset0:16 offset1:20
	s_waitcnt lgkmcnt(2)
	v_add_f32_e32 v13, v0, v2
	v_add_f32_e32 v14, v1, v3
	ds_read2st64_b64 v[0:3], v12 offset0:24 offset1:28
	s_waitcnt lgkmcnt(2)
	v_add_f32_e32 v4, v13, v4
	v_add_f32_e32 v5, v14, v5
	v_add_f32_e32 v13, v4, v6
	v_add_f32_e32 v14, v5, v7
	ds_read2st64_b64 v[4:7], v12 offset0:32 offset1:36
	s_waitcnt lgkmcnt(2)
	v_add_f32_e32 v8, v13, v8
	v_add_f32_e32 v9, v14, v9
	;; [unrolled: 6-line block ×5, first 2 shown]
	v_add_f32_e32 v8, v8, v10
	v_add_f32_e32 v9, v9, v11
	s_waitcnt lgkmcnt(1)
	v_add_f32_e32 v0, v8, v0
	v_add_f32_e32 v1, v9, v1
	;; [unrolled: 1-line block ×4, first 2 shown]
	s_waitcnt lgkmcnt(0)
	v_add_f32_e32 v2, v0, v4
	v_add_f32_e32 v1, v1, v5
	v_or_b32_e32 v0, s5, v53
	v_add_f32_e32 v2, v2, v6
	v_add_f32_e32 v3, v1, v7
	v_cmp_gt_i32_e32 vcc_lo, s8, v0
	ds_write_b64 v12, v[2:3]
	s_and_b32 exec_lo, exec_lo, vcc_lo
	s_cbranch_execz .LBB304_53
; %bb.50:
	v_mul_lo_u32 v4, s19, v0
	v_mul_f32_e32 v0, s11, v3
	v_mul_f32_e32 v1, s10, v3
	v_cmp_neq_f32_e64 s0, s12, 0
	v_cmp_neq_f32_e64 s1, s13, 0
	v_fma_f32 v0, v2, s10, -v0
	v_fmac_f32_e32 v1, s11, v2
	v_ashrrev_i32_e32 v5, 31, v4
	s_or_b32 s0, s0, s1
	s_andn2_b32 vcc_lo, exec_lo, s0
	v_lshlrev_b64 v[3:4], 3, v[4:5]
	s_cbranch_vccnz .LBB304_52
; %bb.51:
	v_add_co_u32 v5, vcc_lo, s7, v3
	v_add_co_ci_u32_e64 v6, null, s18, v4, vcc_lo
	flat_load_dwordx2 v[5:6], v[5:6]
	s_waitcnt vmcnt(0) lgkmcnt(0)
	v_mul_f32_e32 v2, s13, v6
	v_mul_f32_e32 v6, s12, v6
	v_fma_f32 v2, s12, v5, -v2
	v_fmac_f32_e32 v6, s13, v5
	v_add_f32_e32 v0, v0, v2
	v_add_f32_e32 v1, v1, v6
.LBB304_52:
	v_add_co_u32 v2, vcc_lo, s7, v3
	v_add_co_ci_u32_e64 v3, null, s18, v4, vcc_lo
	flat_store_dwordx2 v[2:3], v[0:1]
.LBB304_53:
	s_endpgm
	.section	.rodata,"a",@progbits
	.p2align	6, 0x0
	.amdhsa_kernel _ZL20rocblas_gemvn_kernelILi64ELi16EiPK19rocblas_complex_numIfES1_KPS1_EviiT3_lPKT2_lT1_lS9_lSA_lS6_lPT4_lSA_li
		.amdhsa_group_segment_fixed_size 32768
		.amdhsa_private_segment_fixed_size 0
		.amdhsa_kernarg_size 400
		.amdhsa_user_sgpr_count 6
		.amdhsa_user_sgpr_private_segment_buffer 1
		.amdhsa_user_sgpr_dispatch_ptr 0
		.amdhsa_user_sgpr_queue_ptr 0
		.amdhsa_user_sgpr_kernarg_segment_ptr 1
		.amdhsa_user_sgpr_dispatch_id 0
		.amdhsa_user_sgpr_flat_scratch_init 0
		.amdhsa_user_sgpr_private_segment_size 0
		.amdhsa_wavefront_size32 1
		.amdhsa_uses_dynamic_stack 0
		.amdhsa_system_sgpr_private_segment_wavefront_offset 0
		.amdhsa_system_sgpr_workgroup_id_x 1
		.amdhsa_system_sgpr_workgroup_id_y 0
		.amdhsa_system_sgpr_workgroup_id_z 1
		.amdhsa_system_sgpr_workgroup_info 0
		.amdhsa_system_vgpr_workitem_id 1
		.amdhsa_next_free_vgpr 65
		.amdhsa_next_free_sgpr 29
		.amdhsa_reserve_vcc 1
		.amdhsa_reserve_flat_scratch 1
		.amdhsa_float_round_mode_32 0
		.amdhsa_float_round_mode_16_64 0
		.amdhsa_float_denorm_mode_32 3
		.amdhsa_float_denorm_mode_16_64 3
		.amdhsa_dx10_clamp 1
		.amdhsa_ieee_mode 1
		.amdhsa_fp16_overflow 0
		.amdhsa_workgroup_processor_mode 1
		.amdhsa_memory_ordered 1
		.amdhsa_forward_progress 1
		.amdhsa_shared_vgpr_count 0
		.amdhsa_exception_fp_ieee_invalid_op 0
		.amdhsa_exception_fp_denorm_src 0
		.amdhsa_exception_fp_ieee_div_zero 0
		.amdhsa_exception_fp_ieee_overflow 0
		.amdhsa_exception_fp_ieee_underflow 0
		.amdhsa_exception_fp_ieee_inexact 0
		.amdhsa_exception_int_div_zero 0
	.end_amdhsa_kernel
	.section	.text._ZL20rocblas_gemvn_kernelILi64ELi16EiPK19rocblas_complex_numIfES1_KPS1_EviiT3_lPKT2_lT1_lS9_lSA_lS6_lPT4_lSA_li,"axG",@progbits,_ZL20rocblas_gemvn_kernelILi64ELi16EiPK19rocblas_complex_numIfES1_KPS1_EviiT3_lPKT2_lT1_lS9_lSA_lS6_lPT4_lSA_li,comdat
.Lfunc_end304:
	.size	_ZL20rocblas_gemvn_kernelILi64ELi16EiPK19rocblas_complex_numIfES1_KPS1_EviiT3_lPKT2_lT1_lS9_lSA_lS6_lPT4_lSA_li, .Lfunc_end304-_ZL20rocblas_gemvn_kernelILi64ELi16EiPK19rocblas_complex_numIfES1_KPS1_EviiT3_lPKT2_lT1_lS9_lSA_lS6_lPT4_lSA_li
                                        ; -- End function
	.set _ZL20rocblas_gemvn_kernelILi64ELi16EiPK19rocblas_complex_numIfES1_KPS1_EviiT3_lPKT2_lT1_lS9_lSA_lS6_lPT4_lSA_li.num_vgpr, 65
	.set _ZL20rocblas_gemvn_kernelILi64ELi16EiPK19rocblas_complex_numIfES1_KPS1_EviiT3_lPKT2_lT1_lS9_lSA_lS6_lPT4_lSA_li.num_agpr, 0
	.set _ZL20rocblas_gemvn_kernelILi64ELi16EiPK19rocblas_complex_numIfES1_KPS1_EviiT3_lPKT2_lT1_lS9_lSA_lS6_lPT4_lSA_li.numbered_sgpr, 29
	.set _ZL20rocblas_gemvn_kernelILi64ELi16EiPK19rocblas_complex_numIfES1_KPS1_EviiT3_lPKT2_lT1_lS9_lSA_lS6_lPT4_lSA_li.num_named_barrier, 0
	.set _ZL20rocblas_gemvn_kernelILi64ELi16EiPK19rocblas_complex_numIfES1_KPS1_EviiT3_lPKT2_lT1_lS9_lSA_lS6_lPT4_lSA_li.private_seg_size, 0
	.set _ZL20rocblas_gemvn_kernelILi64ELi16EiPK19rocblas_complex_numIfES1_KPS1_EviiT3_lPKT2_lT1_lS9_lSA_lS6_lPT4_lSA_li.uses_vcc, 1
	.set _ZL20rocblas_gemvn_kernelILi64ELi16EiPK19rocblas_complex_numIfES1_KPS1_EviiT3_lPKT2_lT1_lS9_lSA_lS6_lPT4_lSA_li.uses_flat_scratch, 1
	.set _ZL20rocblas_gemvn_kernelILi64ELi16EiPK19rocblas_complex_numIfES1_KPS1_EviiT3_lPKT2_lT1_lS9_lSA_lS6_lPT4_lSA_li.has_dyn_sized_stack, 0
	.set _ZL20rocblas_gemvn_kernelILi64ELi16EiPK19rocblas_complex_numIfES1_KPS1_EviiT3_lPKT2_lT1_lS9_lSA_lS6_lPT4_lSA_li.has_recursion, 0
	.set _ZL20rocblas_gemvn_kernelILi64ELi16EiPK19rocblas_complex_numIfES1_KPS1_EviiT3_lPKT2_lT1_lS9_lSA_lS6_lPT4_lSA_li.has_indirect_call, 0
	.section	.AMDGPU.csdata,"",@progbits
; Kernel info:
; codeLenInByte = 3724
; TotalNumSgprs: 31
; NumVgprs: 65
; ScratchSize: 0
; MemoryBound: 0
; FloatMode: 240
; IeeeMode: 1
; LDSByteSize: 32768 bytes/workgroup (compile time only)
; SGPRBlocks: 0
; VGPRBlocks: 8
; NumSGPRsForWavesPerEU: 31
; NumVGPRsForWavesPerEU: 65
; Occupancy: 12
; WaveLimiterHint : 1
; COMPUTE_PGM_RSRC2:SCRATCH_EN: 0
; COMPUTE_PGM_RSRC2:USER_SGPR: 6
; COMPUTE_PGM_RSRC2:TRAP_HANDLER: 0
; COMPUTE_PGM_RSRC2:TGID_X_EN: 1
; COMPUTE_PGM_RSRC2:TGID_Y_EN: 0
; COMPUTE_PGM_RSRC2:TGID_Z_EN: 1
; COMPUTE_PGM_RSRC2:TIDIG_COMP_CNT: 1
	.section	.text._ZL20rocblas_gemvn_kernelILi64ELi16ElPK19rocblas_complex_numIfES1_KPS1_EviiT3_lPKT2_lT1_lS9_lSA_lS6_lPT4_lSA_li,"axG",@progbits,_ZL20rocblas_gemvn_kernelILi64ELi16ElPK19rocblas_complex_numIfES1_KPS1_EviiT3_lPKT2_lT1_lS9_lSA_lS6_lPT4_lSA_li,comdat
	.globl	_ZL20rocblas_gemvn_kernelILi64ELi16ElPK19rocblas_complex_numIfES1_KPS1_EviiT3_lPKT2_lT1_lS9_lSA_lS6_lPT4_lSA_li ; -- Begin function _ZL20rocblas_gemvn_kernelILi64ELi16ElPK19rocblas_complex_numIfES1_KPS1_EviiT3_lPKT2_lT1_lS9_lSA_lS6_lPT4_lSA_li
	.p2align	8
	.type	_ZL20rocblas_gemvn_kernelILi64ELi16ElPK19rocblas_complex_numIfES1_KPS1_EviiT3_lPKT2_lT1_lS9_lSA_lS6_lPT4_lSA_li,@function
_ZL20rocblas_gemvn_kernelILi64ELi16ElPK19rocblas_complex_numIfES1_KPS1_EviiT3_lPKT2_lT1_lS9_lSA_lS6_lPT4_lSA_li: ; @_ZL20rocblas_gemvn_kernelILi64ELi16ElPK19rocblas_complex_numIfES1_KPS1_EviiT3_lPKT2_lT1_lS9_lSA_lS6_lPT4_lSA_li
; %bb.0:
	s_load_dwordx2 s[0:1], s[4:5], 0x9c
	s_waitcnt lgkmcnt(0)
	s_lshr_b32 s2, s0, 16
	s_and_b32 s0, s0, 0xffff
	s_and_b32 s1, s1, 0xffff
	s_mul_i32 s0, s2, s0
	s_mul_i32 s0, s0, s1
	s_cmpk_lg_i32 s0, 0x400
	s_cbranch_scc1 .LBB305_53
; %bb.1:
	s_clause 0x1
	s_load_dwordx4 s[8:11], s[4:5], 0x0
	s_load_dwordx2 s[12:13], s[4:5], 0x58
	s_mov_b32 s14, s7
	s_waitcnt lgkmcnt(0)
	v_cmp_neq_f32_e64 s0, s10, 0
	v_cmp_neq_f32_e64 s1, s11, 0
	s_or_b32 s0, s0, s1
	s_and_b32 vcc_lo, exec_lo, s0
	s_mov_b32 s0, -1
	s_cbranch_vccnz .LBB305_3
; %bb.2:
	v_cmp_neq_f32_e64 s0, s12, 1.0
	v_cmp_neq_f32_e64 s1, s13, 0
	s_or_b32 s0, s0, s1
.LBB305_3:
	s_andn2_b32 vcc_lo, exec_lo, s0
	s_cbranch_vccnz .LBB305_53
; %bb.4:
	s_clause 0x1
	s_load_dwordx4 s[0:3], s[4:5], 0x18
	s_load_dwordx2 s[16:17], s[4:5], 0x28
	s_or_b32 s7, s10, s11
	s_mov_b32 s15, 0
	s_bitset0_b32 s7, 31
	s_cmp_lg_u32 s7, 0
	s_cselect_b32 s24, -1, 0
	s_cmp_eq_u32 s7, 0
	s_cselect_b32 s7, -1, 0
	s_and_b32 vcc_lo, exec_lo, s24
	s_cbranch_vccnz .LBB305_6
; %bb.5:
	s_mov_b32 s18, s15
	s_mov_b64 s[20:21], 0
	s_andn2_b32 vcc_lo, exec_lo, s18
	s_mov_b64 s[18:19], 0
	s_cbranch_vccz .LBB305_7
	s_branch .LBB305_8
.LBB305_6:
	s_mov_b64 s[20:21], 0
	s_mov_b64 s[18:19], 0
.LBB305_7:
	s_lshl_b64 s[18:19], s[14:15], 3
	s_waitcnt lgkmcnt(0)
	s_add_u32 s0, s0, s18
	s_addc_u32 s1, s1, s19
	s_lshl_b64 s[2:3], s[2:3], 3
	s_load_dwordx2 s[0:1], s[0:1], 0x0
	s_waitcnt lgkmcnt(0)
	s_add_u32 s18, s0, s2
	s_addc_u32 s19, s1, s3
.LBB305_8:
	s_waitcnt lgkmcnt(0)
	s_clause 0x1
	s_load_dwordx4 s[0:3], s[4:5], 0x38
	s_load_dwordx2 s[22:23], s[4:5], 0x48
	s_andn2_b32 vcc_lo, exec_lo, s24
	s_cbranch_vccnz .LBB305_10
; %bb.9:
	s_lshl_b64 s[20:21], s[14:15], 3
	s_waitcnt lgkmcnt(0)
	s_add_u32 s0, s0, s20
	s_addc_u32 s1, s1, s21
	s_lshl_b64 s[2:3], s[2:3], 3
	s_load_dwordx2 s[0:1], s[0:1], 0x0
	s_waitcnt lgkmcnt(0)
	s_add_u32 s20, s0, s2
	s_addc_u32 s21, s1, s3
.LBB305_10:
	s_waitcnt lgkmcnt(0)
	s_load_dwordx4 s[0:3], s[4:5], 0x68
	s_lshl_b64 s[24:25], s[14:15], 3
	s_load_dwordx2 s[14:15], s[4:5], 0x78
	v_lshlrev_b32_e32 v63, 6, v1
	v_add_nc_u32_e32 v62, v63, v0
	s_waitcnt lgkmcnt(0)
	s_add_u32 s0, s0, s24
	s_addc_u32 s1, s1, s25
	s_lshl_b64 s[2:3], s[2:3], 3
	s_load_dwordx2 s[24:25], s[0:1], 0x0
	v_cmp_gt_u32_e64 s0, 0x100, v62
	s_mov_b32 s1, -1
	s_waitcnt lgkmcnt(0)
	s_add_u32 s5, s24, s2
	s_addc_u32 s28, s25, s3
	s_andn2_b32 vcc_lo, exec_lo, s7
	s_cbranch_vccnz .LBB305_17
; %bb.11:
	s_and_saveexec_b32 s1, s0
	s_cbranch_execz .LBB305_16
; %bb.12:
	v_lshl_or_b32 v2, s6, 8, v62
	v_mov_b32_e32 v3, 0
	s_ashr_i32 s3, s8, 31
	s_mov_b32 s2, s8
	v_cmp_gt_i64_e32 vcc_lo, s[2:3], v[2:3]
	s_and_b32 exec_lo, exec_lo, vcc_lo
	s_cbranch_execz .LBB305_16
; %bb.13:
	v_mad_u64_u32 v[4:5], null, s14, v2, 0
	v_cmp_neq_f32_e64 s0, s12, 0
	v_cmp_neq_f32_e64 s2, s13, 0
	s_or_b32 s0, s0, s2
	v_mad_u64_u32 v[5:6], null, s15, v2, v[5:6]
	v_mov_b32_e32 v6, v3
	s_andn2_b32 vcc_lo, exec_lo, s0
	v_lshlrev_b64 v[4:5], 3, v[4:5]
	s_cbranch_vccnz .LBB305_15
; %bb.14:
	v_add_co_u32 v2, vcc_lo, s5, v4
	v_add_co_ci_u32_e64 v3, null, s28, v5, vcc_lo
	flat_load_dwordx2 v[2:3], v[2:3]
	s_waitcnt vmcnt(0) lgkmcnt(0)
	v_mul_f32_e32 v7, s13, v3
	v_mul_f32_e32 v6, s12, v3
	v_fma_f32 v3, s12, v2, -v7
	v_fmac_f32_e32 v6, s13, v2
.LBB305_15:
	v_add_co_u32 v7, vcc_lo, s5, v4
	v_add_co_ci_u32_e64 v8, null, s28, v5, vcc_lo
	v_mov_b32_e32 v5, v3
	flat_store_dwordx2 v[7:8], v[5:6]
.LBB305_16:
	s_or_b32 exec_lo, exec_lo, s1
	s_mov_b32 s1, 0
.LBB305_17:
	s_andn2_b32 vcc_lo, exec_lo, s1
	s_cbranch_vccnz .LBB305_53
; %bb.18:
	s_ashr_i32 s0, s9, 31
	s_lshl_b32 s29, s6, 8
	s_lshr_b32 s0, s0, 26
	v_lshlrev_b32_e32 v64, 2, v1
	v_mov_b32_e32 v3, 0
	v_add_nc_u32_e32 v4, s29, v0
	v_mov_b32_e32 v2, 0
	v_mov_b32_e32 v7, 0
	;; [unrolled: 1-line block ×7, first 2 shown]
	s_add_i32 s30, s9, s0
	s_mov_b32 s31, exec_lo
	s_andn2_b32 s30, s30, 63
	v_cmpx_gt_i32_e64 s30, v64
	s_cbranch_execz .LBB305_30
; %bb.19:
	v_lshlrev_b32_e32 v18, 2, v1
	v_add_nc_u32_e32 v10, 64, v4
	v_mad_u64_u32 v[2:3], null, s22, v1, 0
	v_mad_u64_u32 v[8:9], null, s16, v1, 0
	v_or_b32_e32 v14, 3, v18
	v_or_b32_e32 v19, 2, v18
	v_cmp_gt_i32_e64 s0, s8, v10
	v_mad_u64_u32 v[10:11], null, s16, v18, s[16:17]
	v_mad_u64_u32 v[6:7], null, s16, v14, 0
	;; [unrolled: 1-line block ×3, first 2 shown]
	v_ashrrev_i32_e32 v5, 31, v4
	v_add_nc_u32_e32 v15, 0x80, v4
	v_mad_u64_u32 v[12:13], null, s23, v1, v[3:4]
	v_mad_u64_u32 v[13:14], null, s17, v14, v[7:8]
	v_add_nc_u32_e32 v16, 0xc0, v4
	v_cmp_gt_i32_e64 s1, s8, v15
	v_lshlrev_b64 v[14:15], 3, v[4:5]
	v_mov_b32_e32 v5, v9
	v_mov_b32_e32 v9, v11
	v_mov_b32_e32 v11, v21
	v_cmp_gt_i32_e64 s2, s8, v16
	v_mov_b32_e32 v3, v12
	v_mad_u64_u32 v[16:17], null, s17, v1, v[5:6]
	v_mad_u64_u32 v[17:18], null, s17, v18, v[9:10]
	v_mad_u64_u32 v[18:19], null, s17, v19, v[11:12]
	v_mov_b32_e32 v7, v13
	v_add_co_u32 v5, s3, s18, v14
	v_mov_b32_e32 v9, v16
	v_mov_b32_e32 v11, v17
	v_lshlrev_b64 v[12:13], 3, v[6:7]
	v_lshlrev_b64 v[6:7], 5, v[2:3]
	v_mov_b32_e32 v21, v18
	v_mov_b32_e32 v3, 0
	v_add_co_ci_u32_e64 v65, null, s19, v15, s3
	v_lshlrev_b64 v[16:17], 5, v[8:9]
	v_add_co_u32 v14, s3, s20, v6
	v_lshlrev_b64 v[18:19], 3, v[10:11]
	v_lshlrev_b64 v[20:21], 3, v[20:21]
	v_add_co_ci_u32_e64 v15, null, s21, v7, s3
	v_mov_b32_e32 v2, v3
	v_mov_b32_e32 v7, v3
	;; [unrolled: 1-line block ×7, first 2 shown]
	s_lshl_b64 s[6:7], s[16:17], 9
	s_lshl_b64 s[24:25], s[22:23], 9
	;; [unrolled: 1-line block ×3, first 2 shown]
	s_mov_b32 s33, 0
	v_cmp_gt_i32_e32 vcc_lo, s8, v4
	s_branch .LBB305_24
.LBB305_20:                             ;   in Loop: Header=BB305_24 Depth=1
	s_or_b32 exec_lo, exec_lo, s35
	s_waitcnt vmcnt(3) lgkmcnt(3)
	v_mul_f32_e32 v54, v35, v53
	v_mul_f32_e32 v53, v34, v53
	s_waitcnt vmcnt(2) lgkmcnt(2)
	v_mul_f32_e32 v55, v31, v51
	v_mul_f32_e32 v51, v30, v51
	s_waitcnt vmcnt(1) lgkmcnt(1)
	v_mul_f32_e32 v56, v25, v49
	v_fma_f32 v54, v34, v52, -v54
	v_fmac_f32_e32 v53, v35, v52
	v_mul_f32_e32 v49, v24, v49
	v_fma_f32 v55, v30, v50, -v55
	v_fmac_f32_e32 v51, v31, v50
	v_add_f32_e32 v6, v6, v54
	v_add_f32_e32 v7, v7, v53
	s_waitcnt vmcnt(0) lgkmcnt(0)
	v_mul_f32_e32 v52, v23, v47
	v_mul_f32_e32 v47, v22, v47
	v_fma_f32 v50, v24, v48, -v56
	v_add_f32_e32 v6, v55, v6
	v_fmac_f32_e32 v49, v25, v48
	v_add_f32_e32 v7, v51, v7
	v_fma_f32 v48, v22, v46, -v52
	v_fmac_f32_e32 v47, v23, v46
	v_add_f32_e32 v6, v50, v6
	v_add_f32_e32 v7, v49, v7
	;; [unrolled: 1-line block ×4, first 2 shown]
.LBB305_21:                             ;   in Loop: Header=BB305_24 Depth=1
	s_or_b32 exec_lo, exec_lo, s34
	s_waitcnt vmcnt(3) lgkmcnt(3)
	v_mul_f32_e32 v46, v35, v45
	v_mul_f32_e32 v45, v34, v45
	s_waitcnt vmcnt(2) lgkmcnt(2)
	v_mul_f32_e32 v47, v31, v43
	v_mul_f32_e32 v43, v30, v43
	s_waitcnt vmcnt(1) lgkmcnt(1)
	v_mul_f32_e32 v48, v25, v41
	v_fma_f32 v46, v34, v44, -v46
	v_fmac_f32_e32 v45, v35, v44
	v_mul_f32_e32 v41, v24, v41
	v_fma_f32 v47, v30, v42, -v47
	v_fmac_f32_e32 v43, v31, v42
	v_add_f32_e32 v8, v8, v46
	v_add_f32_e32 v9, v9, v45
	s_waitcnt vmcnt(0) lgkmcnt(0)
	v_mul_f32_e32 v44, v23, v39
	v_mul_f32_e32 v39, v22, v39
	v_fma_f32 v42, v24, v40, -v48
	v_add_f32_e32 v8, v47, v8
	v_fmac_f32_e32 v41, v25, v40
	v_add_f32_e32 v9, v43, v9
	v_fma_f32 v40, v22, v38, -v44
	v_fmac_f32_e32 v39, v23, v38
	v_add_f32_e32 v8, v42, v8
	v_add_f32_e32 v9, v41, v9
	;; [unrolled: 1-line block ×4, first 2 shown]
.LBB305_22:                             ;   in Loop: Header=BB305_24 Depth=1
	s_or_b32 exec_lo, exec_lo, s3
	s_waitcnt vmcnt(3) lgkmcnt(3)
	v_mul_f32_e32 v38, v35, v37
	v_mul_f32_e32 v37, v34, v37
	s_waitcnt vmcnt(2) lgkmcnt(2)
	v_mul_f32_e32 v39, v31, v33
	v_mul_f32_e32 v33, v30, v33
	s_waitcnt vmcnt(1) lgkmcnt(1)
	v_mul_f32_e32 v40, v25, v29
	v_fma_f32 v34, v34, v36, -v38
	v_fmac_f32_e32 v37, v35, v36
	v_mul_f32_e32 v29, v24, v29
	v_fma_f32 v30, v30, v32, -v39
	v_fmac_f32_e32 v33, v31, v32
	v_add_f32_e32 v10, v10, v34
	v_add_f32_e32 v11, v11, v37
	s_waitcnt vmcnt(0) lgkmcnt(0)
	v_mul_f32_e32 v35, v23, v27
	v_mul_f32_e32 v27, v22, v27
	v_fma_f32 v24, v24, v28, -v40
	v_add_f32_e32 v10, v30, v10
	v_fmac_f32_e32 v29, v25, v28
	v_add_f32_e32 v11, v33, v11
	v_fma_f32 v22, v22, v26, -v35
	v_fmac_f32_e32 v27, v23, v26
	v_add_f32_e32 v10, v24, v10
	v_add_f32_e32 v11, v29, v11
	;; [unrolled: 1-line block ×4, first 2 shown]
.LBB305_23:                             ;   in Loop: Header=BB305_24 Depth=1
	s_or_b32 exec_lo, exec_lo, s4
	v_add_nc_u32_e32 v64, 64, v64
	v_add_co_u32 v5, s3, v5, s6
	v_add_co_ci_u32_e64 v65, null, s7, v65, s3
	v_cmp_le_i32_e64 s3, s30, v64
	v_add_co_u32 v14, s4, v14, s24
	v_add_co_ci_u32_e64 v15, null, s25, v15, s4
	s_or_b32 s33, s3, s33
	s_andn2_b32 exec_lo, exec_lo, s33
	s_cbranch_execz .LBB305_29
.LBB305_24:                             ; =>This Inner Loop Header: Depth=1
	s_and_saveexec_b32 s4, vcc_lo
	s_cbranch_execz .LBB305_23
; %bb.25:                               ;   in Loop: Header=BB305_24 Depth=1
	v_add_co_u32 v22, s3, v14, s26
	v_add_co_ci_u32_e64 v23, null, s27, v15, s3
	v_add_co_u32 v24, s3, v22, s26
	v_add_co_ci_u32_e64 v25, null, s27, v23, s3
	;; [unrolled: 2-line block ×7, first 2 shown]
	s_clause 0x3
	flat_load_dwordx2 v[34:35], v[14:15]
	flat_load_dwordx2 v[30:31], v[22:23]
	;; [unrolled: 1-line block ×4, first 2 shown]
	s_clause 0x3
	flat_load_dwordx2 v[36:37], v[60:61]
	flat_load_dwordx2 v[32:33], v[58:59]
	;; [unrolled: 1-line block ×4, first 2 shown]
	s_and_saveexec_b32 s3, s0
	s_cbranch_execz .LBB305_22
; %bb.26:                               ;   in Loop: Header=BB305_24 Depth=1
	s_clause 0x3
	flat_load_dwordx2 v[44:45], v[60:61] offset:512
	flat_load_dwordx2 v[42:43], v[58:59] offset:512
	flat_load_dwordx2 v[40:41], v[56:57] offset:512
	flat_load_dwordx2 v[38:39], v[54:55] offset:512
	s_and_saveexec_b32 s34, s1
	s_cbranch_execz .LBB305_21
; %bb.27:                               ;   in Loop: Header=BB305_24 Depth=1
	s_clause 0x3
	flat_load_dwordx2 v[52:53], v[60:61] offset:1024
	flat_load_dwordx2 v[50:51], v[58:59] offset:1024
	flat_load_dwordx2 v[48:49], v[56:57] offset:1024
	flat_load_dwordx2 v[46:47], v[54:55] offset:1024
	;; [unrolled: 8-line block ×3, first 2 shown]
	s_waitcnt vmcnt(3) lgkmcnt(3)
	v_mul_f32_e32 v66, v35, v61
	v_mul_f32_e32 v61, v34, v61
	s_waitcnt vmcnt(2) lgkmcnt(2)
	v_mul_f32_e32 v67, v31, v59
	v_mul_f32_e32 v59, v30, v59
	s_waitcnt vmcnt(1) lgkmcnt(1)
	v_mul_f32_e32 v68, v25, v57
	v_fma_f32 v66, v34, v60, -v66
	v_fmac_f32_e32 v61, v35, v60
	v_mul_f32_e32 v57, v24, v57
	v_fma_f32 v67, v30, v58, -v67
	v_fmac_f32_e32 v59, v31, v58
	v_add_f32_e32 v2, v2, v66
	v_add_f32_e32 v3, v3, v61
	s_waitcnt vmcnt(0) lgkmcnt(0)
	v_mul_f32_e32 v60, v23, v55
	v_mul_f32_e32 v55, v22, v55
	v_fma_f32 v58, v24, v56, -v68
	v_fmac_f32_e32 v57, v25, v56
	v_add_f32_e32 v2, v67, v2
	v_add_f32_e32 v3, v59, v3
	v_fma_f32 v56, v22, v54, -v60
	v_fmac_f32_e32 v55, v23, v54
	v_add_f32_e32 v2, v58, v2
	v_add_f32_e32 v3, v57, v3
	;; [unrolled: 1-line block ×4, first 2 shown]
	s_branch .LBB305_20
.LBB305_29:
	s_or_b32 exec_lo, exec_lo, s33
.LBB305_30:
	s_or_b32 exec_lo, exec_lo, s31
	s_sub_i32 s0, s9, s30
	s_cmp_lt_i32 s0, 1
	s_cbranch_scc1 .LBB305_48
; %bb.31:
	v_cmp_gt_i32_e32 vcc_lo, s9, v64
	v_mov_b32_e32 v12, 0
	v_or_b32_e32 v20, 1, v64
	v_mov_b32_e32 v13, 0
	v_mov_b32_e32 v14, 0
	;; [unrolled: 1-line block ×7, first 2 shown]
	s_and_saveexec_b32 s1, vcc_lo
	s_cbranch_execz .LBB305_39
; %bb.32:
	v_mad_u64_u32 v[12:13], null, s22, v64, 0
	v_mov_b32_e32 v19, 0
	v_mov_b32_e32 v18, 0
	;; [unrolled: 1-line block ×5, first 2 shown]
	s_mov_b32 s2, exec_lo
	v_mov_b32_e32 v5, v13
	v_mad_u64_u32 v[13:14], null, s23, v64, v[5:6]
	v_mov_b32_e32 v14, 0
	v_lshlrev_b64 v[12:13], 3, v[12:13]
	v_add_co_u32 v12, s0, s20, v12
	v_add_co_ci_u32_e64 v13, null, s21, v13, s0
	flat_load_dwordx2 v[12:13], v[12:13]
	v_cmpx_gt_i32_e64 s9, v20
	s_cbranch_execz .LBB305_38
; %bb.33:
	v_mad_u64_u32 v[14:15], null, s22, v20, 0
	v_mov_b32_e32 v19, 0
	v_mov_b32_e32 v18, 0
	;; [unrolled: 1-line block ×3, first 2 shown]
	s_mov_b32 s3, exec_lo
	v_mov_b32_e32 v5, v15
	v_mad_u64_u32 v[15:16], null, s23, v20, v[5:6]
	v_or_b32_e32 v5, 2, v64
	v_mov_b32_e32 v16, 0
	v_lshlrev_b64 v[14:15], 3, v[14:15]
	v_add_co_u32 v14, s0, s20, v14
	v_add_co_ci_u32_e64 v15, null, s21, v15, s0
	flat_load_dwordx2 v[14:15], v[14:15]
	v_cmpx_gt_i32_e64 s9, v5
	s_cbranch_execz .LBB305_37
; %bb.34:
	v_mad_u64_u32 v[16:17], null, s22, v5, 0
	v_mov_b32_e32 v19, 0
	s_mov_b32 s4, exec_lo
	v_mad_u64_u32 v[17:18], null, s23, v5, v[17:18]
	v_or_b32_e32 v5, 3, v64
	v_mov_b32_e32 v18, 0
	v_lshlrev_b64 v[16:17], 3, v[16:17]
	v_add_co_u32 v16, s0, s20, v16
	v_add_co_ci_u32_e64 v17, null, s21, v17, s0
	flat_load_dwordx2 v[16:17], v[16:17]
	v_cmpx_gt_i32_e64 s9, v5
	s_cbranch_execz .LBB305_36
; %bb.35:
	v_mad_u64_u32 v[18:19], null, s22, v5, 0
	v_mad_u64_u32 v[21:22], null, s23, v5, v[19:20]
	v_mov_b32_e32 v19, v21
	v_lshlrev_b64 v[18:19], 3, v[18:19]
	v_add_co_u32 v18, s0, s20, v18
	v_add_co_ci_u32_e64 v19, null, s21, v19, s0
	flat_load_dwordx2 v[18:19], v[18:19]
.LBB305_36:
	s_or_b32 exec_lo, exec_lo, s4
.LBB305_37:
	s_or_b32 exec_lo, exec_lo, s3
.LBB305_38:
	s_or_b32 exec_lo, exec_lo, s2
.LBB305_39:
	s_or_b32 exec_lo, exec_lo, s1
	s_mov_b32 s1, exec_lo
	v_cmpx_gt_i32_e64 s8, v4
	s_cbranch_execz .LBB305_47
; %bb.40:
	v_mad_u64_u32 v[21:22], null, s16, v64, 0
	v_mad_u64_u32 v[23:24], null, s16, v20, 0
	v_ashrrev_i32_e32 v5, 31, v4
	v_or_b32_e32 v32, 2, v64
	v_or_b32_e32 v33, 3, v64
	v_cndmask_b32_e32 v21, 0, v21, vcc_lo
	v_lshlrev_b64 v[28:29], 3, v[4:5]
	v_mad_u64_u32 v[25:26], null, s17, v64, v[22:23]
	v_mov_b32_e32 v5, v24
	v_mad_u64_u32 v[26:27], null, s16, v32, 0
	v_mad_u64_u32 v[30:31], null, s16, v33, 0
	v_cmp_gt_i32_e64 s0, s9, v32
	v_cndmask_b32_e32 v22, 0, v25, vcc_lo
	v_mad_u64_u32 v[24:25], null, s17, v20, v[5:6]
	v_cmp_gt_i32_e32 vcc_lo, s9, v20
	v_mov_b32_e32 v5, v27
	v_mov_b32_e32 v25, v31
	v_cndmask_b32_e32 v20, 0, v23, vcc_lo
	v_lshlrev_b64 v[22:23], 3, v[21:22]
	v_cndmask_b32_e32 v21, 0, v24, vcc_lo
	v_mad_u64_u32 v[31:32], null, s17, v32, v[5:6]
	v_add_co_u32 v5, vcc_lo, s18, v22
	v_add_co_ci_u32_e64 v24, null, s19, v23, vcc_lo
	v_lshlrev_b64 v[22:23], 3, v[20:21]
	v_add_co_u32 v20, vcc_lo, v5, v28
	v_add_co_ci_u32_e64 v21, null, v24, v29, vcc_lo
	v_cndmask_b32_e64 v24, 0, v26, s0
	v_mad_u64_u32 v[26:27], null, s17, v33, v[25:26]
	v_add_co_u32 v5, vcc_lo, s18, v22
	v_add_co_ci_u32_e64 v23, null, s19, v23, vcc_lo
	v_cmp_gt_i32_e32 vcc_lo, s9, v33
	v_cndmask_b32_e64 v25, 0, v31, s0
	v_add_co_u32 v22, s0, v5, v28
	v_add_co_ci_u32_e64 v23, null, v23, v29, s0
	v_cndmask_b32_e32 v30, 0, v30, vcc_lo
	v_cndmask_b32_e32 v31, 0, v26, vcc_lo
	v_lshlrev_b64 v[24:25], 3, v[24:25]
	s_clause 0x1
	flat_load_dwordx2 v[32:33], v[20:21]
	flat_load_dwordx2 v[34:35], v[22:23]
	s_mov_b32 s0, exec_lo
	v_lshlrev_b64 v[26:27], 3, v[30:31]
	v_add_co_u32 v5, vcc_lo, s18, v24
	v_add_co_ci_u32_e64 v24, null, s19, v25, vcc_lo
	v_add_co_u32 v25, vcc_lo, s18, v26
	v_add_co_ci_u32_e64 v30, null, s19, v27, vcc_lo
	;; [unrolled: 2-line block ×4, first 2 shown]
	s_clause 0x1
	flat_load_dwordx2 v[28:29], v[26:27]
	flat_load_dwordx2 v[30:31], v[24:25]
	s_waitcnt vmcnt(3) lgkmcnt(3)
	v_mul_f32_e32 v5, v13, v33
	v_mul_f32_e32 v33, v12, v33
	s_waitcnt vmcnt(2) lgkmcnt(2)
	v_mul_f32_e32 v36, v15, v35
	v_mul_f32_e32 v35, v14, v35
	v_fma_f32 v5, v12, v32, -v5
	v_fmac_f32_e32 v33, v13, v32
	v_fma_f32 v32, v14, v34, -v36
	v_fmac_f32_e32 v35, v15, v34
	v_add_f32_e32 v10, v10, v5
	v_add_f32_e32 v11, v11, v33
	v_add_nc_u32_e32 v33, 64, v4
	s_waitcnt vmcnt(1) lgkmcnt(1)
	v_mul_f32_e32 v34, v17, v29
	v_mul_f32_e32 v29, v16, v29
	s_waitcnt vmcnt(0) lgkmcnt(0)
	v_mul_f32_e32 v36, v19, v31
	v_mul_f32_e32 v5, v18, v31
	v_fma_f32 v31, v16, v28, -v34
	v_fmac_f32_e32 v29, v17, v28
	v_add_f32_e32 v28, v32, v10
	v_add_f32_e32 v32, v35, v11
	v_fma_f32 v10, v18, v30, -v36
	v_fmac_f32_e32 v5, v19, v30
	v_add_f32_e32 v11, v31, v28
	v_add_f32_e32 v28, v29, v32
	v_cmpx_gt_i32_e64 s8, v33
	s_cbranch_execz .LBB305_46
; %bb.41:
	s_clause 0x3
	flat_load_dwordx2 v[29:30], v[20:21] offset:512
	flat_load_dwordx2 v[31:32], v[22:23] offset:512
	;; [unrolled: 1-line block ×4, first 2 shown]
	s_mov_b32 s2, exec_lo
	s_waitcnt vmcnt(3) lgkmcnt(3)
	v_mul_f32_e32 v37, v13, v30
	v_mul_f32_e32 v30, v12, v30
	s_waitcnt vmcnt(2) lgkmcnt(2)
	v_mul_f32_e32 v38, v15, v32
	v_mul_f32_e32 v32, v14, v32
	s_waitcnt vmcnt(1) lgkmcnt(1)
	v_mul_f32_e32 v39, v17, v34
	v_fma_f32 v37, v12, v29, -v37
	v_fmac_f32_e32 v30, v13, v29
	v_mul_f32_e32 v34, v16, v34
	v_fma_f32 v38, v14, v31, -v38
	v_fmac_f32_e32 v32, v15, v31
	v_add_f32_e32 v8, v8, v37
	v_add_f32_e32 v30, v9, v30
	s_waitcnt vmcnt(0) lgkmcnt(0)
	v_mul_f32_e32 v29, v19, v36
	v_mul_f32_e32 v9, v18, v36
	v_fma_f32 v31, v16, v33, -v39
	v_fmac_f32_e32 v34, v17, v33
	v_add_f32_e32 v33, v38, v8
	v_add_f32_e32 v30, v32, v30
	v_add_nc_u32_e32 v32, 0x80, v4
	v_fma_f32 v8, v18, v35, -v29
	v_fmac_f32_e32 v9, v19, v35
	v_add_f32_e32 v29, v31, v33
	v_add_f32_e32 v30, v34, v30
	v_cmpx_gt_i32_e64 s8, v32
	s_cbranch_execz .LBB305_45
; %bb.42:
	s_clause 0x3
	flat_load_dwordx2 v[31:32], v[20:21] offset:1024
	flat_load_dwordx2 v[33:34], v[22:23] offset:1024
	;; [unrolled: 1-line block ×4, first 2 shown]
	s_mov_b32 s3, exec_lo
	s_waitcnt vmcnt(3) lgkmcnt(3)
	v_mul_f32_e32 v39, v13, v32
	v_mul_f32_e32 v32, v12, v32
	s_waitcnt vmcnt(2) lgkmcnt(2)
	v_mul_f32_e32 v40, v15, v34
	v_mul_f32_e32 v34, v14, v34
	s_waitcnt vmcnt(1) lgkmcnt(1)
	v_mul_f32_e32 v41, v17, v36
	v_fma_f32 v39, v12, v31, -v39
	v_fmac_f32_e32 v32, v13, v31
	v_mul_f32_e32 v36, v16, v36
	v_fma_f32 v40, v14, v33, -v40
	v_fmac_f32_e32 v34, v15, v33
	v_add_f32_e32 v6, v6, v39
	v_add_f32_e32 v32, v7, v32
	s_waitcnt vmcnt(0) lgkmcnt(0)
	v_mul_f32_e32 v31, v19, v38
	v_mul_f32_e32 v7, v18, v38
	v_fma_f32 v33, v16, v35, -v41
	v_fmac_f32_e32 v36, v17, v35
	v_add_f32_e32 v6, v40, v6
	v_add_f32_e32 v32, v34, v32
	v_add_nc_u32_e32 v34, 0xc0, v4
	v_fma_f32 v4, v18, v37, -v31
	v_fmac_f32_e32 v7, v19, v37
	v_add_f32_e32 v6, v33, v6
	v_add_f32_e32 v31, v36, v32
	v_cmpx_gt_i32_e64 s8, v34
	s_cbranch_execz .LBB305_44
; %bb.43:
	s_clause 0x3
	flat_load_dwordx2 v[20:21], v[20:21] offset:1536
	flat_load_dwordx2 v[22:23], v[22:23] offset:1536
	;; [unrolled: 1-line block ×4, first 2 shown]
	s_waitcnt vmcnt(3) lgkmcnt(3)
	v_mul_f32_e32 v32, v13, v21
	v_mul_f32_e32 v21, v12, v21
	s_waitcnt vmcnt(2) lgkmcnt(2)
	v_mul_f32_e32 v33, v15, v23
	v_mul_f32_e32 v23, v14, v23
	s_waitcnt vmcnt(1) lgkmcnt(1)
	v_mul_f32_e32 v34, v17, v27
	v_fma_f32 v12, v12, v20, -v32
	v_fmac_f32_e32 v21, v13, v20
	v_mul_f32_e32 v27, v16, v27
	v_fma_f32 v14, v14, v22, -v33
	v_fmac_f32_e32 v23, v15, v22
	v_add_f32_e32 v2, v2, v12
	v_add_f32_e32 v3, v3, v21
	s_waitcnt vmcnt(0) lgkmcnt(0)
	v_mul_f32_e32 v13, v19, v25
	v_mul_f32_e32 v12, v18, v25
	v_fma_f32 v15, v16, v26, -v34
	v_fmac_f32_e32 v27, v17, v26
	v_add_f32_e32 v2, v14, v2
	v_add_f32_e32 v3, v23, v3
	v_fma_f32 v13, v18, v24, -v13
	v_fmac_f32_e32 v12, v19, v24
	v_add_f32_e32 v2, v15, v2
	v_add_f32_e32 v3, v27, v3
	;; [unrolled: 1-line block ×4, first 2 shown]
.LBB305_44:
	s_or_b32 exec_lo, exec_lo, s3
	v_add_f32_e32 v6, v4, v6
	v_add_f32_e32 v7, v7, v31
.LBB305_45:
	s_or_b32 exec_lo, exec_lo, s2
	v_add_f32_e32 v8, v8, v29
	v_add_f32_e32 v9, v9, v30
.LBB305_46:
	s_or_b32 exec_lo, exec_lo, s0
	v_add_f32_e32 v10, v10, v11
	v_add_f32_e32 v11, v5, v28
.LBB305_47:
	s_or_b32 exec_lo, exec_lo, s1
.LBB305_48:
	v_lshlrev_b32_e32 v0, 3, v0
	s_mov_b32 s0, exec_lo
	v_lshl_add_u32 v1, v1, 11, v0
	ds_write2st64_b64 v1, v[10:11], v[8:9] offset1:1
	ds_write2st64_b64 v1, v[6:7], v[2:3] offset0:2 offset1:3
	s_waitcnt vmcnt(0) lgkmcnt(0)
	s_waitcnt_vscnt null, 0x0
	s_barrier
	buffer_gl0_inv
	v_cmpx_gt_u32_e32 0x100, v62
	s_cbranch_execz .LBB305_53
; %bb.49:
	v_lshl_add_u32 v12, v63, 3, v0
	ds_read2st64_b64 v[0:3], v12 offset1:4
	ds_read2st64_b64 v[4:7], v12 offset0:8 offset1:12
	ds_read2st64_b64 v[8:11], v12 offset0:16 offset1:20
	s_waitcnt lgkmcnt(2)
	v_add_f32_e32 v13, v0, v2
	v_add_f32_e32 v14, v1, v3
	ds_read2st64_b64 v[0:3], v12 offset0:24 offset1:28
	s_waitcnt lgkmcnt(2)
	v_add_f32_e32 v4, v13, v4
	v_add_f32_e32 v5, v14, v5
	v_add_f32_e32 v13, v4, v6
	v_add_f32_e32 v14, v5, v7
	ds_read2st64_b64 v[4:7], v12 offset0:32 offset1:36
	s_waitcnt lgkmcnt(2)
	v_add_f32_e32 v8, v13, v8
	v_add_f32_e32 v9, v14, v9
	;; [unrolled: 6-line block ×5, first 2 shown]
	v_add_f32_e32 v8, v8, v10
	v_add_f32_e32 v9, v9, v11
	s_waitcnt lgkmcnt(1)
	v_add_f32_e32 v0, v8, v0
	v_add_f32_e32 v1, v9, v1
	v_add_f32_e32 v0, v0, v2
	v_add_f32_e32 v1, v1, v3
	s_waitcnt lgkmcnt(0)
	v_add_f32_e32 v2, v0, v4
	v_add_f32_e32 v1, v1, v5
	v_or_b32_e32 v0, s29, v62
	v_add_f32_e32 v2, v2, v6
	v_add_f32_e32 v3, v1, v7
	v_cmp_gt_i32_e32 vcc_lo, s8, v0
	ds_write_b64 v12, v[2:3]
	s_and_b32 exec_lo, exec_lo, vcc_lo
	s_cbranch_execz .LBB305_53
; %bb.50:
	v_ashrrev_i32_e32 v1, 31, v0
	v_mul_lo_u32 v6, s15, v0
	v_mad_u64_u32 v[4:5], null, s14, v0, 0
	v_mul_f32_e32 v0, s11, v3
	v_mul_lo_u32 v1, s14, v1
	v_cmp_neq_f32_e64 s0, s12, 0
	v_cmp_neq_f32_e64 s1, s13, 0
	v_fma_f32 v0, v2, s10, -v0
	s_or_b32 s0, s0, s1
	v_add3_u32 v5, v5, v1, v6
	v_mul_f32_e32 v1, s10, v3
	s_andn2_b32 vcc_lo, exec_lo, s0
	v_lshlrev_b64 v[3:4], 3, v[4:5]
	v_fmac_f32_e32 v1, s11, v2
	s_cbranch_vccnz .LBB305_52
; %bb.51:
	v_add_co_u32 v5, vcc_lo, s5, v3
	v_add_co_ci_u32_e64 v6, null, s28, v4, vcc_lo
	flat_load_dwordx2 v[5:6], v[5:6]
	s_waitcnt vmcnt(0) lgkmcnt(0)
	v_mul_f32_e32 v2, s13, v6
	v_mul_f32_e32 v6, s12, v6
	v_fma_f32 v2, s12, v5, -v2
	v_fmac_f32_e32 v6, s13, v5
	v_add_f32_e32 v0, v0, v2
	v_add_f32_e32 v1, v1, v6
.LBB305_52:
	v_add_co_u32 v2, vcc_lo, s5, v3
	v_add_co_ci_u32_e64 v3, null, s28, v4, vcc_lo
	flat_store_dwordx2 v[2:3], v[0:1]
.LBB305_53:
	s_endpgm
	.section	.rodata,"a",@progbits
	.p2align	6, 0x0
	.amdhsa_kernel _ZL20rocblas_gemvn_kernelILi64ELi16ElPK19rocblas_complex_numIfES1_KPS1_EviiT3_lPKT2_lT1_lS9_lSA_lS6_lPT4_lSA_li
		.amdhsa_group_segment_fixed_size 32768
		.amdhsa_private_segment_fixed_size 0
		.amdhsa_kernarg_size 400
		.amdhsa_user_sgpr_count 6
		.amdhsa_user_sgpr_private_segment_buffer 1
		.amdhsa_user_sgpr_dispatch_ptr 0
		.amdhsa_user_sgpr_queue_ptr 0
		.amdhsa_user_sgpr_kernarg_segment_ptr 1
		.amdhsa_user_sgpr_dispatch_id 0
		.amdhsa_user_sgpr_flat_scratch_init 0
		.amdhsa_user_sgpr_private_segment_size 0
		.amdhsa_wavefront_size32 1
		.amdhsa_uses_dynamic_stack 0
		.amdhsa_system_sgpr_private_segment_wavefront_offset 0
		.amdhsa_system_sgpr_workgroup_id_x 1
		.amdhsa_system_sgpr_workgroup_id_y 0
		.amdhsa_system_sgpr_workgroup_id_z 1
		.amdhsa_system_sgpr_workgroup_info 0
		.amdhsa_system_vgpr_workitem_id 1
		.amdhsa_next_free_vgpr 69
		.amdhsa_next_free_sgpr 36
		.amdhsa_reserve_vcc 1
		.amdhsa_reserve_flat_scratch 1
		.amdhsa_float_round_mode_32 0
		.amdhsa_float_round_mode_16_64 0
		.amdhsa_float_denorm_mode_32 3
		.amdhsa_float_denorm_mode_16_64 3
		.amdhsa_dx10_clamp 1
		.amdhsa_ieee_mode 1
		.amdhsa_fp16_overflow 0
		.amdhsa_workgroup_processor_mode 1
		.amdhsa_memory_ordered 1
		.amdhsa_forward_progress 1
		.amdhsa_shared_vgpr_count 0
		.amdhsa_exception_fp_ieee_invalid_op 0
		.amdhsa_exception_fp_denorm_src 0
		.amdhsa_exception_fp_ieee_div_zero 0
		.amdhsa_exception_fp_ieee_overflow 0
		.amdhsa_exception_fp_ieee_underflow 0
		.amdhsa_exception_fp_ieee_inexact 0
		.amdhsa_exception_int_div_zero 0
	.end_amdhsa_kernel
	.section	.text._ZL20rocblas_gemvn_kernelILi64ELi16ElPK19rocblas_complex_numIfES1_KPS1_EviiT3_lPKT2_lT1_lS9_lSA_lS6_lPT4_lSA_li,"axG",@progbits,_ZL20rocblas_gemvn_kernelILi64ELi16ElPK19rocblas_complex_numIfES1_KPS1_EviiT3_lPKT2_lT1_lS9_lSA_lS6_lPT4_lSA_li,comdat
.Lfunc_end305:
	.size	_ZL20rocblas_gemvn_kernelILi64ELi16ElPK19rocblas_complex_numIfES1_KPS1_EviiT3_lPKT2_lT1_lS9_lSA_lS6_lPT4_lSA_li, .Lfunc_end305-_ZL20rocblas_gemvn_kernelILi64ELi16ElPK19rocblas_complex_numIfES1_KPS1_EviiT3_lPKT2_lT1_lS9_lSA_lS6_lPT4_lSA_li
                                        ; -- End function
	.set _ZL20rocblas_gemvn_kernelILi64ELi16ElPK19rocblas_complex_numIfES1_KPS1_EviiT3_lPKT2_lT1_lS9_lSA_lS6_lPT4_lSA_li.num_vgpr, 69
	.set _ZL20rocblas_gemvn_kernelILi64ELi16ElPK19rocblas_complex_numIfES1_KPS1_EviiT3_lPKT2_lT1_lS9_lSA_lS6_lPT4_lSA_li.num_agpr, 0
	.set _ZL20rocblas_gemvn_kernelILi64ELi16ElPK19rocblas_complex_numIfES1_KPS1_EviiT3_lPKT2_lT1_lS9_lSA_lS6_lPT4_lSA_li.numbered_sgpr, 36
	.set _ZL20rocblas_gemvn_kernelILi64ELi16ElPK19rocblas_complex_numIfES1_KPS1_EviiT3_lPKT2_lT1_lS9_lSA_lS6_lPT4_lSA_li.num_named_barrier, 0
	.set _ZL20rocblas_gemvn_kernelILi64ELi16ElPK19rocblas_complex_numIfES1_KPS1_EviiT3_lPKT2_lT1_lS9_lSA_lS6_lPT4_lSA_li.private_seg_size, 0
	.set _ZL20rocblas_gemvn_kernelILi64ELi16ElPK19rocblas_complex_numIfES1_KPS1_EviiT3_lPKT2_lT1_lS9_lSA_lS6_lPT4_lSA_li.uses_vcc, 1
	.set _ZL20rocblas_gemvn_kernelILi64ELi16ElPK19rocblas_complex_numIfES1_KPS1_EviiT3_lPKT2_lT1_lS9_lSA_lS6_lPT4_lSA_li.uses_flat_scratch, 1
	.set _ZL20rocblas_gemvn_kernelILi64ELi16ElPK19rocblas_complex_numIfES1_KPS1_EviiT3_lPKT2_lT1_lS9_lSA_lS6_lPT4_lSA_li.has_dyn_sized_stack, 0
	.set _ZL20rocblas_gemvn_kernelILi64ELi16ElPK19rocblas_complex_numIfES1_KPS1_EviiT3_lPKT2_lT1_lS9_lSA_lS6_lPT4_lSA_li.has_recursion, 0
	.set _ZL20rocblas_gemvn_kernelILi64ELi16ElPK19rocblas_complex_numIfES1_KPS1_EviiT3_lPKT2_lT1_lS9_lSA_lS6_lPT4_lSA_li.has_indirect_call, 0
	.section	.AMDGPU.csdata,"",@progbits
; Kernel info:
; codeLenInByte = 3864
; TotalNumSgprs: 38
; NumVgprs: 69
; ScratchSize: 0
; MemoryBound: 0
; FloatMode: 240
; IeeeMode: 1
; LDSByteSize: 32768 bytes/workgroup (compile time only)
; SGPRBlocks: 0
; VGPRBlocks: 8
; NumSGPRsForWavesPerEU: 38
; NumVGPRsForWavesPerEU: 69
; Occupancy: 12
; WaveLimiterHint : 1
; COMPUTE_PGM_RSRC2:SCRATCH_EN: 0
; COMPUTE_PGM_RSRC2:USER_SGPR: 6
; COMPUTE_PGM_RSRC2:TRAP_HANDLER: 0
; COMPUTE_PGM_RSRC2:TGID_X_EN: 1
; COMPUTE_PGM_RSRC2:TGID_Y_EN: 0
; COMPUTE_PGM_RSRC2:TGID_Z_EN: 1
; COMPUTE_PGM_RSRC2:TIDIG_COMP_CNT: 1
	.section	.text._ZL22rocblas_gemvtsm_kernelILb0ELi256EPK19rocblas_complex_numIfES3_KPS1_EviiT2_lPKT1_lilS9_lilS6_lPT3_lil,"axG",@progbits,_ZL22rocblas_gemvtsm_kernelILb0ELi256EPK19rocblas_complex_numIfES3_KPS1_EviiT2_lPKT1_lilS9_lilS6_lPT3_lil,comdat
	.globl	_ZL22rocblas_gemvtsm_kernelILb0ELi256EPK19rocblas_complex_numIfES3_KPS1_EviiT2_lPKT1_lilS9_lilS6_lPT3_lil ; -- Begin function _ZL22rocblas_gemvtsm_kernelILb0ELi256EPK19rocblas_complex_numIfES3_KPS1_EviiT2_lPKT1_lilS9_lilS6_lPT3_lil
	.p2align	8
	.type	_ZL22rocblas_gemvtsm_kernelILb0ELi256EPK19rocblas_complex_numIfES3_KPS1_EviiT2_lPKT1_lilS9_lilS6_lPT3_lil,@function
_ZL22rocblas_gemvtsm_kernelILb0ELi256EPK19rocblas_complex_numIfES3_KPS1_EviiT2_lPKT1_lilS9_lilS6_lPT3_lil: ; @_ZL22rocblas_gemvtsm_kernelILb0ELi256EPK19rocblas_complex_numIfES3_KPS1_EviiT2_lPKT1_lilS9_lilS6_lPT3_lil
; %bb.0:
	s_clause 0x1
	s_load_dwordx8 s[16:23], s[4:5], 0x8
	s_load_dwordx8 s[8:15], s[4:5], 0x58
	s_mov_b32 s7, 0
	s_waitcnt lgkmcnt(0)
	s_mul_i32 s1, s19, s6
	s_mul_hi_u32 s2, s18, s6
	s_mul_i32 s0, s18, s6
	s_add_i32 s1, s2, s1
	s_mul_hi_u32 s2, s10, s6
	s_lshl_b64 s[0:1], s[0:1], 3
	s_add_u32 s0, s16, s0
	s_addc_u32 s1, s17, s1
	s_load_dwordx2 s[16:17], s[0:1], 0x0
	s_mul_i32 s1, s11, s6
	s_mul_i32 s0, s10, s6
	s_add_i32 s1, s2, s1
	s_lshl_b64 s[0:1], s[0:1], 3
	s_add_u32 s0, s8, s0
	s_addc_u32 s1, s9, s1
	s_load_dwordx2 s[0:1], s[0:1], 0x0
	s_waitcnt lgkmcnt(0)
	v_cmp_neq_f32_e64 s2, s16, 0
	v_cmp_neq_f32_e64 s3, s17, 0
	s_or_b32 s2, s2, s3
	s_and_b32 vcc_lo, exec_lo, s2
	s_mov_b32 s2, -1
	s_cbranch_vccnz .LBB306_2
; %bb.1:
	v_cmp_neq_f32_e64 s2, s0, 1.0
	v_cmp_neq_f32_e64 s3, s1, 0
	s_or_b32 s2, s2, s3
.LBB306_2:
	s_andn2_b32 vcc_lo, exec_lo, s2
	s_cbranch_vccnz .LBB306_40
; %bb.3:
	s_or_b32 s2, s16, s17
	s_mov_b64 s[10:11], 0
	s_and_b32 s3, s2, 0x7fffffff
	s_mov_b64 s[8:9], 0
	s_cmp_lg_u32 s3, 0
	s_cselect_b32 s2, -1, 0
	s_cmp_eq_u32 s3, 0
	s_cselect_b32 s18, -1, 0
	s_and_b32 vcc_lo, exec_lo, s18
	s_cbranch_vccnz .LBB306_5
; %bb.4:
	s_lshl_b64 s[8:9], s[6:7], 3
	s_add_u32 s8, s20, s8
	s_addc_u32 s9, s21, s9
	s_lshl_b64 s[20:21], s[22:23], 3
	s_load_dwordx2 s[8:9], s[8:9], 0x0
	s_waitcnt lgkmcnt(0)
	s_add_u32 s8, s8, s20
	s_addc_u32 s9, s9, s21
.LBB306_5:
	s_andn2_b32 vcc_lo, exec_lo, s2
	s_cbranch_vccnz .LBB306_7
; %bb.6:
	s_load_dwordx4 s[20:23], s[4:5], 0x38
	s_lshl_b64 s[2:3], s[6:7], 3
	s_waitcnt lgkmcnt(0)
	s_add_u32 s2, s20, s2
	s_addc_u32 s3, s21, s3
	s_lshl_b64 s[10:11], s[22:23], 3
	s_load_dwordx2 s[2:3], s[2:3], 0x0
	s_waitcnt lgkmcnt(0)
	s_add_u32 s10, s2, s10
	s_addc_u32 s11, s3, s11
.LBB306_7:
	s_lshl_b64 s[2:3], s[6:7], 3
	s_mov_b32 s7, -1
	s_add_u32 s12, s12, s2
	s_addc_u32 s13, s13, s3
	s_clause 0x1
	s_load_dwordx2 s[2:3], s[4:5], 0x0
	s_load_dword s6, s[4:5], 0x78
	s_load_dwordx2 s[12:13], s[12:13], 0x0
	s_andn2_b32 vcc_lo, exec_lo, s18
	s_cbranch_vccnz .LBB306_22
; %bb.8:
	v_cmp_neq_f32_e64 s7, s0, 0
	v_cmp_neq_f32_e64 s18, s1, 0
	s_or_b32 s7, s7, s18
	s_waitcnt lgkmcnt(0)
	s_cmp_gt_i32 s3, 0
	s_cselect_b32 s20, -1, 0
	s_and_b32 vcc_lo, exec_lo, s7
	s_mov_b32 s7, -1
	s_cbranch_vccnz .LBB306_15
; %bb.9:
	s_andn2_b32 vcc_lo, exec_lo, s20
	s_cbranch_vccnz .LBB306_14
; %bb.10:
	v_mad_i64_i32 v[1:2], null, s6, v0, 0
	s_lshl_b64 s[18:19], s[14:15], 3
	s_ashr_i32 s7, s6, 31
	s_add_u32 s18, s12, s18
	s_addc_u32 s19, s13, s19
	v_mov_b32_e32 v3, 0
	v_lshlrev_b64 v[1:2], 3, v[1:2]
	v_add_co_u32 v1, vcc_lo, s18, v1
	v_add_co_ci_u32_e64 v2, null, s19, v2, vcc_lo
	s_lshl_b64 s[18:19], s[6:7], 11
	s_mov_b32 s7, 0
	s_branch .LBB306_12
	.p2align	6
.LBB306_11:                             ;   in Loop: Header=BB306_12 Depth=1
	s_or_b32 exec_lo, exec_lo, s21
	v_add_co_u32 v1, vcc_lo, v1, s18
	v_add_co_ci_u32_e64 v2, null, s19, v2, vcc_lo
	s_addk_i32 s7, 0x100
	s_cmp_ge_i32 s7, s3
	s_cbranch_scc1 .LBB306_14
.LBB306_12:                             ; =>This Inner Loop Header: Depth=1
	v_add_nc_u32_e32 v4, s7, v0
	s_mov_b32 s21, exec_lo
	v_cmpx_gt_i32_e64 s3, v4
	s_cbranch_execz .LBB306_11
; %bb.13:                               ;   in Loop: Header=BB306_12 Depth=1
	v_mov_b32_e32 v4, v3
	flat_store_dwordx2 v[1:2], v[3:4]
	s_branch .LBB306_11
.LBB306_14:
	s_mov_b32 s7, 0
.LBB306_15:
	s_andn2_b32 vcc_lo, exec_lo, s7
	s_cbranch_vccnz .LBB306_21
; %bb.16:
	s_andn2_b32 vcc_lo, exec_lo, s20
	s_cbranch_vccnz .LBB306_21
; %bb.17:
	v_mad_i64_i32 v[1:2], null, s6, v0, 0
	s_lshl_b64 s[18:19], s[14:15], 3
	s_ashr_i32 s7, s6, 31
	s_add_u32 s18, s12, s18
	s_addc_u32 s19, s13, s19
	v_lshlrev_b64 v[1:2], 3, v[1:2]
	v_add_co_u32 v1, vcc_lo, s18, v1
	v_add_co_ci_u32_e64 v2, null, s19, v2, vcc_lo
	s_lshl_b64 s[18:19], s[6:7], 11
	s_mov_b32 s7, 0
	s_branch .LBB306_19
	.p2align	6
.LBB306_18:                             ;   in Loop: Header=BB306_19 Depth=1
	s_or_b32 exec_lo, exec_lo, s20
	v_add_co_u32 v1, vcc_lo, v1, s18
	v_add_co_ci_u32_e64 v2, null, s19, v2, vcc_lo
	s_addk_i32 s7, 0x100
	s_cmp_ge_i32 s7, s3
	s_cbranch_scc1 .LBB306_21
.LBB306_19:                             ; =>This Inner Loop Header: Depth=1
	v_add_nc_u32_e32 v3, s7, v0
	s_mov_b32 s20, exec_lo
	v_cmpx_gt_i32_e64 s3, v3
	s_cbranch_execz .LBB306_18
; %bb.20:                               ;   in Loop: Header=BB306_19 Depth=1
	flat_load_dwordx2 v[3:4], v[1:2]
	s_waitcnt vmcnt(0) lgkmcnt(0)
	v_mul_f32_e32 v6, s1, v4
	v_mul_f32_e32 v5, s0, v4
	v_fma_f32 v4, s0, v3, -v6
	v_fmac_f32_e32 v5, s1, v3
	flat_store_dwordx2 v[1:2], v[4:5]
	s_branch .LBB306_18
.LBB306_21:
	s_mov_b32 s7, 0
.LBB306_22:
	s_andn2_b32 vcc_lo, exec_lo, s7
	s_cbranch_vccnz .LBB306_40
; %bb.23:
	s_mov_b32 s7, exec_lo
	s_waitcnt lgkmcnt(0)
	v_cmpx_gt_i32_e64 s2, v0
	s_cbranch_execz .LBB306_25
; %bb.24:
	s_load_dword s18, s[4:5], 0x48
	s_waitcnt lgkmcnt(0)
	v_mad_i64_i32 v[1:2], null, s18, v0, 0
	v_lshlrev_b64 v[1:2], 3, v[1:2]
	v_add_co_u32 v1, vcc_lo, s10, v1
	v_add_co_ci_u32_e64 v2, null, s11, v2, vcc_lo
	flat_load_dwordx2 v[1:2], v[1:2]
	s_waitcnt vmcnt(0) lgkmcnt(0)
	v_mul_f32_e32 v4, s17, v2
	v_mul_f32_e32 v3, s16, v2
	v_fma_f32 v2, v1, s16, -v4
	v_fmac_f32_e32 v3, s17, v1
	v_lshlrev_b32_e32 v1, 3, v0
	ds_write_b64 v1, v[2:3]
.LBB306_25:
	s_or_b32 exec_lo, exec_lo, s7
	s_cmp_lt_i32 s3, 1
	s_waitcnt lgkmcnt(0)
	s_waitcnt_vscnt null, 0x0
	s_barrier
	buffer_gl0_inv
	s_cbranch_scc1 .LBB306_40
; %bb.26:
	s_load_dword s10, s[4:5], 0x28
	v_cmp_neq_f32_e64 s4, s0, 0
	v_cmp_neq_f32_e64 s11, s1, 0
	s_lshl_b64 s[14:15], s[14:15], 3
	s_mov_b32 s5, 0
	s_add_u32 s7, s12, s14
	s_addc_u32 s12, s13, s15
	s_ashr_i32 s13, s6, 31
	s_or_b32 s14, s4, s11
	s_mov_b32 s19, 0
	s_waitcnt lgkmcnt(0)
	v_mad_i64_i32 v[1:2], null, s10, v0, 0
	s_ashr_i32 s11, s10, 31
	s_cmp_gt_i32 s2, 0
	s_cselect_b32 s15, -1, 0
	s_and_b32 s16, s2, 7
	s_cmp_gt_u32 s2, 7
	v_lshlrev_b64 v[1:2], 3, v[1:2]
	s_cselect_b32 s17, -1, 0
	s_and_b32 s2, s2, 0x7ffffff8
	s_cmp_lg_u32 s16, 0
	s_cselect_b32 s18, -1, 0
	v_add_co_u32 v1, vcc_lo, s8, v1
	v_add_co_ci_u32_e64 v2, null, s9, v2, vcc_lo
	s_lshl_b64 s[8:9], s[10:11], 11
	s_branch .LBB306_29
.LBB306_27:                             ;   in Loop: Header=BB306_29 Depth=1
	v_add_co_u32 v3, vcc_lo, s7, v3
	v_add_co_ci_u32_e64 v4, null, s12, v4, vcc_lo
	flat_store_dwordx2 v[3:4], v[5:6]
.LBB306_28:                             ;   in Loop: Header=BB306_29 Depth=1
	s_or_b32 exec_lo, exec_lo, s20
	v_add_co_u32 v1, vcc_lo, v1, s8
	v_add_co_ci_u32_e64 v2, null, s9, v2, vcc_lo
	s_addk_i32 s19, 0x100
	s_cmp_ge_i32 s19, s3
	s_cbranch_scc1 .LBB306_40
.LBB306_29:                             ; =>This Loop Header: Depth=1
                                        ;     Child Loop BB306_35 Depth 2
                                        ;     Child Loop BB306_39 Depth 2
	v_add_nc_u32_e32 v3, s19, v0
	s_mov_b32 s20, exec_lo
	v_cmpx_gt_i32_e64 s3, v3
	s_cbranch_execz .LBB306_28
; %bb.30:                               ;   in Loop: Header=BB306_29 Depth=1
	v_mad_u64_u32 v[6:7], null, v3, s6, 0
	s_andn2_b32 vcc_lo, exec_lo, s14
	v_mov_b32_e32 v4, v7
	v_mad_u64_u32 v[3:4], null, v3, s13, v[4:5]
	v_mov_b32_e32 v5, 0
	v_mov_b32_e32 v7, v3
	v_lshlrev_b64 v[3:4], 3, v[6:7]
	v_mov_b32_e32 v6, 0
	s_cbranch_vccnz .LBB306_32
; %bb.31:                               ;   in Loop: Header=BB306_29 Depth=1
	v_add_co_u32 v5, vcc_lo, s7, v3
	v_add_co_ci_u32_e64 v6, null, s12, v4, vcc_lo
	flat_load_dwordx2 v[7:8], v[5:6]
	s_waitcnt vmcnt(0) lgkmcnt(0)
	v_mul_f32_e32 v5, s1, v8
	v_mul_f32_e32 v6, s0, v8
	v_fma_f32 v5, s0, v7, -v5
	v_fmac_f32_e32 v6, s1, v7
.LBB306_32:                             ;   in Loop: Header=BB306_29 Depth=1
	s_andn2_b32 vcc_lo, exec_lo, s15
	s_cbranch_vccnz .LBB306_27
; %bb.33:                               ;   in Loop: Header=BB306_29 Depth=1
	s_andn2_b32 vcc_lo, exec_lo, s17
	s_mov_b32 s4, 0
	s_cbranch_vccnz .LBB306_37
; %bb.34:                               ;   in Loop: Header=BB306_29 Depth=1
	v_mov_b32_e32 v8, v2
	v_mov_b32_e32 v7, v1
	s_mov_b32 s10, 0
.LBB306_35:                             ;   Parent Loop BB306_29 Depth=1
                                        ; =>  This Inner Loop Header: Depth=2
	s_clause 0x3
	flat_load_dwordx4 v[9:12], v[7:8]
	flat_load_dwordx4 v[13:16], v[7:8] offset:16
	flat_load_dwordx4 v[17:20], v[7:8] offset:32
	;; [unrolled: 1-line block ×3, first 2 shown]
	v_mov_b32_e32 v37, s4
	v_add_co_u32 v7, vcc_lo, v7, 64
	v_add_co_ci_u32_e64 v8, null, 0, v8, vcc_lo
	ds_read_b128 v[25:28], v37
	ds_read_b128 v[29:32], v37 offset:16
	ds_read_b128 v[33:36], v37 offset:32
	;; [unrolled: 1-line block ×3, first 2 shown]
	s_add_i32 s10, s10, 8
	s_add_i32 s4, s4, 64
	s_cmp_eq_u32 s2, s10
	s_waitcnt vmcnt(3) lgkmcnt(3)
	v_mul_f32_e32 v41, v10, v26
	v_mul_f32_e32 v26, v9, v26
	;; [unrolled: 1-line block ×4, first 2 shown]
	s_waitcnt vmcnt(2) lgkmcnt(2)
	v_mul_f32_e32 v43, v14, v30
	v_fma_f32 v9, v9, v25, -v41
	v_fmac_f32_e32 v26, v10, v25
	v_mul_f32_e32 v30, v13, v30
	v_fma_f32 v10, v11, v27, -v42
	v_fmac_f32_e32 v28, v12, v27
	v_add_f32_e32 v5, v5, v9
	v_add_f32_e32 v6, v6, v26
	v_mul_f32_e32 v44, v16, v32
	v_mul_f32_e32 v32, v15, v32
	v_fma_f32 v9, v13, v29, -v43
	v_fmac_f32_e32 v30, v14, v29
	v_add_f32_e32 v5, v5, v10
	v_add_f32_e32 v6, v6, v28
	s_waitcnt vmcnt(1) lgkmcnt(1)
	v_mul_f32_e32 v45, v18, v34
	v_mul_f32_e32 v34, v17, v34
	v_fma_f32 v10, v15, v31, -v44
	v_fmac_f32_e32 v32, v16, v31
	v_add_f32_e32 v5, v5, v9
	v_add_f32_e32 v6, v6, v30
	v_mul_f32_e32 v46, v20, v36
	v_mul_f32_e32 v36, v19, v36
	v_fma_f32 v9, v17, v33, -v45
	v_fmac_f32_e32 v34, v18, v33
	v_add_f32_e32 v5, v5, v10
	v_add_f32_e32 v6, v6, v32
	s_waitcnt vmcnt(0) lgkmcnt(0)
	v_mul_f32_e32 v47, v22, v38
	v_mul_f32_e32 v38, v21, v38
	v_fma_f32 v10, v19, v35, -v46
	v_fmac_f32_e32 v36, v20, v35
	v_add_f32_e32 v5, v5, v9
	v_add_f32_e32 v6, v6, v34
	v_mul_f32_e32 v48, v24, v40
	v_mul_f32_e32 v40, v23, v40
	v_fma_f32 v9, v21, v37, -v47
	v_fmac_f32_e32 v38, v22, v37
	v_add_f32_e32 v5, v5, v10
	v_add_f32_e32 v6, v6, v36
	v_fma_f32 v10, v23, v39, -v48
	v_fmac_f32_e32 v40, v24, v39
	v_add_f32_e32 v5, v5, v9
	v_add_f32_e32 v6, v6, v38
	;; [unrolled: 1-line block ×4, first 2 shown]
	s_cbranch_scc0 .LBB306_35
; %bb.36:                               ;   in Loop: Header=BB306_29 Depth=1
	s_mov_b32 s4, s2
.LBB306_37:                             ;   in Loop: Header=BB306_29 Depth=1
	s_andn2_b32 vcc_lo, exec_lo, s18
	s_cbranch_vccnz .LBB306_27
; %bb.38:                               ;   in Loop: Header=BB306_29 Depth=1
	s_lshl_b32 s21, s4, 3
	s_lshl_b64 s[10:11], s[4:5], 3
	s_mov_b32 s4, s16
	.p2align	6
.LBB306_39:                             ;   Parent Loop BB306_29 Depth=1
                                        ; =>  This Inner Loop Header: Depth=2
	v_add_co_u32 v7, vcc_lo, v1, s10
	v_add_co_ci_u32_e64 v8, null, s11, v2, vcc_lo
	v_mov_b32_e32 v9, s21
	s_add_i32 s21, s21, 8
	s_add_u32 s10, s10, 8
	flat_load_dwordx2 v[7:8], v[7:8]
	s_addc_u32 s11, s11, 0
	ds_read_b64 v[9:10], v9
	s_add_i32 s4, s4, -1
	s_cmp_lg_u32 s4, 0
	s_waitcnt vmcnt(0) lgkmcnt(0)
	v_mul_f32_e32 v11, v8, v10
	v_mul_f32_e32 v10, v7, v10
	v_fma_f32 v7, v7, v9, -v11
	v_fmac_f32_e32 v10, v8, v9
	v_add_f32_e32 v5, v5, v7
	v_add_f32_e32 v6, v6, v10
	s_cbranch_scc1 .LBB306_39
	s_branch .LBB306_27
.LBB306_40:
	s_endpgm
	.section	.rodata,"a",@progbits
	.p2align	6, 0x0
	.amdhsa_kernel _ZL22rocblas_gemvtsm_kernelILb0ELi256EPK19rocblas_complex_numIfES3_KPS1_EviiT2_lPKT1_lilS9_lilS6_lPT3_lil
		.amdhsa_group_segment_fixed_size 512
		.amdhsa_private_segment_fixed_size 0
		.amdhsa_kernarg_size 136
		.amdhsa_user_sgpr_count 6
		.amdhsa_user_sgpr_private_segment_buffer 1
		.amdhsa_user_sgpr_dispatch_ptr 0
		.amdhsa_user_sgpr_queue_ptr 0
		.amdhsa_user_sgpr_kernarg_segment_ptr 1
		.amdhsa_user_sgpr_dispatch_id 0
		.amdhsa_user_sgpr_flat_scratch_init 0
		.amdhsa_user_sgpr_private_segment_size 0
		.amdhsa_wavefront_size32 1
		.amdhsa_uses_dynamic_stack 0
		.amdhsa_system_sgpr_private_segment_wavefront_offset 0
		.amdhsa_system_sgpr_workgroup_id_x 1
		.amdhsa_system_sgpr_workgroup_id_y 0
		.amdhsa_system_sgpr_workgroup_id_z 0
		.amdhsa_system_sgpr_workgroup_info 0
		.amdhsa_system_vgpr_workitem_id 0
		.amdhsa_next_free_vgpr 49
		.amdhsa_next_free_sgpr 24
		.amdhsa_reserve_vcc 1
		.amdhsa_reserve_flat_scratch 1
		.amdhsa_float_round_mode_32 0
		.amdhsa_float_round_mode_16_64 0
		.amdhsa_float_denorm_mode_32 3
		.amdhsa_float_denorm_mode_16_64 3
		.amdhsa_dx10_clamp 1
		.amdhsa_ieee_mode 1
		.amdhsa_fp16_overflow 0
		.amdhsa_workgroup_processor_mode 1
		.amdhsa_memory_ordered 1
		.amdhsa_forward_progress 1
		.amdhsa_shared_vgpr_count 0
		.amdhsa_exception_fp_ieee_invalid_op 0
		.amdhsa_exception_fp_denorm_src 0
		.amdhsa_exception_fp_ieee_div_zero 0
		.amdhsa_exception_fp_ieee_overflow 0
		.amdhsa_exception_fp_ieee_underflow 0
		.amdhsa_exception_fp_ieee_inexact 0
		.amdhsa_exception_int_div_zero 0
	.end_amdhsa_kernel
	.section	.text._ZL22rocblas_gemvtsm_kernelILb0ELi256EPK19rocblas_complex_numIfES3_KPS1_EviiT2_lPKT1_lilS9_lilS6_lPT3_lil,"axG",@progbits,_ZL22rocblas_gemvtsm_kernelILb0ELi256EPK19rocblas_complex_numIfES3_KPS1_EviiT2_lPKT1_lilS9_lilS6_lPT3_lil,comdat
.Lfunc_end306:
	.size	_ZL22rocblas_gemvtsm_kernelILb0ELi256EPK19rocblas_complex_numIfES3_KPS1_EviiT2_lPKT1_lilS9_lilS6_lPT3_lil, .Lfunc_end306-_ZL22rocblas_gemvtsm_kernelILb0ELi256EPK19rocblas_complex_numIfES3_KPS1_EviiT2_lPKT1_lilS9_lilS6_lPT3_lil
                                        ; -- End function
	.set _ZL22rocblas_gemvtsm_kernelILb0ELi256EPK19rocblas_complex_numIfES3_KPS1_EviiT2_lPKT1_lilS9_lilS6_lPT3_lil.num_vgpr, 49
	.set _ZL22rocblas_gemvtsm_kernelILb0ELi256EPK19rocblas_complex_numIfES3_KPS1_EviiT2_lPKT1_lilS9_lilS6_lPT3_lil.num_agpr, 0
	.set _ZL22rocblas_gemvtsm_kernelILb0ELi256EPK19rocblas_complex_numIfES3_KPS1_EviiT2_lPKT1_lilS9_lilS6_lPT3_lil.numbered_sgpr, 24
	.set _ZL22rocblas_gemvtsm_kernelILb0ELi256EPK19rocblas_complex_numIfES3_KPS1_EviiT2_lPKT1_lilS9_lilS6_lPT3_lil.num_named_barrier, 0
	.set _ZL22rocblas_gemvtsm_kernelILb0ELi256EPK19rocblas_complex_numIfES3_KPS1_EviiT2_lPKT1_lilS9_lilS6_lPT3_lil.private_seg_size, 0
	.set _ZL22rocblas_gemvtsm_kernelILb0ELi256EPK19rocblas_complex_numIfES3_KPS1_EviiT2_lPKT1_lilS9_lilS6_lPT3_lil.uses_vcc, 1
	.set _ZL22rocblas_gemvtsm_kernelILb0ELi256EPK19rocblas_complex_numIfES3_KPS1_EviiT2_lPKT1_lilS9_lilS6_lPT3_lil.uses_flat_scratch, 1
	.set _ZL22rocblas_gemvtsm_kernelILb0ELi256EPK19rocblas_complex_numIfES3_KPS1_EviiT2_lPKT1_lilS9_lilS6_lPT3_lil.has_dyn_sized_stack, 0
	.set _ZL22rocblas_gemvtsm_kernelILb0ELi256EPK19rocblas_complex_numIfES3_KPS1_EviiT2_lPKT1_lilS9_lilS6_lPT3_lil.has_recursion, 0
	.set _ZL22rocblas_gemvtsm_kernelILb0ELi256EPK19rocblas_complex_numIfES3_KPS1_EviiT2_lPKT1_lilS9_lilS6_lPT3_lil.has_indirect_call, 0
	.section	.AMDGPU.csdata,"",@progbits
; Kernel info:
; codeLenInByte = 1764
; TotalNumSgprs: 26
; NumVgprs: 49
; ScratchSize: 0
; MemoryBound: 0
; FloatMode: 240
; IeeeMode: 1
; LDSByteSize: 512 bytes/workgroup (compile time only)
; SGPRBlocks: 0
; VGPRBlocks: 6
; NumSGPRsForWavesPerEU: 26
; NumVGPRsForWavesPerEU: 49
; Occupancy: 16
; WaveLimiterHint : 1
; COMPUTE_PGM_RSRC2:SCRATCH_EN: 0
; COMPUTE_PGM_RSRC2:USER_SGPR: 6
; COMPUTE_PGM_RSRC2:TRAP_HANDLER: 0
; COMPUTE_PGM_RSRC2:TGID_X_EN: 1
; COMPUTE_PGM_RSRC2:TGID_Y_EN: 0
; COMPUTE_PGM_RSRC2:TGID_Z_EN: 0
; COMPUTE_PGM_RSRC2:TIDIG_COMP_CNT: 0
	.section	.text._ZL22rocblas_gemvtsm_kernelILb0ELi256EPK19rocblas_complex_numIfES1_KPS1_EviiT2_lPKT1_lilS9_lilS6_lPT3_lil,"axG",@progbits,_ZL22rocblas_gemvtsm_kernelILb0ELi256EPK19rocblas_complex_numIfES1_KPS1_EviiT2_lPKT1_lilS9_lilS6_lPT3_lil,comdat
	.globl	_ZL22rocblas_gemvtsm_kernelILb0ELi256EPK19rocblas_complex_numIfES1_KPS1_EviiT2_lPKT1_lilS9_lilS6_lPT3_lil ; -- Begin function _ZL22rocblas_gemvtsm_kernelILb0ELi256EPK19rocblas_complex_numIfES1_KPS1_EviiT2_lPKT1_lilS9_lilS6_lPT3_lil
	.p2align	8
	.type	_ZL22rocblas_gemvtsm_kernelILb0ELi256EPK19rocblas_complex_numIfES1_KPS1_EviiT2_lPKT1_lilS9_lilS6_lPT3_lil,@function
_ZL22rocblas_gemvtsm_kernelILb0ELi256EPK19rocblas_complex_numIfES1_KPS1_EviiT2_lPKT1_lilS9_lilS6_lPT3_lil: ; @_ZL22rocblas_gemvtsm_kernelILb0ELi256EPK19rocblas_complex_numIfES1_KPS1_EviiT2_lPKT1_lilS9_lilS6_lPT3_lil
; %bb.0:
	s_clause 0x1
	s_load_dwordx4 s[0:3], s[4:5], 0x0
	s_load_dwordx2 s[12:13], s[4:5], 0x58
	s_waitcnt lgkmcnt(0)
	v_cmp_neq_f32_e64 s7, s2, 0
	v_cmp_neq_f32_e64 s8, s3, 0
	s_or_b32 s7, s7, s8
	s_and_b32 vcc_lo, exec_lo, s7
	s_mov_b32 s7, -1
	s_cbranch_vccnz .LBB307_2
; %bb.1:
	v_cmp_neq_f32_e64 s7, s12, 1.0
	v_cmp_neq_f32_e64 s8, s13, 0
	s_or_b32 s7, s7, s8
.LBB307_2:
	s_andn2_b32 vcc_lo, exec_lo, s7
	s_cbranch_vccnz .LBB307_42
; %bb.3:
	s_or_b32 s7, s2, s3
	s_bitset0_b32 s7, 31
	s_cmp_lg_u32 s7, 0
	s_cselect_b32 s8, -1, 0
	s_cmp_eq_u32 s7, 0
	s_mov_b32 s7, 0
	s_cselect_b32 s18, -1, 0
	s_and_b32 vcc_lo, exec_lo, s8
	s_cbranch_vccnz .LBB307_5
; %bb.4:
	s_mov_b32 s9, s7
	s_mov_b64 s[16:17], 0
	s_andn2_b32 vcc_lo, exec_lo, s9
	s_mov_b64 s[14:15], 0
	s_cbranch_vccz .LBB307_6
	s_branch .LBB307_7
.LBB307_5:
	s_mov_b64 s[16:17], 0
	s_mov_b64 s[14:15], 0
.LBB307_6:
	s_load_dwordx4 s[20:23], s[4:5], 0x18
	s_lshl_b64 s[10:11], s[6:7], 3
	s_waitcnt lgkmcnt(0)
	s_add_u32 s10, s20, s10
	s_addc_u32 s11, s21, s11
	s_lshl_b64 s[14:15], s[22:23], 3
	s_load_dwordx2 s[10:11], s[10:11], 0x0
	s_waitcnt lgkmcnt(0)
	s_add_u32 s14, s10, s14
	s_addc_u32 s15, s11, s15
.LBB307_7:
	s_andn2_b32 vcc_lo, exec_lo, s8
	s_cbranch_vccnz .LBB307_9
; %bb.8:
	s_load_dwordx4 s[8:11], s[4:5], 0x38
	s_lshl_b64 s[16:17], s[6:7], 3
	s_waitcnt lgkmcnt(0)
	s_add_u32 s8, s8, s16
	s_addc_u32 s9, s9, s17
	s_lshl_b64 s[10:11], s[10:11], 3
	s_load_dwordx2 s[8:9], s[8:9], 0x0
	s_waitcnt lgkmcnt(0)
	s_add_u32 s16, s8, s10
	s_addc_u32 s17, s9, s11
.LBB307_9:
	s_load_dwordx4 s[8:11], s[4:5], 0x68
	s_lshl_b64 s[20:21], s[6:7], 3
	s_load_dword s6, s[4:5], 0x78
	s_mov_b32 s7, -1
	s_waitcnt lgkmcnt(0)
	s_add_u32 s8, s8, s20
	s_addc_u32 s9, s9, s21
	s_andn2_b32 vcc_lo, exec_lo, s18
	s_load_dwordx2 s[8:9], s[8:9], 0x0
	s_cbranch_vccnz .LBB307_24
; %bb.10:
	v_cmp_neq_f32_e64 s7, s12, 0
	v_cmp_neq_f32_e64 s18, s13, 0
	s_or_b32 s7, s7, s18
	s_cmp_gt_i32 s1, 0
	s_cselect_b32 s20, -1, 0
	s_and_b32 vcc_lo, exec_lo, s7
	s_mov_b32 s7, -1
	s_cbranch_vccnz .LBB307_17
; %bb.11:
	s_andn2_b32 vcc_lo, exec_lo, s20
	s_cbranch_vccnz .LBB307_16
; %bb.12:
	v_mad_i64_i32 v[1:2], null, s6, v0, 0
	s_lshl_b64 s[18:19], s[10:11], 3
	s_ashr_i32 s7, s6, 31
	s_waitcnt lgkmcnt(0)
	s_add_u32 s18, s8, s18
	s_addc_u32 s19, s9, s19
	v_mov_b32_e32 v3, 0
	v_lshlrev_b64 v[1:2], 3, v[1:2]
	v_add_co_u32 v1, vcc_lo, s18, v1
	v_add_co_ci_u32_e64 v2, null, s19, v2, vcc_lo
	s_lshl_b64 s[18:19], s[6:7], 11
	s_mov_b32 s7, 0
	s_branch .LBB307_14
	.p2align	6
.LBB307_13:                             ;   in Loop: Header=BB307_14 Depth=1
	s_or_b32 exec_lo, exec_lo, s21
	v_add_co_u32 v1, vcc_lo, v1, s18
	v_add_co_ci_u32_e64 v2, null, s19, v2, vcc_lo
	s_addk_i32 s7, 0x100
	s_cmp_ge_i32 s7, s1
	s_cbranch_scc1 .LBB307_16
.LBB307_14:                             ; =>This Inner Loop Header: Depth=1
	v_add_nc_u32_e32 v4, s7, v0
	s_mov_b32 s21, exec_lo
	v_cmpx_gt_i32_e64 s1, v4
	s_cbranch_execz .LBB307_13
; %bb.15:                               ;   in Loop: Header=BB307_14 Depth=1
	v_mov_b32_e32 v4, v3
	flat_store_dwordx2 v[1:2], v[3:4]
	s_branch .LBB307_13
.LBB307_16:
	s_mov_b32 s7, 0
.LBB307_17:
	s_andn2_b32 vcc_lo, exec_lo, s7
	s_cbranch_vccnz .LBB307_23
; %bb.18:
	s_andn2_b32 vcc_lo, exec_lo, s20
	s_cbranch_vccnz .LBB307_23
; %bb.19:
	v_mad_i64_i32 v[1:2], null, s6, v0, 0
	s_lshl_b64 s[18:19], s[10:11], 3
	s_ashr_i32 s7, s6, 31
	s_waitcnt lgkmcnt(0)
	s_add_u32 s18, s8, s18
	s_addc_u32 s19, s9, s19
	v_lshlrev_b64 v[1:2], 3, v[1:2]
	v_add_co_u32 v1, vcc_lo, s18, v1
	v_add_co_ci_u32_e64 v2, null, s19, v2, vcc_lo
	s_lshl_b64 s[18:19], s[6:7], 11
	s_mov_b32 s7, 0
	s_branch .LBB307_21
	.p2align	6
.LBB307_20:                             ;   in Loop: Header=BB307_21 Depth=1
	s_or_b32 exec_lo, exec_lo, s20
	v_add_co_u32 v1, vcc_lo, v1, s18
	v_add_co_ci_u32_e64 v2, null, s19, v2, vcc_lo
	s_addk_i32 s7, 0x100
	s_cmp_ge_i32 s7, s1
	s_cbranch_scc1 .LBB307_23
.LBB307_21:                             ; =>This Inner Loop Header: Depth=1
	v_add_nc_u32_e32 v3, s7, v0
	s_mov_b32 s20, exec_lo
	v_cmpx_gt_i32_e64 s1, v3
	s_cbranch_execz .LBB307_20
; %bb.22:                               ;   in Loop: Header=BB307_21 Depth=1
	flat_load_dwordx2 v[3:4], v[1:2]
	s_waitcnt vmcnt(0) lgkmcnt(0)
	v_mul_f32_e32 v6, s13, v4
	v_mul_f32_e32 v5, s12, v4
	v_fma_f32 v4, s12, v3, -v6
	v_fmac_f32_e32 v5, s13, v3
	flat_store_dwordx2 v[1:2], v[4:5]
	s_branch .LBB307_20
.LBB307_23:
	s_mov_b32 s7, 0
.LBB307_24:
	s_andn2_b32 vcc_lo, exec_lo, s7
	s_cbranch_vccnz .LBB307_42
; %bb.25:
	s_mov_b32 s7, exec_lo
	v_cmpx_gt_i32_e64 s0, v0
	s_cbranch_execz .LBB307_27
; %bb.26:
	s_load_dword s18, s[4:5], 0x48
	s_waitcnt lgkmcnt(0)
	v_mad_i64_i32 v[1:2], null, s18, v0, 0
	v_lshlrev_b64 v[1:2], 3, v[1:2]
	v_add_co_u32 v1, vcc_lo, s16, v1
	v_add_co_ci_u32_e64 v2, null, s17, v2, vcc_lo
	flat_load_dwordx2 v[1:2], v[1:2]
	s_waitcnt vmcnt(0) lgkmcnt(0)
	v_mul_f32_e32 v4, s3, v2
	v_mul_f32_e32 v3, s2, v2
	v_fma_f32 v2, v1, s2, -v4
	v_fmac_f32_e32 v3, s3, v1
	v_lshlrev_b32_e32 v1, 3, v0
	ds_write_b64 v1, v[2:3]
.LBB307_27:
	s_or_b32 exec_lo, exec_lo, s7
	s_cmp_lt_i32 s1, 1
	s_waitcnt lgkmcnt(0)
	s_waitcnt_vscnt null, 0x0
	s_barrier
	buffer_gl0_inv
	s_cbranch_scc1 .LBB307_42
; %bb.28:
	s_load_dword s4, s[4:5], 0x28
	v_cmp_neq_f32_e64 s2, s12, 0
	v_cmp_neq_f32_e64 s5, s13, 0
	s_lshl_b64 s[10:11], s[10:11], 3
	s_mov_b32 s3, 0
	s_add_u32 s7, s8, s10
	s_addc_u32 s10, s9, s11
	s_ashr_i32 s11, s6, 31
	s_or_b32 s16, s2, s5
	s_waitcnt lgkmcnt(0)
	v_mad_i64_i32 v[1:2], null, s4, v0, 0
	s_ashr_i32 s5, s4, 31
	s_cmp_gt_i32 s0, 0
	s_cselect_b32 s17, -1, 0
	s_and_b32 s18, s0, 7
	s_cmp_gt_u32 s0, 7
	v_lshlrev_b64 v[1:2], 3, v[1:2]
	s_cselect_b32 s19, -1, 0
	s_and_b32 s0, s0, 0x7ffffff8
	s_cmp_lg_u32 s18, 0
	v_add_co_u32 v1, vcc_lo, s14, v1
	v_add_co_ci_u32_e64 v2, null, s15, v2, vcc_lo
	s_cselect_b32 s14, -1, 0
	s_lshl_b64 s[4:5], s[4:5], 11
	s_mov_b32 s15, 0
	s_branch .LBB307_31
.LBB307_29:                             ;   in Loop: Header=BB307_31 Depth=1
	v_add_co_u32 v3, vcc_lo, s7, v3
	v_add_co_ci_u32_e64 v4, null, s10, v4, vcc_lo
	flat_store_dwordx2 v[3:4], v[5:6]
.LBB307_30:                             ;   in Loop: Header=BB307_31 Depth=1
	s_or_b32 exec_lo, exec_lo, s20
	v_add_co_u32 v1, vcc_lo, v1, s4
	v_add_co_ci_u32_e64 v2, null, s5, v2, vcc_lo
	s_addk_i32 s15, 0x100
	s_cmp_ge_i32 s15, s1
	s_cbranch_scc1 .LBB307_42
.LBB307_31:                             ; =>This Loop Header: Depth=1
                                        ;     Child Loop BB307_37 Depth 2
                                        ;     Child Loop BB307_41 Depth 2
	v_add_nc_u32_e32 v3, s15, v0
	s_mov_b32 s20, exec_lo
	v_cmpx_gt_i32_e64 s1, v3
	s_cbranch_execz .LBB307_30
; %bb.32:                               ;   in Loop: Header=BB307_31 Depth=1
	v_mad_u64_u32 v[6:7], null, v3, s6, 0
	s_andn2_b32 vcc_lo, exec_lo, s16
	v_mov_b32_e32 v4, v7
	v_mad_u64_u32 v[3:4], null, v3, s11, v[4:5]
	v_mov_b32_e32 v5, 0
	v_mov_b32_e32 v7, v3
	v_lshlrev_b64 v[3:4], 3, v[6:7]
	v_mov_b32_e32 v6, 0
	s_cbranch_vccnz .LBB307_34
; %bb.33:                               ;   in Loop: Header=BB307_31 Depth=1
	v_add_co_u32 v5, vcc_lo, s7, v3
	v_add_co_ci_u32_e64 v6, null, s10, v4, vcc_lo
	flat_load_dwordx2 v[7:8], v[5:6]
	s_waitcnt vmcnt(0) lgkmcnt(0)
	v_mul_f32_e32 v5, s13, v8
	v_mul_f32_e32 v6, s12, v8
	v_fma_f32 v5, s12, v7, -v5
	v_fmac_f32_e32 v6, s13, v7
.LBB307_34:                             ;   in Loop: Header=BB307_31 Depth=1
	s_andn2_b32 vcc_lo, exec_lo, s17
	s_cbranch_vccnz .LBB307_29
; %bb.35:                               ;   in Loop: Header=BB307_31 Depth=1
	s_andn2_b32 vcc_lo, exec_lo, s19
	s_mov_b32 s2, 0
	s_cbranch_vccnz .LBB307_39
; %bb.36:                               ;   in Loop: Header=BB307_31 Depth=1
	v_mov_b32_e32 v8, v2
	v_mov_b32_e32 v7, v1
	s_mov_b32 s8, 0
.LBB307_37:                             ;   Parent Loop BB307_31 Depth=1
                                        ; =>  This Inner Loop Header: Depth=2
	s_clause 0x3
	flat_load_dwordx4 v[9:12], v[7:8]
	flat_load_dwordx4 v[13:16], v[7:8] offset:16
	flat_load_dwordx4 v[17:20], v[7:8] offset:32
	;; [unrolled: 1-line block ×3, first 2 shown]
	v_mov_b32_e32 v37, s2
	v_add_co_u32 v7, vcc_lo, v7, 64
	v_add_co_ci_u32_e64 v8, null, 0, v8, vcc_lo
	ds_read_b128 v[25:28], v37
	ds_read_b128 v[29:32], v37 offset:16
	ds_read_b128 v[33:36], v37 offset:32
	;; [unrolled: 1-line block ×3, first 2 shown]
	s_add_i32 s8, s8, 8
	s_add_i32 s2, s2, 64
	s_cmp_eq_u32 s0, s8
	s_waitcnt vmcnt(3) lgkmcnt(3)
	v_mul_f32_e32 v41, v10, v26
	v_mul_f32_e32 v26, v9, v26
	;; [unrolled: 1-line block ×4, first 2 shown]
	s_waitcnt vmcnt(2) lgkmcnt(2)
	v_mul_f32_e32 v43, v14, v30
	v_fma_f32 v9, v9, v25, -v41
	v_fmac_f32_e32 v26, v10, v25
	v_mul_f32_e32 v30, v13, v30
	v_fma_f32 v10, v11, v27, -v42
	v_fmac_f32_e32 v28, v12, v27
	v_add_f32_e32 v5, v5, v9
	v_add_f32_e32 v6, v6, v26
	v_mul_f32_e32 v44, v16, v32
	v_mul_f32_e32 v32, v15, v32
	v_fma_f32 v9, v13, v29, -v43
	v_fmac_f32_e32 v30, v14, v29
	v_add_f32_e32 v5, v5, v10
	v_add_f32_e32 v6, v6, v28
	s_waitcnt vmcnt(1) lgkmcnt(1)
	v_mul_f32_e32 v45, v18, v34
	v_mul_f32_e32 v34, v17, v34
	v_fma_f32 v10, v15, v31, -v44
	v_fmac_f32_e32 v32, v16, v31
	v_add_f32_e32 v5, v5, v9
	v_add_f32_e32 v6, v6, v30
	v_mul_f32_e32 v46, v20, v36
	v_mul_f32_e32 v36, v19, v36
	v_fma_f32 v9, v17, v33, -v45
	v_fmac_f32_e32 v34, v18, v33
	v_add_f32_e32 v5, v5, v10
	v_add_f32_e32 v6, v6, v32
	s_waitcnt vmcnt(0) lgkmcnt(0)
	v_mul_f32_e32 v47, v22, v38
	v_mul_f32_e32 v38, v21, v38
	v_fma_f32 v10, v19, v35, -v46
	v_fmac_f32_e32 v36, v20, v35
	v_add_f32_e32 v5, v5, v9
	v_add_f32_e32 v6, v6, v34
	v_mul_f32_e32 v48, v24, v40
	v_mul_f32_e32 v40, v23, v40
	v_fma_f32 v9, v21, v37, -v47
	v_fmac_f32_e32 v38, v22, v37
	v_add_f32_e32 v5, v5, v10
	v_add_f32_e32 v6, v6, v36
	v_fma_f32 v10, v23, v39, -v48
	v_fmac_f32_e32 v40, v24, v39
	v_add_f32_e32 v5, v5, v9
	v_add_f32_e32 v6, v6, v38
	;; [unrolled: 1-line block ×4, first 2 shown]
	s_cbranch_scc0 .LBB307_37
; %bb.38:                               ;   in Loop: Header=BB307_31 Depth=1
	s_mov_b32 s2, s0
.LBB307_39:                             ;   in Loop: Header=BB307_31 Depth=1
	s_andn2_b32 vcc_lo, exec_lo, s14
	s_cbranch_vccnz .LBB307_29
; %bb.40:                               ;   in Loop: Header=BB307_31 Depth=1
	s_lshl_b32 s21, s2, 3
	s_lshl_b64 s[8:9], s[2:3], 3
	s_mov_b32 s2, s18
	.p2align	6
.LBB307_41:                             ;   Parent Loop BB307_31 Depth=1
                                        ; =>  This Inner Loop Header: Depth=2
	v_add_co_u32 v7, vcc_lo, v1, s8
	v_add_co_ci_u32_e64 v8, null, s9, v2, vcc_lo
	v_mov_b32_e32 v9, s21
	s_add_i32 s21, s21, 8
	s_add_u32 s8, s8, 8
	flat_load_dwordx2 v[7:8], v[7:8]
	s_addc_u32 s9, s9, 0
	ds_read_b64 v[9:10], v9
	s_add_i32 s2, s2, -1
	s_cmp_lg_u32 s2, 0
	s_waitcnt vmcnt(0) lgkmcnt(0)
	v_mul_f32_e32 v11, v8, v10
	v_mul_f32_e32 v10, v7, v10
	v_fma_f32 v7, v7, v9, -v11
	v_fmac_f32_e32 v10, v8, v9
	v_add_f32_e32 v5, v5, v7
	v_add_f32_e32 v6, v6, v10
	s_cbranch_scc1 .LBB307_41
	s_branch .LBB307_29
.LBB307_42:
	s_endpgm
	.section	.rodata,"a",@progbits
	.p2align	6, 0x0
	.amdhsa_kernel _ZL22rocblas_gemvtsm_kernelILb0ELi256EPK19rocblas_complex_numIfES1_KPS1_EviiT2_lPKT1_lilS9_lilS6_lPT3_lil
		.amdhsa_group_segment_fixed_size 512
		.amdhsa_private_segment_fixed_size 0
		.amdhsa_kernarg_size 136
		.amdhsa_user_sgpr_count 6
		.amdhsa_user_sgpr_private_segment_buffer 1
		.amdhsa_user_sgpr_dispatch_ptr 0
		.amdhsa_user_sgpr_queue_ptr 0
		.amdhsa_user_sgpr_kernarg_segment_ptr 1
		.amdhsa_user_sgpr_dispatch_id 0
		.amdhsa_user_sgpr_flat_scratch_init 0
		.amdhsa_user_sgpr_private_segment_size 0
		.amdhsa_wavefront_size32 1
		.amdhsa_uses_dynamic_stack 0
		.amdhsa_system_sgpr_private_segment_wavefront_offset 0
		.amdhsa_system_sgpr_workgroup_id_x 1
		.amdhsa_system_sgpr_workgroup_id_y 0
		.amdhsa_system_sgpr_workgroup_id_z 0
		.amdhsa_system_sgpr_workgroup_info 0
		.amdhsa_system_vgpr_workitem_id 0
		.amdhsa_next_free_vgpr 49
		.amdhsa_next_free_sgpr 24
		.amdhsa_reserve_vcc 1
		.amdhsa_reserve_flat_scratch 1
		.amdhsa_float_round_mode_32 0
		.amdhsa_float_round_mode_16_64 0
		.amdhsa_float_denorm_mode_32 3
		.amdhsa_float_denorm_mode_16_64 3
		.amdhsa_dx10_clamp 1
		.amdhsa_ieee_mode 1
		.amdhsa_fp16_overflow 0
		.amdhsa_workgroup_processor_mode 1
		.amdhsa_memory_ordered 1
		.amdhsa_forward_progress 1
		.amdhsa_shared_vgpr_count 0
		.amdhsa_exception_fp_ieee_invalid_op 0
		.amdhsa_exception_fp_denorm_src 0
		.amdhsa_exception_fp_ieee_div_zero 0
		.amdhsa_exception_fp_ieee_overflow 0
		.amdhsa_exception_fp_ieee_underflow 0
		.amdhsa_exception_fp_ieee_inexact 0
		.amdhsa_exception_int_div_zero 0
	.end_amdhsa_kernel
	.section	.text._ZL22rocblas_gemvtsm_kernelILb0ELi256EPK19rocblas_complex_numIfES1_KPS1_EviiT2_lPKT1_lilS9_lilS6_lPT3_lil,"axG",@progbits,_ZL22rocblas_gemvtsm_kernelILb0ELi256EPK19rocblas_complex_numIfES1_KPS1_EviiT2_lPKT1_lilS9_lilS6_lPT3_lil,comdat
.Lfunc_end307:
	.size	_ZL22rocblas_gemvtsm_kernelILb0ELi256EPK19rocblas_complex_numIfES1_KPS1_EviiT2_lPKT1_lilS9_lilS6_lPT3_lil, .Lfunc_end307-_ZL22rocblas_gemvtsm_kernelILb0ELi256EPK19rocblas_complex_numIfES1_KPS1_EviiT2_lPKT1_lilS9_lilS6_lPT3_lil
                                        ; -- End function
	.set _ZL22rocblas_gemvtsm_kernelILb0ELi256EPK19rocblas_complex_numIfES1_KPS1_EviiT2_lPKT1_lilS9_lilS6_lPT3_lil.num_vgpr, 49
	.set _ZL22rocblas_gemvtsm_kernelILb0ELi256EPK19rocblas_complex_numIfES1_KPS1_EviiT2_lPKT1_lilS9_lilS6_lPT3_lil.num_agpr, 0
	.set _ZL22rocblas_gemvtsm_kernelILb0ELi256EPK19rocblas_complex_numIfES1_KPS1_EviiT2_lPKT1_lilS9_lilS6_lPT3_lil.numbered_sgpr, 24
	.set _ZL22rocblas_gemvtsm_kernelILb0ELi256EPK19rocblas_complex_numIfES1_KPS1_EviiT2_lPKT1_lilS9_lilS6_lPT3_lil.num_named_barrier, 0
	.set _ZL22rocblas_gemvtsm_kernelILb0ELi256EPK19rocblas_complex_numIfES1_KPS1_EviiT2_lPKT1_lilS9_lilS6_lPT3_lil.private_seg_size, 0
	.set _ZL22rocblas_gemvtsm_kernelILb0ELi256EPK19rocblas_complex_numIfES1_KPS1_EviiT2_lPKT1_lilS9_lilS6_lPT3_lil.uses_vcc, 1
	.set _ZL22rocblas_gemvtsm_kernelILb0ELi256EPK19rocblas_complex_numIfES1_KPS1_EviiT2_lPKT1_lilS9_lilS6_lPT3_lil.uses_flat_scratch, 1
	.set _ZL22rocblas_gemvtsm_kernelILb0ELi256EPK19rocblas_complex_numIfES1_KPS1_EviiT2_lPKT1_lilS9_lilS6_lPT3_lil.has_dyn_sized_stack, 0
	.set _ZL22rocblas_gemvtsm_kernelILb0ELi256EPK19rocblas_complex_numIfES1_KPS1_EviiT2_lPKT1_lilS9_lilS6_lPT3_lil.has_recursion, 0
	.set _ZL22rocblas_gemvtsm_kernelILb0ELi256EPK19rocblas_complex_numIfES1_KPS1_EviiT2_lPKT1_lilS9_lilS6_lPT3_lil.has_indirect_call, 0
	.section	.AMDGPU.csdata,"",@progbits
; Kernel info:
; codeLenInByte = 1700
; TotalNumSgprs: 26
; NumVgprs: 49
; ScratchSize: 0
; MemoryBound: 0
; FloatMode: 240
; IeeeMode: 1
; LDSByteSize: 512 bytes/workgroup (compile time only)
; SGPRBlocks: 0
; VGPRBlocks: 6
; NumSGPRsForWavesPerEU: 26
; NumVGPRsForWavesPerEU: 49
; Occupancy: 16
; WaveLimiterHint : 1
; COMPUTE_PGM_RSRC2:SCRATCH_EN: 0
; COMPUTE_PGM_RSRC2:USER_SGPR: 6
; COMPUTE_PGM_RSRC2:TRAP_HANDLER: 0
; COMPUTE_PGM_RSRC2:TGID_X_EN: 1
; COMPUTE_PGM_RSRC2:TGID_Y_EN: 0
; COMPUTE_PGM_RSRC2:TGID_Z_EN: 0
; COMPUTE_PGM_RSRC2:TIDIG_COMP_CNT: 0
	.section	.text._ZL23rocblas_gemvt_sn_kernelILb0ELi256ELi4EiPK19rocblas_complex_numIfES3_S1_EviiT4_lPKT3_lilS7_lilPT5_i,"axG",@progbits,_ZL23rocblas_gemvt_sn_kernelILb0ELi256ELi4EiPK19rocblas_complex_numIfES3_S1_EviiT4_lPKT3_lilS7_lilPT5_i,comdat
	.globl	_ZL23rocblas_gemvt_sn_kernelILb0ELi256ELi4EiPK19rocblas_complex_numIfES3_S1_EviiT4_lPKT3_lilS7_lilPT5_i ; -- Begin function _ZL23rocblas_gemvt_sn_kernelILb0ELi256ELi4EiPK19rocblas_complex_numIfES3_S1_EviiT4_lPKT3_lilS7_lilPT5_i
	.p2align	8
	.type	_ZL23rocblas_gemvt_sn_kernelILb0ELi256ELi4EiPK19rocblas_complex_numIfES3_S1_EviiT4_lPKT3_lilS7_lilPT5_i,@function
_ZL23rocblas_gemvt_sn_kernelILb0ELi256ELi4EiPK19rocblas_complex_numIfES3_S1_EviiT4_lPKT3_lilS7_lilPT5_i: ; @_ZL23rocblas_gemvt_sn_kernelILb0ELi256ELi4EiPK19rocblas_complex_numIfES3_S1_EviiT4_lPKT3_lilS7_lilPT5_i
; %bb.0:
	s_add_u32 s0, s0, s8
	s_load_dwordx8 s[8:15], s[4:5], 0x8
	s_mov_b32 s20, s7
	s_addc_u32 s1, s1, 0
	s_mov_b32 s21, 0
	s_mov_b64 s[18:19], 0
	s_waitcnt lgkmcnt(0)
	s_mul_i32 s7, s11, s7
	s_mul_hi_u32 s11, s10, s20
	s_mul_i32 s10, s10, s20
	s_add_i32 s11, s11, s7
	s_lshl_b64 s[10:11], s[10:11], 3
	s_add_u32 s8, s8, s10
	s_addc_u32 s9, s9, s11
	s_load_dwordx2 s[16:17], s[8:9], 0x0
	s_waitcnt lgkmcnt(0)
	s_or_b32 s7, s16, s17
	s_and_b32 s8, s7, 0x7fffffff
	s_cmp_lg_u32 s8, 0
	s_cselect_b32 s7, -1, 0
	s_cmp_eq_u32 s8, 0
	s_mov_b64 s[8:9], 0
	s_cselect_b32 s22, -1, 0
	s_and_b32 vcc_lo, exec_lo, s22
	s_cbranch_vccnz .LBB308_2
; %bb.1:
	s_lshl_b64 s[8:9], s[20:21], 3
	s_add_u32 s8, s12, s8
	s_addc_u32 s9, s13, s9
	s_lshl_b64 s[10:11], s[14:15], 3
	s_load_dwordx2 s[8:9], s[8:9], 0x0
	s_waitcnt lgkmcnt(0)
	s_add_u32 s8, s8, s10
	s_addc_u32 s9, s9, s11
.LBB308_2:
	s_andn2_b32 vcc_lo, exec_lo, s7
	s_cbranch_vccnz .LBB308_4
; %bb.3:
	s_load_dwordx4 s[12:15], s[4:5], 0x38
	s_lshl_b64 s[10:11], s[20:21], 3
	s_waitcnt lgkmcnt(0)
	s_add_u32 s10, s12, s10
	s_addc_u32 s11, s13, s11
	s_lshl_b64 s[12:13], s[14:15], 3
	s_load_dwordx2 s[10:11], s[10:11], 0x0
	s_waitcnt lgkmcnt(0)
	s_add_u32 s18, s10, s12
	s_addc_u32 s19, s11, s13
.LBB308_4:
	s_clause 0x2
	s_load_dwordx2 s[12:13], s[4:5], 0x0
	s_load_dword s14, s[4:5], 0x68
	s_load_dwordx2 s[10:11], s[4:5], 0x58
	s_andn2_b32 vcc_lo, exec_lo, s22
	v_cmp_eq_u32_e64 s7, 0, v0
	s_mov_b32 s15, 0
	s_waitcnt lgkmcnt(0)
	s_ashr_i32 s26, s13, 31
	s_mul_hi_u32 s21, s13, s20
	s_mul_i32 s22, s26, s20
	s_mul_i32 s20, s13, s20
	s_add_i32 s21, s21, s22
	s_mul_hi_u32 s22, s20, s14
	s_mul_i32 s21, s21, s14
	s_mul_i32 s20, s20, s14
	s_add_i32 s21, s22, s21
	s_mov_b32 s22, -1
	s_cbranch_vccnz .LBB308_9
; %bb.5:
	s_cmp_gt_i32 s13, 0
	s_cselect_b32 s22, -1, 0
	s_and_b32 s7, s7, s22
	s_and_saveexec_b32 s27, s7
	s_cbranch_execz .LBB308_8
; %bb.6:
	s_mov_b32 s7, 0
	v_mov_b32_e32 v1, 0
	s_lshl_b64 s[22:23], s[20:21], 3
	s_lshl_b64 s[24:25], s[6:7], 3
	s_add_u32 s7, s22, s24
	s_addc_u32 s22, s23, s25
	s_add_u32 s7, s10, s7
	v_mov_b32_e32 v2, v1
	s_addc_u32 s23, s11, s22
	s_add_u32 s22, s7, 4
	s_addc_u32 s23, s23, 0
	s_lshl_b64 s[24:25], s[14:15], 3
	s_mov_b32 s7, s13
.LBB308_7:                              ; =>This Inner Loop Header: Depth=1
	s_add_i32 s7, s7, -1
	global_store_dwordx2 v1, v[1:2], s[22:23] offset:-4
	s_add_u32 s22, s22, s24
	s_addc_u32 s23, s23, s25
	s_cmp_eq_u32 s7, 0
	s_cbranch_scc0 .LBB308_7
.LBB308_8:
	s_or_b32 exec_lo, exec_lo, s27
	s_mov_b32 s22, 0
.LBB308_9:
	s_andn2_b32 vcc_lo, exec_lo, s22
	s_cbranch_vccnz .LBB308_81
; %bb.10:
	s_lshl_b64 s[20:21], s[20:21], 3
	s_clause 0x1
	s_load_dword s15, s[4:5], 0x48
	s_load_dword s30, s[4:5], 0x28
	s_add_u32 s34, s10, s20
	s_addc_u32 s11, s11, s21
	s_lshl_b32 s7, s6, 10
	s_ashr_i32 s4, s12, 31
	v_lshl_or_b32 v2, v0, 2, s7
	s_lshr_b32 s4, s4, 30
	s_lshr_b32 s5, s26, 30
	s_add_i32 s4, s12, s4
	s_add_i32 s5, s13, s5
	v_ashrrev_i32_e32 v3, 31, v2
	s_and_b32 s4, s4, -4
	s_and_b32 s35, s5, -4
	s_sub_i32 s31, s12, s4
	v_add_nc_u32_e32 v26, 4, v2
	v_lshlrev_b64 v[3:4], 3, v[2:3]
	v_add_nc_u32_e32 v27, s31, v2
	v_and_b32_e32 v24, 31, v0
	v_cmp_gt_u32_e64 s4, 32, v0
	s_waitcnt lgkmcnt(0)
	v_mul_lo_u32 v1, s15, v2
	v_mbcnt_lo_u32_b32 v25, -1, 0
	v_add_co_u32 v21, vcc_lo, s8, v3
	v_add_co_ci_u32_e64 v22, null, s9, v4, vcc_lo
	v_cmp_gt_u32_e64 s5, 8, v0
	v_lshrrev_b32_e32 v23, 2, v0
	s_cmp_lt_i32 s35, 1
	s_cbranch_scc1 .LBB308_58
; %bb.11:
	v_cmp_gt_u32_e32 vcc_lo, 24, v25
	v_mul_lo_u32 v2, s15, v2
	v_cmp_ge_i32_e64 s7, s12, v26
	v_cmp_ge_i32_e64 s8, s12, v27
	v_lshl_or_b32 v28, v25, 2, 64
	v_cndmask_b32_e64 v3, 0, 8, vcc_lo
	v_cmp_gt_u32_e32 vcc_lo, 28, v25
	v_cmp_eq_u32_e64 s9, 0, v24
	v_lshlrev_b32_e32 v33, 3, v24
	v_and_b32_e32 v34, 56, v23
	v_add_lshl_u32 v29, v3, v25, 2
	v_cndmask_b32_e64 v4, 0, 4, vcc_lo
	v_cmp_gt_u32_e32 vcc_lo, 30, v25
	v_ashrrev_i32_e32 v3, 31, v2
	v_cmp_eq_u32_e64 s10, 0, v0
	s_cmp_gt_i32 s31, 0
	v_add_lshl_u32 v30, v4, v25, 2
	v_cndmask_b32_e64 v5, 0, 2, vcc_lo
	v_cmp_ne_u32_e32 vcc_lo, 31, v25
	v_add_nc_u32_e32 v4, s15, v2
	v_lshlrev_b64 v[8:9], 3, v[2:3]
	s_mov_b32 s21, 0
	v_add_lshl_u32 v31, v5, v25, 2
	v_add_co_ci_u32_e64 v6, null, 0, v25, vcc_lo
	v_ashrrev_i32_e32 v5, 31, v4
	v_add_co_u32 v3, vcc_lo, s18, v8
	v_lshlrev_b32_e32 v32, 2, v6
	v_add_nc_u32_e32 v6, s15, v4
	v_lshlrev_b64 v[10:11], 3, v[4:5]
	v_add_co_ci_u32_e64 v4, null, s19, v9, vcc_lo
	s_cselect_b32 s36, -1, 0
	v_add_nc_u32_e32 v12, s15, v6
	v_ashrrev_i32_e32 v7, 31, v6
	v_add_co_u32 v5, vcc_lo, s18, v10
	s_lshl_b32 s37, s30, 2
	v_ashrrev_i32_e32 v13, 31, v12
	v_lshlrev_b64 v[7:8], 3, v[6:7]
	v_add_co_ci_u32_e64 v6, null, s19, v11, vcc_lo
	v_mov_b32_e32 v11, 0
	v_lshlrev_b64 v[9:10], 3, v[12:13]
	s_lshl_b32 s38, s30, 1
	v_add_co_u32 v7, vcc_lo, s18, v7
	v_add_co_ci_u32_e64 v8, null, s19, v8, vcc_lo
	v_add_co_u32 v9, vcc_lo, s18, v9
	v_add_co_ci_u32_e64 v10, null, s19, v10, vcc_lo
	s_mul_i32 s39, s30, 3
	s_mov_b32 s22, s21
	s_mov_b32 s40, s30
	;; [unrolled: 1-line block ×3, first 2 shown]
	s_branch .LBB308_13
.LBB308_12:                             ;   in Loop: Header=BB308_13 Depth=1
	s_or_b32 exec_lo, exec_lo, s23
	s_add_i32 s33, s33, 4
	s_add_i32 s40, s40, s37
	;; [unrolled: 1-line block ×5, first 2 shown]
	s_cmp_ge_i32 s33, s35
	s_cbranch_scc1 .LBB308_59
.LBB308_13:                             ; =>This Loop Header: Depth=1
                                        ;     Child Loop BB308_44 Depth 2
                                        ;     Child Loop BB308_46 Depth 2
                                        ; implicit-def: $vgpr14
                                        ; implicit-def: $vgpr35
                                        ; implicit-def: $vgpr15
                                        ; implicit-def: $vgpr16
                                        ; implicit-def: $vgpr17
                                        ; implicit-def: $vgpr18
                                        ; implicit-def: $vgpr20
                                        ; implicit-def: $vgpr19
	s_and_saveexec_b32 s20, s7
	s_xor_b32 s20, exec_lo, s20
	s_cbranch_execnz .LBB308_40
; %bb.14:                               ;   in Loop: Header=BB308_13 Depth=1
	s_andn2_saveexec_b32 s20, s20
	s_cbranch_execnz .LBB308_41
.LBB308_15:                             ;   in Loop: Header=BB308_13 Depth=1
	s_or_b32 exec_lo, exec_lo, s20
	s_and_saveexec_b32 s20, s4
.LBB308_16:                             ;   in Loop: Header=BB308_13 Depth=1
	v_mov_b32_e32 v12, v11
	ds_write_b64 v33, v[11:12]
.LBB308_17:                             ;   in Loop: Header=BB308_13 Depth=1
	s_or_b32 exec_lo, exec_lo, s20
	ds_bpermute_b32 v12, v28, v14
	ds_bpermute_b32 v13, v28, v35
	s_waitcnt lgkmcnt(0)
	s_waitcnt_vscnt null, 0x0
	s_barrier
	buffer_gl0_inv
	v_add_f32_e32 v12, v14, v12
	v_add_f32_e32 v13, v35, v13
	ds_bpermute_b32 v14, v29, v12
	ds_bpermute_b32 v35, v29, v13
	s_waitcnt lgkmcnt(1)
	v_add_f32_e32 v12, v12, v14
	s_waitcnt lgkmcnt(0)
	v_add_f32_e32 v13, v13, v35
	ds_bpermute_b32 v14, v30, v12
	ds_bpermute_b32 v35, v30, v13
	s_waitcnt lgkmcnt(1)
	v_add_f32_e32 v12, v12, v14
	s_waitcnt lgkmcnt(0)
	;; [unrolled: 6-line block ×3, first 2 shown]
	v_add_f32_e32 v13, v13, v35
	ds_bpermute_b32 v14, v32, v12
	ds_bpermute_b32 v35, v32, v13
	s_and_saveexec_b32 s20, s9
	s_cbranch_execz .LBB308_19
; %bb.18:                               ;   in Loop: Header=BB308_13 Depth=1
	s_waitcnt lgkmcnt(0)
	v_add_f32_e32 v13, v13, v35
	v_add_f32_e32 v12, v12, v14
	ds_write_b64 v34, v[12:13]
.LBB308_19:                             ;   in Loop: Header=BB308_13 Depth=1
	s_or_b32 exec_lo, exec_lo, s20
	s_waitcnt lgkmcnt(1)
	v_mov_b32_e32 v14, 0
	v_mov_b32_e32 v13, 0
	s_waitcnt lgkmcnt(0)
	s_barrier
	buffer_gl0_inv
	s_and_saveexec_b32 s20, s5
	s_cbranch_execnz .LBB308_47
; %bb.20:                               ;   in Loop: Header=BB308_13 Depth=1
	s_or_b32 exec_lo, exec_lo, s20
	s_and_saveexec_b32 s20, s4
	s_cbranch_execnz .LBB308_48
.LBB308_21:                             ;   in Loop: Header=BB308_13 Depth=1
	s_or_b32 exec_lo, exec_lo, s20
	s_and_saveexec_b32 s20, s4
.LBB308_22:                             ;   in Loop: Header=BB308_13 Depth=1
	v_mov_b32_e32 v12, v11
	ds_write_b64 v33, v[11:12]
.LBB308_23:                             ;   in Loop: Header=BB308_13 Depth=1
	s_or_b32 exec_lo, exec_lo, s20
	ds_bpermute_b32 v12, v28, v15
	ds_bpermute_b32 v35, v28, v16
	s_waitcnt lgkmcnt(0)
	s_barrier
	buffer_gl0_inv
	v_add_f32_e32 v12, v15, v12
	v_add_f32_e32 v15, v16, v35
	ds_bpermute_b32 v16, v29, v12
	ds_bpermute_b32 v35, v29, v15
	s_waitcnt lgkmcnt(1)
	v_add_f32_e32 v12, v12, v16
	s_waitcnt lgkmcnt(0)
	v_add_f32_e32 v15, v15, v35
	ds_bpermute_b32 v16, v30, v12
	ds_bpermute_b32 v35, v30, v15
	s_waitcnt lgkmcnt(1)
	v_add_f32_e32 v12, v12, v16
	s_waitcnt lgkmcnt(0)
	;; [unrolled: 6-line block ×3, first 2 shown]
	v_add_f32_e32 v15, v15, v35
	ds_bpermute_b32 v16, v32, v12
	ds_bpermute_b32 v35, v32, v15
	s_and_saveexec_b32 s20, s9
	s_cbranch_execz .LBB308_25
; %bb.24:                               ;   in Loop: Header=BB308_13 Depth=1
	s_waitcnt lgkmcnt(0)
	v_add_f32_e32 v36, v15, v35
	v_add_f32_e32 v35, v12, v16
	ds_write_b64 v34, v[35:36]
.LBB308_25:                             ;   in Loop: Header=BB308_13 Depth=1
	s_or_b32 exec_lo, exec_lo, s20
	s_waitcnt lgkmcnt(1)
	v_mov_b32_e32 v16, 0
	v_mov_b32_e32 v15, 0
	s_waitcnt lgkmcnt(0)
	s_barrier
	buffer_gl0_inv
	s_and_saveexec_b32 s20, s5
	s_cbranch_execnz .LBB308_49
; %bb.26:                               ;   in Loop: Header=BB308_13 Depth=1
	s_or_b32 exec_lo, exec_lo, s20
	s_and_saveexec_b32 s20, s4
	s_cbranch_execnz .LBB308_50
.LBB308_27:                             ;   in Loop: Header=BB308_13 Depth=1
	s_or_b32 exec_lo, exec_lo, s20
	s_and_saveexec_b32 s20, s4
.LBB308_28:                             ;   in Loop: Header=BB308_13 Depth=1
	v_mov_b32_e32 v12, v11
	ds_write_b64 v33, v[11:12]
.LBB308_29:                             ;   in Loop: Header=BB308_13 Depth=1
	s_or_b32 exec_lo, exec_lo, s20
	ds_bpermute_b32 v12, v28, v17
	ds_bpermute_b32 v35, v28, v18
	s_waitcnt lgkmcnt(0)
	s_barrier
	buffer_gl0_inv
	v_add_f32_e32 v12, v17, v12
	v_add_f32_e32 v17, v18, v35
	ds_bpermute_b32 v18, v29, v12
	ds_bpermute_b32 v35, v29, v17
	s_waitcnt lgkmcnt(1)
	v_add_f32_e32 v12, v12, v18
	s_waitcnt lgkmcnt(0)
	v_add_f32_e32 v17, v17, v35
	ds_bpermute_b32 v18, v30, v12
	ds_bpermute_b32 v35, v30, v17
	s_waitcnt lgkmcnt(1)
	v_add_f32_e32 v12, v12, v18
	s_waitcnt lgkmcnt(0)
	;; [unrolled: 6-line block ×3, first 2 shown]
	v_add_f32_e32 v17, v17, v35
	ds_bpermute_b32 v18, v32, v12
	ds_bpermute_b32 v35, v32, v17
	s_and_saveexec_b32 s20, s9
	s_cbranch_execz .LBB308_31
; %bb.30:                               ;   in Loop: Header=BB308_13 Depth=1
	s_waitcnt lgkmcnt(0)
	v_add_f32_e32 v36, v17, v35
	v_add_f32_e32 v35, v12, v18
	ds_write_b64 v34, v[35:36]
.LBB308_31:                             ;   in Loop: Header=BB308_13 Depth=1
	s_or_b32 exec_lo, exec_lo, s20
	s_waitcnt lgkmcnt(1)
	v_mov_b32_e32 v18, 0
	v_mov_b32_e32 v17, 0
	s_waitcnt lgkmcnt(0)
	s_barrier
	buffer_gl0_inv
	s_and_saveexec_b32 s20, s5
	s_cbranch_execnz .LBB308_51
; %bb.32:                               ;   in Loop: Header=BB308_13 Depth=1
	s_or_b32 exec_lo, exec_lo, s20
	s_and_saveexec_b32 s20, s4
	s_cbranch_execnz .LBB308_52
.LBB308_33:                             ;   in Loop: Header=BB308_13 Depth=1
	s_or_b32 exec_lo, exec_lo, s20
	s_and_saveexec_b32 s20, s4
.LBB308_34:                             ;   in Loop: Header=BB308_13 Depth=1
	v_mov_b32_e32 v12, v11
	ds_write_b64 v33, v[11:12]
.LBB308_35:                             ;   in Loop: Header=BB308_13 Depth=1
	s_or_b32 exec_lo, exec_lo, s20
	ds_bpermute_b32 v12, v28, v20
	ds_bpermute_b32 v35, v28, v19
	s_waitcnt lgkmcnt(0)
	s_barrier
	buffer_gl0_inv
	v_add_f32_e32 v12, v20, v12
	v_add_f32_e32 v19, v19, v35
	ds_bpermute_b32 v20, v29, v12
	ds_bpermute_b32 v35, v29, v19
	s_waitcnt lgkmcnt(1)
	v_add_f32_e32 v12, v12, v20
	s_waitcnt lgkmcnt(0)
	v_add_f32_e32 v19, v19, v35
	ds_bpermute_b32 v20, v30, v12
	ds_bpermute_b32 v35, v30, v19
	s_waitcnt lgkmcnt(1)
	v_add_f32_e32 v12, v12, v20
	s_waitcnt lgkmcnt(0)
	;; [unrolled: 6-line block ×3, first 2 shown]
	v_add_f32_e32 v19, v19, v35
	ds_bpermute_b32 v20, v32, v12
	ds_bpermute_b32 v35, v32, v19
	s_and_saveexec_b32 s20, s9
	s_cbranch_execz .LBB308_37
; %bb.36:                               ;   in Loop: Header=BB308_13 Depth=1
	s_waitcnt lgkmcnt(0)
	v_add_f32_e32 v36, v19, v35
	v_add_f32_e32 v35, v12, v20
	ds_write_b64 v34, v[35:36]
.LBB308_37:                             ;   in Loop: Header=BB308_13 Depth=1
	s_or_b32 exec_lo, exec_lo, s20
	s_waitcnt lgkmcnt(1)
	v_mov_b32_e32 v20, 0
	v_mov_b32_e32 v19, 0
	s_waitcnt lgkmcnt(0)
	s_barrier
	buffer_gl0_inv
	s_and_saveexec_b32 s20, s5
	s_cbranch_execnz .LBB308_53
; %bb.38:                               ;   in Loop: Header=BB308_13 Depth=1
	s_or_b32 exec_lo, exec_lo, s20
	s_and_saveexec_b32 s20, s4
	s_cbranch_execnz .LBB308_54
.LBB308_39:                             ;   in Loop: Header=BB308_13 Depth=1
	s_or_b32 exec_lo, exec_lo, s20
	s_and_saveexec_b32 s23, s10
	s_cbranch_execz .LBB308_12
	s_branch .LBB308_55
.LBB308_40:                             ;   in Loop: Header=BB308_13 Depth=1
	flat_load_dwordx2 v[43:44], v[3:4]
	s_mul_i32 s24, s33, s30
	s_waitcnt vmcnt(0) lgkmcnt(0)
	buffer_store_dword v44, off, s[0:3], 0 offset:4
	buffer_store_dword v43, off, s[0:3], 0
	flat_load_dwordx2 v[45:46], v[5:6]
	s_ashr_i32 s25, s24, 31
	s_waitcnt vmcnt(0) lgkmcnt(0)
	buffer_store_dword v46, off, s[0:3], 0 offset:12
	buffer_store_dword v45, off, s[0:3], 0 offset:8
	flat_load_dwordx2 v[47:48], v[7:8]
	s_lshl_b64 s[26:27], s[24:25], 3
	s_add_i32 s24, s24, s30
	v_add_co_u32 v51, vcc_lo, v21, s26
	v_add_co_ci_u32_e64 v52, null, s27, v22, vcc_lo
	s_ashr_i32 s25, s24, 31
	s_waitcnt vmcnt(0) lgkmcnt(0)
	buffer_store_dword v48, off, s[0:3], 0 offset:20
	buffer_store_dword v47, off, s[0:3], 0 offset:16
	flat_load_dwordx2 v[49:50], v[9:10]
	s_lshl_b64 s[26:27], s[24:25], 3
	s_add_i32 s24, s24, s30
	v_add_co_u32 v53, vcc_lo, v21, s26
	s_ashr_i32 s25, s24, 31
	v_add_co_ci_u32_e64 v54, null, s27, v22, vcc_lo
	s_lshl_b64 s[26:27], s[24:25], 3
	s_add_i32 s24, s24, s30
	v_add_co_u32 v55, vcc_lo, v21, s26
	v_add_co_ci_u32_e64 v56, null, s27, v22, vcc_lo
	s_ashr_i32 s25, s24, 31
	s_waitcnt vmcnt(0) lgkmcnt(0)
	buffer_store_dword v50, off, s[0:3], 0 offset:28
	buffer_store_dword v49, off, s[0:3], 0 offset:24
	s_clause 0x1
	flat_load_dwordx4 v[12:15], v[51:52]
	flat_load_dwordx4 v[35:38], v[55:56]
	s_lshl_b64 s[24:25], s[24:25], 3
	v_add_co_u32 v57, vcc_lo, v21, s24
	v_add_co_ci_u32_e64 v58, null, s25, v22, vcc_lo
	flat_load_dwordx4 v[39:42], v[57:58]
	s_waitcnt vmcnt(2) lgkmcnt(2)
	v_mul_f32_e32 v16, v44, v13
	v_mul_f32_e32 v13, v43, v13
	v_fma_f32 v16, v43, v12, -v16
	v_fmac_f32_e32 v13, v44, v12
	v_add_f32_e32 v12, 0, v16
	flat_load_dwordx4 v[16:19], v[53:54]
	v_add_f32_e32 v13, 0, v13
	s_waitcnt vmcnt(0) lgkmcnt(0)
	v_mul_f32_e32 v20, v44, v17
	v_mul_f32_e32 v17, v43, v17
	v_fma_f32 v20, v43, v16, -v20
	v_fmac_f32_e32 v17, v44, v16
	v_add_f32_e32 v16, 0, v20
	v_mul_f32_e32 v20, v44, v36
	v_mul_f32_e32 v36, v43, v36
	v_add_f32_e32 v17, 0, v17
	v_fma_f32 v20, v43, v35, -v20
	v_fmac_f32_e32 v36, v44, v35
	v_add_f32_e32 v20, 0, v20
	v_add_f32_e32 v35, 0, v36
	v_mul_f32_e32 v36, v44, v40
	v_mul_f32_e32 v40, v43, v40
	v_fma_f32 v36, v43, v39, -v36
	v_fmac_f32_e32 v40, v44, v39
	v_add_f32_e32 v36, 0, v36
	v_add_f32_e32 v39, 0, v40
	v_mul_f32_e32 v40, v46, v15
	v_mul_f32_e32 v15, v45, v15
	;; [unrolled: 6-line block ×5, first 2 shown]
	v_fma_f32 v12, v45, v41, -v12
	v_fmac_f32_e32 v13, v46, v41
	v_add_f32_e32 v45, v36, v12
	v_add_f32_e32 v46, v39, v13
	flat_load_dwordx4 v[12:15], v[51:52] offset:16
	s_waitcnt vmcnt(0) lgkmcnt(0)
	v_mul_f32_e32 v16, v48, v13
	v_mul_f32_e32 v13, v47, v13
	v_fma_f32 v16, v47, v12, -v16
	v_fmac_f32_e32 v13, v48, v12
	v_add_f32_e32 v12, v40, v16
	flat_load_dwordx4 v[16:19], v[53:54] offset:16
	v_add_f32_e32 v13, v43, v13
	s_waitcnt vmcnt(0) lgkmcnt(0)
	v_mul_f32_e32 v35, v48, v17
	v_mul_f32_e32 v17, v47, v17
	v_fma_f32 v35, v47, v16, -v35
	v_fmac_f32_e32 v17, v48, v16
	v_add_f32_e32 v16, v44, v35
	flat_load_dwordx4 v[35:38], v[55:56] offset:16
	v_add_f32_e32 v17, v59, v17
	;; [unrolled: 8-line block ×3, first 2 shown]
	s_waitcnt vmcnt(0) lgkmcnt(0)
	v_mul_f32_e32 v35, v48, v40
	v_mul_f32_e32 v40, v47, v40
	v_fma_f32 v35, v47, v39, -v35
	v_fmac_f32_e32 v40, v48, v39
	v_add_f32_e32 v39, v45, v35
	v_mul_f32_e32 v35, v50, v15
	v_mul_f32_e32 v15, v49, v15
	v_add_f32_e32 v40, v46, v40
	v_fma_f32 v35, v49, v14, -v35
	v_fmac_f32_e32 v15, v50, v14
	v_add_f32_e32 v14, v12, v35
	v_add_f32_e32 v35, v13, v15
	v_mul_f32_e32 v12, v50, v19
	v_mul_f32_e32 v13, v49, v19
	v_fma_f32 v12, v49, v18, -v12
	v_fmac_f32_e32 v13, v50, v18
	v_add_f32_e32 v15, v16, v12
	v_add_f32_e32 v16, v17, v13
	v_mul_f32_e32 v12, v50, v38
	v_mul_f32_e32 v13, v49, v38
	;; [unrolled: 6-line block ×3, first 2 shown]
	v_fma_f32 v12, v49, v41, -v12
	v_fmac_f32_e32 v13, v50, v41
	v_add_f32_e32 v20, v39, v12
	v_add_f32_e32 v19, v40, v13
	s_andn2_saveexec_b32 s20, s20
	s_cbranch_execz .LBB308_15
.LBB308_41:                             ;   in Loop: Header=BB308_13 Depth=1
	v_mov_b32_e32 v14, 0
	v_mov_b32_e32 v35, 0
	;; [unrolled: 1-line block ×6, first 2 shown]
	s_waitcnt lgkmcnt(0)
	v_mov_b32_e32 v20, 0
	v_mov_b32_e32 v19, 0
	s_and_saveexec_b32 s41, s8
	s_cbranch_execz .LBB308_57
; %bb.42:                               ;   in Loop: Header=BB308_13 Depth=1
	s_andn2_b32 vcc_lo, exec_lo, s36
	s_cbranch_vccnz .LBB308_56
; %bb.43:                               ;   in Loop: Header=BB308_13 Depth=1
	v_mov_b32_e32 v12, v2
	s_mov_b32 s23, 0
	s_mov_b32 s24, s31
	.p2align	6
.LBB308_44:                             ;   Parent Loop BB308_13 Depth=1
                                        ; =>  This Inner Loop Header: Depth=2
	v_ashrrev_i32_e32 v13, 31, v12
	v_mov_b32_e32 v15, s23
	s_add_i32 s24, s24, -1
	s_add_i32 s23, s23, 8
	s_cmp_eq_u32 s24, 0
	v_lshlrev_b64 v[13:14], 3, v[12:13]
	v_add_nc_u32_e32 v12, s15, v12
	v_add_co_u32 v13, vcc_lo, s18, v13
	v_add_co_ci_u32_e64 v14, null, s19, v14, vcc_lo
	flat_load_dwordx2 v[13:14], v[13:14]
	s_waitcnt vmcnt(0) lgkmcnt(0)
	buffer_store_dword v14, v15, s[0:3], 0 offen offset:4
	buffer_store_dword v13, v15, s[0:3], 0 offen
	s_cbranch_scc0 .LBB308_44
; %bb.45:                               ;   in Loop: Header=BB308_13 Depth=1
	s_ashr_i32 s23, s22, 31
	v_mov_b32_e32 v19, 0
	s_lshl_b64 s[24:25], s[22:23], 3
	v_mov_b32_e32 v20, 0
	v_add_co_u32 v12, vcc_lo, v21, s24
	v_add_co_ci_u32_e64 v13, null, s25, v22, vcc_lo
	v_mov_b32_e32 v18, 0
	v_mov_b32_e32 v17, 0
	;; [unrolled: 1-line block ×6, first 2 shown]
	s_mov_b32 s23, 0
	s_mov_b32 s24, s39
	;; [unrolled: 1-line block ×5, first 2 shown]
.LBB308_46:                             ;   Parent Loop BB308_13 Depth=1
                                        ; =>  This Inner Loop Header: Depth=2
	s_ashr_i32 s29, s28, 31
	s_ashr_i32 s27, s26, 31
	s_lshl_b64 s[44:45], s[28:29], 3
	s_ashr_i32 s25, s24, 31
	s_lshl_b64 s[46:47], s[26:27], 3
	v_add_co_u32 v38, vcc_lo, v21, s44
	s_lshl_b64 s[48:49], s[24:25], 3
	v_add_co_ci_u32_e64 v39, null, s45, v22, vcc_lo
	v_add_co_u32 v40, vcc_lo, v21, s46
	v_mov_b32_e32 v44, s23
	v_add_co_ci_u32_e64 v41, null, s47, v22, vcc_lo
	v_add_co_u32 v42, vcc_lo, v21, s48
	v_add_co_ci_u32_e64 v43, null, s49, v22, vcc_lo
	flat_load_dwordx2 v[36:37], v[12:13]
	s_clause 0x1
	buffer_load_dword v45, v44, s[0:3], 0 offen offset:4
	buffer_load_dword v44, v44, s[0:3], 0 offen
	s_clause 0x2
	flat_load_dwordx2 v[38:39], v[38:39]
	flat_load_dwordx2 v[40:41], v[40:41]
	;; [unrolled: 1-line block ×3, first 2 shown]
	v_add_co_u32 v12, vcc_lo, v12, 8
	v_add_co_ci_u32_e64 v13, null, 0, v13, vcc_lo
	s_add_i32 s42, s42, -1
	s_add_i32 s23, s23, 8
	s_add_i32 s28, s28, 1
	;; [unrolled: 1-line block ×4, first 2 shown]
	s_cmp_lg_u32 s42, 0
	s_waitcnt vmcnt(4) lgkmcnt(3)
	v_mul_f32_e32 v46, v45, v37
	s_waitcnt vmcnt(3)
	v_mul_f32_e32 v37, v44, v37
	s_waitcnt vmcnt(2) lgkmcnt(2)
	v_mul_f32_e32 v47, v45, v39
	v_mul_f32_e32 v39, v44, v39
	s_waitcnt vmcnt(1) lgkmcnt(1)
	v_mul_f32_e32 v48, v45, v41
	;; [unrolled: 3-line block ×3, first 2 shown]
	v_mul_f32_e32 v43, v44, v43
	v_fma_f32 v46, v44, v36, -v46
	v_fmac_f32_e32 v37, v45, v36
	v_fma_f32 v36, v44, v38, -v47
	v_fmac_f32_e32 v39, v45, v38
	;; [unrolled: 2-line block ×4, first 2 shown]
	v_add_f32_e32 v14, v14, v46
	v_add_f32_e32 v35, v35, v37
	;; [unrolled: 1-line block ×8, first 2 shown]
	s_cbranch_scc1 .LBB308_46
	s_branch .LBB308_57
.LBB308_47:                             ;   in Loop: Header=BB308_13 Depth=1
	ds_read_b64 v[13:14], v33
	s_or_b32 exec_lo, exec_lo, s20
	s_and_saveexec_b32 s20, s4
	s_cbranch_execz .LBB308_21
.LBB308_48:                             ;   in Loop: Header=BB308_13 Depth=1
	s_waitcnt lgkmcnt(0)
	ds_bpermute_b32 v12, v30, v13
	ds_bpermute_b32 v35, v30, v14
	s_waitcnt lgkmcnt(1)
	v_add_f32_e32 v12, v13, v12
	s_waitcnt lgkmcnt(0)
	v_add_f32_e32 v13, v14, v35
	ds_bpermute_b32 v14, v31, v12
	ds_bpermute_b32 v35, v31, v13
	s_waitcnt lgkmcnt(1)
	v_add_f32_e32 v12, v12, v14
	s_waitcnt lgkmcnt(0)
	v_add_f32_e32 v14, v13, v35
	;; [unrolled: 6-line block ×3, first 2 shown]
	s_or_b32 exec_lo, exec_lo, s20
	s_and_saveexec_b32 s20, s4
	s_cbranch_execnz .LBB308_22
	s_branch .LBB308_23
.LBB308_49:                             ;   in Loop: Header=BB308_13 Depth=1
	ds_read_b64 v[15:16], v33
	s_or_b32 exec_lo, exec_lo, s20
	s_and_saveexec_b32 s20, s4
	s_cbranch_execz .LBB308_27
.LBB308_50:                             ;   in Loop: Header=BB308_13 Depth=1
	s_waitcnt lgkmcnt(0)
	ds_bpermute_b32 v12, v30, v15
	ds_bpermute_b32 v35, v30, v16
	s_waitcnt lgkmcnt(1)
	v_add_f32_e32 v12, v15, v12
	s_waitcnt lgkmcnt(0)
	v_add_f32_e32 v15, v16, v35
	ds_bpermute_b32 v16, v31, v12
	ds_bpermute_b32 v35, v31, v15
	s_waitcnt lgkmcnt(1)
	v_add_f32_e32 v12, v12, v16
	s_waitcnt lgkmcnt(0)
	v_add_f32_e32 v16, v15, v35
	ds_bpermute_b32 v15, v32, v12
	ds_bpermute_b32 v35, v32, v16
	s_waitcnt lgkmcnt(1)
	v_add_f32_e32 v15, v12, v15
	s_waitcnt lgkmcnt(0)
	v_add_f32_e32 v16, v16, v35
	s_or_b32 exec_lo, exec_lo, s20
	s_and_saveexec_b32 s20, s4
	s_cbranch_execnz .LBB308_28
	s_branch .LBB308_29
.LBB308_51:                             ;   in Loop: Header=BB308_13 Depth=1
	ds_read_b64 v[17:18], v33
	s_or_b32 exec_lo, exec_lo, s20
	s_and_saveexec_b32 s20, s4
	s_cbranch_execz .LBB308_33
.LBB308_52:                             ;   in Loop: Header=BB308_13 Depth=1
	s_waitcnt lgkmcnt(0)
	ds_bpermute_b32 v12, v30, v17
	ds_bpermute_b32 v35, v30, v18
	s_waitcnt lgkmcnt(1)
	v_add_f32_e32 v12, v17, v12
	s_waitcnt lgkmcnt(0)
	v_add_f32_e32 v17, v18, v35
	ds_bpermute_b32 v18, v31, v12
	ds_bpermute_b32 v35, v31, v17
	s_waitcnt lgkmcnt(1)
	v_add_f32_e32 v12, v12, v18
	s_waitcnt lgkmcnt(0)
	v_add_f32_e32 v18, v17, v35
	;; [unrolled: 6-line block ×3, first 2 shown]
	s_or_b32 exec_lo, exec_lo, s20
	s_and_saveexec_b32 s20, s4
	s_cbranch_execnz .LBB308_34
	s_branch .LBB308_35
.LBB308_53:                             ;   in Loop: Header=BB308_13 Depth=1
	ds_read_b64 v[19:20], v33
	s_or_b32 exec_lo, exec_lo, s20
	s_and_saveexec_b32 s20, s4
	s_cbranch_execz .LBB308_39
.LBB308_54:                             ;   in Loop: Header=BB308_13 Depth=1
	s_waitcnt lgkmcnt(0)
	ds_bpermute_b32 v12, v30, v19
	ds_bpermute_b32 v35, v30, v20
	s_waitcnt lgkmcnt(1)
	v_add_f32_e32 v12, v19, v12
	s_waitcnt lgkmcnt(0)
	v_add_f32_e32 v19, v20, v35
	ds_bpermute_b32 v20, v31, v12
	ds_bpermute_b32 v35, v31, v19
	s_waitcnt lgkmcnt(1)
	v_add_f32_e32 v12, v12, v20
	s_waitcnt lgkmcnt(0)
	v_add_f32_e32 v20, v19, v35
	;; [unrolled: 6-line block ×3, first 2 shown]
	s_or_b32 exec_lo, exec_lo, s20
	s_and_saveexec_b32 s23, s10
	s_cbranch_execz .LBB308_12
.LBB308_55:                             ;   in Loop: Header=BB308_13 Depth=1
	v_mul_f32_e32 v12, s17, v14
	v_mul_f32_e32 v36, s16, v14
	s_mul_i32 s20, s33, s14
	v_mul_f32_e32 v14, s17, v18
	s_add_i32 s20, s20, s6
	v_fma_f32 v35, v13, s16, -v12
	s_lshl_b64 s[24:25], s[20:21], 3
	v_fmac_f32_e32 v36, s17, v13
	s_add_u32 s24, s34, s24
	s_addc_u32 s25, s11, s25
	s_add_i32 s20, s20, s14
	v_mul_f32_e32 v12, s17, v16
	global_store_dwordx2 v11, v[35:36], s[24:25]
	v_mul_f32_e32 v13, s16, v16
	s_lshl_b64 s[24:25], s[20:21], 3
	v_mul_f32_e32 v16, s16, v18
	s_add_u32 s24, s34, s24
	s_addc_u32 s25, s11, s25
	s_add_i32 s20, s20, s14
	v_fma_f32 v12, v15, s16, -v12
	v_fmac_f32_e32 v13, s17, v15
	v_fma_f32 v15, v17, s16, -v14
	s_waitcnt lgkmcnt(0)
	v_mul_f32_e32 v14, s17, v20
	s_lshl_b64 s[26:27], s[20:21], 3
	v_mul_f32_e32 v18, s16, v20
	s_add_u32 s26, s34, s26
	s_addc_u32 s27, s11, s27
	s_add_i32 s20, s20, s14
	v_fmac_f32_e32 v16, s17, v17
	v_fma_f32 v17, v19, s16, -v14
	v_fmac_f32_e32 v18, s17, v19
	s_lshl_b64 s[28:29], s[20:21], 3
	global_store_dwordx2 v11, v[12:13], s[24:25]
	s_add_u32 s24, s34, s28
	s_addc_u32 s25, s11, s29
	global_store_dwordx2 v11, v[15:16], s[26:27]
	global_store_dwordx2 v11, v[17:18], s[24:25]
	s_branch .LBB308_12
.LBB308_56:                             ;   in Loop: Header=BB308_13 Depth=1
	v_mov_b32_e32 v14, 0
	v_mov_b32_e32 v35, 0
	;; [unrolled: 1-line block ×8, first 2 shown]
.LBB308_57:                             ;   in Loop: Header=BB308_13 Depth=1
	s_or_b32 exec_lo, exec_lo, s41
	s_or_b32 exec_lo, exec_lo, s20
	s_and_saveexec_b32 s20, s4
	s_cbranch_execnz .LBB308_16
	s_branch .LBB308_17
.LBB308_58:
	s_mov_b32 s33, 0
.LBB308_59:
	s_cmp_ge_i32 s33, s13
	s_cbranch_scc1 .LBB308_81
; %bb.60:
	v_cmp_gt_u32_e64 s5, 24, v25
	s_cmp_gt_i32 s31, 0
	s_mov_b32 s7, 0
	s_cselect_b32 s22, -1, 0
	s_lshl_b64 s[20:21], s[6:7], 3
	v_cndmask_b32_e64 v2, 0, 8, s5
	v_cmp_gt_u32_e64 s5, 28, v25
	v_cmp_ge_i32_e64 s10, s12, v27
	v_cmp_gt_u32_e64 s4, 32, v0
	v_lshlrev_b32_e32 v13, 3, v24
	v_add_lshl_u32 v15, v2, v25, 2
	v_cndmask_b32_e64 v3, 0, 4, s5
	v_cmp_gt_u32_e64 s5, 30, v25
	v_ashrrev_i32_e32 v2, 31, v1
	v_lshl_or_b32 v14, v25, 2, 64
	s_waitcnt lgkmcnt(0)
	v_and_b32_e32 v19, 56, v23
	v_add_lshl_u32 v16, v3, v25, 2
	v_cndmask_b32_e64 v4, 0, 2, s5
	v_cmp_ne_u32_e64 s5, 31, v25
	v_add_nc_u32_e32 v3, s15, v1
	v_lshlrev_b64 v[7:8], 3, v[1:2]
	v_cmp_gt_u32_e64 s8, 8, v0
	v_add_lshl_u32 v17, v4, v25, 2
	v_add_co_ci_u32_e64 v5, null, 0, v25, s5
	v_ashrrev_i32_e32 v4, 31, v3
	v_add_co_u32 v2, s6, s18, v7
	v_lshlrev_b32_e32 v18, 2, v5
	v_add_nc_u32_e32 v5, s15, v3
	v_lshlrev_b64 v[9:10], 3, v[3:4]
	v_add_co_ci_u32_e64 v3, null, s19, v8, s6
	v_cmp_eq_u32_e64 s5, 0, v24
	v_add_nc_u32_e32 v11, s15, v5
	v_ashrrev_i32_e32 v6, 31, v5
	v_add_co_u32 v4, s6, s18, v9
	v_cmp_eq_u32_e64 s9, 0, v0
	v_ashrrev_i32_e32 v12, 31, v11
	v_lshlrev_b64 v[6:7], 3, v[5:6]
	v_add_co_ci_u32_e64 v5, null, s19, v10, s6
	v_mov_b32_e32 v10, 0
	v_lshlrev_b64 v[8:9], 3, v[11:12]
	s_add_u32 s7, s34, s20
	v_add_co_u32 v6, s6, s18, v6
	v_add_co_ci_u32_e64 v7, null, s19, v7, s6
	v_add_co_u32 v8, s6, s18, v8
	v_add_co_ci_u32_e64 v9, null, s19, v9, s6
	v_cmp_ge_i32_e32 vcc_lo, s12, v26
	s_addc_u32 s12, s11, s21
	s_and_b32 s20, s22, s10
	s_mul_i32 s10, s33, s30
	s_branch .LBB308_62
.LBB308_61:                             ;   in Loop: Header=BB308_62 Depth=1
	s_or_b32 exec_lo, exec_lo, s6
	s_add_i32 s33, s33, 1
	s_add_i32 s10, s10, s30
	s_cmp_lt_i32 s33, s13
	s_cbranch_scc0 .LBB308_81
.LBB308_62:                             ; =>This Loop Header: Depth=1
                                        ;     Child Loop BB308_74 Depth 2
                                        ;     Child Loop BB308_76 Depth 2
                                        ; implicit-def: $vgpr0
                                        ; implicit-def: $vgpr20
	s_and_saveexec_b32 s6, vcc_lo
	s_xor_b32 s11, exec_lo, s6
	s_cbranch_execnz .LBB308_71
; %bb.63:                               ;   in Loop: Header=BB308_62 Depth=1
	s_andn2_saveexec_b32 s21, s11
	s_cbranch_execnz .LBB308_72
.LBB308_64:                             ;   in Loop: Header=BB308_62 Depth=1
	s_or_b32 exec_lo, exec_lo, s21
	s_and_saveexec_b32 s6, s4
	s_cbranch_execz .LBB308_66
.LBB308_65:                             ;   in Loop: Header=BB308_62 Depth=1
	s_waitcnt lgkmcnt(0)
	v_mov_b32_e32 v11, v10
	ds_write_b64 v13, v[10:11]
.LBB308_66:                             ;   in Loop: Header=BB308_62 Depth=1
	s_or_b32 exec_lo, exec_lo, s6
	s_waitcnt lgkmcnt(0)
	ds_bpermute_b32 v11, v14, v0
	ds_bpermute_b32 v12, v14, v20
	s_waitcnt lgkmcnt(0)
	s_waitcnt_vscnt null, 0x0
	s_barrier
	buffer_gl0_inv
	v_add_f32_e32 v0, v0, v11
	v_add_f32_e32 v11, v20, v12
	ds_bpermute_b32 v12, v15, v0
	ds_bpermute_b32 v20, v15, v11
	s_waitcnt lgkmcnt(1)
	v_add_f32_e32 v0, v0, v12
	s_waitcnt lgkmcnt(0)
	v_add_f32_e32 v11, v11, v20
	ds_bpermute_b32 v12, v16, v0
	ds_bpermute_b32 v20, v16, v11
	s_waitcnt lgkmcnt(1)
	v_add_f32_e32 v0, v0, v12
	s_waitcnt lgkmcnt(0)
	;; [unrolled: 6-line block ×3, first 2 shown]
	v_add_f32_e32 v11, v11, v20
	ds_bpermute_b32 v12, v18, v0
	ds_bpermute_b32 v20, v18, v11
	s_and_saveexec_b32 s6, s5
	s_cbranch_execz .LBB308_68
; %bb.67:                               ;   in Loop: Header=BB308_62 Depth=1
	s_waitcnt lgkmcnt(0)
	v_add_f32_e32 v24, v11, v20
	v_add_f32_e32 v23, v0, v12
	ds_write_b64 v19, v[23:24]
.LBB308_68:                             ;   in Loop: Header=BB308_62 Depth=1
	s_or_b32 exec_lo, exec_lo, s6
	s_waitcnt lgkmcnt(1)
	v_mov_b32_e32 v12, 0
	v_mov_b32_e32 v11, 0
	s_waitcnt lgkmcnt(0)
	s_barrier
	buffer_gl0_inv
	s_and_saveexec_b32 s6, s8
	s_cbranch_execnz .LBB308_78
; %bb.69:                               ;   in Loop: Header=BB308_62 Depth=1
	s_or_b32 exec_lo, exec_lo, s6
	s_and_saveexec_b32 s6, s4
	s_cbranch_execnz .LBB308_79
.LBB308_70:                             ;   in Loop: Header=BB308_62 Depth=1
	s_or_b32 exec_lo, exec_lo, s6
	s_and_saveexec_b32 s6, s9
	s_cbranch_execz .LBB308_61
	s_branch .LBB308_80
.LBB308_71:                             ;   in Loop: Header=BB308_62 Depth=1
	s_mul_i32 s22, s33, s30
	s_ashr_i32 s23, s22, 31
	s_lshl_b64 s[22:23], s[22:23], 3
	s_waitcnt lgkmcnt(0)
	v_add_co_u32 v11, s6, v21, s22
	v_add_co_ci_u32_e64 v12, null, s23, v22, s6
	flat_load_dwordx4 v[23:26], v[11:12]
	s_clause 0x1
	flat_load_dwordx2 v[31:32], v[2:3]
	flat_load_dwordx2 v[33:34], v[4:5]
	flat_load_dwordx4 v[27:30], v[11:12] offset:16
	s_clause 0x1
	flat_load_dwordx2 v[11:12], v[6:7]
	flat_load_dwordx2 v[35:36], v[8:9]
	s_waitcnt vmcnt(4) lgkmcnt(4)
	v_mul_f32_e32 v0, v32, v24
	v_mul_f32_e32 v20, v31, v24
	s_waitcnt vmcnt(3) lgkmcnt(3)
	v_mul_f32_e32 v24, v34, v26
	v_mul_f32_e32 v26, v33, v26
	s_waitcnt vmcnt(1) lgkmcnt(1)
	v_mul_f32_e32 v37, v12, v28
	v_fma_f32 v0, v31, v23, -v0
	v_fmac_f32_e32 v20, v32, v23
	v_mul_f32_e32 v28, v11, v28
	v_fma_f32 v24, v33, v25, -v24
	v_fmac_f32_e32 v26, v34, v25
	v_add_f32_e32 v0, 0, v0
	v_add_f32_e32 v20, 0, v20
	s_waitcnt vmcnt(0) lgkmcnt(0)
	v_mul_f32_e32 v23, v36, v30
	v_mul_f32_e32 v25, v35, v30
	v_fma_f32 v30, v11, v27, -v37
	v_fmac_f32_e32 v28, v12, v27
	v_add_f32_e32 v0, v0, v24
	v_add_f32_e32 v20, v20, v26
	v_fma_f32 v23, v35, v29, -v23
	v_fmac_f32_e32 v25, v36, v29
	buffer_store_dword v32, off, s[0:3], 0 offset:4
	v_add_f32_e32 v0, v0, v30
	v_add_f32_e32 v20, v20, v28
	buffer_store_dword v31, off, s[0:3], 0
	buffer_store_dword v34, off, s[0:3], 0 offset:12
	buffer_store_dword v33, off, s[0:3], 0 offset:8
	;; [unrolled: 1-line block ×6, first 2 shown]
	v_add_f32_e32 v0, v0, v23
	v_add_f32_e32 v20, v20, v25
	s_andn2_saveexec_b32 s21, s11
	s_cbranch_execz .LBB308_64
.LBB308_72:                             ;   in Loop: Header=BB308_62 Depth=1
	v_mov_b32_e32 v0, 0
	v_mov_b32_e32 v20, 0
	s_and_saveexec_b32 s22, s20
	s_cbranch_execz .LBB308_77
; %bb.73:                               ;   in Loop: Header=BB308_62 Depth=1
	s_waitcnt lgkmcnt(0)
	v_mov_b32_e32 v11, v1
	s_mov_b32 s11, 0
	s_mov_b32 s23, s31
	.p2align	6
.LBB308_74:                             ;   Parent Loop BB308_62 Depth=1
                                        ; =>  This Inner Loop Header: Depth=2
	v_ashrrev_i32_e32 v12, 31, v11
	v_mov_b32_e32 v0, s11
	s_add_i32 s23, s23, -1
	s_add_i32 s11, s11, 8
	s_cmp_eq_u32 s23, 0
	v_lshlrev_b64 v[23:24], 3, v[11:12]
	v_add_nc_u32_e32 v11, s15, v11
	v_add_co_u32 v23, s6, s18, v23
	v_add_co_ci_u32_e64 v24, null, s19, v24, s6
	flat_load_dwordx2 v[23:24], v[23:24]
	s_waitcnt vmcnt(0) lgkmcnt(0)
	buffer_store_dword v24, v0, s[0:3], 0 offen offset:4
	buffer_store_dword v23, v0, s[0:3], 0 offen
	s_cbranch_scc0 .LBB308_74
; %bb.75:                               ;   in Loop: Header=BB308_62 Depth=1
	s_ashr_i32 s11, s10, 31
	v_mov_b32_e32 v0, 0
	s_lshl_b64 s[24:25], s[10:11], 3
	v_mov_b32_e32 v20, 0
	v_add_co_u32 v11, s6, v21, s24
	v_add_co_ci_u32_e64 v12, null, s25, v22, s6
	s_mov_b32 s11, 0
	s_mov_b32 s23, s31
	.p2align	6
.LBB308_76:                             ;   Parent Loop BB308_62 Depth=1
                                        ; =>  This Inner Loop Header: Depth=2
	v_mov_b32_e32 v25, s11
	flat_load_dwordx2 v[23:24], v[11:12]
	v_add_co_u32 v11, s6, v11, 8
	v_add_co_ci_u32_e64 v12, null, 0, v12, s6
	s_clause 0x1
	buffer_load_dword v26, v25, s[0:3], 0 offen offset:4
	buffer_load_dword v25, v25, s[0:3], 0 offen
	s_add_i32 s23, s23, -1
	s_add_i32 s11, s11, 8
	s_cmp_lg_u32 s23, 0
	s_waitcnt vmcnt(1) lgkmcnt(0)
	v_mul_f32_e32 v27, v26, v24
	s_waitcnt vmcnt(0)
	v_mul_f32_e32 v24, v25, v24
	v_fma_f32 v25, v25, v23, -v27
	v_fmac_f32_e32 v24, v26, v23
	v_add_f32_e32 v0, v0, v25
	v_add_f32_e32 v20, v20, v24
	s_cbranch_scc1 .LBB308_76
.LBB308_77:                             ;   in Loop: Header=BB308_62 Depth=1
	s_or_b32 exec_lo, exec_lo, s22
	s_or_b32 exec_lo, exec_lo, s21
	s_and_saveexec_b32 s6, s4
	s_cbranch_execnz .LBB308_65
	s_branch .LBB308_66
.LBB308_78:                             ;   in Loop: Header=BB308_62 Depth=1
	ds_read_b64 v[11:12], v13
	s_or_b32 exec_lo, exec_lo, s6
	s_and_saveexec_b32 s6, s4
	s_cbranch_execz .LBB308_70
.LBB308_79:                             ;   in Loop: Header=BB308_62 Depth=1
	s_waitcnt lgkmcnt(0)
	ds_bpermute_b32 v0, v16, v11
	ds_bpermute_b32 v20, v16, v12
	s_waitcnt lgkmcnt(1)
	v_add_f32_e32 v0, v11, v0
	s_waitcnt lgkmcnt(0)
	v_add_f32_e32 v11, v12, v20
	ds_bpermute_b32 v12, v17, v0
	ds_bpermute_b32 v20, v17, v11
	s_waitcnt lgkmcnt(1)
	v_add_f32_e32 v0, v0, v12
	s_waitcnt lgkmcnt(0)
	v_add_f32_e32 v12, v11, v20
	;; [unrolled: 6-line block ×3, first 2 shown]
	s_or_b32 exec_lo, exec_lo, s6
	s_and_saveexec_b32 s6, s9
	s_cbranch_execz .LBB308_61
.LBB308_80:                             ;   in Loop: Header=BB308_62 Depth=1
	s_waitcnt lgkmcnt(0)
	v_mul_f32_e32 v0, s17, v12
	v_mul_f32_e32 v24, s16, v12
	s_mul_hi_u32 s23, s33, s14
	s_mul_i32 s22, s33, s14
	s_lshl_b64 s[22:23], s[22:23], 3
	v_fma_f32 v23, v11, s16, -v0
	v_fmac_f32_e32 v24, s17, v11
	s_add_u32 s22, s7, s22
	s_addc_u32 s23, s12, s23
	global_store_dwordx2 v10, v[23:24], s[22:23]
	s_branch .LBB308_61
.LBB308_81:
	s_endpgm
	.section	.rodata,"a",@progbits
	.p2align	6, 0x0
	.amdhsa_kernel _ZL23rocblas_gemvt_sn_kernelILb0ELi256ELi4EiPK19rocblas_complex_numIfES3_S1_EviiT4_lPKT3_lilS7_lilPT5_i
		.amdhsa_group_segment_fixed_size 256
		.amdhsa_private_segment_fixed_size 48
		.amdhsa_kernarg_size 360
		.amdhsa_user_sgpr_count 6
		.amdhsa_user_sgpr_private_segment_buffer 1
		.amdhsa_user_sgpr_dispatch_ptr 0
		.amdhsa_user_sgpr_queue_ptr 0
		.amdhsa_user_sgpr_kernarg_segment_ptr 1
		.amdhsa_user_sgpr_dispatch_id 0
		.amdhsa_user_sgpr_flat_scratch_init 0
		.amdhsa_user_sgpr_private_segment_size 0
		.amdhsa_wavefront_size32 1
		.amdhsa_uses_dynamic_stack 0
		.amdhsa_system_sgpr_private_segment_wavefront_offset 1
		.amdhsa_system_sgpr_workgroup_id_x 1
		.amdhsa_system_sgpr_workgroup_id_y 0
		.amdhsa_system_sgpr_workgroup_id_z 1
		.amdhsa_system_sgpr_workgroup_info 0
		.amdhsa_system_vgpr_workitem_id 0
		.amdhsa_next_free_vgpr 61
		.amdhsa_next_free_sgpr 50
		.amdhsa_reserve_vcc 1
		.amdhsa_reserve_flat_scratch 1
		.amdhsa_float_round_mode_32 0
		.amdhsa_float_round_mode_16_64 0
		.amdhsa_float_denorm_mode_32 3
		.amdhsa_float_denorm_mode_16_64 3
		.amdhsa_dx10_clamp 1
		.amdhsa_ieee_mode 1
		.amdhsa_fp16_overflow 0
		.amdhsa_workgroup_processor_mode 1
		.amdhsa_memory_ordered 1
		.amdhsa_forward_progress 1
		.amdhsa_shared_vgpr_count 0
		.amdhsa_exception_fp_ieee_invalid_op 0
		.amdhsa_exception_fp_denorm_src 0
		.amdhsa_exception_fp_ieee_div_zero 0
		.amdhsa_exception_fp_ieee_overflow 0
		.amdhsa_exception_fp_ieee_underflow 0
		.amdhsa_exception_fp_ieee_inexact 0
		.amdhsa_exception_int_div_zero 0
	.end_amdhsa_kernel
	.section	.text._ZL23rocblas_gemvt_sn_kernelILb0ELi256ELi4EiPK19rocblas_complex_numIfES3_S1_EviiT4_lPKT3_lilS7_lilPT5_i,"axG",@progbits,_ZL23rocblas_gemvt_sn_kernelILb0ELi256ELi4EiPK19rocblas_complex_numIfES3_S1_EviiT4_lPKT3_lilS7_lilPT5_i,comdat
.Lfunc_end308:
	.size	_ZL23rocblas_gemvt_sn_kernelILb0ELi256ELi4EiPK19rocblas_complex_numIfES3_S1_EviiT4_lPKT3_lilS7_lilPT5_i, .Lfunc_end308-_ZL23rocblas_gemvt_sn_kernelILb0ELi256ELi4EiPK19rocblas_complex_numIfES3_S1_EviiT4_lPKT3_lilS7_lilPT5_i
                                        ; -- End function
	.set _ZL23rocblas_gemvt_sn_kernelILb0ELi256ELi4EiPK19rocblas_complex_numIfES3_S1_EviiT4_lPKT3_lilS7_lilPT5_i.num_vgpr, 61
	.set _ZL23rocblas_gemvt_sn_kernelILb0ELi256ELi4EiPK19rocblas_complex_numIfES3_S1_EviiT4_lPKT3_lilS7_lilPT5_i.num_agpr, 0
	.set _ZL23rocblas_gemvt_sn_kernelILb0ELi256ELi4EiPK19rocblas_complex_numIfES3_S1_EviiT4_lPKT3_lilS7_lilPT5_i.numbered_sgpr, 50
	.set _ZL23rocblas_gemvt_sn_kernelILb0ELi256ELi4EiPK19rocblas_complex_numIfES3_S1_EviiT4_lPKT3_lilS7_lilPT5_i.num_named_barrier, 0
	.set _ZL23rocblas_gemvt_sn_kernelILb0ELi256ELi4EiPK19rocblas_complex_numIfES3_S1_EviiT4_lPKT3_lilS7_lilPT5_i.private_seg_size, 48
	.set _ZL23rocblas_gemvt_sn_kernelILb0ELi256ELi4EiPK19rocblas_complex_numIfES3_S1_EviiT4_lPKT3_lilS7_lilPT5_i.uses_vcc, 1
	.set _ZL23rocblas_gemvt_sn_kernelILb0ELi256ELi4EiPK19rocblas_complex_numIfES3_S1_EviiT4_lPKT3_lilS7_lilPT5_i.uses_flat_scratch, 1
	.set _ZL23rocblas_gemvt_sn_kernelILb0ELi256ELi4EiPK19rocblas_complex_numIfES3_S1_EviiT4_lPKT3_lilS7_lilPT5_i.has_dyn_sized_stack, 0
	.set _ZL23rocblas_gemvt_sn_kernelILb0ELi256ELi4EiPK19rocblas_complex_numIfES3_S1_EviiT4_lPKT3_lilS7_lilPT5_i.has_recursion, 0
	.set _ZL23rocblas_gemvt_sn_kernelILb0ELi256ELi4EiPK19rocblas_complex_numIfES3_S1_EviiT4_lPKT3_lilS7_lilPT5_i.has_indirect_call, 0
	.section	.AMDGPU.csdata,"",@progbits
; Kernel info:
; codeLenInByte = 5496
; TotalNumSgprs: 52
; NumVgprs: 61
; ScratchSize: 48
; MemoryBound: 0
; FloatMode: 240
; IeeeMode: 1
; LDSByteSize: 256 bytes/workgroup (compile time only)
; SGPRBlocks: 0
; VGPRBlocks: 7
; NumSGPRsForWavesPerEU: 52
; NumVGPRsForWavesPerEU: 61
; Occupancy: 16
; WaveLimiterHint : 0
; COMPUTE_PGM_RSRC2:SCRATCH_EN: 1
; COMPUTE_PGM_RSRC2:USER_SGPR: 6
; COMPUTE_PGM_RSRC2:TRAP_HANDLER: 0
; COMPUTE_PGM_RSRC2:TGID_X_EN: 1
; COMPUTE_PGM_RSRC2:TGID_Y_EN: 0
; COMPUTE_PGM_RSRC2:TGID_Z_EN: 1
; COMPUTE_PGM_RSRC2:TIDIG_COMP_CNT: 0
	.section	.text._ZL23rocblas_gemvt_sn_kernelILb0ELi256ELi4ElPK19rocblas_complex_numIfES3_S1_EviiT4_lPKT3_lilS7_lilPT5_i,"axG",@progbits,_ZL23rocblas_gemvt_sn_kernelILb0ELi256ELi4ElPK19rocblas_complex_numIfES3_S1_EviiT4_lPKT3_lilS7_lilPT5_i,comdat
	.globl	_ZL23rocblas_gemvt_sn_kernelILb0ELi256ELi4ElPK19rocblas_complex_numIfES3_S1_EviiT4_lPKT3_lilS7_lilPT5_i ; -- Begin function _ZL23rocblas_gemvt_sn_kernelILb0ELi256ELi4ElPK19rocblas_complex_numIfES3_S1_EviiT4_lPKT3_lilS7_lilPT5_i
	.p2align	8
	.type	_ZL23rocblas_gemvt_sn_kernelILb0ELi256ELi4ElPK19rocblas_complex_numIfES3_S1_EviiT4_lPKT3_lilS7_lilPT5_i,@function
_ZL23rocblas_gemvt_sn_kernelILb0ELi256ELi4ElPK19rocblas_complex_numIfES3_S1_EviiT4_lPKT3_lilS7_lilPT5_i: ; @_ZL23rocblas_gemvt_sn_kernelILb0ELi256ELi4ElPK19rocblas_complex_numIfES3_S1_EviiT4_lPKT3_lilS7_lilPT5_i
; %bb.0:
	s_add_u32 s0, s0, s8
	s_load_dwordx8 s[8:15], s[4:5], 0x8
	s_mov_b32 s18, s7
	s_addc_u32 s1, s1, 0
	s_mov_b32 s19, 0
	s_mov_b64 s[22:23], 0
	s_mov_b64 s[20:21], 0
	s_waitcnt lgkmcnt(0)
	s_mul_i32 s7, s11, s7
	s_mul_hi_u32 s11, s10, s18
	s_mul_i32 s10, s10, s18
	s_add_i32 s11, s11, s7
	s_lshl_b64 s[10:11], s[10:11], 3
	s_add_u32 s8, s8, s10
	s_addc_u32 s9, s9, s11
	s_load_dwordx2 s[16:17], s[8:9], 0x0
	s_waitcnt lgkmcnt(0)
	s_or_b32 s7, s16, s17
	s_and_b32 s8, s7, 0x7fffffff
	s_cmp_lg_u32 s8, 0
	s_cselect_b32 s7, -1, 0
	s_cmp_eq_u32 s8, 0
	s_cselect_b32 s10, -1, 0
	s_and_b32 vcc_lo, exec_lo, s10
	s_cbranch_vccnz .LBB309_2
; %bb.1:
	s_lshl_b64 s[8:9], s[18:19], 3
	s_add_u32 s8, s12, s8
	s_addc_u32 s9, s13, s9
	s_lshl_b64 s[12:13], s[14:15], 3
	s_load_dwordx2 s[8:9], s[8:9], 0x0
	s_waitcnt lgkmcnt(0)
	s_add_u32 s20, s8, s12
	s_addc_u32 s21, s9, s13
.LBB309_2:
	s_andn2_b32 vcc_lo, exec_lo, s7
	s_cbranch_vccnz .LBB309_4
; %bb.3:
	s_load_dwordx4 s[12:15], s[4:5], 0x38
	s_lshl_b64 s[8:9], s[18:19], 3
	s_waitcnt lgkmcnt(0)
	s_add_u32 s8, s12, s8
	s_addc_u32 s9, s13, s9
	s_lshl_b64 s[12:13], s[14:15], 3
	s_load_dwordx2 s[8:9], s[8:9], 0x0
	s_waitcnt lgkmcnt(0)
	s_add_u32 s22, s8, s12
	s_addc_u32 s23, s9, s13
.LBB309_4:
	s_clause 0x2
	s_load_dwordx2 s[12:13], s[4:5], 0x0
	s_load_dword s14, s[4:5], 0x68
	s_load_dwordx2 s[8:9], s[4:5], 0x58
	s_andn2_b32 vcc_lo, exec_lo, s10
	v_cmp_eq_u32_e64 s7, 0, v0
	s_mov_b32 s15, 0
	s_waitcnt lgkmcnt(0)
	s_ashr_i32 s26, s13, 31
	s_mul_hi_u32 s10, s13, s18
	s_mul_i32 s11, s26, s18
	s_mul_i32 s18, s13, s18
	s_add_i32 s10, s10, s11
	s_mul_hi_u32 s11, s18, s14
	s_mul_i32 s19, s10, s14
	s_mul_i32 s10, s18, s14
	s_add_i32 s11, s11, s19
	s_mov_b32 s18, -1
	s_cbranch_vccnz .LBB309_9
; %bb.5:
	s_cmp_gt_i32 s13, 0
	s_cselect_b32 s18, -1, 0
	s_and_b32 s7, s7, s18
	s_and_saveexec_b32 s27, s7
	s_cbranch_execz .LBB309_8
; %bb.6:
	s_mov_b32 s7, 0
	v_mov_b32_e32 v1, 0
	s_lshl_b64 s[18:19], s[10:11], 3
	s_lshl_b64 s[24:25], s[6:7], 3
	s_add_u32 s7, s18, s24
	s_addc_u32 s18, s19, s25
	s_add_u32 s7, s8, s7
	v_mov_b32_e32 v2, v1
	s_addc_u32 s19, s9, s18
	s_add_u32 s18, s7, 4
	s_addc_u32 s19, s19, 0
	s_lshl_b64 s[24:25], s[14:15], 3
	s_mov_b32 s7, s13
.LBB309_7:                              ; =>This Inner Loop Header: Depth=1
	s_add_i32 s7, s7, -1
	global_store_dwordx2 v1, v[1:2], s[18:19] offset:-4
	s_add_u32 s18, s18, s24
	s_addc_u32 s19, s19, s25
	s_cmp_eq_u32 s7, 0
	s_cbranch_scc0 .LBB309_7
.LBB309_8:
	s_or_b32 exec_lo, exec_lo, s27
	s_mov_b32 s18, 0
.LBB309_9:
	s_andn2_b32 vcc_lo, exec_lo, s18
	s_cbranch_vccnz .LBB309_81
; %bb.10:
	s_clause 0x1
	s_load_dword s18, s[4:5], 0x28
	s_load_dword s24, s[4:5], 0x48
	s_lshl_b64 s[10:11], s[10:11], 3
	v_and_b32_e32 v28, 31, v0
	v_cmp_gt_u32_e64 s4, 32, v0
	v_mbcnt_lo_u32_b32 v30, -1, 0
	v_cmp_gt_u32_e64 s5, 8, v0
	v_lshrrev_b32_e32 v31, 2, v0
	s_waitcnt lgkmcnt(0)
	s_ashr_i32 s19, s18, 31
	s_ashr_i32 s25, s24, 31
	s_add_u32 s33, s8, s10
	s_addc_u32 s36, s9, s11
	s_lshl_b32 s7, s6, 10
	s_ashr_i32 s8, s12, 31
	v_lshl_or_b32 v5, v0, 2, s7
	s_lshr_b32 s7, s26, 30
	s_lshr_b32 s8, s8, 30
	s_add_i32 s7, s13, s7
	s_add_i32 s8, s12, s8
	v_ashrrev_i32_e32 v6, 31, v5
	s_and_b32 s37, s7, -4
	s_and_b32 s7, s8, -4
	v_add_nc_u32_e32 v32, 4, v5
	s_sub_i32 s15, s12, s7
	v_lshlrev_b64 v[3:4], 3, v[5:6]
	v_or_b32_e32 v29, 1, v5
	v_or_b32_e32 v27, 2, v5
	v_add_nc_u32_e32 v33, s15, v5
	v_or_b32_e32 v26, 3, v5
	s_cmp_lt_i32 s37, 1
	v_add_co_u32 v1, vcc_lo, s20, v3
	v_add_co_ci_u32_e64 v2, null, s21, v4, vcc_lo
	s_cbranch_scc1 .LBB309_58
; %bb.11:
	v_cmp_gt_u32_e32 vcc_lo, 24, v30
	v_mad_i64_i32 v[10:11], null, s24, v27, 0
	v_mad_i64_i32 v[12:13], null, s24, v26, 0
	v_cndmask_b32_e64 v6, 0, 8, vcc_lo
	v_cmp_gt_u32_e32 vcc_lo, 28, v30
	s_cmp_gt_i32 s15, 0
	s_mov_b32 s7, 0
	v_lshlrev_b64 v[10:11], 3, v[10:11]
	v_add_lshl_u32 v35, v6, v30, 2
	v_cndmask_b32_e64 v7, 0, 4, vcc_lo
	v_cmp_gt_u32_e32 vcc_lo, 30, v30
	v_lshlrev_b64 v[12:13], 3, v[12:13]
	v_mov_b32_e32 v17, v2
	v_cmp_ge_i32_e64 s8, s12, v32
	v_add_lshl_u32 v36, v7, v30, 2
	v_cndmask_b32_e64 v8, 0, 2, vcc_lo
	v_cmp_ne_u32_e32 vcc_lo, 31, v30
	v_mad_i64_i32 v[6:7], null, s24, v5, 0
	v_cmp_ge_i32_e64 s9, s12, v33
	v_add_lshl_u32 v37, v8, v30, 2
	v_add_co_ci_u32_e64 v9, null, 0, v30, vcc_lo
	s_cselect_b32 s38, -1, 0
	v_lshl_or_b32 v34, v30, 2, 64
	v_lshlrev_b64 v[6:7], 3, v[6:7]
	v_lshlrev_b32_e32 v38, 2, v9
	v_mad_i64_i32 v[8:9], null, s24, v29, 0
	v_cmp_eq_u32_e64 s10, 0, v28
	v_lshlrev_b32_e32 v39, 3, v28
	v_add_co_u32 v6, vcc_lo, s22, v6
	v_add_co_ci_u32_e64 v7, null, s23, v7, vcc_lo
	v_lshlrev_b64 v[8:9], 3, v[8:9]
	v_and_b32_e32 v40, 56, v31
	s_lshl_b64 s[26:27], s[6:7], 3
	v_cmp_eq_u32_e64 s11, 0, v0
	v_mov_b32_e32 v14, 0
	v_mov_b32_e32 v16, v1
	v_add_co_u32 v8, vcc_lo, s22, v8
	v_add_co_ci_u32_e64 v9, null, s23, v9, vcc_lo
	v_add_co_u32 v10, vcc_lo, s22, v10
	v_add_co_ci_u32_e64 v11, null, s23, v11, vcc_lo
	;; [unrolled: 2-line block ×3, first 2 shown]
	s_add_u32 s39, s33, s26
	s_addc_u32 s40, s36, s27
	s_lshl_b64 s[26:27], s[24:25], 3
	s_mul_hi_i32 s41, s18, 24
	s_mul_i32 s42, s18, 24
	s_lshl_b64 s[28:29], s[18:19], 5
	s_lshl_b64 s[30:31], s[18:19], 4
	;; [unrolled: 1-line block ×3, first 2 shown]
	s_branch .LBB309_13
.LBB309_12:                             ;   in Loop: Header=BB309_13 Depth=1
	s_or_b32 exec_lo, exec_lo, s43
	v_add_co_u32 v16, vcc_lo, v16, s28
	v_add_co_ci_u32_e64 v17, null, s29, v17, vcc_lo
	s_add_i32 s7, s7, 4
	s_cmp_ge_i32 s7, s37
	s_cbranch_scc1 .LBB309_59
.LBB309_13:                             ; =>This Loop Header: Depth=1
                                        ;     Child Loop BB309_44 Depth 2
                                        ;     Child Loop BB309_46 Depth 2
                                        ; implicit-def: $vgpr41
                                        ; implicit-def: $vgpr42
                                        ; implicit-def: $vgpr20
                                        ; implicit-def: $vgpr21
                                        ; implicit-def: $vgpr22
                                        ; implicit-def: $vgpr23
                                        ; implicit-def: $vgpr25
                                        ; implicit-def: $vgpr24
	s_and_saveexec_b32 s43, s8
	s_xor_b32 s43, exec_lo, s43
	s_cbranch_execnz .LBB309_40
; %bb.14:                               ;   in Loop: Header=BB309_13 Depth=1
	s_andn2_saveexec_b32 s43, s43
	s_cbranch_execnz .LBB309_41
.LBB309_15:                             ;   in Loop: Header=BB309_13 Depth=1
	s_or_b32 exec_lo, exec_lo, s43
	s_and_saveexec_b32 s43, s4
.LBB309_16:                             ;   in Loop: Header=BB309_13 Depth=1
	v_mov_b32_e32 v15, v14
	ds_write_b64 v39, v[14:15]
.LBB309_17:                             ;   in Loop: Header=BB309_13 Depth=1
	s_or_b32 exec_lo, exec_lo, s43
	ds_bpermute_b32 v15, v34, v41
	ds_bpermute_b32 v18, v34, v42
	s_waitcnt lgkmcnt(0)
	s_waitcnt_vscnt null, 0x0
	s_barrier
	buffer_gl0_inv
	v_add_f32_e32 v15, v41, v15
	v_add_f32_e32 v18, v42, v18
	ds_bpermute_b32 v19, v35, v15
	ds_bpermute_b32 v41, v35, v18
	s_waitcnt lgkmcnt(1)
	v_add_f32_e32 v15, v15, v19
	s_waitcnt lgkmcnt(0)
	v_add_f32_e32 v18, v18, v41
	ds_bpermute_b32 v19, v36, v15
	ds_bpermute_b32 v41, v36, v18
	s_waitcnt lgkmcnt(1)
	v_add_f32_e32 v15, v15, v19
	s_waitcnt lgkmcnt(0)
	;; [unrolled: 6-line block ×3, first 2 shown]
	v_add_f32_e32 v18, v18, v41
	ds_bpermute_b32 v19, v38, v15
	ds_bpermute_b32 v41, v38, v18
	s_and_saveexec_b32 s43, s10
	s_cbranch_execz .LBB309_19
; %bb.18:                               ;   in Loop: Header=BB309_13 Depth=1
	s_waitcnt lgkmcnt(0)
	v_add_f32_e32 v42, v18, v41
	v_add_f32_e32 v41, v15, v19
	ds_write_b64 v40, v[41:42]
.LBB309_19:                             ;   in Loop: Header=BB309_13 Depth=1
	s_or_b32 exec_lo, exec_lo, s43
	s_waitcnt lgkmcnt(1)
	v_mov_b32_e32 v19, 0
	v_mov_b32_e32 v18, 0
	s_waitcnt lgkmcnt(0)
	s_barrier
	buffer_gl0_inv
	s_and_saveexec_b32 s43, s5
	s_cbranch_execnz .LBB309_47
; %bb.20:                               ;   in Loop: Header=BB309_13 Depth=1
	s_or_b32 exec_lo, exec_lo, s43
	s_and_saveexec_b32 s43, s4
	s_cbranch_execnz .LBB309_48
.LBB309_21:                             ;   in Loop: Header=BB309_13 Depth=1
	s_or_b32 exec_lo, exec_lo, s43
	s_and_saveexec_b32 s43, s4
.LBB309_22:                             ;   in Loop: Header=BB309_13 Depth=1
	v_mov_b32_e32 v15, v14
	ds_write_b64 v39, v[14:15]
.LBB309_23:                             ;   in Loop: Header=BB309_13 Depth=1
	s_or_b32 exec_lo, exec_lo, s43
	ds_bpermute_b32 v15, v34, v20
	ds_bpermute_b32 v41, v34, v21
	s_waitcnt lgkmcnt(0)
	s_barrier
	buffer_gl0_inv
	v_add_f32_e32 v15, v20, v15
	v_add_f32_e32 v20, v21, v41
	ds_bpermute_b32 v21, v35, v15
	ds_bpermute_b32 v41, v35, v20
	s_waitcnt lgkmcnt(1)
	v_add_f32_e32 v15, v15, v21
	s_waitcnt lgkmcnt(0)
	v_add_f32_e32 v20, v20, v41
	ds_bpermute_b32 v21, v36, v15
	ds_bpermute_b32 v41, v36, v20
	s_waitcnt lgkmcnt(1)
	v_add_f32_e32 v15, v15, v21
	s_waitcnt lgkmcnt(0)
	;; [unrolled: 6-line block ×3, first 2 shown]
	v_add_f32_e32 v20, v20, v41
	ds_bpermute_b32 v21, v38, v15
	ds_bpermute_b32 v41, v38, v20
	s_and_saveexec_b32 s43, s10
	s_cbranch_execz .LBB309_25
; %bb.24:                               ;   in Loop: Header=BB309_13 Depth=1
	s_waitcnt lgkmcnt(0)
	v_add_f32_e32 v42, v20, v41
	v_add_f32_e32 v41, v15, v21
	ds_write_b64 v40, v[41:42]
.LBB309_25:                             ;   in Loop: Header=BB309_13 Depth=1
	s_or_b32 exec_lo, exec_lo, s43
	s_waitcnt lgkmcnt(1)
	v_mov_b32_e32 v21, 0
	v_mov_b32_e32 v20, 0
	s_waitcnt lgkmcnt(0)
	s_barrier
	buffer_gl0_inv
	s_and_saveexec_b32 s43, s5
	s_cbranch_execnz .LBB309_49
; %bb.26:                               ;   in Loop: Header=BB309_13 Depth=1
	s_or_b32 exec_lo, exec_lo, s43
	s_and_saveexec_b32 s43, s4
	s_cbranch_execnz .LBB309_50
.LBB309_27:                             ;   in Loop: Header=BB309_13 Depth=1
	s_or_b32 exec_lo, exec_lo, s43
	s_and_saveexec_b32 s43, s4
.LBB309_28:                             ;   in Loop: Header=BB309_13 Depth=1
	v_mov_b32_e32 v15, v14
	ds_write_b64 v39, v[14:15]
.LBB309_29:                             ;   in Loop: Header=BB309_13 Depth=1
	s_or_b32 exec_lo, exec_lo, s43
	ds_bpermute_b32 v15, v34, v22
	ds_bpermute_b32 v41, v34, v23
	s_waitcnt lgkmcnt(0)
	s_barrier
	buffer_gl0_inv
	v_add_f32_e32 v15, v22, v15
	v_add_f32_e32 v22, v23, v41
	ds_bpermute_b32 v23, v35, v15
	ds_bpermute_b32 v41, v35, v22
	s_waitcnt lgkmcnt(1)
	v_add_f32_e32 v15, v15, v23
	s_waitcnt lgkmcnt(0)
	v_add_f32_e32 v22, v22, v41
	ds_bpermute_b32 v23, v36, v15
	ds_bpermute_b32 v41, v36, v22
	s_waitcnt lgkmcnt(1)
	v_add_f32_e32 v15, v15, v23
	s_waitcnt lgkmcnt(0)
	;; [unrolled: 6-line block ×3, first 2 shown]
	v_add_f32_e32 v22, v22, v41
	ds_bpermute_b32 v23, v38, v15
	ds_bpermute_b32 v41, v38, v22
	s_and_saveexec_b32 s43, s10
	s_cbranch_execz .LBB309_31
; %bb.30:                               ;   in Loop: Header=BB309_13 Depth=1
	s_waitcnt lgkmcnt(0)
	v_add_f32_e32 v42, v22, v41
	v_add_f32_e32 v41, v15, v23
	ds_write_b64 v40, v[41:42]
.LBB309_31:                             ;   in Loop: Header=BB309_13 Depth=1
	s_or_b32 exec_lo, exec_lo, s43
	s_waitcnt lgkmcnt(1)
	v_mov_b32_e32 v23, 0
	v_mov_b32_e32 v22, 0
	s_waitcnt lgkmcnt(0)
	s_barrier
	buffer_gl0_inv
	s_and_saveexec_b32 s43, s5
	s_cbranch_execnz .LBB309_51
; %bb.32:                               ;   in Loop: Header=BB309_13 Depth=1
	s_or_b32 exec_lo, exec_lo, s43
	s_and_saveexec_b32 s43, s4
	s_cbranch_execnz .LBB309_52
.LBB309_33:                             ;   in Loop: Header=BB309_13 Depth=1
	s_or_b32 exec_lo, exec_lo, s43
	s_and_saveexec_b32 s43, s4
.LBB309_34:                             ;   in Loop: Header=BB309_13 Depth=1
	v_mov_b32_e32 v15, v14
	ds_write_b64 v39, v[14:15]
.LBB309_35:                             ;   in Loop: Header=BB309_13 Depth=1
	s_or_b32 exec_lo, exec_lo, s43
	ds_bpermute_b32 v15, v34, v25
	ds_bpermute_b32 v41, v34, v24
	s_waitcnt lgkmcnt(0)
	s_barrier
	buffer_gl0_inv
	v_add_f32_e32 v15, v25, v15
	v_add_f32_e32 v24, v24, v41
	ds_bpermute_b32 v25, v35, v15
	ds_bpermute_b32 v41, v35, v24
	s_waitcnt lgkmcnt(1)
	v_add_f32_e32 v15, v15, v25
	s_waitcnt lgkmcnt(0)
	v_add_f32_e32 v24, v24, v41
	ds_bpermute_b32 v25, v36, v15
	ds_bpermute_b32 v41, v36, v24
	s_waitcnt lgkmcnt(1)
	v_add_f32_e32 v15, v15, v25
	s_waitcnt lgkmcnt(0)
	;; [unrolled: 6-line block ×3, first 2 shown]
	v_add_f32_e32 v24, v24, v41
	ds_bpermute_b32 v25, v38, v15
	ds_bpermute_b32 v41, v38, v24
	s_and_saveexec_b32 s43, s10
	s_cbranch_execz .LBB309_37
; %bb.36:                               ;   in Loop: Header=BB309_13 Depth=1
	s_waitcnt lgkmcnt(0)
	v_add_f32_e32 v42, v24, v41
	v_add_f32_e32 v41, v15, v25
	ds_write_b64 v40, v[41:42]
.LBB309_37:                             ;   in Loop: Header=BB309_13 Depth=1
	s_or_b32 exec_lo, exec_lo, s43
	s_waitcnt lgkmcnt(1)
	v_mov_b32_e32 v25, 0
	v_mov_b32_e32 v24, 0
	s_waitcnt lgkmcnt(0)
	s_barrier
	buffer_gl0_inv
	s_and_saveexec_b32 s43, s5
	s_cbranch_execnz .LBB309_53
; %bb.38:                               ;   in Loop: Header=BB309_13 Depth=1
	s_or_b32 exec_lo, exec_lo, s43
	s_and_saveexec_b32 s43, s4
	s_cbranch_execnz .LBB309_54
.LBB309_39:                             ;   in Loop: Header=BB309_13 Depth=1
	s_or_b32 exec_lo, exec_lo, s43
	s_and_saveexec_b32 s43, s11
	s_cbranch_execz .LBB309_12
	s_branch .LBB309_55
.LBB309_40:                             ;   in Loop: Header=BB309_13 Depth=1
	s_mul_i32 s44, s7, s19
	s_mul_hi_u32 s45, s7, s18
	s_or_b32 s46, s7, 1
	s_add_i32 s45, s45, s44
	s_mul_i32 s44, s7, s18
	s_mul_i32 s47, s46, s19
	s_mul_hi_u32 s48, s46, s18
	s_lshl_b64 s[44:45], s[44:45], 3
	s_add_i32 s47, s48, s47
	s_mul_i32 s46, s46, s18
	v_add_co_u32 v41, vcc_lo, v1, s44
	v_add_co_ci_u32_e64 v42, null, s45, v2, vcc_lo
	s_lshl_b64 s[44:45], s[46:47], 3
	s_or_b32 s46, s7, 2
	v_add_co_u32 v53, vcc_lo, v1, s44
	v_add_co_ci_u32_e64 v54, null, s45, v2, vcc_lo
	s_mul_i32 s44, s46, s19
	s_mul_hi_u32 s45, s46, s18
	s_clause 0x3
	flat_load_dwordx2 v[65:66], v[6:7]
	flat_load_dwordx2 v[67:68], v[8:9]
	;; [unrolled: 1-line block ×4, first 2 shown]
	s_add_i32 s45, s45, s44
	s_mul_i32 s44, s46, s18
	s_or_b32 s46, s7, 3
	s_lshl_b64 s[44:45], s[44:45], 3
	flat_load_dwordx4 v[18:21], v[41:42]
	s_waitcnt lgkmcnt(5)
	flat_load_dwordx4 v[22:25], v[53:54]
	v_add_co_u32 v57, vcc_lo, v1, s44
	v_add_co_ci_u32_e64 v58, null, s45, v2, vcc_lo
	s_mul_i32 s44, s46, s19
	s_mul_hi_u32 s45, s46, s18
	s_clause 0x1
	flat_load_dwordx4 v[41:44], v[41:42] offset:16
	flat_load_dwordx4 v[45:48], v[57:58]
	s_add_i32 s45, s45, s44
	s_mul_i32 s44, s46, s18
	s_lshl_b64 s[44:45], s[44:45], 3
	v_add_co_u32 v61, vcc_lo, v1, s44
	v_add_co_ci_u32_e64 v62, null, s45, v2, vcc_lo
	s_clause 0x3
	flat_load_dwordx4 v[49:52], v[61:62]
	flat_load_dwordx4 v[53:56], v[53:54] offset:16
	flat_load_dwordx4 v[57:60], v[57:58] offset:16
	;; [unrolled: 1-line block ×3, first 2 shown]
	s_waitcnt vmcnt(11) lgkmcnt(11)
	buffer_store_dword v66, off, s[0:3], 0 offset:4
	buffer_store_dword v65, off, s[0:3], 0
	s_waitcnt vmcnt(10) lgkmcnt(10)
	buffer_store_dword v68, off, s[0:3], 0 offset:12
	buffer_store_dword v67, off, s[0:3], 0 offset:8
	s_waitcnt vmcnt(9) lgkmcnt(9)
	buffer_store_dword v70, off, s[0:3], 0 offset:20
	buffer_store_dword v69, off, s[0:3], 0 offset:16
	;; [unrolled: 3-line block ×3, first 2 shown]
	s_waitcnt vmcnt(7) lgkmcnt(7)
	v_mul_f32_e32 v15, v66, v19
	v_mul_f32_e32 v19, v65, v19
	;; [unrolled: 1-line block ×4, first 2 shown]
	s_waitcnt vmcnt(6) lgkmcnt(6)
	v_mul_f32_e32 v76, v66, v23
	v_mul_f32_e32 v23, v65, v23
	v_fma_f32 v15, v65, v18, -v15
	v_fmac_f32_e32 v19, v66, v18
	v_fma_f32 v18, v67, v20, -v73
	v_mul_f32_e32 v73, v68, v25
	v_mul_f32_e32 v25, v67, v25
	v_fmac_f32_e32 v21, v68, v20
	s_waitcnt vmcnt(4) lgkmcnt(4)
	v_mul_f32_e32 v20, v66, v46
	v_mul_f32_e32 v46, v65, v46
	v_fma_f32 v76, v65, v22, -v76
	v_fmac_f32_e32 v23, v66, v22
	v_fma_f32 v22, v67, v24, -v73
	v_fmac_f32_e32 v25, v68, v24
	v_mul_f32_e32 v73, v68, v48
	s_waitcnt vmcnt(3) lgkmcnt(3)
	v_mul_f32_e32 v24, v66, v50
	v_mul_f32_e32 v48, v67, v48
	;; [unrolled: 1-line block ×3, first 2 shown]
	v_fma_f32 v20, v65, v45, -v20
	v_fmac_f32_e32 v46, v66, v45
	v_fma_f32 v45, v67, v47, -v73
	v_fmac_f32_e32 v48, v68, v47
	v_mul_f32_e32 v47, v68, v52
	v_mul_f32_e32 v52, v67, v52
	v_fma_f32 v24, v65, v49, -v24
	v_fmac_f32_e32 v50, v66, v49
	s_waitcnt vmcnt(1) lgkmcnt(1)
	v_mul_f32_e32 v49, v70, v58
	v_mul_f32_e32 v58, v69, v58
	;; [unrolled: 1-line block ×8, first 2 shown]
	v_fma_f32 v47, v67, v51, -v47
	v_fmac_f32_e32 v52, v68, v51
	s_waitcnt vmcnt(0) lgkmcnt(0)
	v_mul_f32_e32 v51, v70, v62
	v_mul_f32_e32 v62, v69, v62
	v_fma_f32 v49, v69, v57, -v49
	v_fmac_f32_e32 v58, v70, v57
	v_add_f32_e32 v15, 0, v15
	v_add_f32_e32 v19, 0, v19
	v_add_f32_e32 v57, 0, v76
	v_add_f32_e32 v23, 0, v23
	v_add_f32_e32 v20, 0, v20
	v_add_f32_e32 v46, 0, v46
	v_add_f32_e32 v24, 0, v24
	v_add_f32_e32 v50, 0, v50
	v_mul_f32_e32 v65, v72, v56
	v_mul_f32_e32 v56, v71, v56
	;; [unrolled: 1-line block ×4, first 2 shown]
	v_fma_f32 v67, v69, v41, -v74
	v_fmac_f32_e32 v42, v70, v41
	v_fma_f32 v41, v71, v43, -v75
	v_fmac_f32_e32 v44, v72, v43
	v_mul_f32_e32 v43, v72, v64
	v_mul_f32_e32 v64, v71, v64
	v_fma_f32 v68, v69, v53, -v73
	v_fmac_f32_e32 v54, v70, v53
	v_fma_f32 v51, v69, v61, -v51
	v_fmac_f32_e32 v62, v70, v61
	v_add_f32_e32 v15, v15, v18
	v_add_f32_e32 v18, v19, v21
	;; [unrolled: 1-line block ×8, first 2 shown]
	v_fma_f32 v53, v71, v55, -v65
	v_fmac_f32_e32 v56, v72, v55
	v_fma_f32 v55, v71, v59, -v66
	v_fmac_f32_e32 v60, v72, v59
	;; [unrolled: 2-line block ×3, first 2 shown]
	v_add_f32_e32 v15, v15, v67
	v_add_f32_e32 v18, v18, v42
	;; [unrolled: 1-line block ×16, first 2 shown]
	s_andn2_saveexec_b32 s43, s43
	s_cbranch_execz .LBB309_15
.LBB309_41:                             ;   in Loop: Header=BB309_13 Depth=1
	v_mov_b32_e32 v41, 0
	v_mov_b32_e32 v42, 0
	;; [unrolled: 1-line block ×6, first 2 shown]
	s_waitcnt lgkmcnt(0)
	v_mov_b32_e32 v25, 0
	v_mov_b32_e32 v24, 0
	s_and_saveexec_b32 s44, s9
	s_cbranch_execz .LBB309_57
; %bb.42:                               ;   in Loop: Header=BB309_13 Depth=1
	s_andn2_b32 vcc_lo, exec_lo, s38
	s_cbranch_vccnz .LBB309_56
; %bb.43:                               ;   in Loop: Header=BB309_13 Depth=1
	v_mov_b32_e32 v19, v7
	v_mov_b32_e32 v18, v6
	s_mov_b32 s45, 0
	s_mov_b32 s46, s15
.LBB309_44:                             ;   Parent Loop BB309_13 Depth=1
                                        ; =>  This Inner Loop Header: Depth=2
	flat_load_dwordx2 v[20:21], v[18:19]
	v_add_co_u32 v18, vcc_lo, v18, s26
	v_mov_b32_e32 v15, s45
	v_add_co_ci_u32_e64 v19, null, s27, v19, vcc_lo
	s_add_i32 s46, s46, -1
	s_add_i32 s45, s45, 8
	s_cmp_eq_u32 s46, 0
	s_waitcnt vmcnt(0) lgkmcnt(0)
	buffer_store_dword v21, v15, s[0:3], 0 offen offset:4
	buffer_store_dword v20, v15, s[0:3], 0 offen
	s_cbranch_scc0 .LBB309_44
; %bb.45:                               ;   in Loop: Header=BB309_13 Depth=1
	v_mov_b32_e32 v19, v17
	v_mov_b32_e32 v24, 0
	;; [unrolled: 1-line block ×10, first 2 shown]
	s_mov_b32 s45, 0
	s_mov_b32 s46, s15
.LBB309_46:                             ;   Parent Loop BB309_13 Depth=1
                                        ; =>  This Inner Loop Header: Depth=2
	v_add_co_u32 v45, vcc_lo, v18, s34
	v_add_co_ci_u32_e64 v46, null, s35, v19, vcc_lo
	v_add_co_u32 v47, vcc_lo, v18, s30
	v_mov_b32_e32 v15, s45
	v_add_co_ci_u32_e64 v48, null, s31, v19, vcc_lo
	v_add_co_u32 v49, vcc_lo, v18, s42
	v_add_co_ci_u32_e64 v50, null, s41, v19, vcc_lo
	flat_load_dwordx2 v[43:44], v[18:19]
	s_clause 0x1
	buffer_load_dword v51, v15, s[0:3], 0 offen offset:4
	buffer_load_dword v15, v15, s[0:3], 0 offen
	s_clause 0x2
	flat_load_dwordx2 v[45:46], v[45:46]
	flat_load_dwordx2 v[47:48], v[47:48]
	;; [unrolled: 1-line block ×3, first 2 shown]
	v_add_co_u32 v18, vcc_lo, v18, 8
	v_add_co_ci_u32_e64 v19, null, 0, v19, vcc_lo
	s_add_i32 s46, s46, -1
	s_add_i32 s45, s45, 8
	s_cmp_lg_u32 s46, 0
	s_waitcnt vmcnt(4) lgkmcnt(3)
	v_mul_f32_e32 v52, v51, v44
	s_waitcnt vmcnt(3)
	v_mul_f32_e32 v44, v15, v44
	s_waitcnt vmcnt(2) lgkmcnt(2)
	v_mul_f32_e32 v53, v51, v46
	v_mul_f32_e32 v46, v15, v46
	s_waitcnt vmcnt(1) lgkmcnt(1)
	v_mul_f32_e32 v54, v51, v48
	;; [unrolled: 3-line block ×3, first 2 shown]
	v_mul_f32_e32 v50, v15, v50
	v_fma_f32 v52, v15, v43, -v52
	v_fmac_f32_e32 v44, v51, v43
	v_fma_f32 v43, v15, v45, -v53
	v_fmac_f32_e32 v46, v51, v45
	;; [unrolled: 2-line block ×4, first 2 shown]
	v_add_f32_e32 v41, v41, v52
	v_add_f32_e32 v42, v42, v44
	;; [unrolled: 1-line block ×8, first 2 shown]
	s_cbranch_scc1 .LBB309_46
	s_branch .LBB309_57
.LBB309_47:                             ;   in Loop: Header=BB309_13 Depth=1
	ds_read_b64 v[18:19], v39
	s_or_b32 exec_lo, exec_lo, s43
	s_and_saveexec_b32 s43, s4
	s_cbranch_execz .LBB309_21
.LBB309_48:                             ;   in Loop: Header=BB309_13 Depth=1
	s_waitcnt lgkmcnt(0)
	ds_bpermute_b32 v15, v36, v18
	ds_bpermute_b32 v41, v36, v19
	s_waitcnt lgkmcnt(1)
	v_add_f32_e32 v15, v18, v15
	s_waitcnt lgkmcnt(0)
	v_add_f32_e32 v18, v19, v41
	ds_bpermute_b32 v19, v37, v15
	ds_bpermute_b32 v41, v37, v18
	s_waitcnt lgkmcnt(1)
	v_add_f32_e32 v15, v15, v19
	s_waitcnt lgkmcnt(0)
	v_add_f32_e32 v19, v18, v41
	;; [unrolled: 6-line block ×3, first 2 shown]
	s_or_b32 exec_lo, exec_lo, s43
	s_and_saveexec_b32 s43, s4
	s_cbranch_execnz .LBB309_22
	s_branch .LBB309_23
.LBB309_49:                             ;   in Loop: Header=BB309_13 Depth=1
	ds_read_b64 v[20:21], v39
	s_or_b32 exec_lo, exec_lo, s43
	s_and_saveexec_b32 s43, s4
	s_cbranch_execz .LBB309_27
.LBB309_50:                             ;   in Loop: Header=BB309_13 Depth=1
	s_waitcnt lgkmcnt(0)
	ds_bpermute_b32 v15, v36, v20
	ds_bpermute_b32 v41, v36, v21
	s_waitcnt lgkmcnt(1)
	v_add_f32_e32 v15, v20, v15
	s_waitcnt lgkmcnt(0)
	v_add_f32_e32 v20, v21, v41
	ds_bpermute_b32 v21, v37, v15
	ds_bpermute_b32 v41, v37, v20
	s_waitcnt lgkmcnt(1)
	v_add_f32_e32 v15, v15, v21
	s_waitcnt lgkmcnt(0)
	v_add_f32_e32 v21, v20, v41
	;; [unrolled: 6-line block ×3, first 2 shown]
	s_or_b32 exec_lo, exec_lo, s43
	s_and_saveexec_b32 s43, s4
	s_cbranch_execnz .LBB309_28
	s_branch .LBB309_29
.LBB309_51:                             ;   in Loop: Header=BB309_13 Depth=1
	ds_read_b64 v[22:23], v39
	s_or_b32 exec_lo, exec_lo, s43
	s_and_saveexec_b32 s43, s4
	s_cbranch_execz .LBB309_33
.LBB309_52:                             ;   in Loop: Header=BB309_13 Depth=1
	s_waitcnt lgkmcnt(0)
	ds_bpermute_b32 v15, v36, v22
	ds_bpermute_b32 v41, v36, v23
	s_waitcnt lgkmcnt(1)
	v_add_f32_e32 v15, v22, v15
	s_waitcnt lgkmcnt(0)
	v_add_f32_e32 v22, v23, v41
	ds_bpermute_b32 v23, v37, v15
	ds_bpermute_b32 v41, v37, v22
	s_waitcnt lgkmcnt(1)
	v_add_f32_e32 v15, v15, v23
	s_waitcnt lgkmcnt(0)
	v_add_f32_e32 v23, v22, v41
	ds_bpermute_b32 v22, v38, v15
	ds_bpermute_b32 v41, v38, v23
	s_waitcnt lgkmcnt(1)
	v_add_f32_e32 v22, v15, v22
	s_waitcnt lgkmcnt(0)
	v_add_f32_e32 v23, v23, v41
	s_or_b32 exec_lo, exec_lo, s43
	s_and_saveexec_b32 s43, s4
	s_cbranch_execnz .LBB309_34
	s_branch .LBB309_35
.LBB309_53:                             ;   in Loop: Header=BB309_13 Depth=1
	ds_read_b64 v[24:25], v39
	s_or_b32 exec_lo, exec_lo, s43
	s_and_saveexec_b32 s43, s4
	s_cbranch_execz .LBB309_39
.LBB309_54:                             ;   in Loop: Header=BB309_13 Depth=1
	s_waitcnt lgkmcnt(0)
	ds_bpermute_b32 v15, v36, v24
	ds_bpermute_b32 v41, v36, v25
	s_waitcnt lgkmcnt(1)
	v_add_f32_e32 v15, v24, v15
	s_waitcnt lgkmcnt(0)
	v_add_f32_e32 v24, v25, v41
	ds_bpermute_b32 v25, v37, v15
	ds_bpermute_b32 v41, v37, v24
	s_waitcnt lgkmcnt(1)
	v_add_f32_e32 v15, v15, v25
	s_waitcnt lgkmcnt(0)
	v_add_f32_e32 v25, v24, v41
	ds_bpermute_b32 v24, v38, v15
	ds_bpermute_b32 v41, v38, v25
	s_waitcnt lgkmcnt(1)
	v_add_f32_e32 v24, v15, v24
	s_waitcnt lgkmcnt(0)
	v_add_f32_e32 v25, v25, v41
	s_or_b32 exec_lo, exec_lo, s43
	s_and_saveexec_b32 s43, s11
	s_cbranch_execz .LBB309_12
.LBB309_55:                             ;   in Loop: Header=BB309_13 Depth=1
	v_mul_f32_e32 v15, s17, v19
	v_mul_f32_e32 v42, s16, v19
	s_mul_hi_u32 s45, s7, s14
	s_mul_i32 s44, s7, s14
	v_mul_f32_e32 v19, s16, v21
	s_lshl_b64 s[44:45], s[44:45], 3
	v_fma_f32 v41, v18, s16, -v15
	v_fmac_f32_e32 v42, s17, v18
	s_add_u32 s44, s39, s44
	s_addc_u32 s45, s40, s45
	v_mul_f32_e32 v15, s17, v21
	v_mul_f32_e32 v21, s16, v23
	global_store_dwordx2 v14, v[41:42], s[44:45]
	s_or_b32 s44, s7, 1
	v_fmac_f32_e32 v19, s17, v20
	s_mul_hi_u32 s45, s44, s14
	s_mul_i32 s44, s44, s14
	v_fma_f32 v18, v20, s16, -v15
	s_lshl_b64 s[44:45], s[44:45], 3
	v_mul_f32_e32 v15, s17, v23
	s_add_u32 s44, s39, s44
	s_addc_u32 s45, s40, s45
	s_or_b32 s46, s7, 2
	s_waitcnt lgkmcnt(0)
	v_mul_f32_e32 v23, s16, v25
	s_mul_hi_u32 s47, s46, s14
	s_mul_i32 s46, s46, s14
	v_fma_f32 v20, v22, s16, -v15
	s_lshl_b64 s[46:47], s[46:47], 3
	v_mul_f32_e32 v15, s17, v25
	s_add_u32 s46, s39, s46
	s_addc_u32 s47, s40, s47
	s_or_b32 s48, s7, 3
	v_fmac_f32_e32 v21, s17, v22
	s_mul_hi_u32 s49, s48, s14
	s_mul_i32 s48, s48, s14
	v_fma_f32 v22, v24, s16, -v15
	v_fmac_f32_e32 v23, s17, v24
	s_lshl_b64 s[48:49], s[48:49], 3
	global_store_dwordx2 v14, v[18:19], s[44:45]
	s_add_u32 s44, s39, s48
	s_addc_u32 s45, s40, s49
	global_store_dwordx2 v14, v[20:21], s[46:47]
	global_store_dwordx2 v14, v[22:23], s[44:45]
	s_branch .LBB309_12
.LBB309_56:                             ;   in Loop: Header=BB309_13 Depth=1
	v_mov_b32_e32 v41, 0
	v_mov_b32_e32 v42, 0
	;; [unrolled: 1-line block ×8, first 2 shown]
.LBB309_57:                             ;   in Loop: Header=BB309_13 Depth=1
	s_or_b32 exec_lo, exec_lo, s44
	s_or_b32 exec_lo, exec_lo, s43
	s_and_saveexec_b32 s43, s4
	s_cbranch_execnz .LBB309_16
	s_branch .LBB309_17
.LBB309_58:
	s_mov_b32 s7, 0
.LBB309_59:
	s_cmp_ge_i32 s7, s13
	s_cbranch_scc1 .LBB309_81
; %bb.60:
	v_cmp_gt_u32_e64 s5, 24, v30
	v_mad_i64_i32 v[11:12], null, s24, v26, 0
	s_cmp_gt_i32 s15, 0
	s_mov_b32 s11, 0
	v_cndmask_b32_e64 v6, 0, 8, s5
	v_cmp_gt_u32_e64 s5, 28, v30
	s_mov_b32 s10, s6
	s_cselect_b32 s27, -1, 0
	s_lshl_b64 s[10:11], s[10:11], 3
	v_add_lshl_u32 v18, v6, v30, 2
	v_cndmask_b32_e64 v7, 0, 4, s5
	v_cmp_gt_u32_e64 s5, 30, v30
	v_mad_i64_i32 v[5:6], null, s24, v5, 0
	v_cmp_ge_i32_e32 vcc_lo, s12, v32
	v_add_lshl_u32 v19, v7, v30, 2
	v_cndmask_b32_e64 v8, 0, 2, s5
	v_cmp_ne_u32_e64 s5, 31, v30
	v_cmp_ge_i32_e64 s9, s12, v33
	s_add_u32 s12, s33, s10
	v_lshlrev_b64 v[5:6], 3, v[5:6]
	v_add_lshl_u32 v20, v8, v30, 2
	v_add_co_ci_u32_e64 v9, null, 0, v30, s5
	v_mad_i64_i32 v[7:8], null, s24, v29, 0
	v_add_co_u32 v5, s10, s22, v5
	v_lshlrev_b32_e32 v21, 2, v9
	v_mad_i64_i32 v[9:10], null, s24, v27, 0
	v_lshlrev_b64 v[11:12], 3, v[11:12]
	v_lshlrev_b64 v[7:8], 3, v[7:8]
	v_add_co_ci_u32_e64 v6, null, s23, v6, s10
	s_addc_u32 s26, s36, s11
	s_mul_i32 s11, s19, s7
	v_lshlrev_b64 v[9:10], 3, v[9:10]
	v_add_co_u32 v7, s10, s22, v7
	v_add_co_ci_u32_e64 v8, null, s23, v8, s10
	s_mul_hi_u32 s28, s18, s7
	v_add_co_u32 v9, s10, s22, v9
	v_add_co_ci_u32_e64 v10, null, s23, v10, s10
	v_add_co_u32 v11, s10, s22, v11
	v_add_co_ci_u32_e64 v12, null, s23, v12, s10
	s_add_i32 s11, s28, s11
	s_mul_i32 s10, s18, s7
	s_and_b32 s22, s27, s9
	s_lshl_b64 s[28:29], s[10:11], 3
	s_lshl_b64 s[10:11], s[24:25], 3
	s_add_u32 s9, s20, s28
	s_addc_u32 s20, s21, s29
	v_add_co_u32 v3, s9, s9, v3
	v_cmp_gt_u32_e64 s4, 32, v0
	v_lshlrev_b32_e32 v16, 3, v28
	v_lshl_or_b32 v17, v30, 2, 64
	v_cmp_eq_u32_e64 s5, 0, v28
	v_and_b32_e32 v22, 56, v31
	v_cmp_gt_u32_e64 s8, 8, v0
	v_cmp_eq_u32_e64 s6, 0, v0
	v_add_co_ci_u32_e64 v4, null, s20, v4, s9
	v_mov_b32_e32 v13, 0
	s_lshl_b64 s[20:21], s[18:19], 3
	s_branch .LBB309_62
.LBB309_61:                             ;   in Loop: Header=BB309_62 Depth=1
	s_or_b32 exec_lo, exec_lo, s9
	v_add_co_u32 v3, s9, v3, s20
	v_add_co_ci_u32_e64 v4, null, s21, v4, s9
	s_add_i32 s7, s7, 1
	s_cmp_lt_i32 s7, s13
	s_cbranch_scc0 .LBB309_81
.LBB309_62:                             ; =>This Loop Header: Depth=1
                                        ;     Child Loop BB309_74 Depth 2
                                        ;     Child Loop BB309_76 Depth 2
                                        ; implicit-def: $vgpr0
                                        ; implicit-def: $vgpr23
	s_and_saveexec_b32 s9, vcc_lo
	s_xor_b32 s23, exec_lo, s9
	s_cbranch_execnz .LBB309_71
; %bb.63:                               ;   in Loop: Header=BB309_62 Depth=1
	s_andn2_saveexec_b32 s23, s23
	s_cbranch_execnz .LBB309_72
.LBB309_64:                             ;   in Loop: Header=BB309_62 Depth=1
	s_or_b32 exec_lo, exec_lo, s23
	s_and_saveexec_b32 s9, s4
	s_cbranch_execz .LBB309_66
.LBB309_65:                             ;   in Loop: Header=BB309_62 Depth=1
	s_waitcnt lgkmcnt(0)
	v_mov_b32_e32 v14, v13
	ds_write_b64 v16, v[13:14]
.LBB309_66:                             ;   in Loop: Header=BB309_62 Depth=1
	s_or_b32 exec_lo, exec_lo, s9
	s_waitcnt lgkmcnt(0)
	ds_bpermute_b32 v14, v17, v0
	ds_bpermute_b32 v15, v17, v23
	s_waitcnt lgkmcnt(0)
	s_waitcnt_vscnt null, 0x0
	s_barrier
	buffer_gl0_inv
	v_add_f32_e32 v0, v0, v14
	v_add_f32_e32 v14, v23, v15
	ds_bpermute_b32 v15, v18, v0
	ds_bpermute_b32 v23, v18, v14
	s_waitcnt lgkmcnt(1)
	v_add_f32_e32 v0, v0, v15
	s_waitcnt lgkmcnt(0)
	v_add_f32_e32 v14, v14, v23
	ds_bpermute_b32 v15, v19, v0
	ds_bpermute_b32 v23, v19, v14
	s_waitcnt lgkmcnt(1)
	v_add_f32_e32 v0, v0, v15
	s_waitcnt lgkmcnt(0)
	;; [unrolled: 6-line block ×3, first 2 shown]
	v_add_f32_e32 v14, v14, v23
	ds_bpermute_b32 v15, v21, v0
	ds_bpermute_b32 v23, v21, v14
	s_and_saveexec_b32 s9, s5
	s_cbranch_execz .LBB309_68
; %bb.67:                               ;   in Loop: Header=BB309_62 Depth=1
	s_waitcnt lgkmcnt(0)
	v_add_f32_e32 v24, v14, v23
	v_add_f32_e32 v23, v0, v15
	ds_write_b64 v22, v[23:24]
.LBB309_68:                             ;   in Loop: Header=BB309_62 Depth=1
	s_or_b32 exec_lo, exec_lo, s9
	s_waitcnt lgkmcnt(1)
	v_mov_b32_e32 v15, 0
	v_mov_b32_e32 v14, 0
	s_waitcnt lgkmcnt(0)
	s_barrier
	buffer_gl0_inv
	s_and_saveexec_b32 s9, s8
	s_cbranch_execnz .LBB309_78
; %bb.69:                               ;   in Loop: Header=BB309_62 Depth=1
	s_or_b32 exec_lo, exec_lo, s9
	s_and_saveexec_b32 s9, s4
	s_cbranch_execnz .LBB309_79
.LBB309_70:                             ;   in Loop: Header=BB309_62 Depth=1
	s_or_b32 exec_lo, exec_lo, s9
	s_and_saveexec_b32 s9, s6
	s_cbranch_execz .LBB309_61
	s_branch .LBB309_80
.LBB309_71:                             ;   in Loop: Header=BB309_62 Depth=1
	s_mul_i32 s9, s7, s19
	s_mul_hi_u32 s25, s7, s18
	s_mul_i32 s24, s7, s18
	s_add_i32 s25, s25, s9
	s_lshl_b64 s[24:25], s[24:25], 3
	s_waitcnt lgkmcnt(0)
	v_add_co_u32 v14, s9, v1, s24
	v_add_co_ci_u32_e64 v15, null, s25, v2, s9
	s_waitcnt lgkmcnt(0)
	flat_load_dwordx4 v[23:26], v[14:15]
	s_clause 0x1
	flat_load_dwordx2 v[31:32], v[5:6]
	flat_load_dwordx2 v[33:34], v[7:8]
	flat_load_dwordx4 v[27:30], v[14:15] offset:16
	s_clause 0x1
	flat_load_dwordx2 v[14:15], v[9:10]
	flat_load_dwordx2 v[35:36], v[11:12]
	s_waitcnt vmcnt(4) lgkmcnt(4)
	v_mul_f32_e32 v0, v32, v24
	v_mul_f32_e32 v24, v31, v24
	s_waitcnt vmcnt(3) lgkmcnt(3)
	v_mul_f32_e32 v37, v34, v26
	v_mul_f32_e32 v26, v33, v26
	s_waitcnt vmcnt(1) lgkmcnt(1)
	v_mul_f32_e32 v38, v15, v28
	v_fma_f32 v0, v31, v23, -v0
	v_fmac_f32_e32 v24, v32, v23
	v_mul_f32_e32 v28, v14, v28
	v_fma_f32 v37, v33, v25, -v37
	v_fmac_f32_e32 v26, v34, v25
	v_add_f32_e32 v0, 0, v0
	v_add_f32_e32 v24, 0, v24
	s_waitcnt vmcnt(0) lgkmcnt(0)
	v_mul_f32_e32 v23, v36, v30
	v_mul_f32_e32 v25, v35, v30
	v_fma_f32 v30, v14, v27, -v38
	v_fmac_f32_e32 v28, v15, v27
	v_add_f32_e32 v0, v0, v37
	v_add_f32_e32 v24, v24, v26
	v_fma_f32 v23, v35, v29, -v23
	v_fmac_f32_e32 v25, v36, v29
	buffer_store_dword v32, off, s[0:3], 0 offset:4
	v_add_f32_e32 v0, v0, v30
	v_add_f32_e32 v24, v24, v28
	buffer_store_dword v31, off, s[0:3], 0
	buffer_store_dword v34, off, s[0:3], 0 offset:12
	buffer_store_dword v33, off, s[0:3], 0 offset:8
	;; [unrolled: 1-line block ×6, first 2 shown]
	v_add_f32_e32 v0, v0, v23
	v_add_f32_e32 v23, v24, v25
	s_andn2_saveexec_b32 s23, s23
	s_cbranch_execz .LBB309_64
.LBB309_72:                             ;   in Loop: Header=BB309_62 Depth=1
	v_mov_b32_e32 v0, 0
	v_mov_b32_e32 v23, 0
	s_and_saveexec_b32 s24, s22
	s_cbranch_execz .LBB309_77
; %bb.73:                               ;   in Loop: Header=BB309_62 Depth=1
	s_waitcnt lgkmcnt(0)
	v_mov_b32_e32 v15, v6
	v_mov_b32_e32 v14, v5
	s_mov_b32 s25, 0
	s_mov_b32 s27, s15
.LBB309_74:                             ;   Parent Loop BB309_62 Depth=1
                                        ; =>  This Inner Loop Header: Depth=2
	s_waitcnt lgkmcnt(0)
	flat_load_dwordx2 v[23:24], v[14:15]
	v_add_co_u32 v14, s9, v14, s10
	v_mov_b32_e32 v0, s25
	v_add_co_ci_u32_e64 v15, null, s11, v15, s9
	s_add_i32 s27, s27, -1
	s_add_i32 s25, s25, 8
	s_cmp_eq_u32 s27, 0
	s_waitcnt vmcnt(0) lgkmcnt(0)
	buffer_store_dword v24, v0, s[0:3], 0 offen offset:4
	buffer_store_dword v23, v0, s[0:3], 0 offen
	s_cbranch_scc0 .LBB309_74
; %bb.75:                               ;   in Loop: Header=BB309_62 Depth=1
	v_mov_b32_e32 v15, v4
	v_mov_b32_e32 v0, 0
	;; [unrolled: 1-line block ×4, first 2 shown]
	s_mov_b32 s25, 0
	s_mov_b32 s27, s15
	.p2align	6
.LBB309_76:                             ;   Parent Loop BB309_62 Depth=1
                                        ; =>  This Inner Loop Header: Depth=2
	v_mov_b32_e32 v26, s25
	flat_load_dwordx2 v[24:25], v[14:15]
	v_add_co_u32 v14, s9, v14, 8
	v_add_co_ci_u32_e64 v15, null, 0, v15, s9
	s_clause 0x1
	buffer_load_dword v27, v26, s[0:3], 0 offen offset:4
	buffer_load_dword v26, v26, s[0:3], 0 offen
	s_add_i32 s27, s27, -1
	s_add_i32 s25, s25, 8
	s_cmp_lg_u32 s27, 0
	s_waitcnt vmcnt(1) lgkmcnt(0)
	v_mul_f32_e32 v28, v27, v25
	s_waitcnt vmcnt(0)
	v_mul_f32_e32 v25, v26, v25
	v_fma_f32 v26, v26, v24, -v28
	v_fmac_f32_e32 v25, v27, v24
	v_add_f32_e32 v0, v0, v26
	v_add_f32_e32 v23, v23, v25
	s_cbranch_scc1 .LBB309_76
.LBB309_77:                             ;   in Loop: Header=BB309_62 Depth=1
	s_or_b32 exec_lo, exec_lo, s24
	s_or_b32 exec_lo, exec_lo, s23
	s_and_saveexec_b32 s9, s4
	s_cbranch_execnz .LBB309_65
	s_branch .LBB309_66
.LBB309_78:                             ;   in Loop: Header=BB309_62 Depth=1
	ds_read_b64 v[14:15], v16
	s_or_b32 exec_lo, exec_lo, s9
	s_and_saveexec_b32 s9, s4
	s_cbranch_execz .LBB309_70
.LBB309_79:                             ;   in Loop: Header=BB309_62 Depth=1
	s_waitcnt lgkmcnt(0)
	ds_bpermute_b32 v0, v19, v14
	ds_bpermute_b32 v23, v19, v15
	s_waitcnt lgkmcnt(1)
	v_add_f32_e32 v0, v14, v0
	s_waitcnt lgkmcnt(0)
	v_add_f32_e32 v14, v15, v23
	ds_bpermute_b32 v15, v20, v0
	ds_bpermute_b32 v23, v20, v14
	s_waitcnt lgkmcnt(1)
	v_add_f32_e32 v0, v0, v15
	s_waitcnt lgkmcnt(0)
	v_add_f32_e32 v15, v14, v23
	;; [unrolled: 6-line block ×3, first 2 shown]
	s_or_b32 exec_lo, exec_lo, s9
	s_and_saveexec_b32 s9, s6
	s_cbranch_execz .LBB309_61
.LBB309_80:                             ;   in Loop: Header=BB309_62 Depth=1
	s_waitcnt lgkmcnt(0)
	v_mul_f32_e32 v0, s17, v15
	v_mul_f32_e32 v24, s16, v15
	s_mul_hi_u32 s25, s7, s14
	s_mul_i32 s24, s7, s14
	s_lshl_b64 s[24:25], s[24:25], 3
	v_fma_f32 v23, v14, s16, -v0
	v_fmac_f32_e32 v24, s17, v14
	s_add_u32 s24, s12, s24
	s_addc_u32 s25, s26, s25
	global_store_dwordx2 v13, v[23:24], s[24:25]
	s_branch .LBB309_61
.LBB309_81:
	s_endpgm
	.section	.rodata,"a",@progbits
	.p2align	6, 0x0
	.amdhsa_kernel _ZL23rocblas_gemvt_sn_kernelILb0ELi256ELi4ElPK19rocblas_complex_numIfES3_S1_EviiT4_lPKT3_lilS7_lilPT5_i
		.amdhsa_group_segment_fixed_size 256
		.amdhsa_private_segment_fixed_size 48
		.amdhsa_kernarg_size 360
		.amdhsa_user_sgpr_count 6
		.amdhsa_user_sgpr_private_segment_buffer 1
		.amdhsa_user_sgpr_dispatch_ptr 0
		.amdhsa_user_sgpr_queue_ptr 0
		.amdhsa_user_sgpr_kernarg_segment_ptr 1
		.amdhsa_user_sgpr_dispatch_id 0
		.amdhsa_user_sgpr_flat_scratch_init 0
		.amdhsa_user_sgpr_private_segment_size 0
		.amdhsa_wavefront_size32 1
		.amdhsa_uses_dynamic_stack 0
		.amdhsa_system_sgpr_private_segment_wavefront_offset 1
		.amdhsa_system_sgpr_workgroup_id_x 1
		.amdhsa_system_sgpr_workgroup_id_y 0
		.amdhsa_system_sgpr_workgroup_id_z 1
		.amdhsa_system_sgpr_workgroup_info 0
		.amdhsa_system_vgpr_workitem_id 0
		.amdhsa_next_free_vgpr 77
		.amdhsa_next_free_sgpr 50
		.amdhsa_reserve_vcc 1
		.amdhsa_reserve_flat_scratch 1
		.amdhsa_float_round_mode_32 0
		.amdhsa_float_round_mode_16_64 0
		.amdhsa_float_denorm_mode_32 3
		.amdhsa_float_denorm_mode_16_64 3
		.amdhsa_dx10_clamp 1
		.amdhsa_ieee_mode 1
		.amdhsa_fp16_overflow 0
		.amdhsa_workgroup_processor_mode 1
		.amdhsa_memory_ordered 1
		.amdhsa_forward_progress 1
		.amdhsa_shared_vgpr_count 0
		.amdhsa_exception_fp_ieee_invalid_op 0
		.amdhsa_exception_fp_denorm_src 0
		.amdhsa_exception_fp_ieee_div_zero 0
		.amdhsa_exception_fp_ieee_overflow 0
		.amdhsa_exception_fp_ieee_underflow 0
		.amdhsa_exception_fp_ieee_inexact 0
		.amdhsa_exception_int_div_zero 0
	.end_amdhsa_kernel
	.section	.text._ZL23rocblas_gemvt_sn_kernelILb0ELi256ELi4ElPK19rocblas_complex_numIfES3_S1_EviiT4_lPKT3_lilS7_lilPT5_i,"axG",@progbits,_ZL23rocblas_gemvt_sn_kernelILb0ELi256ELi4ElPK19rocblas_complex_numIfES3_S1_EviiT4_lPKT3_lilS7_lilPT5_i,comdat
.Lfunc_end309:
	.size	_ZL23rocblas_gemvt_sn_kernelILb0ELi256ELi4ElPK19rocblas_complex_numIfES3_S1_EviiT4_lPKT3_lilS7_lilPT5_i, .Lfunc_end309-_ZL23rocblas_gemvt_sn_kernelILb0ELi256ELi4ElPK19rocblas_complex_numIfES3_S1_EviiT4_lPKT3_lilS7_lilPT5_i
                                        ; -- End function
	.set _ZL23rocblas_gemvt_sn_kernelILb0ELi256ELi4ElPK19rocblas_complex_numIfES3_S1_EviiT4_lPKT3_lilS7_lilPT5_i.num_vgpr, 77
	.set _ZL23rocblas_gemvt_sn_kernelILb0ELi256ELi4ElPK19rocblas_complex_numIfES3_S1_EviiT4_lPKT3_lilS7_lilPT5_i.num_agpr, 0
	.set _ZL23rocblas_gemvt_sn_kernelILb0ELi256ELi4ElPK19rocblas_complex_numIfES3_S1_EviiT4_lPKT3_lilS7_lilPT5_i.numbered_sgpr, 50
	.set _ZL23rocblas_gemvt_sn_kernelILb0ELi256ELi4ElPK19rocblas_complex_numIfES3_S1_EviiT4_lPKT3_lilS7_lilPT5_i.num_named_barrier, 0
	.set _ZL23rocblas_gemvt_sn_kernelILb0ELi256ELi4ElPK19rocblas_complex_numIfES3_S1_EviiT4_lPKT3_lilS7_lilPT5_i.private_seg_size, 48
	.set _ZL23rocblas_gemvt_sn_kernelILb0ELi256ELi4ElPK19rocblas_complex_numIfES3_S1_EviiT4_lPKT3_lilS7_lilPT5_i.uses_vcc, 1
	.set _ZL23rocblas_gemvt_sn_kernelILb0ELi256ELi4ElPK19rocblas_complex_numIfES3_S1_EviiT4_lPKT3_lilS7_lilPT5_i.uses_flat_scratch, 1
	.set _ZL23rocblas_gemvt_sn_kernelILb0ELi256ELi4ElPK19rocblas_complex_numIfES3_S1_EviiT4_lPKT3_lilS7_lilPT5_i.has_dyn_sized_stack, 0
	.set _ZL23rocblas_gemvt_sn_kernelILb0ELi256ELi4ElPK19rocblas_complex_numIfES3_S1_EviiT4_lPKT3_lilS7_lilPT5_i.has_recursion, 0
	.set _ZL23rocblas_gemvt_sn_kernelILb0ELi256ELi4ElPK19rocblas_complex_numIfES3_S1_EviiT4_lPKT3_lilS7_lilPT5_i.has_indirect_call, 0
	.section	.AMDGPU.csdata,"",@progbits
; Kernel info:
; codeLenInByte = 5560
; TotalNumSgprs: 52
; NumVgprs: 77
; ScratchSize: 48
; MemoryBound: 0
; FloatMode: 240
; IeeeMode: 1
; LDSByteSize: 256 bytes/workgroup (compile time only)
; SGPRBlocks: 0
; VGPRBlocks: 9
; NumSGPRsForWavesPerEU: 52
; NumVGPRsForWavesPerEU: 77
; Occupancy: 12
; WaveLimiterHint : 0
; COMPUTE_PGM_RSRC2:SCRATCH_EN: 1
; COMPUTE_PGM_RSRC2:USER_SGPR: 6
; COMPUTE_PGM_RSRC2:TRAP_HANDLER: 0
; COMPUTE_PGM_RSRC2:TGID_X_EN: 1
; COMPUTE_PGM_RSRC2:TGID_Y_EN: 0
; COMPUTE_PGM_RSRC2:TGID_Z_EN: 1
; COMPUTE_PGM_RSRC2:TIDIG_COMP_CNT: 0
	.section	.text._ZL23rocblas_gemvt_sn_reduceILi256ELi8E19rocblas_complex_numIfEPKS1_KPS1_EviT2_lPT3_lilPT1_i,"axG",@progbits,_ZL23rocblas_gemvt_sn_reduceILi256ELi8E19rocblas_complex_numIfEPKS1_KPS1_EviT2_lPT3_lilPT1_i,comdat
	.globl	_ZL23rocblas_gemvt_sn_reduceILi256ELi8E19rocblas_complex_numIfEPKS1_KPS1_EviT2_lPT3_lilPT1_i ; -- Begin function _ZL23rocblas_gemvt_sn_reduceILi256ELi8E19rocblas_complex_numIfEPKS1_KPS1_EviT2_lPT3_lilPT1_i
	.p2align	8
	.type	_ZL23rocblas_gemvt_sn_reduceILi256ELi8E19rocblas_complex_numIfEPKS1_KPS1_EviT2_lPT3_lilPT1_i,@function
_ZL23rocblas_gemvt_sn_reduceILi256ELi8E19rocblas_complex_numIfEPKS1_KPS1_EviT2_lPT3_lilPT1_i: ; @_ZL23rocblas_gemvt_sn_reduceILi256ELi8E19rocblas_complex_numIfEPKS1_KPS1_EviT2_lPT3_lilPT1_i
; %bb.0:
	s_clause 0x1
	s_load_dword s6, s[4:5], 0x0
	s_load_dwordx8 s[12:19], s[4:5], 0x8
	s_mov_b32 s9, 0
	s_load_dword s20, s[4:5], 0x4c
	s_lshl_b64 s[0:1], s[8:9], 3
	v_lshlrev_b32_e32 v5, 3, v0
	v_mov_b32_e32 v3, 0
	v_mov_b32_e32 v4, 0
	s_waitcnt lgkmcnt(0)
	s_ashr_i32 s21, s6, 31
	s_mul_i32 s2, s15, s8
	s_mul_hi_u32 s3, s14, s8
	s_add_u32 s0, s16, s0
	s_addc_u32 s1, s17, s1
	s_add_i32 s3, s3, s2
	s_mul_i32 s2, s14, s8
	s_load_dwordx2 s[14:15], s[4:5], 0x38
	s_lshl_b64 s[2:3], s[2:3], 3
	s_mul_i32 s8, s20, s8
	s_add_u32 s2, s12, s2
	s_addc_u32 s3, s13, s3
	s_load_dwordx2 s[10:11], s[0:1], 0x0
	s_load_dwordx2 s[2:3], s[2:3], 0x0
	s_add_u32 s0, s4, 0x48
	s_addc_u32 s1, s5, 0
	s_add_i32 s12, s8, s7
	s_lshr_b32 s8, s21, 29
	s_mul_i32 s13, s12, s21
	s_add_i32 s8, s6, s8
	s_mul_hi_u32 s16, s12, s6
	s_and_b32 s8, s8, -8
	s_add_i32 s13, s16, s13
	s_mul_i32 s12, s12, s6
	s_mov_b32 s16, exec_lo
	v_cmpx_gt_i32_e64 s8, v5
	s_cbranch_execz .LBB310_4
; %bb.1:
	s_load_dword s0, s[0:1], 0xc
	v_lshlrev_b32_e32 v1, 6, v0
	s_lshl_b64 s[20:21], s[12:13], 3
	v_mov_b32_e32 v3, 0
	v_mov_b32_e32 v4, 0
	s_waitcnt lgkmcnt(0)
	s_and_b32 s0, s0, 0xffff
	s_lshl_b32 s1, s0, 3
	s_add_u32 s17, s14, s20
	s_addc_u32 s20, s15, s21
	v_add_co_u32 v1, s17, s17, v1
	v_add_co_ci_u32_e64 v2, null, s20, 0, s17
	s_lshl_b32 s17, s0, 6
	v_add_co_u32 v1, vcc_lo, v1, 60
	v_add_co_ci_u32_e64 v2, null, 0, v2, vcc_lo
	s_inst_prefetch 0x1
	.p2align	6
.LBB310_2:                              ; =>This Inner Loop Header: Depth=1
	s_clause 0x3
	global_load_dwordx4 v[6:9], v[1:2], off offset:-60
	global_load_dwordx4 v[10:13], v[1:2], off offset:-44
	;; [unrolled: 1-line block ×4, first 2 shown]
	v_add_nc_u32_e32 v5, s1, v5
	v_add_co_u32 v1, vcc_lo, v1, s17
	v_add_co_ci_u32_e64 v2, null, 0, v2, vcc_lo
	v_cmp_le_i32_e64 s0, s8, v5
	s_or_b32 s9, s0, s9
	s_waitcnt vmcnt(3)
	v_add_f32_e32 v4, v4, v6
	v_add_f32_e32 v3, v3, v7
	v_add_f32_e32 v4, v4, v8
	v_add_f32_e32 v3, v3, v9
	s_waitcnt vmcnt(2)
	v_add_f32_e32 v4, v4, v10
	v_add_f32_e32 v3, v3, v11
	v_add_f32_e32 v4, v4, v12
	v_add_f32_e32 v3, v3, v13
	s_waitcnt vmcnt(1)
	v_add_f32_e32 v4, v4, v14
	v_add_f32_e32 v3, v3, v15
	v_add_f32_e32 v4, v4, v16
	v_add_f32_e32 v3, v3, v17
	s_waitcnt vmcnt(0)
	v_add_f32_e32 v4, v4, v18
	v_add_f32_e32 v3, v3, v19
	v_add_f32_e32 v4, v4, v20
	v_add_f32_e32 v3, v3, v21
	s_andn2_b32 exec_lo, exec_lo, s9
	s_cbranch_execnz .LBB310_2
; %bb.3:
	s_inst_prefetch 0x2
	s_or_b32 exec_lo, exec_lo, s9
.LBB310_4:
	s_or_b32 exec_lo, exec_lo, s16
	s_sub_i32 s0, s6, s8
	v_cmp_gt_u32_e32 vcc_lo, s0, v0
	s_and_saveexec_b32 s0, vcc_lo
	s_cbranch_execz .LBB310_6
; %bb.5:
	v_xad_u32 v1, v0, -1, s6
	v_mov_b32_e32 v2, 0
	s_lshl_b64 s[8:9], s[12:13], 3
	s_waitcnt lgkmcnt(0)
	s_add_u32 s1, s14, s8
	s_addc_u32 s6, s15, s9
	v_lshlrev_b64 v[1:2], 3, v[1:2]
	v_add_co_u32 v1, vcc_lo, s1, v1
	v_add_co_ci_u32_e64 v2, null, s6, v2, vcc_lo
	global_load_dwordx2 v[1:2], v[1:2], off
	s_waitcnt vmcnt(0)
	v_add_f32_e32 v4, v4, v1
	v_add_f32_e32 v3, v3, v2
.LBB310_6:
	s_or_b32 exec_lo, exec_lo, s0
	v_and_b32_e32 v1, 31, v0
	v_cmp_gt_u32_e32 vcc_lo, 32, v0
	v_lshlrev_b32_e32 v5, 3, v1
	s_and_saveexec_b32 s0, vcc_lo
; %bb.7:
	v_mov_b32_e32 v6, 0
	v_mov_b32_e32 v7, v6
	ds_write_b64 v5, v[6:7]
; %bb.8:
	s_or_b32 exec_lo, exec_lo, s0
	v_mbcnt_lo_u32_b32 v2, -1, 0
	s_mov_b32 s1, exec_lo
	s_waitcnt lgkmcnt(0)
	s_barrier
	buffer_gl0_inv
	v_lshl_or_b32 v6, v2, 2, 64
	v_cmp_gt_u32_e64 s0, 24, v2
	ds_bpermute_b32 v7, v6, v4
	ds_bpermute_b32 v6, v6, v3
	v_cndmask_b32_e64 v8, 0, 8, s0
	v_cmp_gt_u32_e64 s0, 28, v2
	v_add_lshl_u32 v8, v8, v2, 2
	s_waitcnt lgkmcnt(1)
	v_add_f32_e32 v4, v4, v7
	s_waitcnt lgkmcnt(0)
	v_add_f32_e32 v6, v3, v6
	v_cndmask_b32_e64 v3, 0, 4, s0
	v_cmp_gt_u32_e64 s0, 30, v2
	ds_bpermute_b32 v7, v8, v4
	ds_bpermute_b32 v8, v8, v6
	v_add_lshl_u32 v3, v3, v2, 2
	s_waitcnt lgkmcnt(1)
	v_add_f32_e32 v7, v4, v7
	s_waitcnt lgkmcnt(0)
	v_add_f32_e32 v6, v6, v8
	v_cndmask_b32_e64 v4, 0, 2, s0
	v_cmp_ne_u32_e64 s0, 31, v2
	ds_bpermute_b32 v8, v3, v7
	ds_bpermute_b32 v9, v3, v6
	v_add_lshl_u32 v4, v4, v2, 2
	v_add_co_ci_u32_e64 v2, null, 0, v2, s0
	s_waitcnt lgkmcnt(1)
	v_add_f32_e32 v7, v7, v8
	s_waitcnt lgkmcnt(0)
	v_add_f32_e32 v8, v6, v9
	v_lshlrev_b32_e32 v6, 2, v2
	ds_bpermute_b32 v9, v4, v7
	ds_bpermute_b32 v10, v4, v8
	s_waitcnt lgkmcnt(1)
	v_add_f32_e32 v2, v7, v9
	s_waitcnt lgkmcnt(0)
	v_add_f32_e32 v8, v8, v10
	ds_bpermute_b32 v7, v6, v2
	ds_bpermute_b32 v9, v6, v8
	v_cmpx_eq_u32_e32 0, v1
	s_cbranch_execz .LBB310_10
; %bb.9:
	v_lshrrev_b32_e32 v1, 2, v0
	s_waitcnt lgkmcnt(0)
	v_add_f32_e32 v8, v8, v9
	v_add_f32_e32 v7, v2, v7
	v_and_b32_e32 v1, 56, v1
	ds_write_b64 v1, v[7:8]
.LBB310_10:
	s_or_b32 exec_lo, exec_lo, s1
	v_mov_b32_e32 v2, 0
	v_mov_b32_e32 v1, 0
	s_mov_b32 s1, exec_lo
	s_waitcnt lgkmcnt(0)
	s_barrier
	buffer_gl0_inv
	v_cmpx_gt_u32_e32 8, v0
; %bb.11:
	ds_read_b64 v[1:2], v5
; %bb.12:
	s_or_b32 exec_lo, exec_lo, s1
	s_and_saveexec_b32 s0, vcc_lo
	s_cbranch_execz .LBB310_14
; %bb.13:
	s_waitcnt lgkmcnt(0)
	ds_bpermute_b32 v5, v3, v1
	ds_bpermute_b32 v3, v3, v2
	s_waitcnt lgkmcnt(1)
	v_add_f32_e32 v1, v1, v5
	s_waitcnt lgkmcnt(0)
	v_add_f32_e32 v2, v2, v3
	ds_bpermute_b32 v3, v4, v1
	ds_bpermute_b32 v4, v4, v2
	s_waitcnt lgkmcnt(1)
	v_add_f32_e32 v1, v1, v3
	s_waitcnt lgkmcnt(0)
	v_add_f32_e32 v2, v2, v4
	;; [unrolled: 6-line block ×3, first 2 shown]
.LBB310_14:
	s_or_b32 exec_lo, exec_lo, s0
	s_mov_b32 s0, exec_lo
	v_cmpx_eq_u32_e32 0, v0
	s_cbranch_execz .LBB310_18
; %bb.15:
	s_load_dword s6, s[4:5], 0x28
	v_cmp_neq_f32_e64 s8, s2, 0
	v_cmp_neq_f32_e64 s9, s3, 0
	s_lshl_b64 s[0:1], s[18:19], 3
	s_waitcnt lgkmcnt(0)
	s_ashr_i32 s12, s6, 31
	s_add_u32 s4, s10, s0
	s_addc_u32 s5, s11, s1
	s_or_b32 s0, s8, s9
	s_mul_hi_u32 s1, s6, s7
	s_mul_i32 s12, s12, s7
	s_andn2_b32 vcc_lo, exec_lo, s0
	s_add_i32 s1, s1, s12
	s_mul_i32 s0, s6, s7
	s_cbranch_vccnz .LBB310_17
; %bb.16:
	s_lshl_b64 s[6:7], s[0:1], 3
	s_add_u32 s6, s4, s6
	s_addc_u32 s7, s5, s7
	v_mov_b32_e32 v3, s6
	v_mov_b32_e32 v4, s7
	flat_load_dwordx2 v[3:4], v[3:4]
	s_waitcnt vmcnt(0) lgkmcnt(0)
	v_mul_f32_e32 v0, s3, v4
	v_mul_f32_e32 v4, s2, v4
	v_fma_f32 v0, s2, v3, -v0
	v_fmac_f32_e32 v4, s3, v3
	v_add_f32_e32 v1, v1, v0
	v_add_f32_e32 v2, v2, v4
.LBB310_17:
	s_lshl_b64 s[0:1], s[0:1], 3
	s_add_u32 s0, s4, s0
	s_addc_u32 s1, s5, s1
	v_mov_b32_e32 v4, s1
	v_mov_b32_e32 v3, s0
	flat_store_dwordx2 v[3:4], v[1:2]
.LBB310_18:
	s_endpgm
	.section	.rodata,"a",@progbits
	.p2align	6, 0x0
	.amdhsa_kernel _ZL23rocblas_gemvt_sn_reduceILi256ELi8E19rocblas_complex_numIfEPKS1_KPS1_EviT2_lPT3_lilPT1_i
		.amdhsa_group_segment_fixed_size 256
		.amdhsa_private_segment_fixed_size 0
		.amdhsa_kernarg_size 328
		.amdhsa_user_sgpr_count 6
		.amdhsa_user_sgpr_private_segment_buffer 1
		.amdhsa_user_sgpr_dispatch_ptr 0
		.amdhsa_user_sgpr_queue_ptr 0
		.amdhsa_user_sgpr_kernarg_segment_ptr 1
		.amdhsa_user_sgpr_dispatch_id 0
		.amdhsa_user_sgpr_flat_scratch_init 0
		.amdhsa_user_sgpr_private_segment_size 0
		.amdhsa_wavefront_size32 1
		.amdhsa_uses_dynamic_stack 0
		.amdhsa_system_sgpr_private_segment_wavefront_offset 0
		.amdhsa_system_sgpr_workgroup_id_x 1
		.amdhsa_system_sgpr_workgroup_id_y 1
		.amdhsa_system_sgpr_workgroup_id_z 1
		.amdhsa_system_sgpr_workgroup_info 0
		.amdhsa_system_vgpr_workitem_id 0
		.amdhsa_next_free_vgpr 22
		.amdhsa_next_free_sgpr 22
		.amdhsa_reserve_vcc 1
		.amdhsa_reserve_flat_scratch 0
		.amdhsa_float_round_mode_32 0
		.amdhsa_float_round_mode_16_64 0
		.amdhsa_float_denorm_mode_32 3
		.amdhsa_float_denorm_mode_16_64 3
		.amdhsa_dx10_clamp 1
		.amdhsa_ieee_mode 1
		.amdhsa_fp16_overflow 0
		.amdhsa_workgroup_processor_mode 1
		.amdhsa_memory_ordered 1
		.amdhsa_forward_progress 1
		.amdhsa_shared_vgpr_count 0
		.amdhsa_exception_fp_ieee_invalid_op 0
		.amdhsa_exception_fp_denorm_src 0
		.amdhsa_exception_fp_ieee_div_zero 0
		.amdhsa_exception_fp_ieee_overflow 0
		.amdhsa_exception_fp_ieee_underflow 0
		.amdhsa_exception_fp_ieee_inexact 0
		.amdhsa_exception_int_div_zero 0
	.end_amdhsa_kernel
	.section	.text._ZL23rocblas_gemvt_sn_reduceILi256ELi8E19rocblas_complex_numIfEPKS1_KPS1_EviT2_lPT3_lilPT1_i,"axG",@progbits,_ZL23rocblas_gemvt_sn_reduceILi256ELi8E19rocblas_complex_numIfEPKS1_KPS1_EviT2_lPT3_lilPT1_i,comdat
.Lfunc_end310:
	.size	_ZL23rocblas_gemvt_sn_reduceILi256ELi8E19rocblas_complex_numIfEPKS1_KPS1_EviT2_lPT3_lilPT1_i, .Lfunc_end310-_ZL23rocblas_gemvt_sn_reduceILi256ELi8E19rocblas_complex_numIfEPKS1_KPS1_EviT2_lPT3_lilPT1_i
                                        ; -- End function
	.set _ZL23rocblas_gemvt_sn_reduceILi256ELi8E19rocblas_complex_numIfEPKS1_KPS1_EviT2_lPT3_lilPT1_i.num_vgpr, 22
	.set _ZL23rocblas_gemvt_sn_reduceILi256ELi8E19rocblas_complex_numIfEPKS1_KPS1_EviT2_lPT3_lilPT1_i.num_agpr, 0
	.set _ZL23rocblas_gemvt_sn_reduceILi256ELi8E19rocblas_complex_numIfEPKS1_KPS1_EviT2_lPT3_lilPT1_i.numbered_sgpr, 22
	.set _ZL23rocblas_gemvt_sn_reduceILi256ELi8E19rocblas_complex_numIfEPKS1_KPS1_EviT2_lPT3_lilPT1_i.num_named_barrier, 0
	.set _ZL23rocblas_gemvt_sn_reduceILi256ELi8E19rocblas_complex_numIfEPKS1_KPS1_EviT2_lPT3_lilPT1_i.private_seg_size, 0
	.set _ZL23rocblas_gemvt_sn_reduceILi256ELi8E19rocblas_complex_numIfEPKS1_KPS1_EviT2_lPT3_lilPT1_i.uses_vcc, 1
	.set _ZL23rocblas_gemvt_sn_reduceILi256ELi8E19rocblas_complex_numIfEPKS1_KPS1_EviT2_lPT3_lilPT1_i.uses_flat_scratch, 0
	.set _ZL23rocblas_gemvt_sn_reduceILi256ELi8E19rocblas_complex_numIfEPKS1_KPS1_EviT2_lPT3_lilPT1_i.has_dyn_sized_stack, 0
	.set _ZL23rocblas_gemvt_sn_reduceILi256ELi8E19rocblas_complex_numIfEPKS1_KPS1_EviT2_lPT3_lilPT1_i.has_recursion, 0
	.set _ZL23rocblas_gemvt_sn_reduceILi256ELi8E19rocblas_complex_numIfEPKS1_KPS1_EviT2_lPT3_lilPT1_i.has_indirect_call, 0
	.section	.AMDGPU.csdata,"",@progbits
; Kernel info:
; codeLenInByte = 1260
; TotalNumSgprs: 24
; NumVgprs: 22
; ScratchSize: 0
; MemoryBound: 0
; FloatMode: 240
; IeeeMode: 1
; LDSByteSize: 256 bytes/workgroup (compile time only)
; SGPRBlocks: 0
; VGPRBlocks: 2
; NumSGPRsForWavesPerEU: 24
; NumVGPRsForWavesPerEU: 22
; Occupancy: 16
; WaveLimiterHint : 1
; COMPUTE_PGM_RSRC2:SCRATCH_EN: 0
; COMPUTE_PGM_RSRC2:USER_SGPR: 6
; COMPUTE_PGM_RSRC2:TRAP_HANDLER: 0
; COMPUTE_PGM_RSRC2:TGID_X_EN: 1
; COMPUTE_PGM_RSRC2:TGID_Y_EN: 1
; COMPUTE_PGM_RSRC2:TGID_Z_EN: 1
; COMPUTE_PGM_RSRC2:TIDIG_COMP_CNT: 0
	.section	.text._ZL23rocblas_gemvt_sn_kernelILb0ELi256ELi4EiPK19rocblas_complex_numIfES1_S1_EviiT4_lPKT3_lilS7_lilPT5_i,"axG",@progbits,_ZL23rocblas_gemvt_sn_kernelILb0ELi256ELi4EiPK19rocblas_complex_numIfES1_S1_EviiT4_lPKT3_lilS7_lilPT5_i,comdat
	.globl	_ZL23rocblas_gemvt_sn_kernelILb0ELi256ELi4EiPK19rocblas_complex_numIfES1_S1_EviiT4_lPKT3_lilS7_lilPT5_i ; -- Begin function _ZL23rocblas_gemvt_sn_kernelILb0ELi256ELi4EiPK19rocblas_complex_numIfES1_S1_EviiT4_lPKT3_lilS7_lilPT5_i
	.p2align	8
	.type	_ZL23rocblas_gemvt_sn_kernelILb0ELi256ELi4EiPK19rocblas_complex_numIfES1_S1_EviiT4_lPKT3_lilS7_lilPT5_i,@function
_ZL23rocblas_gemvt_sn_kernelILb0ELi256ELi4EiPK19rocblas_complex_numIfES1_S1_EviiT4_lPKT3_lilS7_lilPT5_i: ; @_ZL23rocblas_gemvt_sn_kernelILb0ELi256ELi4EiPK19rocblas_complex_numIfES1_S1_EviiT4_lPKT3_lilS7_lilPT5_i
; %bb.0:
	s_load_dwordx4 s[12:15], s[4:5], 0x0
	s_add_u32 s0, s0, s8
	s_addc_u32 s1, s1, 0
	s_mov_b32 s10, s7
	s_mov_b32 s11, 0
	s_waitcnt lgkmcnt(0)
	s_or_b32 s7, s14, s15
	s_and_b32 s8, s7, 0x7fffffff
	s_cmp_lg_u32 s8, 0
	s_cselect_b32 s7, -1, 0
	s_cmp_eq_u32 s8, 0
	s_cselect_b32 s22, -1, 0
	s_and_b32 vcc_lo, exec_lo, s7
	s_cbranch_vccnz .LBB311_2
; %bb.1:
	s_mov_b32 s8, s11
	s_mov_b64 s[16:17], 0
	s_andn2_b32 vcc_lo, exec_lo, s8
	s_mov_b64 s[8:9], 0
	s_cbranch_vccz .LBB311_3
	s_branch .LBB311_4
.LBB311_2:
	s_mov_b64 s[16:17], 0
	s_mov_b64 s[8:9], 0
.LBB311_3:
	s_load_dwordx4 s[24:27], s[4:5], 0x18
	s_lshl_b64 s[8:9], s[10:11], 3
	s_waitcnt lgkmcnt(0)
	s_add_u32 s8, s24, s8
	s_addc_u32 s9, s25, s9
	s_lshl_b64 s[18:19], s[26:27], 3
	s_load_dwordx2 s[8:9], s[8:9], 0x0
	s_waitcnt lgkmcnt(0)
	s_add_u32 s8, s8, s18
	s_addc_u32 s9, s9, s19
.LBB311_4:
	s_andn2_b32 vcc_lo, exec_lo, s7
	s_cbranch_vccnz .LBB311_6
; %bb.5:
	s_load_dwordx4 s[16:19], s[4:5], 0x38
	s_lshl_b64 s[20:21], s[10:11], 3
	s_waitcnt lgkmcnt(0)
	s_add_u32 s16, s16, s20
	s_addc_u32 s17, s17, s21
	s_lshl_b64 s[18:19], s[18:19], 3
	s_load_dwordx2 s[16:17], s[16:17], 0x0
	s_waitcnt lgkmcnt(0)
	s_add_u32 s16, s16, s18
	s_addc_u32 s17, s17, s19
.LBB311_6:
	s_clause 0x1
	s_load_dword s18, s[4:5], 0x68
	s_load_dwordx2 s[20:21], s[4:5], 0x58
	s_ashr_i32 s26, s13, 31
	s_mul_hi_u32 s11, s10, s13
	s_mul_i32 s23, s10, s13
	s_mul_i32 s10, s10, s26
	v_cmp_eq_u32_e64 s7, 0, v0
	s_add_i32 s10, s11, s10
	s_andn2_b32 vcc_lo, exec_lo, s22
	s_mov_b32 s19, 0
	s_waitcnt lgkmcnt(0)
	s_mul_i32 s11, s10, s18
	s_mul_hi_u32 s22, s23, s18
	s_mul_i32 s10, s23, s18
	s_add_i32 s11, s22, s11
	s_mov_b32 s22, -1
	s_cbranch_vccnz .LBB311_11
; %bb.7:
	s_cmp_gt_i32 s13, 0
	s_cselect_b32 s22, -1, 0
	s_and_b32 s7, s7, s22
	s_and_saveexec_b32 s27, s7
	s_cbranch_execz .LBB311_10
; %bb.8:
	s_mov_b32 s7, 0
	v_mov_b32_e32 v1, 0
	s_lshl_b64 s[22:23], s[10:11], 3
	s_lshl_b64 s[24:25], s[6:7], 3
	s_add_u32 s7, s22, s24
	s_addc_u32 s22, s23, s25
	s_add_u32 s7, s20, s7
	v_mov_b32_e32 v2, v1
	s_addc_u32 s23, s21, s22
	s_add_u32 s22, s7, 4
	s_addc_u32 s23, s23, 0
	s_lshl_b64 s[24:25], s[18:19], 3
	s_mov_b32 s7, s13
.LBB311_9:                              ; =>This Inner Loop Header: Depth=1
	s_add_i32 s7, s7, -1
	global_store_dwordx2 v1, v[1:2], s[22:23] offset:-4
	s_add_u32 s22, s22, s24
	s_addc_u32 s23, s23, s25
	s_cmp_eq_u32 s7, 0
	s_cbranch_scc0 .LBB311_9
.LBB311_10:
	s_or_b32 exec_lo, exec_lo, s27
	s_mov_b32 s22, 0
.LBB311_11:
	s_andn2_b32 vcc_lo, exec_lo, s22
	s_cbranch_vccnz .LBB311_83
; %bb.12:
	s_lshl_b64 s[10:11], s[10:11], 3
	s_clause 0x1
	s_load_dword s19, s[4:5], 0x48
	s_load_dword s30, s[4:5], 0x28
	s_add_u32 s34, s20, s10
	s_addc_u32 s11, s21, s11
	s_lshl_b32 s7, s6, 10
	s_ashr_i32 s4, s12, 31
	v_lshl_or_b32 v2, v0, 2, s7
	s_lshr_b32 s4, s4, 30
	s_lshr_b32 s5, s26, 30
	s_add_i32 s4, s12, s4
	s_add_i32 s5, s13, s5
	v_ashrrev_i32_e32 v3, 31, v2
	s_and_b32 s4, s4, -4
	s_and_b32 s35, s5, -4
	s_sub_i32 s31, s12, s4
	v_add_nc_u32_e32 v26, 4, v2
	v_lshlrev_b64 v[3:4], 3, v[2:3]
	v_add_nc_u32_e32 v27, s31, v2
	v_and_b32_e32 v24, 31, v0
	v_cmp_gt_u32_e64 s4, 32, v0
	s_waitcnt lgkmcnt(0)
	v_mul_lo_u32 v1, s19, v2
	v_mbcnt_lo_u32_b32 v25, -1, 0
	v_add_co_u32 v21, vcc_lo, s8, v3
	v_add_co_ci_u32_e64 v22, null, s9, v4, vcc_lo
	v_cmp_gt_u32_e64 s5, 8, v0
	v_lshrrev_b32_e32 v23, 2, v0
	s_cmp_lt_i32 s35, 1
	s_cbranch_scc1 .LBB311_60
; %bb.13:
	v_cmp_gt_u32_e32 vcc_lo, 24, v25
	v_mul_lo_u32 v2, s19, v2
	v_cmp_ge_i32_e64 s7, s12, v26
	v_cmp_ge_i32_e64 s8, s12, v27
	v_lshl_or_b32 v28, v25, 2, 64
	v_cndmask_b32_e64 v3, 0, 8, vcc_lo
	v_cmp_gt_u32_e32 vcc_lo, 28, v25
	v_cmp_eq_u32_e64 s9, 0, v24
	v_lshlrev_b32_e32 v33, 3, v24
	v_and_b32_e32 v34, 56, v23
	v_add_lshl_u32 v29, v3, v25, 2
	v_cndmask_b32_e64 v4, 0, 4, vcc_lo
	v_cmp_gt_u32_e32 vcc_lo, 30, v25
	v_ashrrev_i32_e32 v3, 31, v2
	v_cmp_eq_u32_e64 s10, 0, v0
	s_cmp_gt_i32 s31, 0
	v_add_lshl_u32 v30, v4, v25, 2
	v_cndmask_b32_e64 v5, 0, 2, vcc_lo
	v_cmp_ne_u32_e32 vcc_lo, 31, v25
	v_add_nc_u32_e32 v4, s19, v2
	v_lshlrev_b64 v[8:9], 3, v[2:3]
	s_mov_b32 s21, 0
	v_add_lshl_u32 v31, v5, v25, 2
	v_add_co_ci_u32_e64 v6, null, 0, v25, vcc_lo
	v_ashrrev_i32_e32 v5, 31, v4
	v_add_co_u32 v3, vcc_lo, s16, v8
	v_lshlrev_b32_e32 v32, 2, v6
	v_add_nc_u32_e32 v6, s19, v4
	v_lshlrev_b64 v[10:11], 3, v[4:5]
	v_add_co_ci_u32_e64 v4, null, s17, v9, vcc_lo
	s_cselect_b32 s36, -1, 0
	v_add_nc_u32_e32 v12, s19, v6
	v_ashrrev_i32_e32 v7, 31, v6
	v_add_co_u32 v5, vcc_lo, s16, v10
	s_lshl_b32 s37, s30, 2
	v_ashrrev_i32_e32 v13, 31, v12
	v_lshlrev_b64 v[7:8], 3, v[6:7]
	v_add_co_ci_u32_e64 v6, null, s17, v11, vcc_lo
	v_mov_b32_e32 v11, 0
	v_lshlrev_b64 v[9:10], 3, v[12:13]
	s_lshl_b32 s38, s30, 1
	v_add_co_u32 v7, vcc_lo, s16, v7
	v_add_co_ci_u32_e64 v8, null, s17, v8, vcc_lo
	v_add_co_u32 v9, vcc_lo, s16, v9
	v_add_co_ci_u32_e64 v10, null, s17, v10, vcc_lo
	s_mul_i32 s39, s30, 3
	s_mov_b32 s22, s21
	s_mov_b32 s40, s30
	;; [unrolled: 1-line block ×3, first 2 shown]
	s_branch .LBB311_15
.LBB311_14:                             ;   in Loop: Header=BB311_15 Depth=1
	s_or_b32 exec_lo, exec_lo, s23
	s_add_i32 s33, s33, 4
	s_add_i32 s40, s40, s37
	;; [unrolled: 1-line block ×5, first 2 shown]
	s_cmp_ge_i32 s33, s35
	s_cbranch_scc1 .LBB311_61
.LBB311_15:                             ; =>This Loop Header: Depth=1
                                        ;     Child Loop BB311_46 Depth 2
                                        ;     Child Loop BB311_48 Depth 2
                                        ; implicit-def: $vgpr14
                                        ; implicit-def: $vgpr35
                                        ; implicit-def: $vgpr15
                                        ; implicit-def: $vgpr16
                                        ; implicit-def: $vgpr17
                                        ; implicit-def: $vgpr18
                                        ; implicit-def: $vgpr20
                                        ; implicit-def: $vgpr19
	s_and_saveexec_b32 s20, s7
	s_xor_b32 s20, exec_lo, s20
	s_cbranch_execnz .LBB311_42
; %bb.16:                               ;   in Loop: Header=BB311_15 Depth=1
	s_andn2_saveexec_b32 s20, s20
	s_cbranch_execnz .LBB311_43
.LBB311_17:                             ;   in Loop: Header=BB311_15 Depth=1
	s_or_b32 exec_lo, exec_lo, s20
	s_and_saveexec_b32 s20, s4
.LBB311_18:                             ;   in Loop: Header=BB311_15 Depth=1
	v_mov_b32_e32 v12, v11
	ds_write_b64 v33, v[11:12]
.LBB311_19:                             ;   in Loop: Header=BB311_15 Depth=1
	s_or_b32 exec_lo, exec_lo, s20
	ds_bpermute_b32 v12, v28, v14
	ds_bpermute_b32 v13, v28, v35
	s_waitcnt lgkmcnt(0)
	s_waitcnt_vscnt null, 0x0
	s_barrier
	buffer_gl0_inv
	v_add_f32_e32 v12, v14, v12
	v_add_f32_e32 v13, v35, v13
	ds_bpermute_b32 v14, v29, v12
	ds_bpermute_b32 v35, v29, v13
	s_waitcnt lgkmcnt(1)
	v_add_f32_e32 v12, v12, v14
	s_waitcnt lgkmcnt(0)
	v_add_f32_e32 v13, v13, v35
	ds_bpermute_b32 v14, v30, v12
	ds_bpermute_b32 v35, v30, v13
	s_waitcnt lgkmcnt(1)
	v_add_f32_e32 v12, v12, v14
	s_waitcnt lgkmcnt(0)
	;; [unrolled: 6-line block ×3, first 2 shown]
	v_add_f32_e32 v13, v13, v35
	ds_bpermute_b32 v14, v32, v12
	ds_bpermute_b32 v35, v32, v13
	s_and_saveexec_b32 s20, s9
	s_cbranch_execz .LBB311_21
; %bb.20:                               ;   in Loop: Header=BB311_15 Depth=1
	s_waitcnt lgkmcnt(0)
	v_add_f32_e32 v13, v13, v35
	v_add_f32_e32 v12, v12, v14
	ds_write_b64 v34, v[12:13]
.LBB311_21:                             ;   in Loop: Header=BB311_15 Depth=1
	s_or_b32 exec_lo, exec_lo, s20
	s_waitcnt lgkmcnt(1)
	v_mov_b32_e32 v14, 0
	v_mov_b32_e32 v13, 0
	s_waitcnt lgkmcnt(0)
	s_barrier
	buffer_gl0_inv
	s_and_saveexec_b32 s20, s5
	s_cbranch_execnz .LBB311_49
; %bb.22:                               ;   in Loop: Header=BB311_15 Depth=1
	s_or_b32 exec_lo, exec_lo, s20
	s_and_saveexec_b32 s20, s4
	s_cbranch_execnz .LBB311_50
.LBB311_23:                             ;   in Loop: Header=BB311_15 Depth=1
	s_or_b32 exec_lo, exec_lo, s20
	s_and_saveexec_b32 s20, s4
.LBB311_24:                             ;   in Loop: Header=BB311_15 Depth=1
	v_mov_b32_e32 v12, v11
	ds_write_b64 v33, v[11:12]
.LBB311_25:                             ;   in Loop: Header=BB311_15 Depth=1
	s_or_b32 exec_lo, exec_lo, s20
	ds_bpermute_b32 v12, v28, v15
	ds_bpermute_b32 v35, v28, v16
	s_waitcnt lgkmcnt(0)
	s_barrier
	buffer_gl0_inv
	v_add_f32_e32 v12, v15, v12
	v_add_f32_e32 v15, v16, v35
	ds_bpermute_b32 v16, v29, v12
	ds_bpermute_b32 v35, v29, v15
	s_waitcnt lgkmcnt(1)
	v_add_f32_e32 v12, v12, v16
	s_waitcnt lgkmcnt(0)
	v_add_f32_e32 v15, v15, v35
	ds_bpermute_b32 v16, v30, v12
	ds_bpermute_b32 v35, v30, v15
	s_waitcnt lgkmcnt(1)
	v_add_f32_e32 v12, v12, v16
	s_waitcnt lgkmcnt(0)
	;; [unrolled: 6-line block ×3, first 2 shown]
	v_add_f32_e32 v15, v15, v35
	ds_bpermute_b32 v16, v32, v12
	ds_bpermute_b32 v35, v32, v15
	s_and_saveexec_b32 s20, s9
	s_cbranch_execz .LBB311_27
; %bb.26:                               ;   in Loop: Header=BB311_15 Depth=1
	s_waitcnt lgkmcnt(0)
	v_add_f32_e32 v36, v15, v35
	v_add_f32_e32 v35, v12, v16
	ds_write_b64 v34, v[35:36]
.LBB311_27:                             ;   in Loop: Header=BB311_15 Depth=1
	s_or_b32 exec_lo, exec_lo, s20
	s_waitcnt lgkmcnt(1)
	v_mov_b32_e32 v16, 0
	v_mov_b32_e32 v15, 0
	s_waitcnt lgkmcnt(0)
	s_barrier
	buffer_gl0_inv
	s_and_saveexec_b32 s20, s5
	s_cbranch_execnz .LBB311_51
; %bb.28:                               ;   in Loop: Header=BB311_15 Depth=1
	s_or_b32 exec_lo, exec_lo, s20
	s_and_saveexec_b32 s20, s4
	s_cbranch_execnz .LBB311_52
.LBB311_29:                             ;   in Loop: Header=BB311_15 Depth=1
	s_or_b32 exec_lo, exec_lo, s20
	s_and_saveexec_b32 s20, s4
.LBB311_30:                             ;   in Loop: Header=BB311_15 Depth=1
	v_mov_b32_e32 v12, v11
	ds_write_b64 v33, v[11:12]
.LBB311_31:                             ;   in Loop: Header=BB311_15 Depth=1
	s_or_b32 exec_lo, exec_lo, s20
	ds_bpermute_b32 v12, v28, v17
	ds_bpermute_b32 v35, v28, v18
	s_waitcnt lgkmcnt(0)
	s_barrier
	buffer_gl0_inv
	v_add_f32_e32 v12, v17, v12
	v_add_f32_e32 v17, v18, v35
	ds_bpermute_b32 v18, v29, v12
	ds_bpermute_b32 v35, v29, v17
	s_waitcnt lgkmcnt(1)
	v_add_f32_e32 v12, v12, v18
	s_waitcnt lgkmcnt(0)
	v_add_f32_e32 v17, v17, v35
	ds_bpermute_b32 v18, v30, v12
	ds_bpermute_b32 v35, v30, v17
	s_waitcnt lgkmcnt(1)
	v_add_f32_e32 v12, v12, v18
	s_waitcnt lgkmcnt(0)
	;; [unrolled: 6-line block ×3, first 2 shown]
	v_add_f32_e32 v17, v17, v35
	ds_bpermute_b32 v18, v32, v12
	ds_bpermute_b32 v35, v32, v17
	s_and_saveexec_b32 s20, s9
	s_cbranch_execz .LBB311_33
; %bb.32:                               ;   in Loop: Header=BB311_15 Depth=1
	s_waitcnt lgkmcnt(0)
	v_add_f32_e32 v36, v17, v35
	v_add_f32_e32 v35, v12, v18
	ds_write_b64 v34, v[35:36]
.LBB311_33:                             ;   in Loop: Header=BB311_15 Depth=1
	s_or_b32 exec_lo, exec_lo, s20
	s_waitcnt lgkmcnt(1)
	v_mov_b32_e32 v18, 0
	v_mov_b32_e32 v17, 0
	s_waitcnt lgkmcnt(0)
	s_barrier
	buffer_gl0_inv
	s_and_saveexec_b32 s20, s5
	s_cbranch_execnz .LBB311_53
; %bb.34:                               ;   in Loop: Header=BB311_15 Depth=1
	s_or_b32 exec_lo, exec_lo, s20
	s_and_saveexec_b32 s20, s4
	s_cbranch_execnz .LBB311_54
.LBB311_35:                             ;   in Loop: Header=BB311_15 Depth=1
	s_or_b32 exec_lo, exec_lo, s20
	s_and_saveexec_b32 s20, s4
.LBB311_36:                             ;   in Loop: Header=BB311_15 Depth=1
	v_mov_b32_e32 v12, v11
	ds_write_b64 v33, v[11:12]
.LBB311_37:                             ;   in Loop: Header=BB311_15 Depth=1
	s_or_b32 exec_lo, exec_lo, s20
	ds_bpermute_b32 v12, v28, v20
	ds_bpermute_b32 v35, v28, v19
	s_waitcnt lgkmcnt(0)
	s_barrier
	buffer_gl0_inv
	v_add_f32_e32 v12, v20, v12
	v_add_f32_e32 v19, v19, v35
	ds_bpermute_b32 v20, v29, v12
	ds_bpermute_b32 v35, v29, v19
	s_waitcnt lgkmcnt(1)
	v_add_f32_e32 v12, v12, v20
	s_waitcnt lgkmcnt(0)
	v_add_f32_e32 v19, v19, v35
	ds_bpermute_b32 v20, v30, v12
	ds_bpermute_b32 v35, v30, v19
	s_waitcnt lgkmcnt(1)
	v_add_f32_e32 v12, v12, v20
	s_waitcnt lgkmcnt(0)
	;; [unrolled: 6-line block ×3, first 2 shown]
	v_add_f32_e32 v19, v19, v35
	ds_bpermute_b32 v20, v32, v12
	ds_bpermute_b32 v35, v32, v19
	s_and_saveexec_b32 s20, s9
	s_cbranch_execz .LBB311_39
; %bb.38:                               ;   in Loop: Header=BB311_15 Depth=1
	s_waitcnt lgkmcnt(0)
	v_add_f32_e32 v36, v19, v35
	v_add_f32_e32 v35, v12, v20
	ds_write_b64 v34, v[35:36]
.LBB311_39:                             ;   in Loop: Header=BB311_15 Depth=1
	s_or_b32 exec_lo, exec_lo, s20
	s_waitcnt lgkmcnt(1)
	v_mov_b32_e32 v20, 0
	v_mov_b32_e32 v19, 0
	s_waitcnt lgkmcnt(0)
	s_barrier
	buffer_gl0_inv
	s_and_saveexec_b32 s20, s5
	s_cbranch_execnz .LBB311_55
; %bb.40:                               ;   in Loop: Header=BB311_15 Depth=1
	s_or_b32 exec_lo, exec_lo, s20
	s_and_saveexec_b32 s20, s4
	s_cbranch_execnz .LBB311_56
.LBB311_41:                             ;   in Loop: Header=BB311_15 Depth=1
	s_or_b32 exec_lo, exec_lo, s20
	s_and_saveexec_b32 s23, s10
	s_cbranch_execz .LBB311_14
	s_branch .LBB311_57
.LBB311_42:                             ;   in Loop: Header=BB311_15 Depth=1
	flat_load_dwordx2 v[43:44], v[3:4]
	s_mul_i32 s24, s33, s30
	s_waitcnt vmcnt(0) lgkmcnt(0)
	buffer_store_dword v44, off, s[0:3], 0 offset:4
	buffer_store_dword v43, off, s[0:3], 0
	flat_load_dwordx2 v[45:46], v[5:6]
	s_ashr_i32 s25, s24, 31
	s_waitcnt vmcnt(0) lgkmcnt(0)
	buffer_store_dword v46, off, s[0:3], 0 offset:12
	buffer_store_dword v45, off, s[0:3], 0 offset:8
	flat_load_dwordx2 v[47:48], v[7:8]
	s_lshl_b64 s[26:27], s[24:25], 3
	s_add_i32 s24, s24, s30
	v_add_co_u32 v51, vcc_lo, v21, s26
	v_add_co_ci_u32_e64 v52, null, s27, v22, vcc_lo
	s_ashr_i32 s25, s24, 31
	s_waitcnt vmcnt(0) lgkmcnt(0)
	buffer_store_dword v48, off, s[0:3], 0 offset:20
	buffer_store_dword v47, off, s[0:3], 0 offset:16
	flat_load_dwordx2 v[49:50], v[9:10]
	s_lshl_b64 s[26:27], s[24:25], 3
	s_add_i32 s24, s24, s30
	v_add_co_u32 v53, vcc_lo, v21, s26
	s_ashr_i32 s25, s24, 31
	v_add_co_ci_u32_e64 v54, null, s27, v22, vcc_lo
	s_lshl_b64 s[26:27], s[24:25], 3
	s_add_i32 s24, s24, s30
	v_add_co_u32 v55, vcc_lo, v21, s26
	v_add_co_ci_u32_e64 v56, null, s27, v22, vcc_lo
	s_ashr_i32 s25, s24, 31
	s_waitcnt vmcnt(0) lgkmcnt(0)
	buffer_store_dword v50, off, s[0:3], 0 offset:28
	buffer_store_dword v49, off, s[0:3], 0 offset:24
	s_clause 0x1
	flat_load_dwordx4 v[12:15], v[51:52]
	flat_load_dwordx4 v[35:38], v[55:56]
	s_lshl_b64 s[24:25], s[24:25], 3
	v_add_co_u32 v57, vcc_lo, v21, s24
	v_add_co_ci_u32_e64 v58, null, s25, v22, vcc_lo
	flat_load_dwordx4 v[39:42], v[57:58]
	s_waitcnt vmcnt(2) lgkmcnt(2)
	v_mul_f32_e32 v16, v44, v13
	v_mul_f32_e32 v13, v43, v13
	v_fma_f32 v16, v43, v12, -v16
	v_fmac_f32_e32 v13, v44, v12
	v_add_f32_e32 v12, 0, v16
	flat_load_dwordx4 v[16:19], v[53:54]
	v_add_f32_e32 v13, 0, v13
	s_waitcnt vmcnt(0) lgkmcnt(0)
	v_mul_f32_e32 v20, v44, v17
	v_mul_f32_e32 v17, v43, v17
	v_fma_f32 v20, v43, v16, -v20
	v_fmac_f32_e32 v17, v44, v16
	v_add_f32_e32 v16, 0, v20
	v_mul_f32_e32 v20, v44, v36
	v_mul_f32_e32 v36, v43, v36
	v_add_f32_e32 v17, 0, v17
	v_fma_f32 v20, v43, v35, -v20
	v_fmac_f32_e32 v36, v44, v35
	v_add_f32_e32 v20, 0, v20
	v_add_f32_e32 v35, 0, v36
	v_mul_f32_e32 v36, v44, v40
	v_mul_f32_e32 v40, v43, v40
	v_fma_f32 v36, v43, v39, -v36
	v_fmac_f32_e32 v40, v44, v39
	v_add_f32_e32 v36, 0, v36
	v_add_f32_e32 v39, 0, v40
	v_mul_f32_e32 v40, v46, v15
	v_mul_f32_e32 v15, v45, v15
	v_fma_f32 v40, v45, v14, -v40
	v_fmac_f32_e32 v15, v46, v14
	v_add_f32_e32 v40, v12, v40
	v_add_f32_e32 v43, v13, v15
	v_mul_f32_e32 v12, v46, v19
	v_mul_f32_e32 v13, v45, v19
	v_fma_f32 v12, v45, v18, -v12
	v_fmac_f32_e32 v13, v46, v18
	v_add_f32_e32 v44, v16, v12
	v_add_f32_e32 v59, v17, v13
	v_mul_f32_e32 v12, v46, v38
	v_mul_f32_e32 v13, v45, v38
	v_fma_f32 v12, v45, v37, -v12
	v_fmac_f32_e32 v13, v46, v37
	v_add_f32_e32 v20, v20, v12
	v_add_f32_e32 v60, v35, v13
	v_mul_f32_e32 v12, v46, v42
	v_mul_f32_e32 v13, v45, v42
	v_fma_f32 v12, v45, v41, -v12
	v_fmac_f32_e32 v13, v46, v41
	v_add_f32_e32 v45, v36, v12
	v_add_f32_e32 v46, v39, v13
	flat_load_dwordx4 v[12:15], v[51:52] offset:16
	s_waitcnt vmcnt(0) lgkmcnt(0)
	v_mul_f32_e32 v16, v48, v13
	v_mul_f32_e32 v13, v47, v13
	v_fma_f32 v16, v47, v12, -v16
	v_fmac_f32_e32 v13, v48, v12
	v_add_f32_e32 v12, v40, v16
	flat_load_dwordx4 v[16:19], v[53:54] offset:16
	v_add_f32_e32 v13, v43, v13
	s_waitcnt vmcnt(0) lgkmcnt(0)
	v_mul_f32_e32 v35, v48, v17
	v_mul_f32_e32 v17, v47, v17
	v_fma_f32 v35, v47, v16, -v35
	v_fmac_f32_e32 v17, v48, v16
	v_add_f32_e32 v16, v44, v35
	flat_load_dwordx4 v[35:38], v[55:56] offset:16
	v_add_f32_e32 v17, v59, v17
	;; [unrolled: 8-line block ×3, first 2 shown]
	s_waitcnt vmcnt(0) lgkmcnt(0)
	v_mul_f32_e32 v35, v48, v40
	v_mul_f32_e32 v40, v47, v40
	v_fma_f32 v35, v47, v39, -v35
	v_fmac_f32_e32 v40, v48, v39
	v_add_f32_e32 v39, v45, v35
	v_mul_f32_e32 v35, v50, v15
	v_mul_f32_e32 v15, v49, v15
	v_add_f32_e32 v40, v46, v40
	v_fma_f32 v35, v49, v14, -v35
	v_fmac_f32_e32 v15, v50, v14
	v_add_f32_e32 v14, v12, v35
	v_add_f32_e32 v35, v13, v15
	v_mul_f32_e32 v12, v50, v19
	v_mul_f32_e32 v13, v49, v19
	v_fma_f32 v12, v49, v18, -v12
	v_fmac_f32_e32 v13, v50, v18
	v_add_f32_e32 v15, v16, v12
	v_add_f32_e32 v16, v17, v13
	v_mul_f32_e32 v12, v50, v38
	v_mul_f32_e32 v13, v49, v38
	;; [unrolled: 6-line block ×3, first 2 shown]
	v_fma_f32 v12, v49, v41, -v12
	v_fmac_f32_e32 v13, v50, v41
	v_add_f32_e32 v20, v39, v12
	v_add_f32_e32 v19, v40, v13
	s_andn2_saveexec_b32 s20, s20
	s_cbranch_execz .LBB311_17
.LBB311_43:                             ;   in Loop: Header=BB311_15 Depth=1
	v_mov_b32_e32 v14, 0
	v_mov_b32_e32 v35, 0
	;; [unrolled: 1-line block ×6, first 2 shown]
	s_waitcnt lgkmcnt(0)
	v_mov_b32_e32 v20, 0
	v_mov_b32_e32 v19, 0
	s_and_saveexec_b32 s41, s8
	s_cbranch_execz .LBB311_59
; %bb.44:                               ;   in Loop: Header=BB311_15 Depth=1
	s_andn2_b32 vcc_lo, exec_lo, s36
	s_cbranch_vccnz .LBB311_58
; %bb.45:                               ;   in Loop: Header=BB311_15 Depth=1
	v_mov_b32_e32 v12, v2
	s_mov_b32 s23, 0
	s_mov_b32 s24, s31
	.p2align	6
.LBB311_46:                             ;   Parent Loop BB311_15 Depth=1
                                        ; =>  This Inner Loop Header: Depth=2
	v_ashrrev_i32_e32 v13, 31, v12
	v_mov_b32_e32 v15, s23
	s_add_i32 s24, s24, -1
	s_add_i32 s23, s23, 8
	s_cmp_eq_u32 s24, 0
	v_lshlrev_b64 v[13:14], 3, v[12:13]
	v_add_nc_u32_e32 v12, s19, v12
	v_add_co_u32 v13, vcc_lo, s16, v13
	v_add_co_ci_u32_e64 v14, null, s17, v14, vcc_lo
	flat_load_dwordx2 v[13:14], v[13:14]
	s_waitcnt vmcnt(0) lgkmcnt(0)
	buffer_store_dword v14, v15, s[0:3], 0 offen offset:4
	buffer_store_dword v13, v15, s[0:3], 0 offen
	s_cbranch_scc0 .LBB311_46
; %bb.47:                               ;   in Loop: Header=BB311_15 Depth=1
	s_ashr_i32 s23, s22, 31
	v_mov_b32_e32 v19, 0
	s_lshl_b64 s[24:25], s[22:23], 3
	v_mov_b32_e32 v20, 0
	v_add_co_u32 v12, vcc_lo, v21, s24
	v_add_co_ci_u32_e64 v13, null, s25, v22, vcc_lo
	v_mov_b32_e32 v18, 0
	v_mov_b32_e32 v17, 0
	;; [unrolled: 1-line block ×6, first 2 shown]
	s_mov_b32 s23, 0
	s_mov_b32 s24, s39
	;; [unrolled: 1-line block ×5, first 2 shown]
.LBB311_48:                             ;   Parent Loop BB311_15 Depth=1
                                        ; =>  This Inner Loop Header: Depth=2
	s_ashr_i32 s29, s28, 31
	s_ashr_i32 s27, s26, 31
	s_lshl_b64 s[44:45], s[28:29], 3
	s_ashr_i32 s25, s24, 31
	s_lshl_b64 s[46:47], s[26:27], 3
	v_add_co_u32 v38, vcc_lo, v21, s44
	s_lshl_b64 s[48:49], s[24:25], 3
	v_add_co_ci_u32_e64 v39, null, s45, v22, vcc_lo
	v_add_co_u32 v40, vcc_lo, v21, s46
	v_mov_b32_e32 v44, s23
	v_add_co_ci_u32_e64 v41, null, s47, v22, vcc_lo
	v_add_co_u32 v42, vcc_lo, v21, s48
	v_add_co_ci_u32_e64 v43, null, s49, v22, vcc_lo
	flat_load_dwordx2 v[36:37], v[12:13]
	s_clause 0x1
	buffer_load_dword v45, v44, s[0:3], 0 offen offset:4
	buffer_load_dword v44, v44, s[0:3], 0 offen
	s_clause 0x2
	flat_load_dwordx2 v[38:39], v[38:39]
	flat_load_dwordx2 v[40:41], v[40:41]
	;; [unrolled: 1-line block ×3, first 2 shown]
	v_add_co_u32 v12, vcc_lo, v12, 8
	v_add_co_ci_u32_e64 v13, null, 0, v13, vcc_lo
	s_add_i32 s42, s42, -1
	s_add_i32 s23, s23, 8
	s_add_i32 s28, s28, 1
	;; [unrolled: 1-line block ×4, first 2 shown]
	s_cmp_lg_u32 s42, 0
	s_waitcnt vmcnt(4) lgkmcnt(3)
	v_mul_f32_e32 v46, v45, v37
	s_waitcnt vmcnt(3)
	v_mul_f32_e32 v37, v44, v37
	s_waitcnt vmcnt(2) lgkmcnt(2)
	v_mul_f32_e32 v47, v45, v39
	v_mul_f32_e32 v39, v44, v39
	s_waitcnt vmcnt(1) lgkmcnt(1)
	v_mul_f32_e32 v48, v45, v41
	;; [unrolled: 3-line block ×3, first 2 shown]
	v_mul_f32_e32 v43, v44, v43
	v_fma_f32 v46, v44, v36, -v46
	v_fmac_f32_e32 v37, v45, v36
	v_fma_f32 v36, v44, v38, -v47
	v_fmac_f32_e32 v39, v45, v38
	;; [unrolled: 2-line block ×4, first 2 shown]
	v_add_f32_e32 v14, v14, v46
	v_add_f32_e32 v35, v35, v37
	;; [unrolled: 1-line block ×8, first 2 shown]
	s_cbranch_scc1 .LBB311_48
	s_branch .LBB311_59
.LBB311_49:                             ;   in Loop: Header=BB311_15 Depth=1
	ds_read_b64 v[13:14], v33
	s_or_b32 exec_lo, exec_lo, s20
	s_and_saveexec_b32 s20, s4
	s_cbranch_execz .LBB311_23
.LBB311_50:                             ;   in Loop: Header=BB311_15 Depth=1
	s_waitcnt lgkmcnt(0)
	ds_bpermute_b32 v12, v30, v13
	ds_bpermute_b32 v35, v30, v14
	s_waitcnt lgkmcnt(1)
	v_add_f32_e32 v12, v13, v12
	s_waitcnt lgkmcnt(0)
	v_add_f32_e32 v13, v14, v35
	ds_bpermute_b32 v14, v31, v12
	ds_bpermute_b32 v35, v31, v13
	s_waitcnt lgkmcnt(1)
	v_add_f32_e32 v12, v12, v14
	s_waitcnt lgkmcnt(0)
	v_add_f32_e32 v14, v13, v35
	;; [unrolled: 6-line block ×3, first 2 shown]
	s_or_b32 exec_lo, exec_lo, s20
	s_and_saveexec_b32 s20, s4
	s_cbranch_execnz .LBB311_24
	s_branch .LBB311_25
.LBB311_51:                             ;   in Loop: Header=BB311_15 Depth=1
	ds_read_b64 v[15:16], v33
	s_or_b32 exec_lo, exec_lo, s20
	s_and_saveexec_b32 s20, s4
	s_cbranch_execz .LBB311_29
.LBB311_52:                             ;   in Loop: Header=BB311_15 Depth=1
	s_waitcnt lgkmcnt(0)
	ds_bpermute_b32 v12, v30, v15
	ds_bpermute_b32 v35, v30, v16
	s_waitcnt lgkmcnt(1)
	v_add_f32_e32 v12, v15, v12
	s_waitcnt lgkmcnt(0)
	v_add_f32_e32 v15, v16, v35
	ds_bpermute_b32 v16, v31, v12
	ds_bpermute_b32 v35, v31, v15
	s_waitcnt lgkmcnt(1)
	v_add_f32_e32 v12, v12, v16
	s_waitcnt lgkmcnt(0)
	v_add_f32_e32 v16, v15, v35
	;; [unrolled: 6-line block ×3, first 2 shown]
	s_or_b32 exec_lo, exec_lo, s20
	s_and_saveexec_b32 s20, s4
	s_cbranch_execnz .LBB311_30
	s_branch .LBB311_31
.LBB311_53:                             ;   in Loop: Header=BB311_15 Depth=1
	ds_read_b64 v[17:18], v33
	s_or_b32 exec_lo, exec_lo, s20
	s_and_saveexec_b32 s20, s4
	s_cbranch_execz .LBB311_35
.LBB311_54:                             ;   in Loop: Header=BB311_15 Depth=1
	s_waitcnt lgkmcnt(0)
	ds_bpermute_b32 v12, v30, v17
	ds_bpermute_b32 v35, v30, v18
	s_waitcnt lgkmcnt(1)
	v_add_f32_e32 v12, v17, v12
	s_waitcnt lgkmcnt(0)
	v_add_f32_e32 v17, v18, v35
	ds_bpermute_b32 v18, v31, v12
	ds_bpermute_b32 v35, v31, v17
	s_waitcnt lgkmcnt(1)
	v_add_f32_e32 v12, v12, v18
	s_waitcnt lgkmcnt(0)
	v_add_f32_e32 v18, v17, v35
	;; [unrolled: 6-line block ×3, first 2 shown]
	s_or_b32 exec_lo, exec_lo, s20
	s_and_saveexec_b32 s20, s4
	s_cbranch_execnz .LBB311_36
	s_branch .LBB311_37
.LBB311_55:                             ;   in Loop: Header=BB311_15 Depth=1
	ds_read_b64 v[19:20], v33
	s_or_b32 exec_lo, exec_lo, s20
	s_and_saveexec_b32 s20, s4
	s_cbranch_execz .LBB311_41
.LBB311_56:                             ;   in Loop: Header=BB311_15 Depth=1
	s_waitcnt lgkmcnt(0)
	ds_bpermute_b32 v12, v30, v19
	ds_bpermute_b32 v35, v30, v20
	s_waitcnt lgkmcnt(1)
	v_add_f32_e32 v12, v19, v12
	s_waitcnt lgkmcnt(0)
	v_add_f32_e32 v19, v20, v35
	ds_bpermute_b32 v20, v31, v12
	ds_bpermute_b32 v35, v31, v19
	s_waitcnt lgkmcnt(1)
	v_add_f32_e32 v12, v12, v20
	s_waitcnt lgkmcnt(0)
	v_add_f32_e32 v20, v19, v35
	;; [unrolled: 6-line block ×3, first 2 shown]
	s_or_b32 exec_lo, exec_lo, s20
	s_and_saveexec_b32 s23, s10
	s_cbranch_execz .LBB311_14
.LBB311_57:                             ;   in Loop: Header=BB311_15 Depth=1
	v_mul_f32_e32 v12, s15, v14
	v_mul_f32_e32 v36, s14, v14
	s_mul_i32 s20, s33, s18
	v_mul_f32_e32 v14, s15, v18
	s_add_i32 s20, s20, s6
	v_fma_f32 v35, v13, s14, -v12
	s_lshl_b64 s[24:25], s[20:21], 3
	v_fmac_f32_e32 v36, s15, v13
	s_add_u32 s24, s34, s24
	s_addc_u32 s25, s11, s25
	s_add_i32 s20, s20, s18
	v_mul_f32_e32 v12, s15, v16
	global_store_dwordx2 v11, v[35:36], s[24:25]
	v_mul_f32_e32 v13, s14, v16
	s_lshl_b64 s[24:25], s[20:21], 3
	v_mul_f32_e32 v16, s14, v18
	s_add_u32 s24, s34, s24
	s_addc_u32 s25, s11, s25
	s_add_i32 s20, s20, s18
	v_fma_f32 v12, v15, s14, -v12
	v_fmac_f32_e32 v13, s15, v15
	v_fma_f32 v15, v17, s14, -v14
	s_waitcnt lgkmcnt(0)
	v_mul_f32_e32 v14, s15, v20
	s_lshl_b64 s[26:27], s[20:21], 3
	v_mul_f32_e32 v18, s14, v20
	s_add_u32 s26, s34, s26
	s_addc_u32 s27, s11, s27
	s_add_i32 s20, s20, s18
	v_fmac_f32_e32 v16, s15, v17
	v_fma_f32 v17, v19, s14, -v14
	v_fmac_f32_e32 v18, s15, v19
	s_lshl_b64 s[28:29], s[20:21], 3
	global_store_dwordx2 v11, v[12:13], s[24:25]
	s_add_u32 s24, s34, s28
	s_addc_u32 s25, s11, s29
	global_store_dwordx2 v11, v[15:16], s[26:27]
	global_store_dwordx2 v11, v[17:18], s[24:25]
	s_branch .LBB311_14
.LBB311_58:                             ;   in Loop: Header=BB311_15 Depth=1
	v_mov_b32_e32 v14, 0
	v_mov_b32_e32 v35, 0
	;; [unrolled: 1-line block ×8, first 2 shown]
.LBB311_59:                             ;   in Loop: Header=BB311_15 Depth=1
	s_or_b32 exec_lo, exec_lo, s41
	s_or_b32 exec_lo, exec_lo, s20
	s_and_saveexec_b32 s20, s4
	s_cbranch_execnz .LBB311_18
	s_branch .LBB311_19
.LBB311_60:
	s_mov_b32 s33, 0
.LBB311_61:
	s_cmp_ge_i32 s33, s13
	s_cbranch_scc1 .LBB311_83
; %bb.62:
	v_cmp_gt_u32_e64 s5, 24, v25
	s_cmp_gt_i32 s31, 0
	s_mov_b32 s7, 0
	s_cselect_b32 s22, -1, 0
	s_lshl_b64 s[20:21], s[6:7], 3
	v_cndmask_b32_e64 v2, 0, 8, s5
	v_cmp_gt_u32_e64 s5, 28, v25
	v_cmp_ge_i32_e64 s10, s12, v27
	v_cmp_gt_u32_e64 s4, 32, v0
	v_lshlrev_b32_e32 v13, 3, v24
	v_add_lshl_u32 v15, v2, v25, 2
	v_cndmask_b32_e64 v3, 0, 4, s5
	v_cmp_gt_u32_e64 s5, 30, v25
	v_ashrrev_i32_e32 v2, 31, v1
	v_lshl_or_b32 v14, v25, 2, 64
	s_waitcnt lgkmcnt(0)
	v_and_b32_e32 v19, 56, v23
	v_add_lshl_u32 v16, v3, v25, 2
	v_cndmask_b32_e64 v4, 0, 2, s5
	v_cmp_ne_u32_e64 s5, 31, v25
	v_add_nc_u32_e32 v3, s19, v1
	v_lshlrev_b64 v[7:8], 3, v[1:2]
	v_cmp_gt_u32_e64 s8, 8, v0
	v_add_lshl_u32 v17, v4, v25, 2
	v_add_co_ci_u32_e64 v5, null, 0, v25, s5
	v_ashrrev_i32_e32 v4, 31, v3
	v_add_co_u32 v2, s6, s16, v7
	v_lshlrev_b32_e32 v18, 2, v5
	v_add_nc_u32_e32 v5, s19, v3
	v_lshlrev_b64 v[9:10], 3, v[3:4]
	v_add_co_ci_u32_e64 v3, null, s17, v8, s6
	v_cmp_eq_u32_e64 s5, 0, v24
	v_add_nc_u32_e32 v11, s19, v5
	v_ashrrev_i32_e32 v6, 31, v5
	v_add_co_u32 v4, s6, s16, v9
	v_cmp_eq_u32_e64 s9, 0, v0
	v_ashrrev_i32_e32 v12, 31, v11
	v_lshlrev_b64 v[6:7], 3, v[5:6]
	v_add_co_ci_u32_e64 v5, null, s17, v10, s6
	v_mov_b32_e32 v10, 0
	v_lshlrev_b64 v[8:9], 3, v[11:12]
	s_add_u32 s7, s34, s20
	v_add_co_u32 v6, s6, s16, v6
	v_add_co_ci_u32_e64 v7, null, s17, v7, s6
	v_add_co_u32 v8, s6, s16, v8
	v_add_co_ci_u32_e64 v9, null, s17, v9, s6
	v_cmp_ge_i32_e32 vcc_lo, s12, v26
	s_addc_u32 s12, s11, s21
	s_and_b32 s20, s22, s10
	s_mul_i32 s10, s33, s30
	s_branch .LBB311_64
.LBB311_63:                             ;   in Loop: Header=BB311_64 Depth=1
	s_or_b32 exec_lo, exec_lo, s6
	s_add_i32 s33, s33, 1
	s_add_i32 s10, s10, s30
	s_cmp_lt_i32 s33, s13
	s_cbranch_scc0 .LBB311_83
.LBB311_64:                             ; =>This Loop Header: Depth=1
                                        ;     Child Loop BB311_76 Depth 2
                                        ;     Child Loop BB311_78 Depth 2
                                        ; implicit-def: $vgpr0
                                        ; implicit-def: $vgpr20
	s_and_saveexec_b32 s6, vcc_lo
	s_xor_b32 s11, exec_lo, s6
	s_cbranch_execnz .LBB311_73
; %bb.65:                               ;   in Loop: Header=BB311_64 Depth=1
	s_andn2_saveexec_b32 s21, s11
	s_cbranch_execnz .LBB311_74
.LBB311_66:                             ;   in Loop: Header=BB311_64 Depth=1
	s_or_b32 exec_lo, exec_lo, s21
	s_and_saveexec_b32 s6, s4
	s_cbranch_execz .LBB311_68
.LBB311_67:                             ;   in Loop: Header=BB311_64 Depth=1
	s_waitcnt lgkmcnt(0)
	v_mov_b32_e32 v11, v10
	ds_write_b64 v13, v[10:11]
.LBB311_68:                             ;   in Loop: Header=BB311_64 Depth=1
	s_or_b32 exec_lo, exec_lo, s6
	s_waitcnt lgkmcnt(0)
	ds_bpermute_b32 v11, v14, v0
	ds_bpermute_b32 v12, v14, v20
	s_waitcnt lgkmcnt(0)
	s_waitcnt_vscnt null, 0x0
	s_barrier
	buffer_gl0_inv
	v_add_f32_e32 v0, v0, v11
	v_add_f32_e32 v11, v20, v12
	ds_bpermute_b32 v12, v15, v0
	ds_bpermute_b32 v20, v15, v11
	s_waitcnt lgkmcnt(1)
	v_add_f32_e32 v0, v0, v12
	s_waitcnt lgkmcnt(0)
	v_add_f32_e32 v11, v11, v20
	ds_bpermute_b32 v12, v16, v0
	ds_bpermute_b32 v20, v16, v11
	s_waitcnt lgkmcnt(1)
	v_add_f32_e32 v0, v0, v12
	s_waitcnt lgkmcnt(0)
	;; [unrolled: 6-line block ×3, first 2 shown]
	v_add_f32_e32 v11, v11, v20
	ds_bpermute_b32 v12, v18, v0
	ds_bpermute_b32 v20, v18, v11
	s_and_saveexec_b32 s6, s5
	s_cbranch_execz .LBB311_70
; %bb.69:                               ;   in Loop: Header=BB311_64 Depth=1
	s_waitcnt lgkmcnt(0)
	v_add_f32_e32 v24, v11, v20
	v_add_f32_e32 v23, v0, v12
	ds_write_b64 v19, v[23:24]
.LBB311_70:                             ;   in Loop: Header=BB311_64 Depth=1
	s_or_b32 exec_lo, exec_lo, s6
	s_waitcnt lgkmcnt(1)
	v_mov_b32_e32 v12, 0
	v_mov_b32_e32 v11, 0
	s_waitcnt lgkmcnt(0)
	s_barrier
	buffer_gl0_inv
	s_and_saveexec_b32 s6, s8
	s_cbranch_execnz .LBB311_80
; %bb.71:                               ;   in Loop: Header=BB311_64 Depth=1
	s_or_b32 exec_lo, exec_lo, s6
	s_and_saveexec_b32 s6, s4
	s_cbranch_execnz .LBB311_81
.LBB311_72:                             ;   in Loop: Header=BB311_64 Depth=1
	s_or_b32 exec_lo, exec_lo, s6
	s_and_saveexec_b32 s6, s9
	s_cbranch_execz .LBB311_63
	s_branch .LBB311_82
.LBB311_73:                             ;   in Loop: Header=BB311_64 Depth=1
	s_mul_i32 s22, s33, s30
	s_ashr_i32 s23, s22, 31
	s_lshl_b64 s[22:23], s[22:23], 3
	s_waitcnt lgkmcnt(0)
	v_add_co_u32 v11, s6, v21, s22
	v_add_co_ci_u32_e64 v12, null, s23, v22, s6
	flat_load_dwordx4 v[23:26], v[11:12]
	s_clause 0x1
	flat_load_dwordx2 v[31:32], v[2:3]
	flat_load_dwordx2 v[33:34], v[4:5]
	flat_load_dwordx4 v[27:30], v[11:12] offset:16
	s_clause 0x1
	flat_load_dwordx2 v[11:12], v[6:7]
	flat_load_dwordx2 v[35:36], v[8:9]
	s_waitcnt vmcnt(4) lgkmcnt(4)
	v_mul_f32_e32 v0, v32, v24
	v_mul_f32_e32 v20, v31, v24
	s_waitcnt vmcnt(3) lgkmcnt(3)
	v_mul_f32_e32 v24, v34, v26
	v_mul_f32_e32 v26, v33, v26
	s_waitcnt vmcnt(1) lgkmcnt(1)
	v_mul_f32_e32 v37, v12, v28
	v_fma_f32 v0, v31, v23, -v0
	v_fmac_f32_e32 v20, v32, v23
	v_mul_f32_e32 v28, v11, v28
	v_fma_f32 v24, v33, v25, -v24
	v_fmac_f32_e32 v26, v34, v25
	v_add_f32_e32 v0, 0, v0
	v_add_f32_e32 v20, 0, v20
	s_waitcnt vmcnt(0) lgkmcnt(0)
	v_mul_f32_e32 v23, v36, v30
	v_mul_f32_e32 v25, v35, v30
	v_fma_f32 v30, v11, v27, -v37
	v_fmac_f32_e32 v28, v12, v27
	v_add_f32_e32 v0, v0, v24
	v_add_f32_e32 v20, v20, v26
	v_fma_f32 v23, v35, v29, -v23
	v_fmac_f32_e32 v25, v36, v29
	buffer_store_dword v32, off, s[0:3], 0 offset:4
	v_add_f32_e32 v0, v0, v30
	v_add_f32_e32 v20, v20, v28
	buffer_store_dword v31, off, s[0:3], 0
	buffer_store_dword v34, off, s[0:3], 0 offset:12
	buffer_store_dword v33, off, s[0:3], 0 offset:8
	;; [unrolled: 1-line block ×6, first 2 shown]
	v_add_f32_e32 v0, v0, v23
	v_add_f32_e32 v20, v20, v25
	s_andn2_saveexec_b32 s21, s11
	s_cbranch_execz .LBB311_66
.LBB311_74:                             ;   in Loop: Header=BB311_64 Depth=1
	v_mov_b32_e32 v0, 0
	v_mov_b32_e32 v20, 0
	s_and_saveexec_b32 s22, s20
	s_cbranch_execz .LBB311_79
; %bb.75:                               ;   in Loop: Header=BB311_64 Depth=1
	s_waitcnt lgkmcnt(0)
	v_mov_b32_e32 v11, v1
	s_mov_b32 s11, 0
	s_mov_b32 s23, s31
	.p2align	6
.LBB311_76:                             ;   Parent Loop BB311_64 Depth=1
                                        ; =>  This Inner Loop Header: Depth=2
	v_ashrrev_i32_e32 v12, 31, v11
	v_mov_b32_e32 v0, s11
	s_add_i32 s23, s23, -1
	s_add_i32 s11, s11, 8
	s_cmp_eq_u32 s23, 0
	v_lshlrev_b64 v[23:24], 3, v[11:12]
	v_add_nc_u32_e32 v11, s19, v11
	v_add_co_u32 v23, s6, s16, v23
	v_add_co_ci_u32_e64 v24, null, s17, v24, s6
	flat_load_dwordx2 v[23:24], v[23:24]
	s_waitcnt vmcnt(0) lgkmcnt(0)
	buffer_store_dword v24, v0, s[0:3], 0 offen offset:4
	buffer_store_dword v23, v0, s[0:3], 0 offen
	s_cbranch_scc0 .LBB311_76
; %bb.77:                               ;   in Loop: Header=BB311_64 Depth=1
	s_ashr_i32 s11, s10, 31
	v_mov_b32_e32 v0, 0
	s_lshl_b64 s[24:25], s[10:11], 3
	v_mov_b32_e32 v20, 0
	v_add_co_u32 v11, s6, v21, s24
	v_add_co_ci_u32_e64 v12, null, s25, v22, s6
	s_mov_b32 s11, 0
	s_mov_b32 s23, s31
	.p2align	6
.LBB311_78:                             ;   Parent Loop BB311_64 Depth=1
                                        ; =>  This Inner Loop Header: Depth=2
	v_mov_b32_e32 v25, s11
	flat_load_dwordx2 v[23:24], v[11:12]
	v_add_co_u32 v11, s6, v11, 8
	v_add_co_ci_u32_e64 v12, null, 0, v12, s6
	s_clause 0x1
	buffer_load_dword v26, v25, s[0:3], 0 offen offset:4
	buffer_load_dword v25, v25, s[0:3], 0 offen
	s_add_i32 s23, s23, -1
	s_add_i32 s11, s11, 8
	s_cmp_lg_u32 s23, 0
	s_waitcnt vmcnt(1) lgkmcnt(0)
	v_mul_f32_e32 v27, v26, v24
	s_waitcnt vmcnt(0)
	v_mul_f32_e32 v24, v25, v24
	v_fma_f32 v25, v25, v23, -v27
	v_fmac_f32_e32 v24, v26, v23
	v_add_f32_e32 v0, v0, v25
	v_add_f32_e32 v20, v20, v24
	s_cbranch_scc1 .LBB311_78
.LBB311_79:                             ;   in Loop: Header=BB311_64 Depth=1
	s_or_b32 exec_lo, exec_lo, s22
	s_or_b32 exec_lo, exec_lo, s21
	s_and_saveexec_b32 s6, s4
	s_cbranch_execnz .LBB311_67
	s_branch .LBB311_68
.LBB311_80:                             ;   in Loop: Header=BB311_64 Depth=1
	ds_read_b64 v[11:12], v13
	s_or_b32 exec_lo, exec_lo, s6
	s_and_saveexec_b32 s6, s4
	s_cbranch_execz .LBB311_72
.LBB311_81:                             ;   in Loop: Header=BB311_64 Depth=1
	s_waitcnt lgkmcnt(0)
	ds_bpermute_b32 v0, v16, v11
	ds_bpermute_b32 v20, v16, v12
	s_waitcnt lgkmcnt(1)
	v_add_f32_e32 v0, v11, v0
	s_waitcnt lgkmcnt(0)
	v_add_f32_e32 v11, v12, v20
	ds_bpermute_b32 v12, v17, v0
	ds_bpermute_b32 v20, v17, v11
	s_waitcnt lgkmcnt(1)
	v_add_f32_e32 v0, v0, v12
	s_waitcnt lgkmcnt(0)
	v_add_f32_e32 v12, v11, v20
	ds_bpermute_b32 v11, v18, v0
	ds_bpermute_b32 v20, v18, v12
	s_waitcnt lgkmcnt(1)
	v_add_f32_e32 v11, v0, v11
	s_waitcnt lgkmcnt(0)
	v_add_f32_e32 v12, v12, v20
	s_or_b32 exec_lo, exec_lo, s6
	s_and_saveexec_b32 s6, s9
	s_cbranch_execz .LBB311_63
.LBB311_82:                             ;   in Loop: Header=BB311_64 Depth=1
	s_waitcnt lgkmcnt(0)
	v_mul_f32_e32 v0, s15, v12
	v_mul_f32_e32 v24, s14, v12
	s_mul_hi_u32 s23, s33, s18
	s_mul_i32 s22, s33, s18
	s_lshl_b64 s[22:23], s[22:23], 3
	v_fma_f32 v23, v11, s14, -v0
	v_fmac_f32_e32 v24, s15, v11
	s_add_u32 s22, s7, s22
	s_addc_u32 s23, s12, s23
	global_store_dwordx2 v10, v[23:24], s[22:23]
	s_branch .LBB311_63
.LBB311_83:
	s_endpgm
	.section	.rodata,"a",@progbits
	.p2align	6, 0x0
	.amdhsa_kernel _ZL23rocblas_gemvt_sn_kernelILb0ELi256ELi4EiPK19rocblas_complex_numIfES1_S1_EviiT4_lPKT3_lilS7_lilPT5_i
		.amdhsa_group_segment_fixed_size 256
		.amdhsa_private_segment_fixed_size 48
		.amdhsa_kernarg_size 360
		.amdhsa_user_sgpr_count 6
		.amdhsa_user_sgpr_private_segment_buffer 1
		.amdhsa_user_sgpr_dispatch_ptr 0
		.amdhsa_user_sgpr_queue_ptr 0
		.amdhsa_user_sgpr_kernarg_segment_ptr 1
		.amdhsa_user_sgpr_dispatch_id 0
		.amdhsa_user_sgpr_flat_scratch_init 0
		.amdhsa_user_sgpr_private_segment_size 0
		.amdhsa_wavefront_size32 1
		.amdhsa_uses_dynamic_stack 0
		.amdhsa_system_sgpr_private_segment_wavefront_offset 1
		.amdhsa_system_sgpr_workgroup_id_x 1
		.amdhsa_system_sgpr_workgroup_id_y 0
		.amdhsa_system_sgpr_workgroup_id_z 1
		.amdhsa_system_sgpr_workgroup_info 0
		.amdhsa_system_vgpr_workitem_id 0
		.amdhsa_next_free_vgpr 61
		.amdhsa_next_free_sgpr 50
		.amdhsa_reserve_vcc 1
		.amdhsa_reserve_flat_scratch 1
		.amdhsa_float_round_mode_32 0
		.amdhsa_float_round_mode_16_64 0
		.amdhsa_float_denorm_mode_32 3
		.amdhsa_float_denorm_mode_16_64 3
		.amdhsa_dx10_clamp 1
		.amdhsa_ieee_mode 1
		.amdhsa_fp16_overflow 0
		.amdhsa_workgroup_processor_mode 1
		.amdhsa_memory_ordered 1
		.amdhsa_forward_progress 1
		.amdhsa_shared_vgpr_count 0
		.amdhsa_exception_fp_ieee_invalid_op 0
		.amdhsa_exception_fp_denorm_src 0
		.amdhsa_exception_fp_ieee_div_zero 0
		.amdhsa_exception_fp_ieee_overflow 0
		.amdhsa_exception_fp_ieee_underflow 0
		.amdhsa_exception_fp_ieee_inexact 0
		.amdhsa_exception_int_div_zero 0
	.end_amdhsa_kernel
	.section	.text._ZL23rocblas_gemvt_sn_kernelILb0ELi256ELi4EiPK19rocblas_complex_numIfES1_S1_EviiT4_lPKT3_lilS7_lilPT5_i,"axG",@progbits,_ZL23rocblas_gemvt_sn_kernelILb0ELi256ELi4EiPK19rocblas_complex_numIfES1_S1_EviiT4_lPKT3_lilS7_lilPT5_i,comdat
.Lfunc_end311:
	.size	_ZL23rocblas_gemvt_sn_kernelILb0ELi256ELi4EiPK19rocblas_complex_numIfES1_S1_EviiT4_lPKT3_lilS7_lilPT5_i, .Lfunc_end311-_ZL23rocblas_gemvt_sn_kernelILb0ELi256ELi4EiPK19rocblas_complex_numIfES1_S1_EviiT4_lPKT3_lilS7_lilPT5_i
                                        ; -- End function
	.set _ZL23rocblas_gemvt_sn_kernelILb0ELi256ELi4EiPK19rocblas_complex_numIfES1_S1_EviiT4_lPKT3_lilS7_lilPT5_i.num_vgpr, 61
	.set _ZL23rocblas_gemvt_sn_kernelILb0ELi256ELi4EiPK19rocblas_complex_numIfES1_S1_EviiT4_lPKT3_lilS7_lilPT5_i.num_agpr, 0
	.set _ZL23rocblas_gemvt_sn_kernelILb0ELi256ELi4EiPK19rocblas_complex_numIfES1_S1_EviiT4_lPKT3_lilS7_lilPT5_i.numbered_sgpr, 50
	.set _ZL23rocblas_gemvt_sn_kernelILb0ELi256ELi4EiPK19rocblas_complex_numIfES1_S1_EviiT4_lPKT3_lilS7_lilPT5_i.num_named_barrier, 0
	.set _ZL23rocblas_gemvt_sn_kernelILb0ELi256ELi4EiPK19rocblas_complex_numIfES1_S1_EviiT4_lPKT3_lilS7_lilPT5_i.private_seg_size, 48
	.set _ZL23rocblas_gemvt_sn_kernelILb0ELi256ELi4EiPK19rocblas_complex_numIfES1_S1_EviiT4_lPKT3_lilS7_lilPT5_i.uses_vcc, 1
	.set _ZL23rocblas_gemvt_sn_kernelILb0ELi256ELi4EiPK19rocblas_complex_numIfES1_S1_EviiT4_lPKT3_lilS7_lilPT5_i.uses_flat_scratch, 1
	.set _ZL23rocblas_gemvt_sn_kernelILb0ELi256ELi4EiPK19rocblas_complex_numIfES1_S1_EviiT4_lPKT3_lilS7_lilPT5_i.has_dyn_sized_stack, 0
	.set _ZL23rocblas_gemvt_sn_kernelILb0ELi256ELi4EiPK19rocblas_complex_numIfES1_S1_EviiT4_lPKT3_lilS7_lilPT5_i.has_recursion, 0
	.set _ZL23rocblas_gemvt_sn_kernelILb0ELi256ELi4EiPK19rocblas_complex_numIfES1_S1_EviiT4_lPKT3_lilS7_lilPT5_i.has_indirect_call, 0
	.section	.AMDGPU.csdata,"",@progbits
; Kernel info:
; codeLenInByte = 5496
; TotalNumSgprs: 52
; NumVgprs: 61
; ScratchSize: 48
; MemoryBound: 0
; FloatMode: 240
; IeeeMode: 1
; LDSByteSize: 256 bytes/workgroup (compile time only)
; SGPRBlocks: 0
; VGPRBlocks: 7
; NumSGPRsForWavesPerEU: 52
; NumVGPRsForWavesPerEU: 61
; Occupancy: 16
; WaveLimiterHint : 0
; COMPUTE_PGM_RSRC2:SCRATCH_EN: 1
; COMPUTE_PGM_RSRC2:USER_SGPR: 6
; COMPUTE_PGM_RSRC2:TRAP_HANDLER: 0
; COMPUTE_PGM_RSRC2:TGID_X_EN: 1
; COMPUTE_PGM_RSRC2:TGID_Y_EN: 0
; COMPUTE_PGM_RSRC2:TGID_Z_EN: 1
; COMPUTE_PGM_RSRC2:TIDIG_COMP_CNT: 0
	.section	.text._ZL23rocblas_gemvt_sn_kernelILb0ELi256ELi4ElPK19rocblas_complex_numIfES1_S1_EviiT4_lPKT3_lilS7_lilPT5_i,"axG",@progbits,_ZL23rocblas_gemvt_sn_kernelILb0ELi256ELi4ElPK19rocblas_complex_numIfES1_S1_EviiT4_lPKT3_lilS7_lilPT5_i,comdat
	.globl	_ZL23rocblas_gemvt_sn_kernelILb0ELi256ELi4ElPK19rocblas_complex_numIfES1_S1_EviiT4_lPKT3_lilS7_lilPT5_i ; -- Begin function _ZL23rocblas_gemvt_sn_kernelILb0ELi256ELi4ElPK19rocblas_complex_numIfES1_S1_EviiT4_lPKT3_lilS7_lilPT5_i
	.p2align	8
	.type	_ZL23rocblas_gemvt_sn_kernelILb0ELi256ELi4ElPK19rocblas_complex_numIfES1_S1_EviiT4_lPKT3_lilS7_lilPT5_i,@function
_ZL23rocblas_gemvt_sn_kernelILb0ELi256ELi4ElPK19rocblas_complex_numIfES1_S1_EviiT4_lPKT3_lilS7_lilPT5_i: ; @_ZL23rocblas_gemvt_sn_kernelILb0ELi256ELi4ElPK19rocblas_complex_numIfES1_S1_EviiT4_lPKT3_lilS7_lilPT5_i
; %bb.0:
	s_load_dwordx4 s[12:15], s[4:5], 0x0
	s_add_u32 s0, s0, s8
	s_addc_u32 s1, s1, 0
	s_mov_b32 s10, s7
	s_mov_b32 s11, 0
	s_waitcnt lgkmcnt(0)
	s_or_b32 s7, s14, s15
	s_and_b32 s8, s7, 0x7fffffff
	s_cmp_lg_u32 s8, 0
	s_cselect_b32 s7, -1, 0
	s_cmp_eq_u32 s8, 0
	s_cselect_b32 s18, -1, 0
	s_and_b32 vcc_lo, exec_lo, s7
	s_cbranch_vccnz .LBB312_2
; %bb.1:
	s_mov_b32 s8, s11
	s_mov_b64 s[22:23], 0
	s_andn2_b32 vcc_lo, exec_lo, s8
	s_mov_b64 s[20:21], 0
	s_cbranch_vccz .LBB312_3
	s_branch .LBB312_4
.LBB312_2:
	s_mov_b64 s[22:23], 0
	s_mov_b64 s[20:21], 0
.LBB312_3:
	s_load_dwordx4 s[24:27], s[4:5], 0x18
	s_lshl_b64 s[8:9], s[10:11], 3
	s_waitcnt lgkmcnt(0)
	s_add_u32 s8, s24, s8
	s_addc_u32 s9, s25, s9
	s_lshl_b64 s[16:17], s[26:27], 3
	s_load_dwordx2 s[8:9], s[8:9], 0x0
	s_waitcnt lgkmcnt(0)
	s_add_u32 s20, s8, s16
	s_addc_u32 s21, s9, s17
.LBB312_4:
	s_andn2_b32 vcc_lo, exec_lo, s7
	s_cbranch_vccnz .LBB312_6
; %bb.5:
	s_load_dwordx4 s[24:27], s[4:5], 0x38
	s_lshl_b64 s[8:9], s[10:11], 3
	s_waitcnt lgkmcnt(0)
	s_add_u32 s8, s24, s8
	s_addc_u32 s9, s25, s9
	s_lshl_b64 s[16:17], s[26:27], 3
	s_load_dwordx2 s[8:9], s[8:9], 0x0
	s_waitcnt lgkmcnt(0)
	s_add_u32 s22, s8, s16
	s_addc_u32 s23, s9, s17
.LBB312_6:
	s_clause 0x1
	s_load_dword s16, s[4:5], 0x68
	s_load_dwordx2 s[8:9], s[4:5], 0x58
	s_ashr_i32 s26, s13, 31
	s_mul_hi_u32 s11, s10, s13
	s_mul_i32 s19, s10, s13
	s_mul_i32 s10, s10, s26
	v_cmp_eq_u32_e64 s7, 0, v0
	s_add_i32 s10, s11, s10
	s_andn2_b32 vcc_lo, exec_lo, s18
	s_mov_b32 s17, 0
	s_waitcnt lgkmcnt(0)
	s_mul_i32 s11, s10, s16
	s_mul_hi_u32 s18, s19, s16
	s_mul_i32 s10, s19, s16
	s_add_i32 s11, s18, s11
	s_mov_b32 s18, -1
	s_cbranch_vccnz .LBB312_11
; %bb.7:
	s_cmp_gt_i32 s13, 0
	s_cselect_b32 s18, -1, 0
	s_and_b32 s7, s7, s18
	s_and_saveexec_b32 s27, s7
	s_cbranch_execz .LBB312_10
; %bb.8:
	s_mov_b32 s7, 0
	v_mov_b32_e32 v1, 0
	s_lshl_b64 s[18:19], s[10:11], 3
	s_lshl_b64 s[24:25], s[6:7], 3
	s_add_u32 s7, s18, s24
	s_addc_u32 s18, s19, s25
	s_add_u32 s7, s8, s7
	v_mov_b32_e32 v2, v1
	s_addc_u32 s19, s9, s18
	s_add_u32 s18, s7, 4
	s_addc_u32 s19, s19, 0
	s_lshl_b64 s[24:25], s[16:17], 3
	s_mov_b32 s7, s13
.LBB312_9:                              ; =>This Inner Loop Header: Depth=1
	s_add_i32 s7, s7, -1
	global_store_dwordx2 v1, v[1:2], s[18:19] offset:-4
	s_add_u32 s18, s18, s24
	s_addc_u32 s19, s19, s25
	s_cmp_eq_u32 s7, 0
	s_cbranch_scc0 .LBB312_9
.LBB312_10:
	s_or_b32 exec_lo, exec_lo, s27
	s_mov_b32 s18, 0
.LBB312_11:
	s_andn2_b32 vcc_lo, exec_lo, s18
	s_cbranch_vccnz .LBB312_83
; %bb.12:
	s_clause 0x1
	s_load_dword s18, s[4:5], 0x28
	s_load_dword s24, s[4:5], 0x48
	s_lshl_b64 s[10:11], s[10:11], 3
	v_and_b32_e32 v28, 31, v0
	v_cmp_gt_u32_e64 s4, 32, v0
	v_mbcnt_lo_u32_b32 v30, -1, 0
	v_cmp_gt_u32_e64 s5, 8, v0
	v_lshrrev_b32_e32 v31, 2, v0
	s_waitcnt lgkmcnt(0)
	s_ashr_i32 s19, s18, 31
	s_ashr_i32 s25, s24, 31
	s_add_u32 s33, s8, s10
	s_addc_u32 s36, s9, s11
	s_lshl_b32 s7, s6, 10
	s_ashr_i32 s8, s12, 31
	v_lshl_or_b32 v5, v0, 2, s7
	s_lshr_b32 s7, s26, 30
	s_lshr_b32 s8, s8, 30
	s_add_i32 s7, s13, s7
	s_add_i32 s8, s12, s8
	v_ashrrev_i32_e32 v6, 31, v5
	s_and_b32 s37, s7, -4
	s_and_b32 s7, s8, -4
	v_add_nc_u32_e32 v32, 4, v5
	s_sub_i32 s17, s12, s7
	v_lshlrev_b64 v[3:4], 3, v[5:6]
	v_or_b32_e32 v29, 1, v5
	v_or_b32_e32 v27, 2, v5
	v_add_nc_u32_e32 v33, s17, v5
	v_or_b32_e32 v26, 3, v5
	s_cmp_lt_i32 s37, 1
	v_add_co_u32 v1, vcc_lo, s20, v3
	v_add_co_ci_u32_e64 v2, null, s21, v4, vcc_lo
	s_cbranch_scc1 .LBB312_60
; %bb.13:
	v_cmp_gt_u32_e32 vcc_lo, 24, v30
	v_mad_i64_i32 v[10:11], null, s24, v27, 0
	v_mad_i64_i32 v[12:13], null, s24, v26, 0
	v_cndmask_b32_e64 v6, 0, 8, vcc_lo
	v_cmp_gt_u32_e32 vcc_lo, 28, v30
	s_cmp_gt_i32 s17, 0
	s_mov_b32 s7, 0
	v_lshlrev_b64 v[10:11], 3, v[10:11]
	v_add_lshl_u32 v35, v6, v30, 2
	v_cndmask_b32_e64 v7, 0, 4, vcc_lo
	v_cmp_gt_u32_e32 vcc_lo, 30, v30
	v_lshlrev_b64 v[12:13], 3, v[12:13]
	v_mov_b32_e32 v17, v2
	v_cmp_ge_i32_e64 s8, s12, v32
	v_add_lshl_u32 v36, v7, v30, 2
	v_cndmask_b32_e64 v8, 0, 2, vcc_lo
	v_cmp_ne_u32_e32 vcc_lo, 31, v30
	v_mad_i64_i32 v[6:7], null, s24, v5, 0
	v_cmp_ge_i32_e64 s9, s12, v33
	v_add_lshl_u32 v37, v8, v30, 2
	v_add_co_ci_u32_e64 v9, null, 0, v30, vcc_lo
	s_cselect_b32 s38, -1, 0
	v_lshl_or_b32 v34, v30, 2, 64
	v_lshlrev_b64 v[6:7], 3, v[6:7]
	v_lshlrev_b32_e32 v38, 2, v9
	v_mad_i64_i32 v[8:9], null, s24, v29, 0
	v_cmp_eq_u32_e64 s10, 0, v28
	v_lshlrev_b32_e32 v39, 3, v28
	v_add_co_u32 v6, vcc_lo, s22, v6
	v_add_co_ci_u32_e64 v7, null, s23, v7, vcc_lo
	v_lshlrev_b64 v[8:9], 3, v[8:9]
	v_and_b32_e32 v40, 56, v31
	s_lshl_b64 s[26:27], s[6:7], 3
	v_cmp_eq_u32_e64 s11, 0, v0
	v_mov_b32_e32 v14, 0
	v_mov_b32_e32 v16, v1
	v_add_co_u32 v8, vcc_lo, s22, v8
	v_add_co_ci_u32_e64 v9, null, s23, v9, vcc_lo
	v_add_co_u32 v10, vcc_lo, s22, v10
	v_add_co_ci_u32_e64 v11, null, s23, v11, vcc_lo
	;; [unrolled: 2-line block ×3, first 2 shown]
	s_add_u32 s39, s33, s26
	s_addc_u32 s40, s36, s27
	s_lshl_b64 s[26:27], s[24:25], 3
	s_mul_hi_i32 s41, s18, 24
	s_mul_i32 s42, s18, 24
	s_lshl_b64 s[28:29], s[18:19], 5
	s_lshl_b64 s[30:31], s[18:19], 4
	;; [unrolled: 1-line block ×3, first 2 shown]
	s_branch .LBB312_15
.LBB312_14:                             ;   in Loop: Header=BB312_15 Depth=1
	s_or_b32 exec_lo, exec_lo, s43
	v_add_co_u32 v16, vcc_lo, v16, s28
	v_add_co_ci_u32_e64 v17, null, s29, v17, vcc_lo
	s_add_i32 s7, s7, 4
	s_cmp_ge_i32 s7, s37
	s_cbranch_scc1 .LBB312_61
.LBB312_15:                             ; =>This Loop Header: Depth=1
                                        ;     Child Loop BB312_46 Depth 2
                                        ;     Child Loop BB312_48 Depth 2
                                        ; implicit-def: $vgpr41
                                        ; implicit-def: $vgpr42
                                        ; implicit-def: $vgpr20
                                        ; implicit-def: $vgpr21
                                        ; implicit-def: $vgpr22
                                        ; implicit-def: $vgpr23
                                        ; implicit-def: $vgpr25
                                        ; implicit-def: $vgpr24
	s_and_saveexec_b32 s43, s8
	s_xor_b32 s43, exec_lo, s43
	s_cbranch_execnz .LBB312_42
; %bb.16:                               ;   in Loop: Header=BB312_15 Depth=1
	s_andn2_saveexec_b32 s43, s43
	s_cbranch_execnz .LBB312_43
.LBB312_17:                             ;   in Loop: Header=BB312_15 Depth=1
	s_or_b32 exec_lo, exec_lo, s43
	s_and_saveexec_b32 s43, s4
.LBB312_18:                             ;   in Loop: Header=BB312_15 Depth=1
	v_mov_b32_e32 v15, v14
	ds_write_b64 v39, v[14:15]
.LBB312_19:                             ;   in Loop: Header=BB312_15 Depth=1
	s_or_b32 exec_lo, exec_lo, s43
	ds_bpermute_b32 v15, v34, v41
	ds_bpermute_b32 v18, v34, v42
	s_waitcnt lgkmcnt(0)
	s_waitcnt_vscnt null, 0x0
	s_barrier
	buffer_gl0_inv
	v_add_f32_e32 v15, v41, v15
	v_add_f32_e32 v18, v42, v18
	ds_bpermute_b32 v19, v35, v15
	ds_bpermute_b32 v41, v35, v18
	s_waitcnt lgkmcnt(1)
	v_add_f32_e32 v15, v15, v19
	s_waitcnt lgkmcnt(0)
	v_add_f32_e32 v18, v18, v41
	ds_bpermute_b32 v19, v36, v15
	ds_bpermute_b32 v41, v36, v18
	s_waitcnt lgkmcnt(1)
	v_add_f32_e32 v15, v15, v19
	s_waitcnt lgkmcnt(0)
	;; [unrolled: 6-line block ×3, first 2 shown]
	v_add_f32_e32 v18, v18, v41
	ds_bpermute_b32 v19, v38, v15
	ds_bpermute_b32 v41, v38, v18
	s_and_saveexec_b32 s43, s10
	s_cbranch_execz .LBB312_21
; %bb.20:                               ;   in Loop: Header=BB312_15 Depth=1
	s_waitcnt lgkmcnt(0)
	v_add_f32_e32 v42, v18, v41
	v_add_f32_e32 v41, v15, v19
	ds_write_b64 v40, v[41:42]
.LBB312_21:                             ;   in Loop: Header=BB312_15 Depth=1
	s_or_b32 exec_lo, exec_lo, s43
	s_waitcnt lgkmcnt(1)
	v_mov_b32_e32 v19, 0
	v_mov_b32_e32 v18, 0
	s_waitcnt lgkmcnt(0)
	s_barrier
	buffer_gl0_inv
	s_and_saveexec_b32 s43, s5
	s_cbranch_execnz .LBB312_49
; %bb.22:                               ;   in Loop: Header=BB312_15 Depth=1
	s_or_b32 exec_lo, exec_lo, s43
	s_and_saveexec_b32 s43, s4
	s_cbranch_execnz .LBB312_50
.LBB312_23:                             ;   in Loop: Header=BB312_15 Depth=1
	s_or_b32 exec_lo, exec_lo, s43
	s_and_saveexec_b32 s43, s4
.LBB312_24:                             ;   in Loop: Header=BB312_15 Depth=1
	v_mov_b32_e32 v15, v14
	ds_write_b64 v39, v[14:15]
.LBB312_25:                             ;   in Loop: Header=BB312_15 Depth=1
	s_or_b32 exec_lo, exec_lo, s43
	ds_bpermute_b32 v15, v34, v20
	ds_bpermute_b32 v41, v34, v21
	s_waitcnt lgkmcnt(0)
	s_barrier
	buffer_gl0_inv
	v_add_f32_e32 v15, v20, v15
	v_add_f32_e32 v20, v21, v41
	ds_bpermute_b32 v21, v35, v15
	ds_bpermute_b32 v41, v35, v20
	s_waitcnt lgkmcnt(1)
	v_add_f32_e32 v15, v15, v21
	s_waitcnt lgkmcnt(0)
	v_add_f32_e32 v20, v20, v41
	ds_bpermute_b32 v21, v36, v15
	ds_bpermute_b32 v41, v36, v20
	s_waitcnt lgkmcnt(1)
	v_add_f32_e32 v15, v15, v21
	s_waitcnt lgkmcnt(0)
	;; [unrolled: 6-line block ×3, first 2 shown]
	v_add_f32_e32 v20, v20, v41
	ds_bpermute_b32 v21, v38, v15
	ds_bpermute_b32 v41, v38, v20
	s_and_saveexec_b32 s43, s10
	s_cbranch_execz .LBB312_27
; %bb.26:                               ;   in Loop: Header=BB312_15 Depth=1
	s_waitcnt lgkmcnt(0)
	v_add_f32_e32 v42, v20, v41
	v_add_f32_e32 v41, v15, v21
	ds_write_b64 v40, v[41:42]
.LBB312_27:                             ;   in Loop: Header=BB312_15 Depth=1
	s_or_b32 exec_lo, exec_lo, s43
	s_waitcnt lgkmcnt(1)
	v_mov_b32_e32 v21, 0
	v_mov_b32_e32 v20, 0
	s_waitcnt lgkmcnt(0)
	s_barrier
	buffer_gl0_inv
	s_and_saveexec_b32 s43, s5
	s_cbranch_execnz .LBB312_51
; %bb.28:                               ;   in Loop: Header=BB312_15 Depth=1
	s_or_b32 exec_lo, exec_lo, s43
	s_and_saveexec_b32 s43, s4
	s_cbranch_execnz .LBB312_52
.LBB312_29:                             ;   in Loop: Header=BB312_15 Depth=1
	s_or_b32 exec_lo, exec_lo, s43
	s_and_saveexec_b32 s43, s4
.LBB312_30:                             ;   in Loop: Header=BB312_15 Depth=1
	v_mov_b32_e32 v15, v14
	ds_write_b64 v39, v[14:15]
.LBB312_31:                             ;   in Loop: Header=BB312_15 Depth=1
	s_or_b32 exec_lo, exec_lo, s43
	ds_bpermute_b32 v15, v34, v22
	ds_bpermute_b32 v41, v34, v23
	s_waitcnt lgkmcnt(0)
	s_barrier
	buffer_gl0_inv
	v_add_f32_e32 v15, v22, v15
	v_add_f32_e32 v22, v23, v41
	ds_bpermute_b32 v23, v35, v15
	ds_bpermute_b32 v41, v35, v22
	s_waitcnt lgkmcnt(1)
	v_add_f32_e32 v15, v15, v23
	s_waitcnt lgkmcnt(0)
	v_add_f32_e32 v22, v22, v41
	ds_bpermute_b32 v23, v36, v15
	ds_bpermute_b32 v41, v36, v22
	s_waitcnt lgkmcnt(1)
	v_add_f32_e32 v15, v15, v23
	s_waitcnt lgkmcnt(0)
	;; [unrolled: 6-line block ×3, first 2 shown]
	v_add_f32_e32 v22, v22, v41
	ds_bpermute_b32 v23, v38, v15
	ds_bpermute_b32 v41, v38, v22
	s_and_saveexec_b32 s43, s10
	s_cbranch_execz .LBB312_33
; %bb.32:                               ;   in Loop: Header=BB312_15 Depth=1
	s_waitcnt lgkmcnt(0)
	v_add_f32_e32 v42, v22, v41
	v_add_f32_e32 v41, v15, v23
	ds_write_b64 v40, v[41:42]
.LBB312_33:                             ;   in Loop: Header=BB312_15 Depth=1
	s_or_b32 exec_lo, exec_lo, s43
	s_waitcnt lgkmcnt(1)
	v_mov_b32_e32 v23, 0
	v_mov_b32_e32 v22, 0
	s_waitcnt lgkmcnt(0)
	s_barrier
	buffer_gl0_inv
	s_and_saveexec_b32 s43, s5
	s_cbranch_execnz .LBB312_53
; %bb.34:                               ;   in Loop: Header=BB312_15 Depth=1
	s_or_b32 exec_lo, exec_lo, s43
	s_and_saveexec_b32 s43, s4
	s_cbranch_execnz .LBB312_54
.LBB312_35:                             ;   in Loop: Header=BB312_15 Depth=1
	s_or_b32 exec_lo, exec_lo, s43
	s_and_saveexec_b32 s43, s4
.LBB312_36:                             ;   in Loop: Header=BB312_15 Depth=1
	v_mov_b32_e32 v15, v14
	ds_write_b64 v39, v[14:15]
.LBB312_37:                             ;   in Loop: Header=BB312_15 Depth=1
	s_or_b32 exec_lo, exec_lo, s43
	ds_bpermute_b32 v15, v34, v25
	ds_bpermute_b32 v41, v34, v24
	s_waitcnt lgkmcnt(0)
	s_barrier
	buffer_gl0_inv
	v_add_f32_e32 v15, v25, v15
	v_add_f32_e32 v24, v24, v41
	ds_bpermute_b32 v25, v35, v15
	ds_bpermute_b32 v41, v35, v24
	s_waitcnt lgkmcnt(1)
	v_add_f32_e32 v15, v15, v25
	s_waitcnt lgkmcnt(0)
	v_add_f32_e32 v24, v24, v41
	ds_bpermute_b32 v25, v36, v15
	ds_bpermute_b32 v41, v36, v24
	s_waitcnt lgkmcnt(1)
	v_add_f32_e32 v15, v15, v25
	s_waitcnt lgkmcnt(0)
	;; [unrolled: 6-line block ×3, first 2 shown]
	v_add_f32_e32 v24, v24, v41
	ds_bpermute_b32 v25, v38, v15
	ds_bpermute_b32 v41, v38, v24
	s_and_saveexec_b32 s43, s10
	s_cbranch_execz .LBB312_39
; %bb.38:                               ;   in Loop: Header=BB312_15 Depth=1
	s_waitcnt lgkmcnt(0)
	v_add_f32_e32 v42, v24, v41
	v_add_f32_e32 v41, v15, v25
	ds_write_b64 v40, v[41:42]
.LBB312_39:                             ;   in Loop: Header=BB312_15 Depth=1
	s_or_b32 exec_lo, exec_lo, s43
	s_waitcnt lgkmcnt(1)
	v_mov_b32_e32 v25, 0
	v_mov_b32_e32 v24, 0
	s_waitcnt lgkmcnt(0)
	s_barrier
	buffer_gl0_inv
	s_and_saveexec_b32 s43, s5
	s_cbranch_execnz .LBB312_55
; %bb.40:                               ;   in Loop: Header=BB312_15 Depth=1
	s_or_b32 exec_lo, exec_lo, s43
	s_and_saveexec_b32 s43, s4
	s_cbranch_execnz .LBB312_56
.LBB312_41:                             ;   in Loop: Header=BB312_15 Depth=1
	s_or_b32 exec_lo, exec_lo, s43
	s_and_saveexec_b32 s43, s11
	s_cbranch_execz .LBB312_14
	s_branch .LBB312_57
.LBB312_42:                             ;   in Loop: Header=BB312_15 Depth=1
	s_mul_i32 s44, s7, s19
	s_mul_hi_u32 s45, s7, s18
	s_or_b32 s46, s7, 1
	s_add_i32 s45, s45, s44
	s_mul_i32 s44, s7, s18
	s_mul_i32 s47, s46, s19
	s_mul_hi_u32 s48, s46, s18
	s_lshl_b64 s[44:45], s[44:45], 3
	s_add_i32 s47, s48, s47
	s_mul_i32 s46, s46, s18
	v_add_co_u32 v41, vcc_lo, v1, s44
	v_add_co_ci_u32_e64 v42, null, s45, v2, vcc_lo
	s_lshl_b64 s[44:45], s[46:47], 3
	s_or_b32 s46, s7, 2
	v_add_co_u32 v53, vcc_lo, v1, s44
	v_add_co_ci_u32_e64 v54, null, s45, v2, vcc_lo
	s_mul_i32 s44, s46, s19
	s_mul_hi_u32 s45, s46, s18
	s_clause 0x3
	flat_load_dwordx2 v[65:66], v[6:7]
	flat_load_dwordx2 v[67:68], v[8:9]
	;; [unrolled: 1-line block ×4, first 2 shown]
	s_add_i32 s45, s45, s44
	s_mul_i32 s44, s46, s18
	s_or_b32 s46, s7, 3
	s_lshl_b64 s[44:45], s[44:45], 3
	flat_load_dwordx4 v[18:21], v[41:42]
	s_waitcnt lgkmcnt(5)
	flat_load_dwordx4 v[22:25], v[53:54]
	v_add_co_u32 v57, vcc_lo, v1, s44
	v_add_co_ci_u32_e64 v58, null, s45, v2, vcc_lo
	s_mul_i32 s44, s46, s19
	s_mul_hi_u32 s45, s46, s18
	s_clause 0x1
	flat_load_dwordx4 v[41:44], v[41:42] offset:16
	flat_load_dwordx4 v[45:48], v[57:58]
	s_add_i32 s45, s45, s44
	s_mul_i32 s44, s46, s18
	s_lshl_b64 s[44:45], s[44:45], 3
	v_add_co_u32 v61, vcc_lo, v1, s44
	v_add_co_ci_u32_e64 v62, null, s45, v2, vcc_lo
	s_clause 0x3
	flat_load_dwordx4 v[49:52], v[61:62]
	flat_load_dwordx4 v[53:56], v[53:54] offset:16
	flat_load_dwordx4 v[57:60], v[57:58] offset:16
	;; [unrolled: 1-line block ×3, first 2 shown]
	s_waitcnt vmcnt(11) lgkmcnt(11)
	buffer_store_dword v66, off, s[0:3], 0 offset:4
	buffer_store_dword v65, off, s[0:3], 0
	s_waitcnt vmcnt(10) lgkmcnt(10)
	buffer_store_dword v68, off, s[0:3], 0 offset:12
	buffer_store_dword v67, off, s[0:3], 0 offset:8
	s_waitcnt vmcnt(9) lgkmcnt(9)
	buffer_store_dword v70, off, s[0:3], 0 offset:20
	buffer_store_dword v69, off, s[0:3], 0 offset:16
	s_waitcnt vmcnt(8) lgkmcnt(8)
	buffer_store_dword v72, off, s[0:3], 0 offset:28
	buffer_store_dword v71, off, s[0:3], 0 offset:24
	s_waitcnt vmcnt(7) lgkmcnt(7)
	v_mul_f32_e32 v15, v66, v19
	v_mul_f32_e32 v19, v65, v19
	;; [unrolled: 1-line block ×4, first 2 shown]
	s_waitcnt vmcnt(6) lgkmcnt(6)
	v_mul_f32_e32 v76, v66, v23
	v_mul_f32_e32 v23, v65, v23
	v_fma_f32 v15, v65, v18, -v15
	v_fmac_f32_e32 v19, v66, v18
	v_fma_f32 v18, v67, v20, -v73
	v_mul_f32_e32 v73, v68, v25
	v_mul_f32_e32 v25, v67, v25
	v_fmac_f32_e32 v21, v68, v20
	s_waitcnt vmcnt(4) lgkmcnt(4)
	v_mul_f32_e32 v20, v66, v46
	v_mul_f32_e32 v46, v65, v46
	v_fma_f32 v76, v65, v22, -v76
	v_fmac_f32_e32 v23, v66, v22
	v_fma_f32 v22, v67, v24, -v73
	v_fmac_f32_e32 v25, v68, v24
	v_mul_f32_e32 v73, v68, v48
	s_waitcnt vmcnt(3) lgkmcnt(3)
	v_mul_f32_e32 v24, v66, v50
	v_mul_f32_e32 v48, v67, v48
	;; [unrolled: 1-line block ×3, first 2 shown]
	v_fma_f32 v20, v65, v45, -v20
	v_fmac_f32_e32 v46, v66, v45
	v_fma_f32 v45, v67, v47, -v73
	v_fmac_f32_e32 v48, v68, v47
	v_mul_f32_e32 v47, v68, v52
	v_mul_f32_e32 v52, v67, v52
	v_fma_f32 v24, v65, v49, -v24
	v_fmac_f32_e32 v50, v66, v49
	s_waitcnt vmcnt(1) lgkmcnt(1)
	v_mul_f32_e32 v49, v70, v58
	v_mul_f32_e32 v58, v69, v58
	;; [unrolled: 1-line block ×8, first 2 shown]
	v_fma_f32 v47, v67, v51, -v47
	v_fmac_f32_e32 v52, v68, v51
	s_waitcnt vmcnt(0) lgkmcnt(0)
	v_mul_f32_e32 v51, v70, v62
	v_mul_f32_e32 v62, v69, v62
	v_fma_f32 v49, v69, v57, -v49
	v_fmac_f32_e32 v58, v70, v57
	v_add_f32_e32 v15, 0, v15
	v_add_f32_e32 v19, 0, v19
	;; [unrolled: 1-line block ×8, first 2 shown]
	v_mul_f32_e32 v65, v72, v56
	v_mul_f32_e32 v56, v71, v56
	;; [unrolled: 1-line block ×4, first 2 shown]
	v_fma_f32 v67, v69, v41, -v74
	v_fmac_f32_e32 v42, v70, v41
	v_fma_f32 v41, v71, v43, -v75
	v_fmac_f32_e32 v44, v72, v43
	v_mul_f32_e32 v43, v72, v64
	v_mul_f32_e32 v64, v71, v64
	v_fma_f32 v68, v69, v53, -v73
	v_fmac_f32_e32 v54, v70, v53
	v_fma_f32 v51, v69, v61, -v51
	v_fmac_f32_e32 v62, v70, v61
	v_add_f32_e32 v15, v15, v18
	v_add_f32_e32 v18, v19, v21
	;; [unrolled: 1-line block ×8, first 2 shown]
	v_fma_f32 v53, v71, v55, -v65
	v_fmac_f32_e32 v56, v72, v55
	v_fma_f32 v55, v71, v59, -v66
	v_fmac_f32_e32 v60, v72, v59
	;; [unrolled: 2-line block ×3, first 2 shown]
	v_add_f32_e32 v15, v15, v67
	v_add_f32_e32 v18, v18, v42
	;; [unrolled: 1-line block ×16, first 2 shown]
	s_andn2_saveexec_b32 s43, s43
	s_cbranch_execz .LBB312_17
.LBB312_43:                             ;   in Loop: Header=BB312_15 Depth=1
	v_mov_b32_e32 v41, 0
	v_mov_b32_e32 v42, 0
	;; [unrolled: 1-line block ×6, first 2 shown]
	s_waitcnt lgkmcnt(0)
	v_mov_b32_e32 v25, 0
	v_mov_b32_e32 v24, 0
	s_and_saveexec_b32 s44, s9
	s_cbranch_execz .LBB312_59
; %bb.44:                               ;   in Loop: Header=BB312_15 Depth=1
	s_andn2_b32 vcc_lo, exec_lo, s38
	s_cbranch_vccnz .LBB312_58
; %bb.45:                               ;   in Loop: Header=BB312_15 Depth=1
	v_mov_b32_e32 v19, v7
	v_mov_b32_e32 v18, v6
	s_mov_b32 s45, 0
	s_mov_b32 s46, s17
.LBB312_46:                             ;   Parent Loop BB312_15 Depth=1
                                        ; =>  This Inner Loop Header: Depth=2
	flat_load_dwordx2 v[20:21], v[18:19]
	v_add_co_u32 v18, vcc_lo, v18, s26
	v_mov_b32_e32 v15, s45
	v_add_co_ci_u32_e64 v19, null, s27, v19, vcc_lo
	s_add_i32 s46, s46, -1
	s_add_i32 s45, s45, 8
	s_cmp_eq_u32 s46, 0
	s_waitcnt vmcnt(0) lgkmcnt(0)
	buffer_store_dword v21, v15, s[0:3], 0 offen offset:4
	buffer_store_dword v20, v15, s[0:3], 0 offen
	s_cbranch_scc0 .LBB312_46
; %bb.47:                               ;   in Loop: Header=BB312_15 Depth=1
	v_mov_b32_e32 v19, v17
	v_mov_b32_e32 v24, 0
	;; [unrolled: 1-line block ×10, first 2 shown]
	s_mov_b32 s45, 0
	s_mov_b32 s46, s17
.LBB312_48:                             ;   Parent Loop BB312_15 Depth=1
                                        ; =>  This Inner Loop Header: Depth=2
	v_add_co_u32 v45, vcc_lo, v18, s34
	v_add_co_ci_u32_e64 v46, null, s35, v19, vcc_lo
	v_add_co_u32 v47, vcc_lo, v18, s30
	v_mov_b32_e32 v15, s45
	v_add_co_ci_u32_e64 v48, null, s31, v19, vcc_lo
	v_add_co_u32 v49, vcc_lo, v18, s42
	v_add_co_ci_u32_e64 v50, null, s41, v19, vcc_lo
	flat_load_dwordx2 v[43:44], v[18:19]
	s_clause 0x1
	buffer_load_dword v51, v15, s[0:3], 0 offen offset:4
	buffer_load_dword v15, v15, s[0:3], 0 offen
	s_clause 0x2
	flat_load_dwordx2 v[45:46], v[45:46]
	flat_load_dwordx2 v[47:48], v[47:48]
	;; [unrolled: 1-line block ×3, first 2 shown]
	v_add_co_u32 v18, vcc_lo, v18, 8
	v_add_co_ci_u32_e64 v19, null, 0, v19, vcc_lo
	s_add_i32 s46, s46, -1
	s_add_i32 s45, s45, 8
	s_cmp_lg_u32 s46, 0
	s_waitcnt vmcnt(4) lgkmcnt(3)
	v_mul_f32_e32 v52, v51, v44
	s_waitcnt vmcnt(3)
	v_mul_f32_e32 v44, v15, v44
	s_waitcnt vmcnt(2) lgkmcnt(2)
	v_mul_f32_e32 v53, v51, v46
	v_mul_f32_e32 v46, v15, v46
	s_waitcnt vmcnt(1) lgkmcnt(1)
	v_mul_f32_e32 v54, v51, v48
	;; [unrolled: 3-line block ×3, first 2 shown]
	v_mul_f32_e32 v50, v15, v50
	v_fma_f32 v52, v15, v43, -v52
	v_fmac_f32_e32 v44, v51, v43
	v_fma_f32 v43, v15, v45, -v53
	v_fmac_f32_e32 v46, v51, v45
	v_fma_f32 v45, v15, v47, -v54
	v_fmac_f32_e32 v48, v51, v47
	v_fma_f32 v15, v15, v49, -v55
	v_fmac_f32_e32 v50, v51, v49
	v_add_f32_e32 v41, v41, v52
	v_add_f32_e32 v42, v42, v44
	;; [unrolled: 1-line block ×8, first 2 shown]
	s_cbranch_scc1 .LBB312_48
	s_branch .LBB312_59
.LBB312_49:                             ;   in Loop: Header=BB312_15 Depth=1
	ds_read_b64 v[18:19], v39
	s_or_b32 exec_lo, exec_lo, s43
	s_and_saveexec_b32 s43, s4
	s_cbranch_execz .LBB312_23
.LBB312_50:                             ;   in Loop: Header=BB312_15 Depth=1
	s_waitcnt lgkmcnt(0)
	ds_bpermute_b32 v15, v36, v18
	ds_bpermute_b32 v41, v36, v19
	s_waitcnt lgkmcnt(1)
	v_add_f32_e32 v15, v18, v15
	s_waitcnt lgkmcnt(0)
	v_add_f32_e32 v18, v19, v41
	ds_bpermute_b32 v19, v37, v15
	ds_bpermute_b32 v41, v37, v18
	s_waitcnt lgkmcnt(1)
	v_add_f32_e32 v15, v15, v19
	s_waitcnt lgkmcnt(0)
	v_add_f32_e32 v19, v18, v41
	;; [unrolled: 6-line block ×3, first 2 shown]
	s_or_b32 exec_lo, exec_lo, s43
	s_and_saveexec_b32 s43, s4
	s_cbranch_execnz .LBB312_24
	s_branch .LBB312_25
.LBB312_51:                             ;   in Loop: Header=BB312_15 Depth=1
	ds_read_b64 v[20:21], v39
	s_or_b32 exec_lo, exec_lo, s43
	s_and_saveexec_b32 s43, s4
	s_cbranch_execz .LBB312_29
.LBB312_52:                             ;   in Loop: Header=BB312_15 Depth=1
	s_waitcnt lgkmcnt(0)
	ds_bpermute_b32 v15, v36, v20
	ds_bpermute_b32 v41, v36, v21
	s_waitcnt lgkmcnt(1)
	v_add_f32_e32 v15, v20, v15
	s_waitcnt lgkmcnt(0)
	v_add_f32_e32 v20, v21, v41
	ds_bpermute_b32 v21, v37, v15
	ds_bpermute_b32 v41, v37, v20
	s_waitcnt lgkmcnt(1)
	v_add_f32_e32 v15, v15, v21
	s_waitcnt lgkmcnt(0)
	v_add_f32_e32 v21, v20, v41
	;; [unrolled: 6-line block ×3, first 2 shown]
	s_or_b32 exec_lo, exec_lo, s43
	s_and_saveexec_b32 s43, s4
	s_cbranch_execnz .LBB312_30
	s_branch .LBB312_31
.LBB312_53:                             ;   in Loop: Header=BB312_15 Depth=1
	ds_read_b64 v[22:23], v39
	s_or_b32 exec_lo, exec_lo, s43
	s_and_saveexec_b32 s43, s4
	s_cbranch_execz .LBB312_35
.LBB312_54:                             ;   in Loop: Header=BB312_15 Depth=1
	s_waitcnt lgkmcnt(0)
	ds_bpermute_b32 v15, v36, v22
	ds_bpermute_b32 v41, v36, v23
	s_waitcnt lgkmcnt(1)
	v_add_f32_e32 v15, v22, v15
	s_waitcnt lgkmcnt(0)
	v_add_f32_e32 v22, v23, v41
	ds_bpermute_b32 v23, v37, v15
	ds_bpermute_b32 v41, v37, v22
	s_waitcnt lgkmcnt(1)
	v_add_f32_e32 v15, v15, v23
	s_waitcnt lgkmcnt(0)
	v_add_f32_e32 v23, v22, v41
	;; [unrolled: 6-line block ×3, first 2 shown]
	s_or_b32 exec_lo, exec_lo, s43
	s_and_saveexec_b32 s43, s4
	s_cbranch_execnz .LBB312_36
	s_branch .LBB312_37
.LBB312_55:                             ;   in Loop: Header=BB312_15 Depth=1
	ds_read_b64 v[24:25], v39
	s_or_b32 exec_lo, exec_lo, s43
	s_and_saveexec_b32 s43, s4
	s_cbranch_execz .LBB312_41
.LBB312_56:                             ;   in Loop: Header=BB312_15 Depth=1
	s_waitcnt lgkmcnt(0)
	ds_bpermute_b32 v15, v36, v24
	ds_bpermute_b32 v41, v36, v25
	s_waitcnt lgkmcnt(1)
	v_add_f32_e32 v15, v24, v15
	s_waitcnt lgkmcnt(0)
	v_add_f32_e32 v24, v25, v41
	ds_bpermute_b32 v25, v37, v15
	ds_bpermute_b32 v41, v37, v24
	s_waitcnt lgkmcnt(1)
	v_add_f32_e32 v15, v15, v25
	s_waitcnt lgkmcnt(0)
	v_add_f32_e32 v25, v24, v41
	;; [unrolled: 6-line block ×3, first 2 shown]
	s_or_b32 exec_lo, exec_lo, s43
	s_and_saveexec_b32 s43, s11
	s_cbranch_execz .LBB312_14
.LBB312_57:                             ;   in Loop: Header=BB312_15 Depth=1
	v_mul_f32_e32 v15, s15, v19
	v_mul_f32_e32 v42, s14, v19
	s_mul_hi_u32 s45, s7, s16
	s_mul_i32 s44, s7, s16
	v_mul_f32_e32 v19, s14, v21
	s_lshl_b64 s[44:45], s[44:45], 3
	v_fma_f32 v41, v18, s14, -v15
	v_fmac_f32_e32 v42, s15, v18
	s_add_u32 s44, s39, s44
	s_addc_u32 s45, s40, s45
	v_mul_f32_e32 v15, s15, v21
	v_mul_f32_e32 v21, s14, v23
	global_store_dwordx2 v14, v[41:42], s[44:45]
	s_or_b32 s44, s7, 1
	v_fmac_f32_e32 v19, s15, v20
	s_mul_hi_u32 s45, s44, s16
	s_mul_i32 s44, s44, s16
	v_fma_f32 v18, v20, s14, -v15
	s_lshl_b64 s[44:45], s[44:45], 3
	v_mul_f32_e32 v15, s15, v23
	s_add_u32 s44, s39, s44
	s_addc_u32 s45, s40, s45
	s_or_b32 s46, s7, 2
	s_waitcnt lgkmcnt(0)
	v_mul_f32_e32 v23, s14, v25
	s_mul_hi_u32 s47, s46, s16
	s_mul_i32 s46, s46, s16
	v_fma_f32 v20, v22, s14, -v15
	s_lshl_b64 s[46:47], s[46:47], 3
	v_mul_f32_e32 v15, s15, v25
	s_add_u32 s46, s39, s46
	s_addc_u32 s47, s40, s47
	s_or_b32 s48, s7, 3
	v_fmac_f32_e32 v21, s15, v22
	s_mul_hi_u32 s49, s48, s16
	s_mul_i32 s48, s48, s16
	v_fma_f32 v22, v24, s14, -v15
	v_fmac_f32_e32 v23, s15, v24
	s_lshl_b64 s[48:49], s[48:49], 3
	global_store_dwordx2 v14, v[18:19], s[44:45]
	s_add_u32 s44, s39, s48
	s_addc_u32 s45, s40, s49
	global_store_dwordx2 v14, v[20:21], s[46:47]
	global_store_dwordx2 v14, v[22:23], s[44:45]
	s_branch .LBB312_14
.LBB312_58:                             ;   in Loop: Header=BB312_15 Depth=1
	v_mov_b32_e32 v41, 0
	v_mov_b32_e32 v42, 0
	;; [unrolled: 1-line block ×8, first 2 shown]
.LBB312_59:                             ;   in Loop: Header=BB312_15 Depth=1
	s_or_b32 exec_lo, exec_lo, s44
	s_or_b32 exec_lo, exec_lo, s43
	s_and_saveexec_b32 s43, s4
	s_cbranch_execnz .LBB312_18
	s_branch .LBB312_19
.LBB312_60:
	s_mov_b32 s7, 0
.LBB312_61:
	s_cmp_ge_i32 s7, s13
	s_cbranch_scc1 .LBB312_83
; %bb.62:
	v_cmp_gt_u32_e64 s5, 24, v30
	v_mad_i64_i32 v[11:12], null, s24, v26, 0
	s_cmp_gt_i32 s17, 0
	s_mov_b32 s11, 0
	v_cndmask_b32_e64 v6, 0, 8, s5
	v_cmp_gt_u32_e64 s5, 28, v30
	s_mov_b32 s10, s6
	s_cselect_b32 s27, -1, 0
	s_lshl_b64 s[10:11], s[10:11], 3
	v_add_lshl_u32 v18, v6, v30, 2
	v_cndmask_b32_e64 v7, 0, 4, s5
	v_cmp_gt_u32_e64 s5, 30, v30
	v_mad_i64_i32 v[5:6], null, s24, v5, 0
	v_cmp_ge_i32_e32 vcc_lo, s12, v32
	v_add_lshl_u32 v19, v7, v30, 2
	v_cndmask_b32_e64 v8, 0, 2, s5
	v_cmp_ne_u32_e64 s5, 31, v30
	v_cmp_ge_i32_e64 s9, s12, v33
	s_add_u32 s12, s33, s10
	v_lshlrev_b64 v[5:6], 3, v[5:6]
	v_add_lshl_u32 v20, v8, v30, 2
	v_add_co_ci_u32_e64 v9, null, 0, v30, s5
	v_mad_i64_i32 v[7:8], null, s24, v29, 0
	v_add_co_u32 v5, s10, s22, v5
	v_lshlrev_b32_e32 v21, 2, v9
	v_mad_i64_i32 v[9:10], null, s24, v27, 0
	v_lshlrev_b64 v[11:12], 3, v[11:12]
	v_lshlrev_b64 v[7:8], 3, v[7:8]
	v_add_co_ci_u32_e64 v6, null, s23, v6, s10
	s_addc_u32 s26, s36, s11
	s_mul_i32 s11, s19, s7
	v_lshlrev_b64 v[9:10], 3, v[9:10]
	v_add_co_u32 v7, s10, s22, v7
	v_add_co_ci_u32_e64 v8, null, s23, v8, s10
	s_mul_hi_u32 s28, s18, s7
	v_add_co_u32 v9, s10, s22, v9
	v_add_co_ci_u32_e64 v10, null, s23, v10, s10
	v_add_co_u32 v11, s10, s22, v11
	v_add_co_ci_u32_e64 v12, null, s23, v12, s10
	s_add_i32 s11, s28, s11
	s_mul_i32 s10, s18, s7
	s_and_b32 s22, s27, s9
	s_lshl_b64 s[28:29], s[10:11], 3
	s_lshl_b64 s[10:11], s[24:25], 3
	s_add_u32 s9, s20, s28
	s_addc_u32 s20, s21, s29
	v_add_co_u32 v3, s9, s9, v3
	v_cmp_gt_u32_e64 s4, 32, v0
	v_lshlrev_b32_e32 v16, 3, v28
	v_lshl_or_b32 v17, v30, 2, 64
	v_cmp_eq_u32_e64 s5, 0, v28
	v_and_b32_e32 v22, 56, v31
	v_cmp_gt_u32_e64 s8, 8, v0
	v_cmp_eq_u32_e64 s6, 0, v0
	v_add_co_ci_u32_e64 v4, null, s20, v4, s9
	v_mov_b32_e32 v13, 0
	s_lshl_b64 s[20:21], s[18:19], 3
	s_branch .LBB312_64
.LBB312_63:                             ;   in Loop: Header=BB312_64 Depth=1
	s_or_b32 exec_lo, exec_lo, s9
	v_add_co_u32 v3, s9, v3, s20
	v_add_co_ci_u32_e64 v4, null, s21, v4, s9
	s_add_i32 s7, s7, 1
	s_cmp_lt_i32 s7, s13
	s_cbranch_scc0 .LBB312_83
.LBB312_64:                             ; =>This Loop Header: Depth=1
                                        ;     Child Loop BB312_76 Depth 2
                                        ;     Child Loop BB312_78 Depth 2
                                        ; implicit-def: $vgpr0
                                        ; implicit-def: $vgpr23
	s_and_saveexec_b32 s9, vcc_lo
	s_xor_b32 s23, exec_lo, s9
	s_cbranch_execnz .LBB312_73
; %bb.65:                               ;   in Loop: Header=BB312_64 Depth=1
	s_andn2_saveexec_b32 s23, s23
	s_cbranch_execnz .LBB312_74
.LBB312_66:                             ;   in Loop: Header=BB312_64 Depth=1
	s_or_b32 exec_lo, exec_lo, s23
	s_and_saveexec_b32 s9, s4
	s_cbranch_execz .LBB312_68
.LBB312_67:                             ;   in Loop: Header=BB312_64 Depth=1
	s_waitcnt lgkmcnt(0)
	v_mov_b32_e32 v14, v13
	ds_write_b64 v16, v[13:14]
.LBB312_68:                             ;   in Loop: Header=BB312_64 Depth=1
	s_or_b32 exec_lo, exec_lo, s9
	s_waitcnt lgkmcnt(0)
	ds_bpermute_b32 v14, v17, v0
	ds_bpermute_b32 v15, v17, v23
	s_waitcnt lgkmcnt(0)
	s_waitcnt_vscnt null, 0x0
	s_barrier
	buffer_gl0_inv
	v_add_f32_e32 v0, v0, v14
	v_add_f32_e32 v14, v23, v15
	ds_bpermute_b32 v15, v18, v0
	ds_bpermute_b32 v23, v18, v14
	s_waitcnt lgkmcnt(1)
	v_add_f32_e32 v0, v0, v15
	s_waitcnt lgkmcnt(0)
	v_add_f32_e32 v14, v14, v23
	ds_bpermute_b32 v15, v19, v0
	ds_bpermute_b32 v23, v19, v14
	s_waitcnt lgkmcnt(1)
	v_add_f32_e32 v0, v0, v15
	s_waitcnt lgkmcnt(0)
	;; [unrolled: 6-line block ×3, first 2 shown]
	v_add_f32_e32 v14, v14, v23
	ds_bpermute_b32 v15, v21, v0
	ds_bpermute_b32 v23, v21, v14
	s_and_saveexec_b32 s9, s5
	s_cbranch_execz .LBB312_70
; %bb.69:                               ;   in Loop: Header=BB312_64 Depth=1
	s_waitcnt lgkmcnt(0)
	v_add_f32_e32 v24, v14, v23
	v_add_f32_e32 v23, v0, v15
	ds_write_b64 v22, v[23:24]
.LBB312_70:                             ;   in Loop: Header=BB312_64 Depth=1
	s_or_b32 exec_lo, exec_lo, s9
	s_waitcnt lgkmcnt(1)
	v_mov_b32_e32 v15, 0
	v_mov_b32_e32 v14, 0
	s_waitcnt lgkmcnt(0)
	s_barrier
	buffer_gl0_inv
	s_and_saveexec_b32 s9, s8
	s_cbranch_execnz .LBB312_80
; %bb.71:                               ;   in Loop: Header=BB312_64 Depth=1
	s_or_b32 exec_lo, exec_lo, s9
	s_and_saveexec_b32 s9, s4
	s_cbranch_execnz .LBB312_81
.LBB312_72:                             ;   in Loop: Header=BB312_64 Depth=1
	s_or_b32 exec_lo, exec_lo, s9
	s_and_saveexec_b32 s9, s6
	s_cbranch_execz .LBB312_63
	s_branch .LBB312_82
.LBB312_73:                             ;   in Loop: Header=BB312_64 Depth=1
	s_mul_i32 s9, s7, s19
	s_mul_hi_u32 s25, s7, s18
	s_mul_i32 s24, s7, s18
	s_add_i32 s25, s25, s9
	s_lshl_b64 s[24:25], s[24:25], 3
	s_waitcnt lgkmcnt(0)
	v_add_co_u32 v14, s9, v1, s24
	v_add_co_ci_u32_e64 v15, null, s25, v2, s9
	s_waitcnt lgkmcnt(0)
	flat_load_dwordx4 v[23:26], v[14:15]
	s_clause 0x1
	flat_load_dwordx2 v[31:32], v[5:6]
	flat_load_dwordx2 v[33:34], v[7:8]
	flat_load_dwordx4 v[27:30], v[14:15] offset:16
	s_clause 0x1
	flat_load_dwordx2 v[14:15], v[9:10]
	flat_load_dwordx2 v[35:36], v[11:12]
	s_waitcnt vmcnt(4) lgkmcnt(4)
	v_mul_f32_e32 v0, v32, v24
	v_mul_f32_e32 v24, v31, v24
	s_waitcnt vmcnt(3) lgkmcnt(3)
	v_mul_f32_e32 v37, v34, v26
	v_mul_f32_e32 v26, v33, v26
	s_waitcnt vmcnt(1) lgkmcnt(1)
	v_mul_f32_e32 v38, v15, v28
	v_fma_f32 v0, v31, v23, -v0
	v_fmac_f32_e32 v24, v32, v23
	v_mul_f32_e32 v28, v14, v28
	v_fma_f32 v37, v33, v25, -v37
	v_fmac_f32_e32 v26, v34, v25
	v_add_f32_e32 v0, 0, v0
	v_add_f32_e32 v24, 0, v24
	s_waitcnt vmcnt(0) lgkmcnt(0)
	v_mul_f32_e32 v23, v36, v30
	v_mul_f32_e32 v25, v35, v30
	v_fma_f32 v30, v14, v27, -v38
	v_fmac_f32_e32 v28, v15, v27
	v_add_f32_e32 v0, v0, v37
	v_add_f32_e32 v24, v24, v26
	v_fma_f32 v23, v35, v29, -v23
	v_fmac_f32_e32 v25, v36, v29
	buffer_store_dword v32, off, s[0:3], 0 offset:4
	v_add_f32_e32 v0, v0, v30
	v_add_f32_e32 v24, v24, v28
	buffer_store_dword v31, off, s[0:3], 0
	buffer_store_dword v34, off, s[0:3], 0 offset:12
	buffer_store_dword v33, off, s[0:3], 0 offset:8
	;; [unrolled: 1-line block ×6, first 2 shown]
	v_add_f32_e32 v0, v0, v23
	v_add_f32_e32 v23, v24, v25
	s_andn2_saveexec_b32 s23, s23
	s_cbranch_execz .LBB312_66
.LBB312_74:                             ;   in Loop: Header=BB312_64 Depth=1
	v_mov_b32_e32 v0, 0
	v_mov_b32_e32 v23, 0
	s_and_saveexec_b32 s24, s22
	s_cbranch_execz .LBB312_79
; %bb.75:                               ;   in Loop: Header=BB312_64 Depth=1
	s_waitcnt lgkmcnt(0)
	v_mov_b32_e32 v15, v6
	v_mov_b32_e32 v14, v5
	s_mov_b32 s25, 0
	s_mov_b32 s27, s17
.LBB312_76:                             ;   Parent Loop BB312_64 Depth=1
                                        ; =>  This Inner Loop Header: Depth=2
	s_waitcnt lgkmcnt(0)
	flat_load_dwordx2 v[23:24], v[14:15]
	v_add_co_u32 v14, s9, v14, s10
	v_mov_b32_e32 v0, s25
	v_add_co_ci_u32_e64 v15, null, s11, v15, s9
	s_add_i32 s27, s27, -1
	s_add_i32 s25, s25, 8
	s_cmp_eq_u32 s27, 0
	s_waitcnt vmcnt(0) lgkmcnt(0)
	buffer_store_dword v24, v0, s[0:3], 0 offen offset:4
	buffer_store_dword v23, v0, s[0:3], 0 offen
	s_cbranch_scc0 .LBB312_76
; %bb.77:                               ;   in Loop: Header=BB312_64 Depth=1
	v_mov_b32_e32 v15, v4
	v_mov_b32_e32 v0, 0
	;; [unrolled: 1-line block ×4, first 2 shown]
	s_mov_b32 s25, 0
	s_mov_b32 s27, s17
	.p2align	6
.LBB312_78:                             ;   Parent Loop BB312_64 Depth=1
                                        ; =>  This Inner Loop Header: Depth=2
	v_mov_b32_e32 v26, s25
	flat_load_dwordx2 v[24:25], v[14:15]
	v_add_co_u32 v14, s9, v14, 8
	v_add_co_ci_u32_e64 v15, null, 0, v15, s9
	s_clause 0x1
	buffer_load_dword v27, v26, s[0:3], 0 offen offset:4
	buffer_load_dword v26, v26, s[0:3], 0 offen
	s_add_i32 s27, s27, -1
	s_add_i32 s25, s25, 8
	s_cmp_lg_u32 s27, 0
	s_waitcnt vmcnt(1) lgkmcnt(0)
	v_mul_f32_e32 v28, v27, v25
	s_waitcnt vmcnt(0)
	v_mul_f32_e32 v25, v26, v25
	v_fma_f32 v26, v26, v24, -v28
	v_fmac_f32_e32 v25, v27, v24
	v_add_f32_e32 v0, v0, v26
	v_add_f32_e32 v23, v23, v25
	s_cbranch_scc1 .LBB312_78
.LBB312_79:                             ;   in Loop: Header=BB312_64 Depth=1
	s_or_b32 exec_lo, exec_lo, s24
	s_or_b32 exec_lo, exec_lo, s23
	s_and_saveexec_b32 s9, s4
	s_cbranch_execnz .LBB312_67
	s_branch .LBB312_68
.LBB312_80:                             ;   in Loop: Header=BB312_64 Depth=1
	ds_read_b64 v[14:15], v16
	s_or_b32 exec_lo, exec_lo, s9
	s_and_saveexec_b32 s9, s4
	s_cbranch_execz .LBB312_72
.LBB312_81:                             ;   in Loop: Header=BB312_64 Depth=1
	s_waitcnt lgkmcnt(0)
	ds_bpermute_b32 v0, v19, v14
	ds_bpermute_b32 v23, v19, v15
	s_waitcnt lgkmcnt(1)
	v_add_f32_e32 v0, v14, v0
	s_waitcnt lgkmcnt(0)
	v_add_f32_e32 v14, v15, v23
	ds_bpermute_b32 v15, v20, v0
	ds_bpermute_b32 v23, v20, v14
	s_waitcnt lgkmcnt(1)
	v_add_f32_e32 v0, v0, v15
	s_waitcnt lgkmcnt(0)
	v_add_f32_e32 v15, v14, v23
	;; [unrolled: 6-line block ×3, first 2 shown]
	s_or_b32 exec_lo, exec_lo, s9
	s_and_saveexec_b32 s9, s6
	s_cbranch_execz .LBB312_63
.LBB312_82:                             ;   in Loop: Header=BB312_64 Depth=1
	s_waitcnt lgkmcnt(0)
	v_mul_f32_e32 v0, s15, v15
	v_mul_f32_e32 v24, s14, v15
	s_mul_hi_u32 s25, s7, s16
	s_mul_i32 s24, s7, s16
	s_lshl_b64 s[24:25], s[24:25], 3
	v_fma_f32 v23, v14, s14, -v0
	v_fmac_f32_e32 v24, s15, v14
	s_add_u32 s24, s12, s24
	s_addc_u32 s25, s26, s25
	global_store_dwordx2 v13, v[23:24], s[24:25]
	s_branch .LBB312_63
.LBB312_83:
	s_endpgm
	.section	.rodata,"a",@progbits
	.p2align	6, 0x0
	.amdhsa_kernel _ZL23rocblas_gemvt_sn_kernelILb0ELi256ELi4ElPK19rocblas_complex_numIfES1_S1_EviiT4_lPKT3_lilS7_lilPT5_i
		.amdhsa_group_segment_fixed_size 256
		.amdhsa_private_segment_fixed_size 48
		.amdhsa_kernarg_size 360
		.amdhsa_user_sgpr_count 6
		.amdhsa_user_sgpr_private_segment_buffer 1
		.amdhsa_user_sgpr_dispatch_ptr 0
		.amdhsa_user_sgpr_queue_ptr 0
		.amdhsa_user_sgpr_kernarg_segment_ptr 1
		.amdhsa_user_sgpr_dispatch_id 0
		.amdhsa_user_sgpr_flat_scratch_init 0
		.amdhsa_user_sgpr_private_segment_size 0
		.amdhsa_wavefront_size32 1
		.amdhsa_uses_dynamic_stack 0
		.amdhsa_system_sgpr_private_segment_wavefront_offset 1
		.amdhsa_system_sgpr_workgroup_id_x 1
		.amdhsa_system_sgpr_workgroup_id_y 0
		.amdhsa_system_sgpr_workgroup_id_z 1
		.amdhsa_system_sgpr_workgroup_info 0
		.amdhsa_system_vgpr_workitem_id 0
		.amdhsa_next_free_vgpr 77
		.amdhsa_next_free_sgpr 50
		.amdhsa_reserve_vcc 1
		.amdhsa_reserve_flat_scratch 1
		.amdhsa_float_round_mode_32 0
		.amdhsa_float_round_mode_16_64 0
		.amdhsa_float_denorm_mode_32 3
		.amdhsa_float_denorm_mode_16_64 3
		.amdhsa_dx10_clamp 1
		.amdhsa_ieee_mode 1
		.amdhsa_fp16_overflow 0
		.amdhsa_workgroup_processor_mode 1
		.amdhsa_memory_ordered 1
		.amdhsa_forward_progress 1
		.amdhsa_shared_vgpr_count 0
		.amdhsa_exception_fp_ieee_invalid_op 0
		.amdhsa_exception_fp_denorm_src 0
		.amdhsa_exception_fp_ieee_div_zero 0
		.amdhsa_exception_fp_ieee_overflow 0
		.amdhsa_exception_fp_ieee_underflow 0
		.amdhsa_exception_fp_ieee_inexact 0
		.amdhsa_exception_int_div_zero 0
	.end_amdhsa_kernel
	.section	.text._ZL23rocblas_gemvt_sn_kernelILb0ELi256ELi4ElPK19rocblas_complex_numIfES1_S1_EviiT4_lPKT3_lilS7_lilPT5_i,"axG",@progbits,_ZL23rocblas_gemvt_sn_kernelILb0ELi256ELi4ElPK19rocblas_complex_numIfES1_S1_EviiT4_lPKT3_lilS7_lilPT5_i,comdat
.Lfunc_end312:
	.size	_ZL23rocblas_gemvt_sn_kernelILb0ELi256ELi4ElPK19rocblas_complex_numIfES1_S1_EviiT4_lPKT3_lilS7_lilPT5_i, .Lfunc_end312-_ZL23rocblas_gemvt_sn_kernelILb0ELi256ELi4ElPK19rocblas_complex_numIfES1_S1_EviiT4_lPKT3_lilS7_lilPT5_i
                                        ; -- End function
	.set _ZL23rocblas_gemvt_sn_kernelILb0ELi256ELi4ElPK19rocblas_complex_numIfES1_S1_EviiT4_lPKT3_lilS7_lilPT5_i.num_vgpr, 77
	.set _ZL23rocblas_gemvt_sn_kernelILb0ELi256ELi4ElPK19rocblas_complex_numIfES1_S1_EviiT4_lPKT3_lilS7_lilPT5_i.num_agpr, 0
	.set _ZL23rocblas_gemvt_sn_kernelILb0ELi256ELi4ElPK19rocblas_complex_numIfES1_S1_EviiT4_lPKT3_lilS7_lilPT5_i.numbered_sgpr, 50
	.set _ZL23rocblas_gemvt_sn_kernelILb0ELi256ELi4ElPK19rocblas_complex_numIfES1_S1_EviiT4_lPKT3_lilS7_lilPT5_i.num_named_barrier, 0
	.set _ZL23rocblas_gemvt_sn_kernelILb0ELi256ELi4ElPK19rocblas_complex_numIfES1_S1_EviiT4_lPKT3_lilS7_lilPT5_i.private_seg_size, 48
	.set _ZL23rocblas_gemvt_sn_kernelILb0ELi256ELi4ElPK19rocblas_complex_numIfES1_S1_EviiT4_lPKT3_lilS7_lilPT5_i.uses_vcc, 1
	.set _ZL23rocblas_gemvt_sn_kernelILb0ELi256ELi4ElPK19rocblas_complex_numIfES1_S1_EviiT4_lPKT3_lilS7_lilPT5_i.uses_flat_scratch, 1
	.set _ZL23rocblas_gemvt_sn_kernelILb0ELi256ELi4ElPK19rocblas_complex_numIfES1_S1_EviiT4_lPKT3_lilS7_lilPT5_i.has_dyn_sized_stack, 0
	.set _ZL23rocblas_gemvt_sn_kernelILb0ELi256ELi4ElPK19rocblas_complex_numIfES1_S1_EviiT4_lPKT3_lilS7_lilPT5_i.has_recursion, 0
	.set _ZL23rocblas_gemvt_sn_kernelILb0ELi256ELi4ElPK19rocblas_complex_numIfES1_S1_EviiT4_lPKT3_lilS7_lilPT5_i.has_indirect_call, 0
	.section	.AMDGPU.csdata,"",@progbits
; Kernel info:
; codeLenInByte = 5560
; TotalNumSgprs: 52
; NumVgprs: 77
; ScratchSize: 48
; MemoryBound: 0
; FloatMode: 240
; IeeeMode: 1
; LDSByteSize: 256 bytes/workgroup (compile time only)
; SGPRBlocks: 0
; VGPRBlocks: 9
; NumSGPRsForWavesPerEU: 52
; NumVGPRsForWavesPerEU: 77
; Occupancy: 12
; WaveLimiterHint : 0
; COMPUTE_PGM_RSRC2:SCRATCH_EN: 1
; COMPUTE_PGM_RSRC2:USER_SGPR: 6
; COMPUTE_PGM_RSRC2:TRAP_HANDLER: 0
; COMPUTE_PGM_RSRC2:TGID_X_EN: 1
; COMPUTE_PGM_RSRC2:TGID_Y_EN: 0
; COMPUTE_PGM_RSRC2:TGID_Z_EN: 1
; COMPUTE_PGM_RSRC2:TIDIG_COMP_CNT: 0
	.section	.text._ZL23rocblas_gemvt_sn_reduceILi256ELi8E19rocblas_complex_numIfES1_KPS1_EviT2_lPT3_lilPT1_i,"axG",@progbits,_ZL23rocblas_gemvt_sn_reduceILi256ELi8E19rocblas_complex_numIfES1_KPS1_EviT2_lPT3_lilPT1_i,comdat
	.globl	_ZL23rocblas_gemvt_sn_reduceILi256ELi8E19rocblas_complex_numIfES1_KPS1_EviT2_lPT3_lilPT1_i ; -- Begin function _ZL23rocblas_gemvt_sn_reduceILi256ELi8E19rocblas_complex_numIfES1_KPS1_EviT2_lPT3_lilPT1_i
	.p2align	8
	.type	_ZL23rocblas_gemvt_sn_reduceILi256ELi8E19rocblas_complex_numIfES1_KPS1_EviT2_lPT3_lilPT1_i,@function
_ZL23rocblas_gemvt_sn_reduceILi256ELi8E19rocblas_complex_numIfES1_KPS1_EviT2_lPT3_lilPT1_i: ; @_ZL23rocblas_gemvt_sn_reduceILi256ELi8E19rocblas_complex_numIfES1_KPS1_EviT2_lPT3_lilPT1_i
; %bb.0:
	s_clause 0x2
	s_load_dwordx4 s[0:3], s[4:5], 0x18
	s_load_dwordx4 s[12:15], s[4:5], 0x0
	s_load_dword s6, s[4:5], 0x4c
	s_mov_b32 s9, 0
	v_lshlrev_b32_e32 v5, 3, v0
	s_lshl_b64 s[10:11], s[8:9], 3
	v_mov_b32_e32 v3, 0
	v_mov_b32_e32 v4, 0
	s_waitcnt lgkmcnt(0)
	s_add_u32 s0, s0, s10
	s_addc_u32 s1, s1, s11
	s_load_dwordx2 s[16:17], s[4:5], 0x38
	s_load_dwordx2 s[10:11], s[0:1], 0x0
	s_ashr_i32 s15, s12, 31
	s_mul_i32 s6, s6, s8
	s_add_u32 s0, s4, 0x48
	s_addc_u32 s1, s5, 0
	s_add_i32 s8, s6, s7
	s_lshr_b32 s6, s15, 29
	s_mul_i32 s15, s8, s15
	s_add_i32 s6, s12, s6
	s_mul_hi_u32 s18, s8, s12
	s_and_b32 s6, s6, -8
	s_add_i32 s19, s18, s15
	s_mul_i32 s18, s8, s12
	s_mov_b32 s8, exec_lo
	v_cmpx_gt_i32_e64 s6, v5
	s_cbranch_execz .LBB313_4
; %bb.1:
	s_load_dword s0, s[0:1], 0xc
	v_lshlrev_b32_e32 v1, 6, v0
	s_lshl_b64 s[20:21], s[18:19], 3
	v_mov_b32_e32 v3, 0
	v_mov_b32_e32 v4, 0
	s_waitcnt lgkmcnt(0)
	s_and_b32 s0, s0, 0xffff
	s_lshl_b32 s1, s0, 3
	s_add_u32 s15, s16, s20
	s_addc_u32 s20, s17, s21
	v_add_co_u32 v1, s15, s15, v1
	v_add_co_ci_u32_e64 v2, null, s20, 0, s15
	s_lshl_b32 s15, s0, 6
	v_add_co_u32 v1, vcc_lo, v1, 60
	v_add_co_ci_u32_e64 v2, null, 0, v2, vcc_lo
	s_inst_prefetch 0x1
	.p2align	6
.LBB313_2:                              ; =>This Inner Loop Header: Depth=1
	s_clause 0x3
	global_load_dwordx4 v[6:9], v[1:2], off offset:-60
	global_load_dwordx4 v[10:13], v[1:2], off offset:-44
	;; [unrolled: 1-line block ×4, first 2 shown]
	v_add_nc_u32_e32 v5, s1, v5
	v_add_co_u32 v1, vcc_lo, v1, s15
	v_add_co_ci_u32_e64 v2, null, 0, v2, vcc_lo
	v_cmp_le_i32_e64 s0, s6, v5
	s_or_b32 s9, s0, s9
	s_waitcnt vmcnt(3)
	v_add_f32_e32 v4, v4, v6
	v_add_f32_e32 v3, v3, v7
	v_add_f32_e32 v4, v4, v8
	v_add_f32_e32 v3, v3, v9
	s_waitcnt vmcnt(2)
	v_add_f32_e32 v4, v4, v10
	v_add_f32_e32 v3, v3, v11
	v_add_f32_e32 v4, v4, v12
	v_add_f32_e32 v3, v3, v13
	;; [unrolled: 5-line block ×4, first 2 shown]
	s_andn2_b32 exec_lo, exec_lo, s9
	s_cbranch_execnz .LBB313_2
; %bb.3:
	s_inst_prefetch 0x2
	s_or_b32 exec_lo, exec_lo, s9
.LBB313_4:
	s_or_b32 exec_lo, exec_lo, s8
	s_sub_i32 s0, s12, s6
	v_cmp_gt_u32_e32 vcc_lo, s0, v0
	s_and_saveexec_b32 s0, vcc_lo
	s_cbranch_execz .LBB313_6
; %bb.5:
	v_xad_u32 v1, v0, -1, s12
	v_mov_b32_e32 v2, 0
	s_lshl_b64 s[8:9], s[18:19], 3
	s_waitcnt lgkmcnt(0)
	s_add_u32 s1, s16, s8
	s_addc_u32 s6, s17, s9
	v_lshlrev_b64 v[1:2], 3, v[1:2]
	v_add_co_u32 v1, vcc_lo, s1, v1
	v_add_co_ci_u32_e64 v2, null, s6, v2, vcc_lo
	global_load_dwordx2 v[1:2], v[1:2], off
	s_waitcnt vmcnt(0)
	v_add_f32_e32 v4, v4, v1
	v_add_f32_e32 v3, v3, v2
.LBB313_6:
	s_or_b32 exec_lo, exec_lo, s0
	v_and_b32_e32 v1, 31, v0
	v_cmp_gt_u32_e32 vcc_lo, 32, v0
	v_lshlrev_b32_e32 v5, 3, v1
	s_and_saveexec_b32 s0, vcc_lo
; %bb.7:
	v_mov_b32_e32 v6, 0
	v_mov_b32_e32 v7, v6
	ds_write_b64 v5, v[6:7]
; %bb.8:
	s_or_b32 exec_lo, exec_lo, s0
	v_mbcnt_lo_u32_b32 v2, -1, 0
	s_mov_b32 s1, exec_lo
	s_waitcnt lgkmcnt(0)
	s_barrier
	buffer_gl0_inv
	v_lshl_or_b32 v6, v2, 2, 64
	v_cmp_gt_u32_e64 s0, 24, v2
	ds_bpermute_b32 v7, v6, v4
	ds_bpermute_b32 v6, v6, v3
	v_cndmask_b32_e64 v8, 0, 8, s0
	v_cmp_gt_u32_e64 s0, 28, v2
	v_add_lshl_u32 v8, v8, v2, 2
	s_waitcnt lgkmcnt(1)
	v_add_f32_e32 v4, v4, v7
	s_waitcnt lgkmcnt(0)
	v_add_f32_e32 v6, v3, v6
	v_cndmask_b32_e64 v3, 0, 4, s0
	v_cmp_gt_u32_e64 s0, 30, v2
	ds_bpermute_b32 v7, v8, v4
	ds_bpermute_b32 v8, v8, v6
	v_add_lshl_u32 v3, v3, v2, 2
	s_waitcnt lgkmcnt(1)
	v_add_f32_e32 v7, v4, v7
	s_waitcnt lgkmcnt(0)
	v_add_f32_e32 v6, v6, v8
	v_cndmask_b32_e64 v4, 0, 2, s0
	v_cmp_ne_u32_e64 s0, 31, v2
	ds_bpermute_b32 v8, v3, v7
	ds_bpermute_b32 v9, v3, v6
	v_add_lshl_u32 v4, v4, v2, 2
	v_add_co_ci_u32_e64 v2, null, 0, v2, s0
	s_waitcnt lgkmcnt(1)
	v_add_f32_e32 v7, v7, v8
	s_waitcnt lgkmcnt(0)
	v_add_f32_e32 v8, v6, v9
	v_lshlrev_b32_e32 v6, 2, v2
	ds_bpermute_b32 v9, v4, v7
	ds_bpermute_b32 v10, v4, v8
	s_waitcnt lgkmcnt(1)
	v_add_f32_e32 v2, v7, v9
	s_waitcnt lgkmcnt(0)
	v_add_f32_e32 v8, v8, v10
	ds_bpermute_b32 v7, v6, v2
	ds_bpermute_b32 v9, v6, v8
	v_cmpx_eq_u32_e32 0, v1
	s_cbranch_execz .LBB313_10
; %bb.9:
	v_lshrrev_b32_e32 v1, 2, v0
	s_waitcnt lgkmcnt(0)
	v_add_f32_e32 v8, v8, v9
	v_add_f32_e32 v7, v2, v7
	v_and_b32_e32 v1, 56, v1
	ds_write_b64 v1, v[7:8]
.LBB313_10:
	s_or_b32 exec_lo, exec_lo, s1
	v_mov_b32_e32 v2, 0
	v_mov_b32_e32 v1, 0
	s_mov_b32 s1, exec_lo
	s_waitcnt lgkmcnt(0)
	s_barrier
	buffer_gl0_inv
	v_cmpx_gt_u32_e32 8, v0
; %bb.11:
	ds_read_b64 v[1:2], v5
; %bb.12:
	s_or_b32 exec_lo, exec_lo, s1
	s_and_saveexec_b32 s0, vcc_lo
	s_cbranch_execz .LBB313_14
; %bb.13:
	s_waitcnt lgkmcnt(0)
	ds_bpermute_b32 v5, v3, v1
	ds_bpermute_b32 v3, v3, v2
	s_waitcnt lgkmcnt(1)
	v_add_f32_e32 v1, v1, v5
	s_waitcnt lgkmcnt(0)
	v_add_f32_e32 v2, v2, v3
	ds_bpermute_b32 v3, v4, v1
	ds_bpermute_b32 v4, v4, v2
	s_waitcnt lgkmcnt(1)
	v_add_f32_e32 v1, v1, v3
	s_waitcnt lgkmcnt(0)
	v_add_f32_e32 v2, v2, v4
	ds_bpermute_b32 v3, v6, v1
	ds_bpermute_b32 v4, v6, v2
	s_waitcnt lgkmcnt(1)
	v_add_f32_e32 v1, v1, v3
	s_waitcnt lgkmcnt(0)
	v_add_f32_e32 v2, v2, v4
.LBB313_14:
	s_or_b32 exec_lo, exec_lo, s0
	s_mov_b32 s0, exec_lo
	v_cmpx_eq_u32_e32 0, v0
	s_cbranch_execz .LBB313_18
; %bb.15:
	s_load_dword s4, s[4:5], 0x28
	v_cmp_neq_f32_e64 s5, s13, 0
	v_cmp_neq_f32_e64 s6, s14, 0
	s_lshl_b64 s[0:1], s[2:3], 3
	s_waitcnt lgkmcnt(0)
	s_ashr_i32 s8, s4, 31
	s_add_u32 s2, s10, s0
	s_addc_u32 s3, s11, s1
	s_or_b32 s0, s5, s6
	s_mul_hi_u32 s1, s4, s7
	s_mul_i32 s8, s8, s7
	s_andn2_b32 vcc_lo, exec_lo, s0
	s_add_i32 s1, s1, s8
	s_mul_i32 s0, s4, s7
	s_cbranch_vccnz .LBB313_17
; %bb.16:
	s_lshl_b64 s[4:5], s[0:1], 3
	s_add_u32 s4, s2, s4
	s_addc_u32 s5, s3, s5
	v_mov_b32_e32 v3, s4
	v_mov_b32_e32 v4, s5
	flat_load_dwordx2 v[3:4], v[3:4]
	s_waitcnt vmcnt(0) lgkmcnt(0)
	v_mul_f32_e32 v0, s14, v4
	v_mul_f32_e32 v4, s13, v4
	v_fma_f32 v0, s13, v3, -v0
	v_fmac_f32_e32 v4, s14, v3
	v_add_f32_e32 v1, v1, v0
	v_add_f32_e32 v2, v2, v4
.LBB313_17:
	s_lshl_b64 s[0:1], s[0:1], 3
	s_add_u32 s0, s2, s0
	s_addc_u32 s1, s3, s1
	v_mov_b32_e32 v4, s1
	v_mov_b32_e32 v3, s0
	flat_store_dwordx2 v[3:4], v[1:2]
.LBB313_18:
	s_endpgm
	.section	.rodata,"a",@progbits
	.p2align	6, 0x0
	.amdhsa_kernel _ZL23rocblas_gemvt_sn_reduceILi256ELi8E19rocblas_complex_numIfES1_KPS1_EviT2_lPT3_lilPT1_i
		.amdhsa_group_segment_fixed_size 256
		.amdhsa_private_segment_fixed_size 0
		.amdhsa_kernarg_size 328
		.amdhsa_user_sgpr_count 6
		.amdhsa_user_sgpr_private_segment_buffer 1
		.amdhsa_user_sgpr_dispatch_ptr 0
		.amdhsa_user_sgpr_queue_ptr 0
		.amdhsa_user_sgpr_kernarg_segment_ptr 1
		.amdhsa_user_sgpr_dispatch_id 0
		.amdhsa_user_sgpr_flat_scratch_init 0
		.amdhsa_user_sgpr_private_segment_size 0
		.amdhsa_wavefront_size32 1
		.amdhsa_uses_dynamic_stack 0
		.amdhsa_system_sgpr_private_segment_wavefront_offset 0
		.amdhsa_system_sgpr_workgroup_id_x 1
		.amdhsa_system_sgpr_workgroup_id_y 1
		.amdhsa_system_sgpr_workgroup_id_z 1
		.amdhsa_system_sgpr_workgroup_info 0
		.amdhsa_system_vgpr_workitem_id 0
		.amdhsa_next_free_vgpr 22
		.amdhsa_next_free_sgpr 22
		.amdhsa_reserve_vcc 1
		.amdhsa_reserve_flat_scratch 0
		.amdhsa_float_round_mode_32 0
		.amdhsa_float_round_mode_16_64 0
		.amdhsa_float_denorm_mode_32 3
		.amdhsa_float_denorm_mode_16_64 3
		.amdhsa_dx10_clamp 1
		.amdhsa_ieee_mode 1
		.amdhsa_fp16_overflow 0
		.amdhsa_workgroup_processor_mode 1
		.amdhsa_memory_ordered 1
		.amdhsa_forward_progress 1
		.amdhsa_shared_vgpr_count 0
		.amdhsa_exception_fp_ieee_invalid_op 0
		.amdhsa_exception_fp_denorm_src 0
		.amdhsa_exception_fp_ieee_div_zero 0
		.amdhsa_exception_fp_ieee_overflow 0
		.amdhsa_exception_fp_ieee_underflow 0
		.amdhsa_exception_fp_ieee_inexact 0
		.amdhsa_exception_int_div_zero 0
	.end_amdhsa_kernel
	.section	.text._ZL23rocblas_gemvt_sn_reduceILi256ELi8E19rocblas_complex_numIfES1_KPS1_EviT2_lPT3_lilPT1_i,"axG",@progbits,_ZL23rocblas_gemvt_sn_reduceILi256ELi8E19rocblas_complex_numIfES1_KPS1_EviT2_lPT3_lilPT1_i,comdat
.Lfunc_end313:
	.size	_ZL23rocblas_gemvt_sn_reduceILi256ELi8E19rocblas_complex_numIfES1_KPS1_EviT2_lPT3_lilPT1_i, .Lfunc_end313-_ZL23rocblas_gemvt_sn_reduceILi256ELi8E19rocblas_complex_numIfES1_KPS1_EviT2_lPT3_lilPT1_i
                                        ; -- End function
	.set _ZL23rocblas_gemvt_sn_reduceILi256ELi8E19rocblas_complex_numIfES1_KPS1_EviT2_lPT3_lilPT1_i.num_vgpr, 22
	.set _ZL23rocblas_gemvt_sn_reduceILi256ELi8E19rocblas_complex_numIfES1_KPS1_EviT2_lPT3_lilPT1_i.num_agpr, 0
	.set _ZL23rocblas_gemvt_sn_reduceILi256ELi8E19rocblas_complex_numIfES1_KPS1_EviT2_lPT3_lilPT1_i.numbered_sgpr, 22
	.set _ZL23rocblas_gemvt_sn_reduceILi256ELi8E19rocblas_complex_numIfES1_KPS1_EviT2_lPT3_lilPT1_i.num_named_barrier, 0
	.set _ZL23rocblas_gemvt_sn_reduceILi256ELi8E19rocblas_complex_numIfES1_KPS1_EviT2_lPT3_lilPT1_i.private_seg_size, 0
	.set _ZL23rocblas_gemvt_sn_reduceILi256ELi8E19rocblas_complex_numIfES1_KPS1_EviT2_lPT3_lilPT1_i.uses_vcc, 1
	.set _ZL23rocblas_gemvt_sn_reduceILi256ELi8E19rocblas_complex_numIfES1_KPS1_EviT2_lPT3_lilPT1_i.uses_flat_scratch, 0
	.set _ZL23rocblas_gemvt_sn_reduceILi256ELi8E19rocblas_complex_numIfES1_KPS1_EviT2_lPT3_lilPT1_i.has_dyn_sized_stack, 0
	.set _ZL23rocblas_gemvt_sn_reduceILi256ELi8E19rocblas_complex_numIfES1_KPS1_EviT2_lPT3_lilPT1_i.has_recursion, 0
	.set _ZL23rocblas_gemvt_sn_reduceILi256ELi8E19rocblas_complex_numIfES1_KPS1_EviT2_lPT3_lilPT1_i.has_indirect_call, 0
	.section	.AMDGPU.csdata,"",@progbits
; Kernel info:
; codeLenInByte = 1196
; TotalNumSgprs: 24
; NumVgprs: 22
; ScratchSize: 0
; MemoryBound: 0
; FloatMode: 240
; IeeeMode: 1
; LDSByteSize: 256 bytes/workgroup (compile time only)
; SGPRBlocks: 0
; VGPRBlocks: 2
; NumSGPRsForWavesPerEU: 24
; NumVGPRsForWavesPerEU: 22
; Occupancy: 16
; WaveLimiterHint : 1
; COMPUTE_PGM_RSRC2:SCRATCH_EN: 0
; COMPUTE_PGM_RSRC2:USER_SGPR: 6
; COMPUTE_PGM_RSRC2:TRAP_HANDLER: 0
; COMPUTE_PGM_RSRC2:TGID_X_EN: 1
; COMPUTE_PGM_RSRC2:TGID_Y_EN: 1
; COMPUTE_PGM_RSRC2:TGID_Z_EN: 1
; COMPUTE_PGM_RSRC2:TIDIG_COMP_CNT: 0
	.section	.text._ZL32rocblas_gemvt_warp_reduce_kernelILb0ELi256EiPK19rocblas_complex_numIfES3_KPS1_EviiT3_lPKT2_lT1_lS9_lSA_lS6_lPT4_lSA_li,"axG",@progbits,_ZL32rocblas_gemvt_warp_reduce_kernelILb0ELi256EiPK19rocblas_complex_numIfES3_KPS1_EviiT3_lPKT2_lT1_lS9_lSA_lS6_lPT4_lSA_li,comdat
	.globl	_ZL32rocblas_gemvt_warp_reduce_kernelILb0ELi256EiPK19rocblas_complex_numIfES3_KPS1_EviiT3_lPKT2_lT1_lS9_lSA_lS6_lPT4_lSA_li ; -- Begin function _ZL32rocblas_gemvt_warp_reduce_kernelILb0ELi256EiPK19rocblas_complex_numIfES3_KPS1_EviiT3_lPKT2_lT1_lS9_lSA_lS6_lPT4_lSA_li
	.p2align	8
	.type	_ZL32rocblas_gemvt_warp_reduce_kernelILb0ELi256EiPK19rocblas_complex_numIfES3_KPS1_EviiT3_lPKT2_lT1_lS9_lSA_lS6_lPT4_lSA_li,@function
_ZL32rocblas_gemvt_warp_reduce_kernelILb0ELi256EiPK19rocblas_complex_numIfES3_KPS1_EviiT3_lPKT2_lT1_lS9_lSA_lS6_lPT4_lSA_li: ; @_ZL32rocblas_gemvt_warp_reduce_kernelILb0ELi256EiPK19rocblas_complex_numIfES3_KPS1_EviiT3_lPKT2_lT1_lS9_lSA_lS6_lPT4_lSA_li
; %bb.0:
	s_clause 0x1
	s_load_dwordx8 s[16:23], s[4:5], 0x8
	s_load_dwordx8 s[8:15], s[4:5], 0x58
	s_mov_b32 s0, s7
	s_waitcnt lgkmcnt(0)
	s_mul_i32 s1, s19, s7
	s_mul_hi_u32 s3, s18, s7
	s_mul_i32 s2, s18, s7
	s_add_i32 s3, s3, s1
	s_mul_i32 s1, s11, s7
	s_lshl_b64 s[2:3], s[2:3], 3
	s_add_u32 s2, s16, s2
	s_addc_u32 s3, s17, s3
	s_load_dwordx2 s[16:17], s[2:3], 0x0
	s_mul_hi_u32 s3, s10, s7
	s_mul_i32 s2, s10, s7
	s_add_i32 s3, s3, s1
	s_lshl_b64 s[2:3], s[2:3], 3
	s_add_u32 s2, s8, s2
	s_addc_u32 s3, s9, s3
	s_load_dwordx2 s[2:3], s[2:3], 0x0
	s_waitcnt lgkmcnt(0)
	v_cmp_neq_f32_e64 s1, s16, 0
	v_cmp_neq_f32_e64 s7, s17, 0
	s_or_b32 s7, s1, s7
	s_mov_b32 s1, 0
	s_and_b32 vcc_lo, exec_lo, s7
	s_mov_b32 s7, -1
	s_cbranch_vccnz .LBB314_2
; %bb.1:
	v_cmp_neq_f32_e64 s7, s2, 1.0
	v_cmp_neq_f32_e64 s8, s3, 0
	s_or_b32 s7, s7, s8
.LBB314_2:
	s_andn2_b32 vcc_lo, exec_lo, s7
	s_cbranch_vccnz .LBB314_32
; %bb.3:
	s_or_b32 s7, s16, s17
	s_mov_b64 s[10:11], 0
	s_and_b32 s8, s7, 0x7fffffff
	s_cmp_lg_u32 s8, 0
	s_cselect_b32 s7, -1, 0
	s_cmp_eq_u32 s8, 0
	s_mov_b64 s[8:9], 0
	s_cselect_b32 s18, -1, 0
	s_and_b32 vcc_lo, exec_lo, s18
	s_cbranch_vccnz .LBB314_5
; %bb.4:
	s_lshl_b64 s[10:11], s[0:1], 3
	s_add_u32 s10, s20, s10
	s_addc_u32 s11, s21, s11
	s_lshl_b64 s[20:21], s[22:23], 3
	s_load_dwordx2 s[10:11], s[10:11], 0x0
	s_waitcnt lgkmcnt(0)
	s_add_u32 s10, s10, s20
	s_addc_u32 s11, s11, s21
.LBB314_5:
	s_andn2_b32 vcc_lo, exec_lo, s7
	s_cbranch_vccnz .LBB314_7
; %bb.6:
	s_load_dwordx4 s[20:23], s[4:5], 0x38
	s_lshl_b64 s[8:9], s[0:1], 3
	s_waitcnt lgkmcnt(0)
	s_add_u32 s8, s20, s8
	s_addc_u32 s9, s21, s9
	s_lshl_b64 s[20:21], s[22:23], 3
	s_load_dwordx2 s[8:9], s[8:9], 0x0
	s_waitcnt lgkmcnt(0)
	s_add_u32 s8, s8, s20
	s_addc_u32 s9, s9, s21
.LBB314_7:
	s_lshl_b64 s[0:1], s[0:1], 3
	s_add_u32 s0, s12, s0
	s_addc_u32 s1, s13, s1
	s_lshl_b64 s[14:15], s[14:15], 3
	s_load_dwordx2 s[20:21], s[0:1], 0x0
	s_load_dword s13, s[4:5], 0x78
	v_cmp_eq_u32_e64 s0, 0, v0
	s_waitcnt lgkmcnt(0)
	s_add_u32 s7, s20, s14
	s_addc_u32 s12, s21, s15
	s_andn2_b32 vcc_lo, exec_lo, s18
	s_mov_b32 s14, -1
	s_cbranch_vccnz .LBB314_13
; %bb.8:
	s_mov_b32 s14, 0
	s_and_saveexec_b32 s15, s0
	s_cbranch_execz .LBB314_12
; %bb.9:
	v_cmp_neq_f32_e64 s0, s2, 0
	v_cmp_neq_f32_e64 s1, s3, 0
	v_mov_b32_e32 v1, 0
	v_mov_b32_e32 v2, 0
	s_or_b32 s1, s0, s1
	s_mul_i32 s0, s13, s6
	s_andn2_b32 vcc_lo, exec_lo, s1
	s_ashr_i32 s1, s0, 31
	s_cbranch_vccnz .LBB314_11
; %bb.10:
	s_lshl_b64 s[18:19], s[0:1], 3
	s_add_u32 s18, s7, s18
	s_addc_u32 s19, s12, s19
	v_mov_b32_e32 v1, s18
	v_mov_b32_e32 v2, s19
	flat_load_dwordx2 v[3:4], v[1:2]
	s_waitcnt vmcnt(0) lgkmcnt(0)
	v_mul_f32_e32 v1, s3, v4
	v_mul_f32_e32 v2, s2, v4
	v_fma_f32 v1, s2, v3, -v1
	v_fmac_f32_e32 v2, s3, v3
.LBB314_11:
	s_lshl_b64 s[0:1], s[0:1], 3
	s_add_u32 s0, s7, s0
	s_addc_u32 s1, s12, s1
	v_mov_b32_e32 v4, s1
	v_mov_b32_e32 v3, s0
	flat_store_dwordx2 v[3:4], v[1:2]
.LBB314_12:
	s_or_b32 exec_lo, exec_lo, s15
.LBB314_13:
	s_andn2_b32 vcc_lo, exec_lo, s14
	s_cbranch_vccnz .LBB314_32
; %bb.14:
	s_clause 0x2
	s_load_dword s14, s[4:5], 0x0
	s_load_dword s0, s[4:5], 0x28
	;; [unrolled: 1-line block ×3, first 2 shown]
	v_mov_b32_e32 v7, 0
	v_mov_b32_e32 v8, 0
	s_waitcnt lgkmcnt(0)
	v_cmp_gt_i32_e32 vcc_lo, s14, v0
	s_mul_i32 s4, s0, s6
	s_ashr_i32 s0, s14, 31
	s_ashr_i32 s5, s4, 31
	s_lshr_b32 s0, s0, 24
	v_cndmask_b32_e32 v1, 0, v0, vcc_lo
	s_add_i32 s0, s14, s0
	s_lshl_b64 s[18:19], s[4:5], 3
	s_and_b32 s4, s0, 0xffffff00
	s_mov_b32 s5, 0
	v_lshlrev_b32_e32 v1, 3, v1
	v_add_co_u32 v1, s0, s10, v1
	v_add_co_ci_u32_e64 v2, null, s11, 0, s0
	v_add_co_u32 v1, s0, v1, s18
	v_add_co_ci_u32_e64 v2, null, s19, v2, s0
	s_mov_b32 s0, exec_lo
	v_cmpx_gt_i32_e64 s4, v0
	s_cbranch_execz .LBB314_18
; %bb.15:
	v_mul_lo_u32 v3, v0, s1
	v_mov_b32_e32 v6, v2
	v_mov_b32_e32 v7, 0
	;; [unrolled: 1-line block ×5, first 2 shown]
	s_lshl_b32 s10, s1, 8
	.p2align	6
.LBB314_16:                             ; =>This Inner Loop Header: Depth=1
	v_ashrrev_i32_e32 v4, 31, v3
	v_add_nc_u32_e32 v9, 0x100, v9
	v_lshlrev_b64 v[10:11], 3, v[3:4]
	v_add_nc_u32_e32 v3, s10, v3
	v_add_co_u32 v10, vcc_lo, s8, v10
	v_add_co_ci_u32_e64 v11, null, s9, v11, vcc_lo
	flat_load_dwordx2 v[12:13], v[5:6]
	flat_load_dwordx2 v[10:11], v[10:11]
	v_add_co_u32 v5, vcc_lo, 0x800, v5
	v_add_co_ci_u32_e64 v6, null, 0, v6, vcc_lo
	v_cmp_le_i32_e32 vcc_lo, s4, v9
	s_or_b32 s5, vcc_lo, s5
	s_waitcnt vmcnt(0) lgkmcnt(0)
	v_mul_f32_e32 v4, v11, v13
	v_mul_f32_e32 v13, v10, v13
	v_fma_f32 v4, v10, v12, -v4
	v_fmac_f32_e32 v13, v11, v12
	v_add_f32_e32 v8, v8, v4
	v_add_f32_e32 v7, v7, v13
	s_andn2_b32 exec_lo, exec_lo, s5
	s_cbranch_execnz .LBB314_16
; %bb.17:
	s_or_b32 exec_lo, exec_lo, s5
.LBB314_18:
	s_or_b32 exec_lo, exec_lo, s0
	v_add_nc_u32_e32 v3, s4, v0
	s_mov_b32 s0, exec_lo
	v_cmpx_gt_i32_e64 s14, v3
	s_cbranch_execz .LBB314_20
; %bb.19:
	v_mul_lo_u32 v3, s1, v3
	s_ashr_i32 s5, s4, 31
	s_lshl_b64 s[4:5], s[4:5], 3
	v_add_co_u32 v1, vcc_lo, v1, s4
	v_add_co_ci_u32_e64 v2, null, s5, v2, vcc_lo
	v_ashrrev_i32_e32 v4, 31, v3
	v_lshlrev_b64 v[3:4], 3, v[3:4]
	v_add_co_u32 v3, vcc_lo, s8, v3
	v_add_co_ci_u32_e64 v4, null, s9, v4, vcc_lo
	flat_load_dwordx2 v[1:2], v[1:2]
	flat_load_dwordx2 v[3:4], v[3:4]
	s_waitcnt vmcnt(0) lgkmcnt(0)
	v_mul_f32_e32 v5, v4, v2
	v_mul_f32_e32 v2, v3, v2
	v_fma_f32 v3, v3, v1, -v5
	v_fmac_f32_e32 v2, v4, v1
	v_add_f32_e32 v8, v8, v3
	v_add_f32_e32 v7, v7, v2
.LBB314_20:
	s_or_b32 exec_lo, exec_lo, s0
	v_and_b32_e32 v1, 31, v0
	v_cmp_gt_u32_e32 vcc_lo, 32, v0
	v_lshlrev_b32_e32 v3, 3, v1
	s_and_saveexec_b32 s0, vcc_lo
; %bb.21:
	v_mov_b32_e32 v4, 0
	v_mov_b32_e32 v5, v4
	ds_write_b64 v3, v[4:5]
; %bb.22:
	s_or_b32 exec_lo, exec_lo, s0
	v_mbcnt_lo_u32_b32 v2, -1, 0
	s_mov_b32 s1, exec_lo
	s_waitcnt lgkmcnt(0)
	s_waitcnt_vscnt null, 0x0
	s_barrier
	buffer_gl0_inv
	v_lshl_or_b32 v4, v2, 2, 64
	v_cmp_gt_u32_e64 s0, 24, v2
	ds_bpermute_b32 v5, v4, v8
	ds_bpermute_b32 v4, v4, v7
	v_cndmask_b32_e64 v6, 0, 8, s0
	v_cmp_gt_u32_e64 s0, 28, v2
	v_add_lshl_u32 v6, v6, v2, 2
	s_waitcnt lgkmcnt(1)
	v_add_f32_e32 v5, v8, v5
	s_waitcnt lgkmcnt(0)
	v_add_f32_e32 v7, v7, v4
	v_cndmask_b32_e64 v4, 0, 4, s0
	v_cmp_gt_u32_e64 s0, 30, v2
	ds_bpermute_b32 v8, v6, v5
	ds_bpermute_b32 v6, v6, v7
	v_add_lshl_u32 v4, v4, v2, 2
	s_waitcnt lgkmcnt(1)
	v_add_f32_e32 v8, v5, v8
	s_waitcnt lgkmcnt(0)
	v_add_f32_e32 v6, v7, v6
	v_cndmask_b32_e64 v5, 0, 2, s0
	v_cmp_ne_u32_e64 s0, 31, v2
	ds_bpermute_b32 v7, v4, v8
	ds_bpermute_b32 v9, v4, v6
	v_add_lshl_u32 v5, v5, v2, 2
	v_add_co_ci_u32_e64 v2, null, 0, v2, s0
	s_waitcnt lgkmcnt(1)
	v_add_f32_e32 v7, v8, v7
	s_waitcnt lgkmcnt(0)
	v_add_f32_e32 v8, v6, v9
	v_lshlrev_b32_e32 v6, 2, v2
	ds_bpermute_b32 v9, v5, v7
	ds_bpermute_b32 v10, v5, v8
	s_waitcnt lgkmcnt(1)
	v_add_f32_e32 v2, v7, v9
	s_waitcnt lgkmcnt(0)
	v_add_f32_e32 v8, v8, v10
	ds_bpermute_b32 v7, v6, v2
	ds_bpermute_b32 v9, v6, v8
	v_cmpx_eq_u32_e32 0, v1
	s_cbranch_execz .LBB314_24
; %bb.23:
	v_lshrrev_b32_e32 v1, 2, v0
	s_waitcnt lgkmcnt(0)
	v_add_f32_e32 v8, v8, v9
	v_add_f32_e32 v7, v2, v7
	v_and_b32_e32 v1, 56, v1
	ds_write_b64 v1, v[7:8]
.LBB314_24:
	s_or_b32 exec_lo, exec_lo, s1
	v_mov_b32_e32 v2, 0
	v_mov_b32_e32 v1, 0
	s_mov_b32 s1, exec_lo
	s_waitcnt lgkmcnt(0)
	s_barrier
	buffer_gl0_inv
	v_cmpx_gt_u32_e32 8, v0
; %bb.25:
	ds_read_b64 v[1:2], v3
; %bb.26:
	s_or_b32 exec_lo, exec_lo, s1
	s_and_saveexec_b32 s0, vcc_lo
	s_cbranch_execz .LBB314_28
; %bb.27:
	s_waitcnt lgkmcnt(0)
	ds_bpermute_b32 v3, v4, v1
	ds_bpermute_b32 v4, v4, v2
	s_waitcnt lgkmcnt(1)
	v_add_f32_e32 v1, v1, v3
	s_waitcnt lgkmcnt(0)
	v_add_f32_e32 v2, v2, v4
	ds_bpermute_b32 v3, v5, v1
	ds_bpermute_b32 v4, v5, v2
	s_waitcnt lgkmcnt(1)
	v_add_f32_e32 v1, v1, v3
	s_waitcnt lgkmcnt(0)
	v_add_f32_e32 v2, v2, v4
	;; [unrolled: 6-line block ×3, first 2 shown]
.LBB314_28:
	s_or_b32 exec_lo, exec_lo, s0
	s_mov_b32 s0, exec_lo
	v_cmpx_eq_u32_e32 0, v0
	s_cbranch_execz .LBB314_32
; %bb.29:
	s_waitcnt lgkmcnt(0)
	v_mul_f32_e32 v0, s17, v2
	v_mul_f32_e32 v3, s16, v2
	v_cmp_neq_f32_e64 s0, s2, 0
	v_cmp_neq_f32_e64 s1, s3, 0
	v_fma_f32 v2, v1, s16, -v0
	v_fmac_f32_e32 v3, s17, v1
	s_or_b32 s1, s0, s1
	s_mul_i32 s0, s13, s6
	s_andn2_b32 vcc_lo, exec_lo, s1
	s_ashr_i32 s1, s0, 31
	s_cbranch_vccnz .LBB314_31
; %bb.30:
	s_lshl_b64 s[4:5], s[0:1], 3
	s_add_u32 s4, s7, s4
	s_addc_u32 s5, s12, s5
	v_mov_b32_e32 v0, s4
	v_mov_b32_e32 v1, s5
	flat_load_dwordx2 v[0:1], v[0:1]
	s_waitcnt vmcnt(0) lgkmcnt(0)
	v_mul_f32_e32 v4, s3, v1
	v_mul_f32_e32 v1, s2, v1
	v_fma_f32 v4, s2, v0, -v4
	v_fmac_f32_e32 v1, s3, v0
	v_add_f32_e32 v2, v2, v4
	v_add_f32_e32 v3, v3, v1
.LBB314_31:
	s_lshl_b64 s[0:1], s[0:1], 3
	s_add_u32 s0, s7, s0
	s_addc_u32 s1, s12, s1
	v_mov_b32_e32 v0, s0
	v_mov_b32_e32 v1, s1
	flat_store_dwordx2 v[0:1], v[2:3]
.LBB314_32:
	s_endpgm
	.section	.rodata,"a",@progbits
	.p2align	6, 0x0
	.amdhsa_kernel _ZL32rocblas_gemvt_warp_reduce_kernelILb0ELi256EiPK19rocblas_complex_numIfES3_KPS1_EviiT3_lPKT2_lT1_lS9_lSA_lS6_lPT4_lSA_li
		.amdhsa_group_segment_fixed_size 256
		.amdhsa_private_segment_fixed_size 0
		.amdhsa_kernarg_size 140
		.amdhsa_user_sgpr_count 6
		.amdhsa_user_sgpr_private_segment_buffer 1
		.amdhsa_user_sgpr_dispatch_ptr 0
		.amdhsa_user_sgpr_queue_ptr 0
		.amdhsa_user_sgpr_kernarg_segment_ptr 1
		.amdhsa_user_sgpr_dispatch_id 0
		.amdhsa_user_sgpr_flat_scratch_init 0
		.amdhsa_user_sgpr_private_segment_size 0
		.amdhsa_wavefront_size32 1
		.amdhsa_uses_dynamic_stack 0
		.amdhsa_system_sgpr_private_segment_wavefront_offset 0
		.amdhsa_system_sgpr_workgroup_id_x 1
		.amdhsa_system_sgpr_workgroup_id_y 0
		.amdhsa_system_sgpr_workgroup_id_z 1
		.amdhsa_system_sgpr_workgroup_info 0
		.amdhsa_system_vgpr_workitem_id 0
		.amdhsa_next_free_vgpr 14
		.amdhsa_next_free_sgpr 24
		.amdhsa_reserve_vcc 1
		.amdhsa_reserve_flat_scratch 0
		.amdhsa_float_round_mode_32 0
		.amdhsa_float_round_mode_16_64 0
		.amdhsa_float_denorm_mode_32 3
		.amdhsa_float_denorm_mode_16_64 3
		.amdhsa_dx10_clamp 1
		.amdhsa_ieee_mode 1
		.amdhsa_fp16_overflow 0
		.amdhsa_workgroup_processor_mode 1
		.amdhsa_memory_ordered 1
		.amdhsa_forward_progress 1
		.amdhsa_shared_vgpr_count 0
		.amdhsa_exception_fp_ieee_invalid_op 0
		.amdhsa_exception_fp_denorm_src 0
		.amdhsa_exception_fp_ieee_div_zero 0
		.amdhsa_exception_fp_ieee_overflow 0
		.amdhsa_exception_fp_ieee_underflow 0
		.amdhsa_exception_fp_ieee_inexact 0
		.amdhsa_exception_int_div_zero 0
	.end_amdhsa_kernel
	.section	.text._ZL32rocblas_gemvt_warp_reduce_kernelILb0ELi256EiPK19rocblas_complex_numIfES3_KPS1_EviiT3_lPKT2_lT1_lS9_lSA_lS6_lPT4_lSA_li,"axG",@progbits,_ZL32rocblas_gemvt_warp_reduce_kernelILb0ELi256EiPK19rocblas_complex_numIfES3_KPS1_EviiT3_lPKT2_lT1_lS9_lSA_lS6_lPT4_lSA_li,comdat
.Lfunc_end314:
	.size	_ZL32rocblas_gemvt_warp_reduce_kernelILb0ELi256EiPK19rocblas_complex_numIfES3_KPS1_EviiT3_lPKT2_lT1_lS9_lSA_lS6_lPT4_lSA_li, .Lfunc_end314-_ZL32rocblas_gemvt_warp_reduce_kernelILb0ELi256EiPK19rocblas_complex_numIfES3_KPS1_EviiT3_lPKT2_lT1_lS9_lSA_lS6_lPT4_lSA_li
                                        ; -- End function
	.set _ZL32rocblas_gemvt_warp_reduce_kernelILb0ELi256EiPK19rocblas_complex_numIfES3_KPS1_EviiT3_lPKT2_lT1_lS9_lSA_lS6_lPT4_lSA_li.num_vgpr, 14
	.set _ZL32rocblas_gemvt_warp_reduce_kernelILb0ELi256EiPK19rocblas_complex_numIfES3_KPS1_EviiT3_lPKT2_lT1_lS9_lSA_lS6_lPT4_lSA_li.num_agpr, 0
	.set _ZL32rocblas_gemvt_warp_reduce_kernelILb0ELi256EiPK19rocblas_complex_numIfES3_KPS1_EviiT3_lPKT2_lT1_lS9_lSA_lS6_lPT4_lSA_li.numbered_sgpr, 24
	.set _ZL32rocblas_gemvt_warp_reduce_kernelILb0ELi256EiPK19rocblas_complex_numIfES3_KPS1_EviiT3_lPKT2_lT1_lS9_lSA_lS6_lPT4_lSA_li.num_named_barrier, 0
	.set _ZL32rocblas_gemvt_warp_reduce_kernelILb0ELi256EiPK19rocblas_complex_numIfES3_KPS1_EviiT3_lPKT2_lT1_lS9_lSA_lS6_lPT4_lSA_li.private_seg_size, 0
	.set _ZL32rocblas_gemvt_warp_reduce_kernelILb0ELi256EiPK19rocblas_complex_numIfES3_KPS1_EviiT3_lPKT2_lT1_lS9_lSA_lS6_lPT4_lSA_li.uses_vcc, 1
	.set _ZL32rocblas_gemvt_warp_reduce_kernelILb0ELi256EiPK19rocblas_complex_numIfES3_KPS1_EviiT3_lPKT2_lT1_lS9_lSA_lS6_lPT4_lSA_li.uses_flat_scratch, 0
	.set _ZL32rocblas_gemvt_warp_reduce_kernelILb0ELi256EiPK19rocblas_complex_numIfES3_KPS1_EviiT3_lPKT2_lT1_lS9_lSA_lS6_lPT4_lSA_li.has_dyn_sized_stack, 0
	.set _ZL32rocblas_gemvt_warp_reduce_kernelILb0ELi256EiPK19rocblas_complex_numIfES3_KPS1_EviiT3_lPKT2_lT1_lS9_lSA_lS6_lPT4_lSA_li.has_recursion, 0
	.set _ZL32rocblas_gemvt_warp_reduce_kernelILb0ELi256EiPK19rocblas_complex_numIfES3_KPS1_EviiT3_lPKT2_lT1_lS9_lSA_lS6_lPT4_lSA_li.has_indirect_call, 0
	.section	.AMDGPU.csdata,"",@progbits
; Kernel info:
; codeLenInByte = 1640
; TotalNumSgprs: 26
; NumVgprs: 14
; ScratchSize: 0
; MemoryBound: 0
; FloatMode: 240
; IeeeMode: 1
; LDSByteSize: 256 bytes/workgroup (compile time only)
; SGPRBlocks: 0
; VGPRBlocks: 1
; NumSGPRsForWavesPerEU: 26
; NumVGPRsForWavesPerEU: 14
; Occupancy: 16
; WaveLimiterHint : 1
; COMPUTE_PGM_RSRC2:SCRATCH_EN: 0
; COMPUTE_PGM_RSRC2:USER_SGPR: 6
; COMPUTE_PGM_RSRC2:TRAP_HANDLER: 0
; COMPUTE_PGM_RSRC2:TGID_X_EN: 1
; COMPUTE_PGM_RSRC2:TGID_Y_EN: 0
; COMPUTE_PGM_RSRC2:TGID_Z_EN: 1
; COMPUTE_PGM_RSRC2:TIDIG_COMP_CNT: 0
	.section	.text._ZL32rocblas_gemvt_warp_reduce_kernelILb0ELi256ElPK19rocblas_complex_numIfES3_KPS1_EviiT3_lPKT2_lT1_lS9_lSA_lS6_lPT4_lSA_li,"axG",@progbits,_ZL32rocblas_gemvt_warp_reduce_kernelILb0ELi256ElPK19rocblas_complex_numIfES3_KPS1_EviiT3_lPKT2_lT1_lS9_lSA_lS6_lPT4_lSA_li,comdat
	.globl	_ZL32rocblas_gemvt_warp_reduce_kernelILb0ELi256ElPK19rocblas_complex_numIfES3_KPS1_EviiT3_lPKT2_lT1_lS9_lSA_lS6_lPT4_lSA_li ; -- Begin function _ZL32rocblas_gemvt_warp_reduce_kernelILb0ELi256ElPK19rocblas_complex_numIfES3_KPS1_EviiT3_lPKT2_lT1_lS9_lSA_lS6_lPT4_lSA_li
	.p2align	8
	.type	_ZL32rocblas_gemvt_warp_reduce_kernelILb0ELi256ElPK19rocblas_complex_numIfES3_KPS1_EviiT3_lPKT2_lT1_lS9_lSA_lS6_lPT4_lSA_li,@function
_ZL32rocblas_gemvt_warp_reduce_kernelILb0ELi256ElPK19rocblas_complex_numIfES3_KPS1_EviiT3_lPKT2_lT1_lS9_lSA_lS6_lPT4_lSA_li: ; @_ZL32rocblas_gemvt_warp_reduce_kernelILb0ELi256ElPK19rocblas_complex_numIfES3_KPS1_EviiT3_lPKT2_lT1_lS9_lSA_lS6_lPT4_lSA_li
; %bb.0:
	s_clause 0x1
	s_load_dwordx8 s[16:23], s[4:5], 0x8
	s_load_dwordx8 s[8:15], s[4:5], 0x58
	s_mov_b32 s28, s7
	s_mov_b32 s29, 0
	s_waitcnt lgkmcnt(0)
	s_mul_i32 s1, s19, s7
	s_mul_hi_u32 s2, s18, s7
	s_mul_i32 s0, s18, s7
	s_add_i32 s1, s2, s1
	s_mul_hi_u32 s2, s10, s7
	s_lshl_b64 s[0:1], s[0:1], 3
	s_add_u32 s0, s16, s0
	s_addc_u32 s1, s17, s1
	s_load_dwordx2 s[16:17], s[0:1], 0x0
	s_mul_i32 s1, s11, s7
	s_mul_i32 s0, s10, s7
	s_add_i32 s1, s2, s1
	s_lshl_b64 s[0:1], s[0:1], 3
	s_add_u32 s0, s8, s0
	s_addc_u32 s1, s9, s1
	s_load_dwordx2 s[8:9], s[0:1], 0x0
	s_waitcnt lgkmcnt(0)
	v_cmp_neq_f32_e64 s0, s16, 0
	v_cmp_neq_f32_e64 s1, s17, 0
	s_or_b32 s0, s0, s1
	s_and_b32 vcc_lo, exec_lo, s0
	s_mov_b32 s0, -1
	s_cbranch_vccnz .LBB315_2
; %bb.1:
	v_cmp_neq_f32_e64 s0, s8, 1.0
	v_cmp_neq_f32_e64 s1, s9, 0
	s_or_b32 s0, s0, s1
.LBB315_2:
	s_andn2_b32 vcc_lo, exec_lo, s0
	s_cbranch_vccnz .LBB315_32
; %bb.3:
	s_clause 0x1
	s_load_dwordx2 s[24:25], s[4:5], 0x28
	s_load_dwordx2 s[10:11], s[4:5], 0x78
	s_or_b32 s0, s16, s17
	s_mov_b64 s[18:19], 0
	s_bitset0_b32 s0, 31
	s_mov_b64 s[26:27], 0
	s_cmp_lg_u32 s0, 0
	s_cselect_b32 s7, -1, 0
	s_cmp_eq_u32 s0, 0
	s_cselect_b32 s30, -1, 0
	s_and_b32 vcc_lo, exec_lo, s30
	s_cbranch_vccnz .LBB315_5
; %bb.4:
	s_lshl_b64 s[0:1], s[28:29], 3
	s_add_u32 s0, s20, s0
	s_addc_u32 s1, s21, s1
	s_lshl_b64 s[2:3], s[22:23], 3
	s_load_dwordx2 s[0:1], s[0:1], 0x0
	s_waitcnt lgkmcnt(0)
	s_add_u32 s26, s0, s2
	s_addc_u32 s27, s1, s3
.LBB315_5:
	s_clause 0x1
	s_load_dwordx4 s[0:3], s[4:5], 0x38
	s_load_dwordx2 s[20:21], s[4:5], 0x48
	s_andn2_b32 vcc_lo, exec_lo, s7
	s_cbranch_vccnz .LBB315_7
; %bb.6:
	s_lshl_b64 s[18:19], s[28:29], 3
	s_waitcnt lgkmcnt(0)
	s_add_u32 s0, s0, s18
	s_addc_u32 s1, s1, s19
	s_lshl_b64 s[2:3], s[2:3], 3
	s_load_dwordx2 s[0:1], s[0:1], 0x0
	s_waitcnt lgkmcnt(0)
	s_add_u32 s18, s0, s2
	s_addc_u32 s19, s1, s3
.LBB315_7:
	s_waitcnt lgkmcnt(0)
	s_lshl_b64 s[0:1], s[28:29], 3
	s_add_u32 s0, s12, s0
	s_addc_u32 s1, s13, s1
	s_lshl_b64 s[12:13], s[14:15], 3
	s_load_dwordx2 s[2:3], s[0:1], 0x0
	v_cmp_eq_u32_e64 s0, 0, v0
	s_waitcnt lgkmcnt(0)
	s_add_u32 s7, s2, s12
	s_addc_u32 s12, s3, s13
	s_andn2_b32 vcc_lo, exec_lo, s30
	s_mov_b32 s2, -1
	s_cbranch_vccnz .LBB315_13
; %bb.8:
	s_mov_b32 s2, 0
	s_and_saveexec_b32 s3, s0
	s_cbranch_execz .LBB315_12
; %bb.9:
	v_cmp_neq_f32_e64 s0, s8, 0
	v_cmp_neq_f32_e64 s1, s9, 0
	s_mul_hi_u32 s13, s10, s6
	v_mov_b32_e32 v1, 0
	v_mov_b32_e32 v2, 0
	s_or_b32 s0, s0, s1
	s_ashr_i32 s1, s6, 31
	s_andn2_b32 vcc_lo, exec_lo, s0
	s_mul_i32 s1, s10, s1
	s_mul_i32 s0, s10, s6
	s_add_i32 s1, s13, s1
	s_mul_i32 s13, s11, s6
	s_add_i32 s1, s1, s13
	s_cbranch_vccnz .LBB315_11
; %bb.10:
	s_lshl_b64 s[14:15], s[0:1], 3
	s_add_u32 s14, s7, s14
	s_addc_u32 s15, s12, s15
	v_mov_b32_e32 v1, s14
	v_mov_b32_e32 v2, s15
	flat_load_dwordx2 v[3:4], v[1:2]
	s_waitcnt vmcnt(0) lgkmcnt(0)
	v_mul_f32_e32 v1, s9, v4
	v_mul_f32_e32 v2, s8, v4
	v_fma_f32 v1, s8, v3, -v1
	v_fmac_f32_e32 v2, s9, v3
.LBB315_11:
	s_lshl_b64 s[0:1], s[0:1], 3
	s_add_u32 s0, s7, s0
	s_addc_u32 s1, s12, s1
	v_mov_b32_e32 v4, s1
	v_mov_b32_e32 v3, s0
	flat_store_dwordx2 v[3:4], v[1:2]
.LBB315_12:
	s_or_b32 exec_lo, exec_lo, s3
.LBB315_13:
	s_andn2_b32 vcc_lo, exec_lo, s2
	s_cbranch_vccnz .LBB315_32
; %bb.14:
	s_load_dword s3, s[4:5], 0x0
	s_ashr_i32 s1, s6, 31
	s_mul_hi_u32 s0, s24, s6
	s_mul_i32 s5, s24, s1
	s_mul_i32 s2, s25, s6
	s_add_i32 s0, s0, s5
	s_mul_i32 s4, s24, s6
	s_add_i32 s5, s0, s2
	v_mov_b32_e32 v7, 0
	s_lshl_b64 s[4:5], s[4:5], 3
	v_mov_b32_e32 v8, 0
	s_mov_b32 s14, 0
	s_waitcnt lgkmcnt(0)
	v_cmp_gt_i32_e32 vcc_lo, s3, v0
	s_ashr_i32 s13, s3, 31
	s_lshr_b32 s0, s13, 24
	s_mov_b32 s13, exec_lo
	v_cndmask_b32_e32 v1, 0, v0, vcc_lo
	s_add_i32 s0, s3, s0
	s_and_b32 s2, s0, 0xffffff00
	v_lshlrev_b32_e32 v1, 3, v1
	v_add_co_u32 v1, s0, s26, v1
	v_add_co_ci_u32_e64 v2, null, s27, 0, s0
	v_add_co_u32 v1, s0, v1, s4
	v_add_co_ci_u32_e64 v2, null, s5, v2, s0
	v_cmpx_gt_i32_e64 s2, v0
	s_cbranch_execz .LBB315_18
; %bb.15:
	v_mad_u64_u32 v[3:4], null, s20, v0, 0
	v_mov_b32_e32 v7, 0
	v_mov_b32_e32 v9, v0
	;; [unrolled: 1-line block ×3, first 2 shown]
	s_lshl_b64 s[4:5], s[20:21], 11
	v_mad_u64_u32 v[4:5], null, s21, v0, v[4:5]
	v_lshlrev_b64 v[5:6], 3, v[3:4]
	v_mov_b32_e32 v4, v2
	v_mov_b32_e32 v3, v1
	v_add_co_u32 v5, vcc_lo, s18, v5
	v_add_co_ci_u32_e64 v6, null, s19, v6, vcc_lo
	.p2align	6
.LBB315_16:                             ; =>This Inner Loop Header: Depth=1
	flat_load_dwordx2 v[10:11], v[3:4]
	flat_load_dwordx2 v[12:13], v[5:6]
	v_add_nc_u32_e32 v9, 0x100, v9
	v_add_co_u32 v3, vcc_lo, 0x800, v3
	v_add_co_ci_u32_e64 v4, null, 0, v4, vcc_lo
	v_add_co_u32 v5, vcc_lo, v5, s4
	v_cmp_le_i32_e64 s0, s2, v9
	v_add_co_ci_u32_e64 v6, null, s5, v6, vcc_lo
	s_or_b32 s14, s0, s14
	s_waitcnt vmcnt(0) lgkmcnt(0)
	v_mul_f32_e32 v14, v13, v11
	v_mul_f32_e32 v11, v12, v11
	v_fma_f32 v12, v12, v10, -v14
	v_fmac_f32_e32 v11, v13, v10
	v_add_f32_e32 v8, v8, v12
	v_add_f32_e32 v7, v7, v11
	s_andn2_b32 exec_lo, exec_lo, s14
	s_cbranch_execnz .LBB315_16
; %bb.17:
	s_or_b32 exec_lo, exec_lo, s14
.LBB315_18:
	s_or_b32 exec_lo, exec_lo, s13
	v_add_nc_u32_e32 v3, s2, v0
	s_mov_b32 s0, exec_lo
	v_cmpx_gt_i32_e64 s3, v3
	s_cbranch_execz .LBB315_20
; %bb.19:
	v_ashrrev_i32_e32 v5, 31, v3
	v_mul_lo_u32 v6, s21, v3
	v_mad_u64_u32 v[3:4], null, s20, v3, 0
	s_ashr_i32 s3, s2, 31
	v_mul_lo_u32 v5, s20, v5
	s_lshl_b64 s[2:3], s[2:3], 3
	v_add_co_u32 v1, vcc_lo, v1, s2
	v_add_co_ci_u32_e64 v2, null, s3, v2, vcc_lo
	v_add3_u32 v4, v4, v5, v6
	v_lshlrev_b64 v[3:4], 3, v[3:4]
	v_add_co_u32 v3, vcc_lo, s18, v3
	v_add_co_ci_u32_e64 v4, null, s19, v4, vcc_lo
	flat_load_dwordx2 v[1:2], v[1:2]
	flat_load_dwordx2 v[3:4], v[3:4]
	s_waitcnt vmcnt(0) lgkmcnt(0)
	v_mul_f32_e32 v5, v4, v2
	v_mul_f32_e32 v2, v3, v2
	v_fma_f32 v3, v3, v1, -v5
	v_fmac_f32_e32 v2, v4, v1
	v_add_f32_e32 v8, v8, v3
	v_add_f32_e32 v7, v7, v2
.LBB315_20:
	s_or_b32 exec_lo, exec_lo, s0
	v_and_b32_e32 v1, 31, v0
	v_cmp_gt_u32_e32 vcc_lo, 32, v0
	v_lshlrev_b32_e32 v3, 3, v1
	s_and_saveexec_b32 s0, vcc_lo
; %bb.21:
	v_mov_b32_e32 v4, 0
	v_mov_b32_e32 v5, v4
	ds_write_b64 v3, v[4:5]
; %bb.22:
	s_or_b32 exec_lo, exec_lo, s0
	v_mbcnt_lo_u32_b32 v2, -1, 0
	s_mov_b32 s2, exec_lo
	s_waitcnt lgkmcnt(0)
	s_waitcnt_vscnt null, 0x0
	s_barrier
	buffer_gl0_inv
	v_lshl_or_b32 v4, v2, 2, 64
	v_cmp_gt_u32_e64 s0, 24, v2
	ds_bpermute_b32 v5, v4, v8
	ds_bpermute_b32 v4, v4, v7
	v_cndmask_b32_e64 v6, 0, 8, s0
	v_cmp_gt_u32_e64 s0, 28, v2
	v_add_lshl_u32 v6, v6, v2, 2
	s_waitcnt lgkmcnt(1)
	v_add_f32_e32 v5, v8, v5
	s_waitcnt lgkmcnt(0)
	v_add_f32_e32 v7, v7, v4
	v_cndmask_b32_e64 v4, 0, 4, s0
	v_cmp_gt_u32_e64 s0, 30, v2
	ds_bpermute_b32 v8, v6, v5
	ds_bpermute_b32 v6, v6, v7
	v_add_lshl_u32 v4, v4, v2, 2
	s_waitcnt lgkmcnt(1)
	v_add_f32_e32 v8, v5, v8
	s_waitcnt lgkmcnt(0)
	v_add_f32_e32 v6, v7, v6
	v_cndmask_b32_e64 v5, 0, 2, s0
	v_cmp_ne_u32_e64 s0, 31, v2
	ds_bpermute_b32 v7, v4, v8
	ds_bpermute_b32 v9, v4, v6
	v_add_lshl_u32 v5, v5, v2, 2
	v_add_co_ci_u32_e64 v2, null, 0, v2, s0
	s_waitcnt lgkmcnt(1)
	v_add_f32_e32 v7, v8, v7
	s_waitcnt lgkmcnt(0)
	v_add_f32_e32 v8, v6, v9
	v_lshlrev_b32_e32 v6, 2, v2
	ds_bpermute_b32 v9, v5, v7
	ds_bpermute_b32 v10, v5, v8
	s_waitcnt lgkmcnt(1)
	v_add_f32_e32 v2, v7, v9
	s_waitcnt lgkmcnt(0)
	v_add_f32_e32 v8, v8, v10
	ds_bpermute_b32 v7, v6, v2
	ds_bpermute_b32 v9, v6, v8
	v_cmpx_eq_u32_e32 0, v1
	s_cbranch_execz .LBB315_24
; %bb.23:
	v_lshrrev_b32_e32 v1, 2, v0
	s_waitcnt lgkmcnt(0)
	v_add_f32_e32 v8, v8, v9
	v_add_f32_e32 v7, v2, v7
	v_and_b32_e32 v1, 56, v1
	ds_write_b64 v1, v[7:8]
.LBB315_24:
	s_or_b32 exec_lo, exec_lo, s2
	v_mov_b32_e32 v2, 0
	v_mov_b32_e32 v1, 0
	s_mov_b32 s2, exec_lo
	s_waitcnt lgkmcnt(0)
	s_barrier
	buffer_gl0_inv
	v_cmpx_gt_u32_e32 8, v0
; %bb.25:
	ds_read_b64 v[1:2], v3
; %bb.26:
	s_or_b32 exec_lo, exec_lo, s2
	s_and_saveexec_b32 s0, vcc_lo
	s_cbranch_execz .LBB315_28
; %bb.27:
	s_waitcnt lgkmcnt(0)
	ds_bpermute_b32 v3, v4, v1
	ds_bpermute_b32 v4, v4, v2
	s_waitcnt lgkmcnt(1)
	v_add_f32_e32 v1, v1, v3
	s_waitcnt lgkmcnt(0)
	v_add_f32_e32 v2, v2, v4
	ds_bpermute_b32 v3, v5, v1
	ds_bpermute_b32 v4, v5, v2
	s_waitcnt lgkmcnt(1)
	v_add_f32_e32 v1, v1, v3
	s_waitcnt lgkmcnt(0)
	v_add_f32_e32 v2, v2, v4
	;; [unrolled: 6-line block ×3, first 2 shown]
.LBB315_28:
	s_or_b32 exec_lo, exec_lo, s0
	s_mov_b32 s0, exec_lo
	v_cmpx_eq_u32_e32 0, v0
	s_cbranch_execz .LBB315_32
; %bb.29:
	v_cmp_neq_f32_e64 s0, s8, 0
	v_cmp_neq_f32_e64 s2, s9, 0
	s_waitcnt lgkmcnt(0)
	v_mul_f32_e32 v0, s17, v2
	v_mul_f32_e32 v4, s16, v2
	s_mul_i32 s1, s10, s1
	s_or_b32 s0, s0, s2
	s_mul_hi_u32 s2, s10, s6
	v_fma_f32 v3, v1, s16, -v0
	v_fmac_f32_e32 v4, s17, v1
	s_add_i32 s1, s2, s1
	s_mul_i32 s2, s11, s6
	s_andn2_b32 vcc_lo, exec_lo, s0
	s_add_i32 s1, s1, s2
	s_mul_i32 s0, s10, s6
	s_cbranch_vccnz .LBB315_31
; %bb.30:
	s_lshl_b64 s[2:3], s[0:1], 3
	s_add_u32 s2, s7, s2
	s_addc_u32 s3, s12, s3
	v_mov_b32_e32 v0, s2
	v_mov_b32_e32 v1, s3
	flat_load_dwordx2 v[0:1], v[0:1]
	s_waitcnt vmcnt(0) lgkmcnt(0)
	v_mul_f32_e32 v2, s9, v1
	v_mul_f32_e32 v1, s8, v1
	v_fma_f32 v2, s8, v0, -v2
	v_fmac_f32_e32 v1, s9, v0
	v_add_f32_e32 v3, v3, v2
	v_add_f32_e32 v4, v4, v1
.LBB315_31:
	s_lshl_b64 s[0:1], s[0:1], 3
	s_add_u32 s0, s7, s0
	s_addc_u32 s1, s12, s1
	v_mov_b32_e32 v0, s0
	v_mov_b32_e32 v1, s1
	flat_store_dwordx2 v[0:1], v[3:4]
.LBB315_32:
	s_endpgm
	.section	.rodata,"a",@progbits
	.p2align	6, 0x0
	.amdhsa_kernel _ZL32rocblas_gemvt_warp_reduce_kernelILb0ELi256ElPK19rocblas_complex_numIfES3_KPS1_EviiT3_lPKT2_lT1_lS9_lSA_lS6_lPT4_lSA_li
		.amdhsa_group_segment_fixed_size 256
		.amdhsa_private_segment_fixed_size 0
		.amdhsa_kernarg_size 140
		.amdhsa_user_sgpr_count 6
		.amdhsa_user_sgpr_private_segment_buffer 1
		.amdhsa_user_sgpr_dispatch_ptr 0
		.amdhsa_user_sgpr_queue_ptr 0
		.amdhsa_user_sgpr_kernarg_segment_ptr 1
		.amdhsa_user_sgpr_dispatch_id 0
		.amdhsa_user_sgpr_flat_scratch_init 0
		.amdhsa_user_sgpr_private_segment_size 0
		.amdhsa_wavefront_size32 1
		.amdhsa_uses_dynamic_stack 0
		.amdhsa_system_sgpr_private_segment_wavefront_offset 0
		.amdhsa_system_sgpr_workgroup_id_x 1
		.amdhsa_system_sgpr_workgroup_id_y 0
		.amdhsa_system_sgpr_workgroup_id_z 1
		.amdhsa_system_sgpr_workgroup_info 0
		.amdhsa_system_vgpr_workitem_id 0
		.amdhsa_next_free_vgpr 15
		.amdhsa_next_free_sgpr 31
		.amdhsa_reserve_vcc 1
		.amdhsa_reserve_flat_scratch 0
		.amdhsa_float_round_mode_32 0
		.amdhsa_float_round_mode_16_64 0
		.amdhsa_float_denorm_mode_32 3
		.amdhsa_float_denorm_mode_16_64 3
		.amdhsa_dx10_clamp 1
		.amdhsa_ieee_mode 1
		.amdhsa_fp16_overflow 0
		.amdhsa_workgroup_processor_mode 1
		.amdhsa_memory_ordered 1
		.amdhsa_forward_progress 1
		.amdhsa_shared_vgpr_count 0
		.amdhsa_exception_fp_ieee_invalid_op 0
		.amdhsa_exception_fp_denorm_src 0
		.amdhsa_exception_fp_ieee_div_zero 0
		.amdhsa_exception_fp_ieee_overflow 0
		.amdhsa_exception_fp_ieee_underflow 0
		.amdhsa_exception_fp_ieee_inexact 0
		.amdhsa_exception_int_div_zero 0
	.end_amdhsa_kernel
	.section	.text._ZL32rocblas_gemvt_warp_reduce_kernelILb0ELi256ElPK19rocblas_complex_numIfES3_KPS1_EviiT3_lPKT2_lT1_lS9_lSA_lS6_lPT4_lSA_li,"axG",@progbits,_ZL32rocblas_gemvt_warp_reduce_kernelILb0ELi256ElPK19rocblas_complex_numIfES3_KPS1_EviiT3_lPKT2_lT1_lS9_lSA_lS6_lPT4_lSA_li,comdat
.Lfunc_end315:
	.size	_ZL32rocblas_gemvt_warp_reduce_kernelILb0ELi256ElPK19rocblas_complex_numIfES3_KPS1_EviiT3_lPKT2_lT1_lS9_lSA_lS6_lPT4_lSA_li, .Lfunc_end315-_ZL32rocblas_gemvt_warp_reduce_kernelILb0ELi256ElPK19rocblas_complex_numIfES3_KPS1_EviiT3_lPKT2_lT1_lS9_lSA_lS6_lPT4_lSA_li
                                        ; -- End function
	.set _ZL32rocblas_gemvt_warp_reduce_kernelILb0ELi256ElPK19rocblas_complex_numIfES3_KPS1_EviiT3_lPKT2_lT1_lS9_lSA_lS6_lPT4_lSA_li.num_vgpr, 15
	.set _ZL32rocblas_gemvt_warp_reduce_kernelILb0ELi256ElPK19rocblas_complex_numIfES3_KPS1_EviiT3_lPKT2_lT1_lS9_lSA_lS6_lPT4_lSA_li.num_agpr, 0
	.set _ZL32rocblas_gemvt_warp_reduce_kernelILb0ELi256ElPK19rocblas_complex_numIfES3_KPS1_EviiT3_lPKT2_lT1_lS9_lSA_lS6_lPT4_lSA_li.numbered_sgpr, 31
	.set _ZL32rocblas_gemvt_warp_reduce_kernelILb0ELi256ElPK19rocblas_complex_numIfES3_KPS1_EviiT3_lPKT2_lT1_lS9_lSA_lS6_lPT4_lSA_li.num_named_barrier, 0
	.set _ZL32rocblas_gemvt_warp_reduce_kernelILb0ELi256ElPK19rocblas_complex_numIfES3_KPS1_EviiT3_lPKT2_lT1_lS9_lSA_lS6_lPT4_lSA_li.private_seg_size, 0
	.set _ZL32rocblas_gemvt_warp_reduce_kernelILb0ELi256ElPK19rocblas_complex_numIfES3_KPS1_EviiT3_lPKT2_lT1_lS9_lSA_lS6_lPT4_lSA_li.uses_vcc, 1
	.set _ZL32rocblas_gemvt_warp_reduce_kernelILb0ELi256ElPK19rocblas_complex_numIfES3_KPS1_EviiT3_lPKT2_lT1_lS9_lSA_lS6_lPT4_lSA_li.uses_flat_scratch, 0
	.set _ZL32rocblas_gemvt_warp_reduce_kernelILb0ELi256ElPK19rocblas_complex_numIfES3_KPS1_EviiT3_lPKT2_lT1_lS9_lSA_lS6_lPT4_lSA_li.has_dyn_sized_stack, 0
	.set _ZL32rocblas_gemvt_warp_reduce_kernelILb0ELi256ElPK19rocblas_complex_numIfES3_KPS1_EviiT3_lPKT2_lT1_lS9_lSA_lS6_lPT4_lSA_li.has_recursion, 0
	.set _ZL32rocblas_gemvt_warp_reduce_kernelILb0ELi256ElPK19rocblas_complex_numIfES3_KPS1_EviiT3_lPKT2_lT1_lS9_lSA_lS6_lPT4_lSA_li.has_indirect_call, 0
	.section	.AMDGPU.csdata,"",@progbits
; Kernel info:
; codeLenInByte = 1732
; TotalNumSgprs: 33
; NumVgprs: 15
; ScratchSize: 0
; MemoryBound: 0
; FloatMode: 240
; IeeeMode: 1
; LDSByteSize: 256 bytes/workgroup (compile time only)
; SGPRBlocks: 0
; VGPRBlocks: 1
; NumSGPRsForWavesPerEU: 33
; NumVGPRsForWavesPerEU: 15
; Occupancy: 16
; WaveLimiterHint : 1
; COMPUTE_PGM_RSRC2:SCRATCH_EN: 0
; COMPUTE_PGM_RSRC2:USER_SGPR: 6
; COMPUTE_PGM_RSRC2:TRAP_HANDLER: 0
; COMPUTE_PGM_RSRC2:TGID_X_EN: 1
; COMPUTE_PGM_RSRC2:TGID_Y_EN: 0
; COMPUTE_PGM_RSRC2:TGID_Z_EN: 1
; COMPUTE_PGM_RSRC2:TIDIG_COMP_CNT: 0
	.section	.text._ZL32rocblas_gemvt_warp_reduce_kernelILb0ELi256EiPK19rocblas_complex_numIfES1_KPS1_EviiT3_lPKT2_lT1_lS9_lSA_lS6_lPT4_lSA_li,"axG",@progbits,_ZL32rocblas_gemvt_warp_reduce_kernelILb0ELi256EiPK19rocblas_complex_numIfES1_KPS1_EviiT3_lPKT2_lT1_lS9_lSA_lS6_lPT4_lSA_li,comdat
	.globl	_ZL32rocblas_gemvt_warp_reduce_kernelILb0ELi256EiPK19rocblas_complex_numIfES1_KPS1_EviiT3_lPKT2_lT1_lS9_lSA_lS6_lPT4_lSA_li ; -- Begin function _ZL32rocblas_gemvt_warp_reduce_kernelILb0ELi256EiPK19rocblas_complex_numIfES1_KPS1_EviiT3_lPKT2_lT1_lS9_lSA_lS6_lPT4_lSA_li
	.p2align	8
	.type	_ZL32rocblas_gemvt_warp_reduce_kernelILb0ELi256EiPK19rocblas_complex_numIfES1_KPS1_EviiT3_lPKT2_lT1_lS9_lSA_lS6_lPT4_lSA_li,@function
_ZL32rocblas_gemvt_warp_reduce_kernelILb0ELi256EiPK19rocblas_complex_numIfES1_KPS1_EviiT3_lPKT2_lT1_lS9_lSA_lS6_lPT4_lSA_li: ; @_ZL32rocblas_gemvt_warp_reduce_kernelILb0ELi256EiPK19rocblas_complex_numIfES1_KPS1_EviiT3_lPKT2_lT1_lS9_lSA_lS6_lPT4_lSA_li
; %bb.0:
	s_clause 0x1
	s_load_dwordx2 s[8:9], s[4:5], 0x8
	s_load_dwordx2 s[2:3], s[4:5], 0x58
	s_mov_b32 s0, s7
	s_waitcnt lgkmcnt(0)
	v_cmp_neq_f32_e64 s1, s8, 0
	v_cmp_neq_f32_e64 s7, s9, 0
	s_or_b32 s1, s1, s7
	s_and_b32 vcc_lo, exec_lo, s1
	s_mov_b32 s1, -1
	s_cbranch_vccnz .LBB316_2
; %bb.1:
	v_cmp_neq_f32_e64 s1, s2, 1.0
	v_cmp_neq_f32_e64 s7, s3, 0
	s_or_b32 s1, s1, s7
.LBB316_2:
	s_andn2_b32 vcc_lo, exec_lo, s1
	s_cbranch_vccnz .LBB316_34
; %bb.3:
	s_or_b32 s1, s8, s9
	s_bitset0_b32 s1, 31
	s_cmp_lg_u32 s1, 0
	s_cselect_b32 s7, -1, 0
	s_cmp_eq_u32 s1, 0
	s_mov_b32 s1, 0
	s_cselect_b32 s16, -1, 0
	s_and_b32 vcc_lo, exec_lo, s7
	s_cbranch_vccnz .LBB316_5
; %bb.4:
	s_mov_b32 s12, s1
	s_mov_b64 s[10:11], 0
	s_andn2_b32 vcc_lo, exec_lo, s12
	s_mov_b64 s[12:13], 0
	s_cbranch_vccz .LBB316_6
	s_branch .LBB316_7
.LBB316_5:
	s_mov_b64 s[10:11], 0
	s_mov_b64 s[12:13], 0
.LBB316_6:
	s_load_dwordx4 s[12:15], s[4:5], 0x18
	s_lshl_b64 s[18:19], s[0:1], 3
	s_waitcnt lgkmcnt(0)
	s_add_u32 s12, s12, s18
	s_addc_u32 s13, s13, s19
	s_lshl_b64 s[14:15], s[14:15], 3
	s_load_dwordx2 s[12:13], s[12:13], 0x0
	s_waitcnt lgkmcnt(0)
	s_add_u32 s12, s12, s14
	s_addc_u32 s13, s13, s15
.LBB316_7:
	s_andn2_b32 vcc_lo, exec_lo, s7
	s_cbranch_vccnz .LBB316_9
; %bb.8:
	s_load_dwordx4 s[20:23], s[4:5], 0x38
	s_lshl_b64 s[10:11], s[0:1], 3
	s_waitcnt lgkmcnt(0)
	s_add_u32 s10, s20, s10
	s_addc_u32 s11, s21, s11
	s_lshl_b64 s[14:15], s[22:23], 3
	s_load_dwordx2 s[10:11], s[10:11], 0x0
	s_waitcnt lgkmcnt(0)
	s_add_u32 s10, s10, s14
	s_addc_u32 s11, s11, s15
.LBB316_9:
	s_clause 0x1
	s_load_dwordx4 s[20:23], s[4:5], 0x68
	s_load_dword s15, s[4:5], 0x78
	s_lshl_b64 s[0:1], s[0:1], 3
	s_waitcnt lgkmcnt(0)
	s_add_u32 s0, s20, s0
	s_addc_u32 s1, s21, s1
	s_lshl_b64 s[20:21], s[22:23], 3
	s_load_dwordx2 s[18:19], s[0:1], 0x0
	v_cmp_eq_u32_e64 s0, 0, v0
	s_waitcnt lgkmcnt(0)
	s_add_u32 s7, s18, s20
	s_addc_u32 s14, s19, s21
	s_andn2_b32 vcc_lo, exec_lo, s16
	s_mov_b32 s16, -1
	s_cbranch_vccnz .LBB316_15
; %bb.10:
	s_mov_b32 s16, 0
	s_and_saveexec_b32 s17, s0
	s_cbranch_execz .LBB316_14
; %bb.11:
	v_cmp_neq_f32_e64 s0, s2, 0
	v_cmp_neq_f32_e64 s1, s3, 0
	v_mov_b32_e32 v1, 0
	v_mov_b32_e32 v2, 0
	s_or_b32 s1, s0, s1
	s_mul_i32 s0, s15, s6
	s_andn2_b32 vcc_lo, exec_lo, s1
	s_ashr_i32 s1, s0, 31
	s_cbranch_vccnz .LBB316_13
; %bb.12:
	s_lshl_b64 s[18:19], s[0:1], 3
	s_add_u32 s18, s7, s18
	s_addc_u32 s19, s14, s19
	v_mov_b32_e32 v1, s18
	v_mov_b32_e32 v2, s19
	flat_load_dwordx2 v[3:4], v[1:2]
	s_waitcnt vmcnt(0) lgkmcnt(0)
	v_mul_f32_e32 v1, s3, v4
	v_mul_f32_e32 v2, s2, v4
	v_fma_f32 v1, s2, v3, -v1
	v_fmac_f32_e32 v2, s3, v3
.LBB316_13:
	s_lshl_b64 s[0:1], s[0:1], 3
	s_add_u32 s0, s7, s0
	s_addc_u32 s1, s14, s1
	v_mov_b32_e32 v4, s1
	v_mov_b32_e32 v3, s0
	flat_store_dwordx2 v[3:4], v[1:2]
.LBB316_14:
	s_or_b32 exec_lo, exec_lo, s17
.LBB316_15:
	s_andn2_b32 vcc_lo, exec_lo, s16
	s_cbranch_vccnz .LBB316_34
; %bb.16:
	s_clause 0x2
	s_load_dword s16, s[4:5], 0x0
	s_load_dword s0, s[4:5], 0x28
	;; [unrolled: 1-line block ×3, first 2 shown]
	v_mov_b32_e32 v7, 0
	v_mov_b32_e32 v8, 0
	s_waitcnt lgkmcnt(0)
	v_cmp_gt_i32_e32 vcc_lo, s16, v0
	s_mul_i32 s4, s0, s6
	s_ashr_i32 s0, s16, 31
	s_ashr_i32 s5, s4, 31
	s_lshr_b32 s0, s0, 24
	v_cndmask_b32_e32 v1, 0, v0, vcc_lo
	s_add_i32 s0, s16, s0
	s_lshl_b64 s[18:19], s[4:5], 3
	s_and_b32 s4, s0, 0xffffff00
	s_mov_b32 s5, 0
	v_lshlrev_b32_e32 v1, 3, v1
	v_add_co_u32 v1, s0, s12, v1
	v_add_co_ci_u32_e64 v2, null, s13, 0, s0
	v_add_co_u32 v1, s0, v1, s18
	v_add_co_ci_u32_e64 v2, null, s19, v2, s0
	s_mov_b32 s0, exec_lo
	v_cmpx_gt_i32_e64 s4, v0
	s_cbranch_execz .LBB316_20
; %bb.17:
	v_mul_lo_u32 v3, v0, s1
	v_mov_b32_e32 v6, v2
	v_mov_b32_e32 v7, 0
	;; [unrolled: 1-line block ×5, first 2 shown]
	s_lshl_b32 s12, s1, 8
	.p2align	6
.LBB316_18:                             ; =>This Inner Loop Header: Depth=1
	v_ashrrev_i32_e32 v4, 31, v3
	v_add_nc_u32_e32 v9, 0x100, v9
	v_lshlrev_b64 v[10:11], 3, v[3:4]
	v_add_nc_u32_e32 v3, s12, v3
	v_add_co_u32 v10, vcc_lo, s10, v10
	v_add_co_ci_u32_e64 v11, null, s11, v11, vcc_lo
	flat_load_dwordx2 v[12:13], v[5:6]
	flat_load_dwordx2 v[10:11], v[10:11]
	v_add_co_u32 v5, vcc_lo, 0x800, v5
	v_add_co_ci_u32_e64 v6, null, 0, v6, vcc_lo
	v_cmp_le_i32_e32 vcc_lo, s4, v9
	s_or_b32 s5, vcc_lo, s5
	s_waitcnt vmcnt(0) lgkmcnt(0)
	v_mul_f32_e32 v4, v11, v13
	v_mul_f32_e32 v13, v10, v13
	v_fma_f32 v4, v10, v12, -v4
	v_fmac_f32_e32 v13, v11, v12
	v_add_f32_e32 v8, v8, v4
	v_add_f32_e32 v7, v7, v13
	s_andn2_b32 exec_lo, exec_lo, s5
	s_cbranch_execnz .LBB316_18
; %bb.19:
	s_or_b32 exec_lo, exec_lo, s5
.LBB316_20:
	s_or_b32 exec_lo, exec_lo, s0
	v_add_nc_u32_e32 v3, s4, v0
	s_mov_b32 s0, exec_lo
	v_cmpx_gt_i32_e64 s16, v3
	s_cbranch_execz .LBB316_22
; %bb.21:
	v_mul_lo_u32 v3, s1, v3
	s_ashr_i32 s5, s4, 31
	s_lshl_b64 s[4:5], s[4:5], 3
	v_add_co_u32 v1, vcc_lo, v1, s4
	v_add_co_ci_u32_e64 v2, null, s5, v2, vcc_lo
	v_ashrrev_i32_e32 v4, 31, v3
	v_lshlrev_b64 v[3:4], 3, v[3:4]
	v_add_co_u32 v3, vcc_lo, s10, v3
	v_add_co_ci_u32_e64 v4, null, s11, v4, vcc_lo
	flat_load_dwordx2 v[1:2], v[1:2]
	flat_load_dwordx2 v[3:4], v[3:4]
	s_waitcnt vmcnt(0) lgkmcnt(0)
	v_mul_f32_e32 v5, v4, v2
	v_mul_f32_e32 v2, v3, v2
	v_fma_f32 v3, v3, v1, -v5
	v_fmac_f32_e32 v2, v4, v1
	v_add_f32_e32 v8, v8, v3
	v_add_f32_e32 v7, v7, v2
.LBB316_22:
	s_or_b32 exec_lo, exec_lo, s0
	v_and_b32_e32 v1, 31, v0
	v_cmp_gt_u32_e32 vcc_lo, 32, v0
	v_lshlrev_b32_e32 v3, 3, v1
	s_and_saveexec_b32 s0, vcc_lo
; %bb.23:
	v_mov_b32_e32 v4, 0
	v_mov_b32_e32 v5, v4
	ds_write_b64 v3, v[4:5]
; %bb.24:
	s_or_b32 exec_lo, exec_lo, s0
	v_mbcnt_lo_u32_b32 v2, -1, 0
	s_mov_b32 s1, exec_lo
	s_waitcnt lgkmcnt(0)
	s_waitcnt_vscnt null, 0x0
	s_barrier
	buffer_gl0_inv
	v_lshl_or_b32 v4, v2, 2, 64
	v_cmp_gt_u32_e64 s0, 24, v2
	ds_bpermute_b32 v5, v4, v8
	ds_bpermute_b32 v4, v4, v7
	v_cndmask_b32_e64 v6, 0, 8, s0
	v_cmp_gt_u32_e64 s0, 28, v2
	v_add_lshl_u32 v6, v6, v2, 2
	s_waitcnt lgkmcnt(1)
	v_add_f32_e32 v5, v8, v5
	s_waitcnt lgkmcnt(0)
	v_add_f32_e32 v7, v7, v4
	v_cndmask_b32_e64 v4, 0, 4, s0
	v_cmp_gt_u32_e64 s0, 30, v2
	ds_bpermute_b32 v8, v6, v5
	ds_bpermute_b32 v6, v6, v7
	v_add_lshl_u32 v4, v4, v2, 2
	s_waitcnt lgkmcnt(1)
	v_add_f32_e32 v8, v5, v8
	s_waitcnt lgkmcnt(0)
	v_add_f32_e32 v6, v7, v6
	v_cndmask_b32_e64 v5, 0, 2, s0
	v_cmp_ne_u32_e64 s0, 31, v2
	ds_bpermute_b32 v7, v4, v8
	ds_bpermute_b32 v9, v4, v6
	v_add_lshl_u32 v5, v5, v2, 2
	v_add_co_ci_u32_e64 v2, null, 0, v2, s0
	s_waitcnt lgkmcnt(1)
	v_add_f32_e32 v7, v8, v7
	s_waitcnt lgkmcnt(0)
	v_add_f32_e32 v8, v6, v9
	v_lshlrev_b32_e32 v6, 2, v2
	ds_bpermute_b32 v9, v5, v7
	ds_bpermute_b32 v10, v5, v8
	s_waitcnt lgkmcnt(1)
	v_add_f32_e32 v2, v7, v9
	s_waitcnt lgkmcnt(0)
	v_add_f32_e32 v8, v8, v10
	ds_bpermute_b32 v7, v6, v2
	ds_bpermute_b32 v9, v6, v8
	v_cmpx_eq_u32_e32 0, v1
	s_cbranch_execz .LBB316_26
; %bb.25:
	v_lshrrev_b32_e32 v1, 2, v0
	s_waitcnt lgkmcnt(0)
	v_add_f32_e32 v8, v8, v9
	v_add_f32_e32 v7, v2, v7
	v_and_b32_e32 v1, 56, v1
	ds_write_b64 v1, v[7:8]
.LBB316_26:
	s_or_b32 exec_lo, exec_lo, s1
	v_mov_b32_e32 v2, 0
	v_mov_b32_e32 v1, 0
	s_mov_b32 s1, exec_lo
	s_waitcnt lgkmcnt(0)
	s_barrier
	buffer_gl0_inv
	v_cmpx_gt_u32_e32 8, v0
; %bb.27:
	ds_read_b64 v[1:2], v3
; %bb.28:
	s_or_b32 exec_lo, exec_lo, s1
	s_and_saveexec_b32 s0, vcc_lo
	s_cbranch_execz .LBB316_30
; %bb.29:
	s_waitcnt lgkmcnt(0)
	ds_bpermute_b32 v3, v4, v1
	ds_bpermute_b32 v4, v4, v2
	s_waitcnt lgkmcnt(1)
	v_add_f32_e32 v1, v1, v3
	s_waitcnt lgkmcnt(0)
	v_add_f32_e32 v2, v2, v4
	ds_bpermute_b32 v3, v5, v1
	ds_bpermute_b32 v4, v5, v2
	s_waitcnt lgkmcnt(1)
	v_add_f32_e32 v1, v1, v3
	s_waitcnt lgkmcnt(0)
	v_add_f32_e32 v2, v2, v4
	;; [unrolled: 6-line block ×3, first 2 shown]
.LBB316_30:
	s_or_b32 exec_lo, exec_lo, s0
	s_mov_b32 s0, exec_lo
	v_cmpx_eq_u32_e32 0, v0
	s_cbranch_execz .LBB316_34
; %bb.31:
	s_waitcnt lgkmcnt(0)
	v_mul_f32_e32 v0, s9, v2
	v_mul_f32_e32 v3, s8, v2
	v_cmp_neq_f32_e64 s0, s2, 0
	v_cmp_neq_f32_e64 s1, s3, 0
	v_fma_f32 v2, v1, s8, -v0
	v_fmac_f32_e32 v3, s9, v1
	s_or_b32 s1, s0, s1
	s_mul_i32 s0, s15, s6
	s_andn2_b32 vcc_lo, exec_lo, s1
	s_ashr_i32 s1, s0, 31
	s_cbranch_vccnz .LBB316_33
; %bb.32:
	s_lshl_b64 s[4:5], s[0:1], 3
	s_add_u32 s4, s7, s4
	s_addc_u32 s5, s14, s5
	v_mov_b32_e32 v0, s4
	v_mov_b32_e32 v1, s5
	flat_load_dwordx2 v[0:1], v[0:1]
	s_waitcnt vmcnt(0) lgkmcnt(0)
	v_mul_f32_e32 v4, s3, v1
	v_mul_f32_e32 v1, s2, v1
	v_fma_f32 v4, s2, v0, -v4
	v_fmac_f32_e32 v1, s3, v0
	v_add_f32_e32 v2, v2, v4
	v_add_f32_e32 v3, v3, v1
.LBB316_33:
	s_lshl_b64 s[0:1], s[0:1], 3
	s_add_u32 s0, s7, s0
	s_addc_u32 s1, s14, s1
	v_mov_b32_e32 v0, s0
	v_mov_b32_e32 v1, s1
	flat_store_dwordx2 v[0:1], v[2:3]
.LBB316_34:
	s_endpgm
	.section	.rodata,"a",@progbits
	.p2align	6, 0x0
	.amdhsa_kernel _ZL32rocblas_gemvt_warp_reduce_kernelILb0ELi256EiPK19rocblas_complex_numIfES1_KPS1_EviiT3_lPKT2_lT1_lS9_lSA_lS6_lPT4_lSA_li
		.amdhsa_group_segment_fixed_size 256
		.amdhsa_private_segment_fixed_size 0
		.amdhsa_kernarg_size 140
		.amdhsa_user_sgpr_count 6
		.amdhsa_user_sgpr_private_segment_buffer 1
		.amdhsa_user_sgpr_dispatch_ptr 0
		.amdhsa_user_sgpr_queue_ptr 0
		.amdhsa_user_sgpr_kernarg_segment_ptr 1
		.amdhsa_user_sgpr_dispatch_id 0
		.amdhsa_user_sgpr_flat_scratch_init 0
		.amdhsa_user_sgpr_private_segment_size 0
		.amdhsa_wavefront_size32 1
		.amdhsa_uses_dynamic_stack 0
		.amdhsa_system_sgpr_private_segment_wavefront_offset 0
		.amdhsa_system_sgpr_workgroup_id_x 1
		.amdhsa_system_sgpr_workgroup_id_y 0
		.amdhsa_system_sgpr_workgroup_id_z 1
		.amdhsa_system_sgpr_workgroup_info 0
		.amdhsa_system_vgpr_workitem_id 0
		.amdhsa_next_free_vgpr 14
		.amdhsa_next_free_sgpr 24
		.amdhsa_reserve_vcc 1
		.amdhsa_reserve_flat_scratch 0
		.amdhsa_float_round_mode_32 0
		.amdhsa_float_round_mode_16_64 0
		.amdhsa_float_denorm_mode_32 3
		.amdhsa_float_denorm_mode_16_64 3
		.amdhsa_dx10_clamp 1
		.amdhsa_ieee_mode 1
		.amdhsa_fp16_overflow 0
		.amdhsa_workgroup_processor_mode 1
		.amdhsa_memory_ordered 1
		.amdhsa_forward_progress 1
		.amdhsa_shared_vgpr_count 0
		.amdhsa_exception_fp_ieee_invalid_op 0
		.amdhsa_exception_fp_denorm_src 0
		.amdhsa_exception_fp_ieee_div_zero 0
		.amdhsa_exception_fp_ieee_overflow 0
		.amdhsa_exception_fp_ieee_underflow 0
		.amdhsa_exception_fp_ieee_inexact 0
		.amdhsa_exception_int_div_zero 0
	.end_amdhsa_kernel
	.section	.text._ZL32rocblas_gemvt_warp_reduce_kernelILb0ELi256EiPK19rocblas_complex_numIfES1_KPS1_EviiT3_lPKT2_lT1_lS9_lSA_lS6_lPT4_lSA_li,"axG",@progbits,_ZL32rocblas_gemvt_warp_reduce_kernelILb0ELi256EiPK19rocblas_complex_numIfES1_KPS1_EviiT3_lPKT2_lT1_lS9_lSA_lS6_lPT4_lSA_li,comdat
.Lfunc_end316:
	.size	_ZL32rocblas_gemvt_warp_reduce_kernelILb0ELi256EiPK19rocblas_complex_numIfES1_KPS1_EviiT3_lPKT2_lT1_lS9_lSA_lS6_lPT4_lSA_li, .Lfunc_end316-_ZL32rocblas_gemvt_warp_reduce_kernelILb0ELi256EiPK19rocblas_complex_numIfES1_KPS1_EviiT3_lPKT2_lT1_lS9_lSA_lS6_lPT4_lSA_li
                                        ; -- End function
	.set _ZL32rocblas_gemvt_warp_reduce_kernelILb0ELi256EiPK19rocblas_complex_numIfES1_KPS1_EviiT3_lPKT2_lT1_lS9_lSA_lS6_lPT4_lSA_li.num_vgpr, 14
	.set _ZL32rocblas_gemvt_warp_reduce_kernelILb0ELi256EiPK19rocblas_complex_numIfES1_KPS1_EviiT3_lPKT2_lT1_lS9_lSA_lS6_lPT4_lSA_li.num_agpr, 0
	.set _ZL32rocblas_gemvt_warp_reduce_kernelILb0ELi256EiPK19rocblas_complex_numIfES1_KPS1_EviiT3_lPKT2_lT1_lS9_lSA_lS6_lPT4_lSA_li.numbered_sgpr, 24
	.set _ZL32rocblas_gemvt_warp_reduce_kernelILb0ELi256EiPK19rocblas_complex_numIfES1_KPS1_EviiT3_lPKT2_lT1_lS9_lSA_lS6_lPT4_lSA_li.num_named_barrier, 0
	.set _ZL32rocblas_gemvt_warp_reduce_kernelILb0ELi256EiPK19rocblas_complex_numIfES1_KPS1_EviiT3_lPKT2_lT1_lS9_lSA_lS6_lPT4_lSA_li.private_seg_size, 0
	.set _ZL32rocblas_gemvt_warp_reduce_kernelILb0ELi256EiPK19rocblas_complex_numIfES1_KPS1_EviiT3_lPKT2_lT1_lS9_lSA_lS6_lPT4_lSA_li.uses_vcc, 1
	.set _ZL32rocblas_gemvt_warp_reduce_kernelILb0ELi256EiPK19rocblas_complex_numIfES1_KPS1_EviiT3_lPKT2_lT1_lS9_lSA_lS6_lPT4_lSA_li.uses_flat_scratch, 0
	.set _ZL32rocblas_gemvt_warp_reduce_kernelILb0ELi256EiPK19rocblas_complex_numIfES1_KPS1_EviiT3_lPKT2_lT1_lS9_lSA_lS6_lPT4_lSA_li.has_dyn_sized_stack, 0
	.set _ZL32rocblas_gemvt_warp_reduce_kernelILb0ELi256EiPK19rocblas_complex_numIfES1_KPS1_EviiT3_lPKT2_lT1_lS9_lSA_lS6_lPT4_lSA_li.has_recursion, 0
	.set _ZL32rocblas_gemvt_warp_reduce_kernelILb0ELi256EiPK19rocblas_complex_numIfES1_KPS1_EviiT3_lPKT2_lT1_lS9_lSA_lS6_lPT4_lSA_li.has_indirect_call, 0
	.section	.AMDGPU.csdata,"",@progbits
; Kernel info:
; codeLenInByte = 1640
; TotalNumSgprs: 26
; NumVgprs: 14
; ScratchSize: 0
; MemoryBound: 0
; FloatMode: 240
; IeeeMode: 1
; LDSByteSize: 256 bytes/workgroup (compile time only)
; SGPRBlocks: 0
; VGPRBlocks: 1
; NumSGPRsForWavesPerEU: 26
; NumVGPRsForWavesPerEU: 14
; Occupancy: 16
; WaveLimiterHint : 1
; COMPUTE_PGM_RSRC2:SCRATCH_EN: 0
; COMPUTE_PGM_RSRC2:USER_SGPR: 6
; COMPUTE_PGM_RSRC2:TRAP_HANDLER: 0
; COMPUTE_PGM_RSRC2:TGID_X_EN: 1
; COMPUTE_PGM_RSRC2:TGID_Y_EN: 0
; COMPUTE_PGM_RSRC2:TGID_Z_EN: 1
; COMPUTE_PGM_RSRC2:TIDIG_COMP_CNT: 0
	.section	.text._ZL32rocblas_gemvt_warp_reduce_kernelILb0ELi256ElPK19rocblas_complex_numIfES1_KPS1_EviiT3_lPKT2_lT1_lS9_lSA_lS6_lPT4_lSA_li,"axG",@progbits,_ZL32rocblas_gemvt_warp_reduce_kernelILb0ELi256ElPK19rocblas_complex_numIfES1_KPS1_EviiT3_lPKT2_lT1_lS9_lSA_lS6_lPT4_lSA_li,comdat
	.globl	_ZL32rocblas_gemvt_warp_reduce_kernelILb0ELi256ElPK19rocblas_complex_numIfES1_KPS1_EviiT3_lPKT2_lT1_lS9_lSA_lS6_lPT4_lSA_li ; -- Begin function _ZL32rocblas_gemvt_warp_reduce_kernelILb0ELi256ElPK19rocblas_complex_numIfES1_KPS1_EviiT3_lPKT2_lT1_lS9_lSA_lS6_lPT4_lSA_li
	.p2align	8
	.type	_ZL32rocblas_gemvt_warp_reduce_kernelILb0ELi256ElPK19rocblas_complex_numIfES1_KPS1_EviiT3_lPKT2_lT1_lS9_lSA_lS6_lPT4_lSA_li,@function
_ZL32rocblas_gemvt_warp_reduce_kernelILb0ELi256ElPK19rocblas_complex_numIfES1_KPS1_EviiT3_lPKT2_lT1_lS9_lSA_lS6_lPT4_lSA_li: ; @_ZL32rocblas_gemvt_warp_reduce_kernelILb0ELi256ElPK19rocblas_complex_numIfES1_KPS1_EviiT3_lPKT2_lT1_lS9_lSA_lS6_lPT4_lSA_li
; %bb.0:
	s_clause 0x1
	s_load_dwordx2 s[10:11], s[4:5], 0x8
	s_load_dwordx2 s[8:9], s[4:5], 0x58
	s_mov_b32 s20, s7
	s_waitcnt lgkmcnt(0)
	v_cmp_neq_f32_e64 s0, s10, 0
	v_cmp_neq_f32_e64 s1, s11, 0
	s_or_b32 s0, s0, s1
	s_and_b32 vcc_lo, exec_lo, s0
	s_mov_b32 s0, -1
	s_cbranch_vccnz .LBB317_2
; %bb.1:
	v_cmp_neq_f32_e64 s0, s8, 1.0
	v_cmp_neq_f32_e64 s1, s9, 0
	s_or_b32 s0, s0, s1
.LBB317_2:
	s_andn2_b32 vcc_lo, exec_lo, s0
	s_cbranch_vccnz .LBB317_34
; %bb.3:
	s_clause 0x1
	s_load_dwordx4 s[0:3], s[4:5], 0x18
	s_load_dwordx2 s[16:17], s[4:5], 0x28
	s_or_b32 s7, s10, s11
	s_mov_b32 s21, 0
	s_and_b32 s12, s7, 0x7fffffff
	s_cmp_lg_u32 s12, 0
	s_cselect_b32 s7, -1, 0
	s_cmp_eq_u32 s12, 0
	s_cselect_b32 s22, -1, 0
	s_and_b32 vcc_lo, exec_lo, s7
	s_cbranch_vccnz .LBB317_5
; %bb.4:
	s_mov_b32 s14, s21
	s_mov_b64 s[12:13], 0
	s_andn2_b32 vcc_lo, exec_lo, s14
	s_mov_b64 s[18:19], 0
	s_cbranch_vccz .LBB317_6
	s_branch .LBB317_7
.LBB317_5:
	s_mov_b64 s[12:13], 0
	s_mov_b64 s[18:19], 0
.LBB317_6:
	s_lshl_b64 s[14:15], s[20:21], 3
	s_waitcnt lgkmcnt(0)
	s_add_u32 s0, s0, s14
	s_addc_u32 s1, s1, s15
	s_lshl_b64 s[2:3], s[2:3], 3
	s_load_dwordx2 s[0:1], s[0:1], 0x0
	s_waitcnt lgkmcnt(0)
	s_add_u32 s18, s0, s2
	s_addc_u32 s19, s1, s3
.LBB317_7:
	s_waitcnt lgkmcnt(0)
	s_clause 0x1
	s_load_dwordx4 s[0:3], s[4:5], 0x38
	s_load_dwordx2 s[14:15], s[4:5], 0x48
	s_andn2_b32 vcc_lo, exec_lo, s7
	s_cbranch_vccnz .LBB317_9
; %bb.8:
	s_lshl_b64 s[12:13], s[20:21], 3
	s_waitcnt lgkmcnt(0)
	s_add_u32 s0, s0, s12
	s_addc_u32 s1, s1, s13
	s_lshl_b64 s[2:3], s[2:3], 3
	s_load_dwordx2 s[0:1], s[0:1], 0x0
	s_waitcnt lgkmcnt(0)
	s_add_u32 s12, s0, s2
	s_addc_u32 s13, s1, s3
.LBB317_9:
	s_load_dwordx4 s[24:27], s[4:5], 0x68
	s_waitcnt lgkmcnt(0)
	s_load_dwordx2 s[2:3], s[4:5], 0x78
	s_lshl_b64 s[0:1], s[20:21], 3
	s_add_u32 s0, s24, s0
	s_addc_u32 s1, s25, s1
	s_lshl_b64 s[24:25], s[26:27], 3
	s_load_dwordx2 s[20:21], s[0:1], 0x0
	v_cmp_eq_u32_e64 s0, 0, v0
	s_waitcnt lgkmcnt(0)
	s_add_u32 s7, s20, s24
	s_addc_u32 s20, s21, s25
	s_andn2_b32 vcc_lo, exec_lo, s22
	s_mov_b32 s21, -1
	s_cbranch_vccnz .LBB317_15
; %bb.10:
	s_mov_b32 s21, 0
	s_and_saveexec_b32 s22, s0
	s_cbranch_execz .LBB317_14
; %bb.11:
	v_cmp_neq_f32_e64 s0, s8, 0
	v_cmp_neq_f32_e64 s1, s9, 0
	s_mul_hi_u32 s23, s2, s6
	v_mov_b32_e32 v1, 0
	v_mov_b32_e32 v2, 0
	s_or_b32 s0, s0, s1
	s_ashr_i32 s1, s6, 31
	s_andn2_b32 vcc_lo, exec_lo, s0
	s_mul_i32 s1, s2, s1
	s_mul_i32 s0, s2, s6
	s_add_i32 s1, s23, s1
	s_mul_i32 s23, s3, s6
	s_add_i32 s1, s1, s23
	s_cbranch_vccnz .LBB317_13
; %bb.12:
	s_lshl_b64 s[24:25], s[0:1], 3
	s_add_u32 s24, s7, s24
	s_addc_u32 s25, s20, s25
	v_mov_b32_e32 v1, s24
	v_mov_b32_e32 v2, s25
	flat_load_dwordx2 v[3:4], v[1:2]
	s_waitcnt vmcnt(0) lgkmcnt(0)
	v_mul_f32_e32 v1, s9, v4
	v_mul_f32_e32 v2, s8, v4
	v_fma_f32 v1, s8, v3, -v1
	v_fmac_f32_e32 v2, s9, v3
.LBB317_13:
	s_lshl_b64 s[0:1], s[0:1], 3
	s_add_u32 s0, s7, s0
	s_addc_u32 s1, s20, s1
	v_mov_b32_e32 v4, s1
	v_mov_b32_e32 v3, s0
	flat_store_dwordx2 v[3:4], v[1:2]
.LBB317_14:
	s_or_b32 exec_lo, exec_lo, s22
.LBB317_15:
	s_andn2_b32 vcc_lo, exec_lo, s21
	s_cbranch_vccnz .LBB317_34
; %bb.16:
	s_load_dword s5, s[4:5], 0x0
	s_ashr_i32 s1, s6, 31
	s_mul_hi_u32 s0, s16, s6
	s_mul_i32 s22, s16, s6
	s_mul_i32 s16, s16, s1
	;; [unrolled: 1-line block ×3, first 2 shown]
	s_add_i32 s0, s0, s16
	v_mov_b32_e32 v7, 0
	s_add_i32 s23, s0, s4
	v_mov_b32_e32 v8, 0
	s_waitcnt lgkmcnt(0)
	v_cmp_gt_i32_e32 vcc_lo, s5, v0
	s_ashr_i32 s16, s5, 31
	s_lshr_b32 s0, s16, 24
	s_lshl_b64 s[16:17], s[22:23], 3
	v_cndmask_b32_e32 v1, 0, v0, vcc_lo
	s_add_i32 s0, s5, s0
	s_and_b32 s4, s0, 0xffffff00
	v_lshlrev_b32_e32 v1, 3, v1
	v_add_co_u32 v1, s0, s18, v1
	v_add_co_ci_u32_e64 v2, null, s19, 0, s0
	s_mov_b32 s19, 0
	v_add_co_u32 v1, s0, v1, s16
	v_add_co_ci_u32_e64 v2, null, s17, v2, s0
	s_mov_b32 s18, exec_lo
	v_cmpx_gt_i32_e64 s4, v0
	s_cbranch_execz .LBB317_20
; %bb.17:
	v_mad_u64_u32 v[3:4], null, s14, v0, 0
	v_mov_b32_e32 v7, 0
	v_mov_b32_e32 v9, v0
	;; [unrolled: 1-line block ×3, first 2 shown]
	s_lshl_b64 s[16:17], s[14:15], 11
	v_mad_u64_u32 v[4:5], null, s15, v0, v[4:5]
	v_lshlrev_b64 v[5:6], 3, v[3:4]
	v_mov_b32_e32 v4, v2
	v_mov_b32_e32 v3, v1
	v_add_co_u32 v5, vcc_lo, s12, v5
	v_add_co_ci_u32_e64 v6, null, s13, v6, vcc_lo
	.p2align	6
.LBB317_18:                             ; =>This Inner Loop Header: Depth=1
	flat_load_dwordx2 v[10:11], v[3:4]
	flat_load_dwordx2 v[12:13], v[5:6]
	v_add_nc_u32_e32 v9, 0x100, v9
	v_add_co_u32 v3, vcc_lo, 0x800, v3
	v_add_co_ci_u32_e64 v4, null, 0, v4, vcc_lo
	v_add_co_u32 v5, vcc_lo, v5, s16
	v_cmp_le_i32_e64 s0, s4, v9
	v_add_co_ci_u32_e64 v6, null, s17, v6, vcc_lo
	s_or_b32 s19, s0, s19
	s_waitcnt vmcnt(0) lgkmcnt(0)
	v_mul_f32_e32 v14, v13, v11
	v_mul_f32_e32 v11, v12, v11
	v_fma_f32 v12, v12, v10, -v14
	v_fmac_f32_e32 v11, v13, v10
	v_add_f32_e32 v8, v8, v12
	v_add_f32_e32 v7, v7, v11
	s_andn2_b32 exec_lo, exec_lo, s19
	s_cbranch_execnz .LBB317_18
; %bb.19:
	s_or_b32 exec_lo, exec_lo, s19
.LBB317_20:
	s_or_b32 exec_lo, exec_lo, s18
	v_add_nc_u32_e32 v3, s4, v0
	s_mov_b32 s0, exec_lo
	v_cmpx_gt_i32_e64 s5, v3
	s_cbranch_execz .LBB317_22
; %bb.21:
	v_ashrrev_i32_e32 v5, 31, v3
	v_mul_lo_u32 v6, s15, v3
	v_mad_u64_u32 v[3:4], null, s14, v3, 0
	s_ashr_i32 s5, s4, 31
	v_mul_lo_u32 v5, s14, v5
	s_lshl_b64 s[4:5], s[4:5], 3
	v_add_co_u32 v1, vcc_lo, v1, s4
	v_add_co_ci_u32_e64 v2, null, s5, v2, vcc_lo
	v_add3_u32 v4, v4, v5, v6
	v_lshlrev_b64 v[3:4], 3, v[3:4]
	v_add_co_u32 v3, vcc_lo, s12, v3
	v_add_co_ci_u32_e64 v4, null, s13, v4, vcc_lo
	flat_load_dwordx2 v[1:2], v[1:2]
	flat_load_dwordx2 v[3:4], v[3:4]
	s_waitcnt vmcnt(0) lgkmcnt(0)
	v_mul_f32_e32 v5, v4, v2
	v_mul_f32_e32 v2, v3, v2
	v_fma_f32 v3, v3, v1, -v5
	v_fmac_f32_e32 v2, v4, v1
	v_add_f32_e32 v8, v8, v3
	v_add_f32_e32 v7, v7, v2
.LBB317_22:
	s_or_b32 exec_lo, exec_lo, s0
	v_and_b32_e32 v1, 31, v0
	v_cmp_gt_u32_e32 vcc_lo, 32, v0
	v_lshlrev_b32_e32 v3, 3, v1
	s_and_saveexec_b32 s0, vcc_lo
; %bb.23:
	v_mov_b32_e32 v4, 0
	v_mov_b32_e32 v5, v4
	ds_write_b64 v3, v[4:5]
; %bb.24:
	s_or_b32 exec_lo, exec_lo, s0
	v_mbcnt_lo_u32_b32 v2, -1, 0
	s_mov_b32 s4, exec_lo
	s_waitcnt lgkmcnt(0)
	s_waitcnt_vscnt null, 0x0
	s_barrier
	buffer_gl0_inv
	v_lshl_or_b32 v4, v2, 2, 64
	v_cmp_gt_u32_e64 s0, 24, v2
	ds_bpermute_b32 v5, v4, v8
	ds_bpermute_b32 v4, v4, v7
	v_cndmask_b32_e64 v6, 0, 8, s0
	v_cmp_gt_u32_e64 s0, 28, v2
	v_add_lshl_u32 v6, v6, v2, 2
	s_waitcnt lgkmcnt(1)
	v_add_f32_e32 v5, v8, v5
	s_waitcnt lgkmcnt(0)
	v_add_f32_e32 v7, v7, v4
	v_cndmask_b32_e64 v4, 0, 4, s0
	v_cmp_gt_u32_e64 s0, 30, v2
	ds_bpermute_b32 v8, v6, v5
	ds_bpermute_b32 v6, v6, v7
	v_add_lshl_u32 v4, v4, v2, 2
	s_waitcnt lgkmcnt(1)
	v_add_f32_e32 v8, v5, v8
	s_waitcnt lgkmcnt(0)
	v_add_f32_e32 v6, v7, v6
	v_cndmask_b32_e64 v5, 0, 2, s0
	v_cmp_ne_u32_e64 s0, 31, v2
	ds_bpermute_b32 v7, v4, v8
	ds_bpermute_b32 v9, v4, v6
	v_add_lshl_u32 v5, v5, v2, 2
	v_add_co_ci_u32_e64 v2, null, 0, v2, s0
	s_waitcnt lgkmcnt(1)
	v_add_f32_e32 v7, v8, v7
	s_waitcnt lgkmcnt(0)
	v_add_f32_e32 v8, v6, v9
	v_lshlrev_b32_e32 v6, 2, v2
	ds_bpermute_b32 v9, v5, v7
	ds_bpermute_b32 v10, v5, v8
	s_waitcnt lgkmcnt(1)
	v_add_f32_e32 v2, v7, v9
	s_waitcnt lgkmcnt(0)
	v_add_f32_e32 v8, v8, v10
	ds_bpermute_b32 v7, v6, v2
	ds_bpermute_b32 v9, v6, v8
	v_cmpx_eq_u32_e32 0, v1
	s_cbranch_execz .LBB317_26
; %bb.25:
	v_lshrrev_b32_e32 v1, 2, v0
	s_waitcnt lgkmcnt(0)
	v_add_f32_e32 v8, v8, v9
	v_add_f32_e32 v7, v2, v7
	v_and_b32_e32 v1, 56, v1
	ds_write_b64 v1, v[7:8]
.LBB317_26:
	s_or_b32 exec_lo, exec_lo, s4
	v_mov_b32_e32 v2, 0
	v_mov_b32_e32 v1, 0
	s_mov_b32 s4, exec_lo
	s_waitcnt lgkmcnt(0)
	s_barrier
	buffer_gl0_inv
	v_cmpx_gt_u32_e32 8, v0
; %bb.27:
	ds_read_b64 v[1:2], v3
; %bb.28:
	s_or_b32 exec_lo, exec_lo, s4
	s_and_saveexec_b32 s0, vcc_lo
	s_cbranch_execz .LBB317_30
; %bb.29:
	s_waitcnt lgkmcnt(0)
	ds_bpermute_b32 v3, v4, v1
	ds_bpermute_b32 v4, v4, v2
	s_waitcnt lgkmcnt(1)
	v_add_f32_e32 v1, v1, v3
	s_waitcnt lgkmcnt(0)
	v_add_f32_e32 v2, v2, v4
	ds_bpermute_b32 v3, v5, v1
	ds_bpermute_b32 v4, v5, v2
	s_waitcnt lgkmcnt(1)
	v_add_f32_e32 v1, v1, v3
	s_waitcnt lgkmcnt(0)
	v_add_f32_e32 v2, v2, v4
	;; [unrolled: 6-line block ×3, first 2 shown]
.LBB317_30:
	s_or_b32 exec_lo, exec_lo, s0
	s_mov_b32 s0, exec_lo
	v_cmpx_eq_u32_e32 0, v0
	s_cbranch_execz .LBB317_34
; %bb.31:
	v_cmp_neq_f32_e64 s0, s8, 0
	v_cmp_neq_f32_e64 s4, s9, 0
	s_waitcnt lgkmcnt(0)
	v_mul_f32_e32 v0, s11, v2
	v_mul_f32_e32 v4, s10, v2
	s_mul_i32 s1, s2, s1
	s_mul_i32 s3, s3, s6
	s_or_b32 s0, s0, s4
	s_mul_hi_u32 s4, s2, s6
	v_fma_f32 v3, v1, s10, -v0
	v_fmac_f32_e32 v4, s11, v1
	s_add_i32 s1, s4, s1
	s_andn2_b32 vcc_lo, exec_lo, s0
	s_add_i32 s1, s1, s3
	s_mul_i32 s0, s2, s6
	s_cbranch_vccnz .LBB317_33
; %bb.32:
	s_lshl_b64 s[2:3], s[0:1], 3
	s_add_u32 s2, s7, s2
	s_addc_u32 s3, s20, s3
	v_mov_b32_e32 v0, s2
	v_mov_b32_e32 v1, s3
	flat_load_dwordx2 v[0:1], v[0:1]
	s_waitcnt vmcnt(0) lgkmcnt(0)
	v_mul_f32_e32 v2, s9, v1
	v_mul_f32_e32 v1, s8, v1
	v_fma_f32 v2, s8, v0, -v2
	v_fmac_f32_e32 v1, s9, v0
	v_add_f32_e32 v3, v3, v2
	v_add_f32_e32 v4, v4, v1
.LBB317_33:
	s_lshl_b64 s[0:1], s[0:1], 3
	s_add_u32 s0, s7, s0
	s_addc_u32 s1, s20, s1
	v_mov_b32_e32 v0, s0
	v_mov_b32_e32 v1, s1
	flat_store_dwordx2 v[0:1], v[3:4]
.LBB317_34:
	s_endpgm
	.section	.rodata,"a",@progbits
	.p2align	6, 0x0
	.amdhsa_kernel _ZL32rocblas_gemvt_warp_reduce_kernelILb0ELi256ElPK19rocblas_complex_numIfES1_KPS1_EviiT3_lPKT2_lT1_lS9_lSA_lS6_lPT4_lSA_li
		.amdhsa_group_segment_fixed_size 256
		.amdhsa_private_segment_fixed_size 0
		.amdhsa_kernarg_size 140
		.amdhsa_user_sgpr_count 6
		.amdhsa_user_sgpr_private_segment_buffer 1
		.amdhsa_user_sgpr_dispatch_ptr 0
		.amdhsa_user_sgpr_queue_ptr 0
		.amdhsa_user_sgpr_kernarg_segment_ptr 1
		.amdhsa_user_sgpr_dispatch_id 0
		.amdhsa_user_sgpr_flat_scratch_init 0
		.amdhsa_user_sgpr_private_segment_size 0
		.amdhsa_wavefront_size32 1
		.amdhsa_uses_dynamic_stack 0
		.amdhsa_system_sgpr_private_segment_wavefront_offset 0
		.amdhsa_system_sgpr_workgroup_id_x 1
		.amdhsa_system_sgpr_workgroup_id_y 0
		.amdhsa_system_sgpr_workgroup_id_z 1
		.amdhsa_system_sgpr_workgroup_info 0
		.amdhsa_system_vgpr_workitem_id 0
		.amdhsa_next_free_vgpr 15
		.amdhsa_next_free_sgpr 28
		.amdhsa_reserve_vcc 1
		.amdhsa_reserve_flat_scratch 0
		.amdhsa_float_round_mode_32 0
		.amdhsa_float_round_mode_16_64 0
		.amdhsa_float_denorm_mode_32 3
		.amdhsa_float_denorm_mode_16_64 3
		.amdhsa_dx10_clamp 1
		.amdhsa_ieee_mode 1
		.amdhsa_fp16_overflow 0
		.amdhsa_workgroup_processor_mode 1
		.amdhsa_memory_ordered 1
		.amdhsa_forward_progress 1
		.amdhsa_shared_vgpr_count 0
		.amdhsa_exception_fp_ieee_invalid_op 0
		.amdhsa_exception_fp_denorm_src 0
		.amdhsa_exception_fp_ieee_div_zero 0
		.amdhsa_exception_fp_ieee_overflow 0
		.amdhsa_exception_fp_ieee_underflow 0
		.amdhsa_exception_fp_ieee_inexact 0
		.amdhsa_exception_int_div_zero 0
	.end_amdhsa_kernel
	.section	.text._ZL32rocblas_gemvt_warp_reduce_kernelILb0ELi256ElPK19rocblas_complex_numIfES1_KPS1_EviiT3_lPKT2_lT1_lS9_lSA_lS6_lPT4_lSA_li,"axG",@progbits,_ZL32rocblas_gemvt_warp_reduce_kernelILb0ELi256ElPK19rocblas_complex_numIfES1_KPS1_EviiT3_lPKT2_lT1_lS9_lSA_lS6_lPT4_lSA_li,comdat
.Lfunc_end317:
	.size	_ZL32rocblas_gemvt_warp_reduce_kernelILb0ELi256ElPK19rocblas_complex_numIfES1_KPS1_EviiT3_lPKT2_lT1_lS9_lSA_lS6_lPT4_lSA_li, .Lfunc_end317-_ZL32rocblas_gemvt_warp_reduce_kernelILb0ELi256ElPK19rocblas_complex_numIfES1_KPS1_EviiT3_lPKT2_lT1_lS9_lSA_lS6_lPT4_lSA_li
                                        ; -- End function
	.set _ZL32rocblas_gemvt_warp_reduce_kernelILb0ELi256ElPK19rocblas_complex_numIfES1_KPS1_EviiT3_lPKT2_lT1_lS9_lSA_lS6_lPT4_lSA_li.num_vgpr, 15
	.set _ZL32rocblas_gemvt_warp_reduce_kernelILb0ELi256ElPK19rocblas_complex_numIfES1_KPS1_EviiT3_lPKT2_lT1_lS9_lSA_lS6_lPT4_lSA_li.num_agpr, 0
	.set _ZL32rocblas_gemvt_warp_reduce_kernelILb0ELi256ElPK19rocblas_complex_numIfES1_KPS1_EviiT3_lPKT2_lT1_lS9_lSA_lS6_lPT4_lSA_li.numbered_sgpr, 28
	.set _ZL32rocblas_gemvt_warp_reduce_kernelILb0ELi256ElPK19rocblas_complex_numIfES1_KPS1_EviiT3_lPKT2_lT1_lS9_lSA_lS6_lPT4_lSA_li.num_named_barrier, 0
	.set _ZL32rocblas_gemvt_warp_reduce_kernelILb0ELi256ElPK19rocblas_complex_numIfES1_KPS1_EviiT3_lPKT2_lT1_lS9_lSA_lS6_lPT4_lSA_li.private_seg_size, 0
	.set _ZL32rocblas_gemvt_warp_reduce_kernelILb0ELi256ElPK19rocblas_complex_numIfES1_KPS1_EviiT3_lPKT2_lT1_lS9_lSA_lS6_lPT4_lSA_li.uses_vcc, 1
	.set _ZL32rocblas_gemvt_warp_reduce_kernelILb0ELi256ElPK19rocblas_complex_numIfES1_KPS1_EviiT3_lPKT2_lT1_lS9_lSA_lS6_lPT4_lSA_li.uses_flat_scratch, 0
	.set _ZL32rocblas_gemvt_warp_reduce_kernelILb0ELi256ElPK19rocblas_complex_numIfES1_KPS1_EviiT3_lPKT2_lT1_lS9_lSA_lS6_lPT4_lSA_li.has_dyn_sized_stack, 0
	.set _ZL32rocblas_gemvt_warp_reduce_kernelILb0ELi256ElPK19rocblas_complex_numIfES1_KPS1_EviiT3_lPKT2_lT1_lS9_lSA_lS6_lPT4_lSA_li.has_recursion, 0
	.set _ZL32rocblas_gemvt_warp_reduce_kernelILb0ELi256ElPK19rocblas_complex_numIfES1_KPS1_EviiT3_lPKT2_lT1_lS9_lSA_lS6_lPT4_lSA_li.has_indirect_call, 0
	.section	.AMDGPU.csdata,"",@progbits
; Kernel info:
; codeLenInByte = 1732
; TotalNumSgprs: 30
; NumVgprs: 15
; ScratchSize: 0
; MemoryBound: 0
; FloatMode: 240
; IeeeMode: 1
; LDSByteSize: 256 bytes/workgroup (compile time only)
; SGPRBlocks: 0
; VGPRBlocks: 1
; NumSGPRsForWavesPerEU: 30
; NumVGPRsForWavesPerEU: 15
; Occupancy: 16
; WaveLimiterHint : 1
; COMPUTE_PGM_RSRC2:SCRATCH_EN: 0
; COMPUTE_PGM_RSRC2:USER_SGPR: 6
; COMPUTE_PGM_RSRC2:TRAP_HANDLER: 0
; COMPUTE_PGM_RSRC2:TGID_X_EN: 1
; COMPUTE_PGM_RSRC2:TGID_Y_EN: 0
; COMPUTE_PGM_RSRC2:TGID_Z_EN: 1
; COMPUTE_PGM_RSRC2:TIDIG_COMP_CNT: 0
	.section	.text._ZL20rocblas_gemvt_kernelILb0ELi256EPK19rocblas_complex_numIfES3_KPS1_EviiT2_lPKT1_lilS9_lilS6_lPT3_lili,"axG",@progbits,_ZL20rocblas_gemvt_kernelILb0ELi256EPK19rocblas_complex_numIfES3_KPS1_EviiT2_lPKT1_lilS9_lilS6_lPT3_lili,comdat
	.globl	_ZL20rocblas_gemvt_kernelILb0ELi256EPK19rocblas_complex_numIfES3_KPS1_EviiT2_lPKT1_lilS9_lilS6_lPT3_lili ; -- Begin function _ZL20rocblas_gemvt_kernelILb0ELi256EPK19rocblas_complex_numIfES3_KPS1_EviiT2_lPKT1_lilS9_lilS6_lPT3_lili
	.p2align	8
	.type	_ZL20rocblas_gemvt_kernelILb0ELi256EPK19rocblas_complex_numIfES3_KPS1_EviiT2_lPKT1_lilS9_lilS6_lPT3_lili,@function
_ZL20rocblas_gemvt_kernelILb0ELi256EPK19rocblas_complex_numIfES3_KPS1_EviiT2_lPKT1_lilS9_lilS6_lPT3_lili: ; @_ZL20rocblas_gemvt_kernelILb0ELi256EPK19rocblas_complex_numIfES3_KPS1_EviiT2_lPKT1_lilS9_lilS6_lPT3_lili
; %bb.0:
	s_clause 0x1
	s_load_dwordx8 s[16:23], s[4:5], 0x8
	s_load_dwordx8 s[8:15], s[4:5], 0x58
	s_mov_b32 s0, s7
	s_waitcnt lgkmcnt(0)
	s_mul_i32 s1, s19, s7
	s_mul_hi_u32 s3, s18, s7
	s_mul_i32 s2, s18, s7
	s_add_i32 s3, s3, s1
	s_mul_i32 s1, s11, s7
	s_lshl_b64 s[2:3], s[2:3], 3
	s_add_u32 s2, s16, s2
	s_addc_u32 s3, s17, s3
	s_load_dwordx2 s[16:17], s[2:3], 0x0
	s_mul_hi_u32 s3, s10, s7
	s_mul_i32 s2, s10, s7
	s_add_i32 s3, s3, s1
	s_lshl_b64 s[2:3], s[2:3], 3
	s_add_u32 s2, s8, s2
	s_addc_u32 s3, s9, s3
	s_load_dwordx2 s[2:3], s[2:3], 0x0
	s_waitcnt lgkmcnt(0)
	v_cmp_neq_f32_e64 s1, s16, 0
	v_cmp_neq_f32_e64 s7, s17, 0
	s_or_b32 s7, s1, s7
	s_mov_b32 s1, 0
	s_and_b32 vcc_lo, exec_lo, s7
	s_mov_b32 s7, -1
	s_cbranch_vccnz .LBB318_2
; %bb.1:
	v_cmp_neq_f32_e64 s7, s2, 1.0
	v_cmp_neq_f32_e64 s8, s3, 0
	s_or_b32 s7, s7, s8
.LBB318_2:
	s_andn2_b32 vcc_lo, exec_lo, s7
	s_cbranch_vccnz .LBB318_39
; %bb.3:
	s_or_b32 s7, s16, s17
	s_mov_b64 s[10:11], 0
	s_and_b32 s8, s7, 0x7fffffff
	s_cmp_lg_u32 s8, 0
	s_cselect_b32 s7, -1, 0
	s_cmp_eq_u32 s8, 0
	s_mov_b64 s[8:9], 0
	s_cselect_b32 s18, -1, 0
	s_and_b32 vcc_lo, exec_lo, s18
	s_cbranch_vccnz .LBB318_5
; %bb.4:
	s_lshl_b64 s[10:11], s[0:1], 3
	s_add_u32 s10, s20, s10
	s_addc_u32 s11, s21, s11
	s_lshl_b64 s[20:21], s[22:23], 3
	s_load_dwordx2 s[10:11], s[10:11], 0x0
	s_waitcnt lgkmcnt(0)
	s_add_u32 s10, s10, s20
	s_addc_u32 s11, s11, s21
.LBB318_5:
	s_andn2_b32 vcc_lo, exec_lo, s7
	s_cbranch_vccnz .LBB318_7
; %bb.6:
	s_load_dwordx4 s[20:23], s[4:5], 0x38
	s_lshl_b64 s[8:9], s[0:1], 3
	s_waitcnt lgkmcnt(0)
	s_add_u32 s8, s20, s8
	s_addc_u32 s9, s21, s9
	s_lshl_b64 s[20:21], s[22:23], 3
	s_load_dwordx2 s[8:9], s[8:9], 0x0
	s_waitcnt lgkmcnt(0)
	s_add_u32 s8, s8, s20
	s_addc_u32 s9, s9, s21
.LBB318_7:
	s_lshl_b64 s[0:1], s[0:1], 3
	s_add_u32 s0, s12, s0
	s_addc_u32 s1, s13, s1
	s_lshl_b64 s[14:15], s[14:15], 3
	s_load_dwordx2 s[20:21], s[0:1], 0x0
	s_load_dword s13, s[4:5], 0x78
	v_cmp_eq_u32_e64 s0, 0, v0
	s_waitcnt lgkmcnt(0)
	s_add_u32 s7, s20, s14
	s_addc_u32 s12, s21, s15
	s_andn2_b32 vcc_lo, exec_lo, s18
	s_mov_b32 s14, -1
	s_cbranch_vccnz .LBB318_13
; %bb.8:
	s_mov_b32 s14, 0
	s_and_saveexec_b32 s15, s0
	s_cbranch_execz .LBB318_12
; %bb.9:
	v_cmp_neq_f32_e64 s0, s2, 0
	v_cmp_neq_f32_e64 s1, s3, 0
	v_mov_b32_e32 v1, 0
	v_mov_b32_e32 v2, 0
	s_or_b32 s0, s0, s1
	s_mul_hi_i32 s1, s13, s6
	s_andn2_b32 vcc_lo, exec_lo, s0
	s_mul_i32 s0, s13, s6
	s_cbranch_vccnz .LBB318_11
; %bb.10:
	s_lshl_b64 s[18:19], s[0:1], 3
	s_add_u32 s18, s7, s18
	s_addc_u32 s19, s12, s19
	v_mov_b32_e32 v1, s18
	v_mov_b32_e32 v2, s19
	flat_load_dwordx2 v[3:4], v[1:2]
	s_waitcnt vmcnt(0) lgkmcnt(0)
	v_mul_f32_e32 v1, s3, v4
	v_mul_f32_e32 v2, s2, v4
	v_fma_f32 v1, s2, v3, -v1
	v_fmac_f32_e32 v2, s3, v3
.LBB318_11:
	s_lshl_b64 s[0:1], s[0:1], 3
	s_add_u32 s0, s7, s0
	s_addc_u32 s1, s12, s1
	v_mov_b32_e32 v4, s1
	v_mov_b32_e32 v3, s0
	flat_store_dwordx2 v[3:4], v[1:2]
.LBB318_12:
	s_or_b32 exec_lo, exec_lo, s15
.LBB318_13:
	s_andn2_b32 vcc_lo, exec_lo, s14
	s_cbranch_vccnz .LBB318_39
; %bb.14:
	s_clause 0x2
	s_load_dword s14, s[4:5], 0x0
	s_load_dword s1, s[4:5], 0x28
	s_load_dword s0, s[4:5], 0x48
	v_mov_b32_e32 v2, 0
	s_waitcnt lgkmcnt(0)
	v_cmp_gt_i32_e32 vcc_lo, s14, v0
	s_mul_hi_i32 s5, s1, s6
	s_mul_i32 s4, s1, s6
	s_ashr_i32 s1, s14, 31
	s_lshl_b64 s[4:5], s[4:5], 3
	v_cndmask_b32_e32 v1, 0, v0, vcc_lo
	s_lshr_b32 s1, s1, 24
	s_add_i32 s1, s14, s1
	v_lshlrev_b32_e32 v1, 3, v1
	v_add_co_u32 v1, s10, s10, v1
	v_add_co_ci_u32_e64 v4, null, s11, 0, s10
	v_add_co_u32 v3, vcc_lo, v1, s4
	v_add_co_ci_u32_e64 v4, null, s5, v4, vcc_lo
	v_mov_b32_e32 v1, v2
	s_and_b32 s4, s1, 0xffffff00
	s_cmpk_lt_i32 s14, 0x100
	s_mov_b32 s5, 0
	s_cbranch_scc1 .LBB318_17
; %bb.15:
	v_mad_i64_i32 v[1:2], null, s0, v0, 0
	v_mov_b32_e32 v6, v4
	v_mov_b32_e32 v5, v3
	s_ashr_i32 s1, s0, 31
	s_lshl_b64 s[10:11], s[0:1], 11
	v_lshlrev_b64 v[7:8], 3, v[1:2]
	v_mov_b32_e32 v2, 0
	v_mov_b32_e32 v1, v2
	v_add_co_u32 v7, vcc_lo, s8, v7
	v_add_co_ci_u32_e64 v8, null, s9, v8, vcc_lo
	.p2align	6
.LBB318_16:                             ; =>This Inner Loop Header: Depth=1
	flat_load_dwordx2 v[9:10], v[5:6]
	flat_load_dwordx2 v[11:12], v[7:8]
	v_add_co_u32 v7, vcc_lo, v7, s10
	v_add_co_ci_u32_e64 v8, null, s11, v8, vcc_lo
	v_add_co_u32 v5, vcc_lo, 0x800, v5
	v_add_co_ci_u32_e64 v6, null, 0, v6, vcc_lo
	s_addk_i32 s5, 0x100
	s_cmp_ge_i32 s5, s4
	s_waitcnt vmcnt(0) lgkmcnt(0)
	v_mul_f32_e32 v13, v12, v10
	v_mul_f32_e32 v10, v11, v10
	v_fma_f32 v11, v11, v9, -v13
	v_fmac_f32_e32 v10, v12, v9
	v_add_f32_e32 v1, v1, v11
	v_add_f32_e32 v2, v2, v10
	s_cbranch_scc0 .LBB318_16
.LBB318_17:
	v_add_nc_u32_e32 v5, s4, v0
	s_mov_b32 s1, exec_lo
	v_cmpx_gt_i32_e64 s14, v5
	s_cbranch_execz .LBB318_19
; %bb.18:
	v_mad_i64_i32 v[5:6], null, s0, v5, 0
	s_ashr_i32 s5, s4, 31
	s_lshl_b64 s[4:5], s[4:5], 3
	v_add_co_u32 v3, vcc_lo, v3, s4
	v_lshlrev_b64 v[5:6], 3, v[5:6]
	v_add_co_ci_u32_e64 v4, null, s5, v4, vcc_lo
	v_add_co_u32 v5, vcc_lo, s8, v5
	v_add_co_ci_u32_e64 v6, null, s9, v6, vcc_lo
	flat_load_dwordx2 v[3:4], v[3:4]
	flat_load_dwordx2 v[5:6], v[5:6]
	s_waitcnt vmcnt(0) lgkmcnt(0)
	v_mul_f32_e32 v7, v6, v4
	v_mul_f32_e32 v4, v5, v4
	v_fma_f32 v5, v5, v3, -v7
	v_fmac_f32_e32 v4, v6, v3
	v_add_f32_e32 v1, v1, v5
	v_add_f32_e32 v2, v2, v4
.LBB318_19:
	s_or_b32 exec_lo, exec_lo, s1
	v_lshlrev_b32_e32 v3, 3, v0
	s_mov_b32 s0, exec_lo
	ds_write_b64 v3, v[1:2]
	s_waitcnt lgkmcnt(0)
	s_waitcnt_vscnt null, 0x0
	s_barrier
	buffer_gl0_inv
	v_cmpx_gt_u32_e32 0x80, v0
	s_cbranch_execz .LBB318_21
; %bb.20:
	ds_read2st64_b64 v[4:7], v3 offset1:2
	s_waitcnt lgkmcnt(0)
	v_add_f32_e32 v1, v6, v4
	v_add_f32_e32 v2, v7, v5
	ds_write_b64 v3, v[1:2]
.LBB318_21:
	s_or_b32 exec_lo, exec_lo, s0
	s_mov_b32 s0, exec_lo
	s_waitcnt lgkmcnt(0)
	s_barrier
	buffer_gl0_inv
	v_cmpx_gt_u32_e32 64, v0
	s_cbranch_execz .LBB318_23
; %bb.22:
	ds_read2st64_b64 v[4:7], v3 offset1:1
	s_waitcnt lgkmcnt(0)
	v_add_f32_e32 v1, v6, v4
	v_add_f32_e32 v2, v7, v5
	ds_write_b64 v3, v[1:2]
.LBB318_23:
	s_or_b32 exec_lo, exec_lo, s0
	s_mov_b32 s0, exec_lo
	s_waitcnt lgkmcnt(0)
	s_barrier
	buffer_gl0_inv
	v_cmpx_gt_u32_e32 32, v0
	s_cbranch_execz .LBB318_25
; %bb.24:
	ds_read2_b64 v[4:7], v3 offset1:32
	s_waitcnt lgkmcnt(0)
	v_add_f32_e32 v1, v6, v4
	v_add_f32_e32 v2, v7, v5
	ds_write_b64 v3, v[1:2]
.LBB318_25:
	s_or_b32 exec_lo, exec_lo, s0
	s_mov_b32 s0, exec_lo
	s_waitcnt lgkmcnt(0)
	s_barrier
	buffer_gl0_inv
	v_cmpx_gt_u32_e32 16, v0
	s_cbranch_execz .LBB318_27
; %bb.26:
	ds_read2_b64 v[4:7], v3 offset1:16
	s_waitcnt lgkmcnt(0)
	v_add_f32_e32 v1, v6, v4
	v_add_f32_e32 v2, v7, v5
	ds_write_b64 v3, v[1:2]
.LBB318_27:
	;; [unrolled: 14-line block ×5, first 2 shown]
	s_or_b32 exec_lo, exec_lo, s0
	v_cmp_eq_u32_e32 vcc_lo, 0, v0
	s_waitcnt lgkmcnt(0)
	s_barrier
	buffer_gl0_inv
	s_and_saveexec_b32 s0, vcc_lo
	s_cbranch_execz .LBB318_35
; %bb.34:
	v_mov_b32_e32 v4, 0
	ds_read_b128 v[0:3], v4
	s_waitcnt lgkmcnt(0)
	v_add_f32_e32 v0, v2, v0
	v_add_f32_e32 v1, v3, v1
	ds_write_b64 v4, v[0:1]
.LBB318_35:
	s_or_b32 exec_lo, exec_lo, s0
	s_waitcnt lgkmcnt(0)
	s_barrier
	buffer_gl0_inv
	s_and_saveexec_b32 s0, vcc_lo
	s_cbranch_execz .LBB318_39
; %bb.36:
	v_mov_b32_e32 v0, 0
	v_cmp_neq_f32_e64 s0, s2, 0
	v_cmp_neq_f32_e64 s1, s3, 0
	ds_read_b64 v[2:3], v0
	s_or_b32 s0, s0, s1
	s_mul_hi_i32 s1, s13, s6
	s_andn2_b32 vcc_lo, exec_lo, s0
	s_mul_i32 s0, s13, s6
	s_waitcnt lgkmcnt(0)
	v_mul_f32_e32 v0, s17, v3
	v_mul_f32_e32 v1, s16, v3
	v_fma_f32 v0, v2, s16, -v0
	v_fmac_f32_e32 v1, s17, v2
	s_cbranch_vccnz .LBB318_38
; %bb.37:
	s_lshl_b64 s[4:5], s[0:1], 3
	s_add_u32 s4, s7, s4
	s_addc_u32 s5, s12, s5
	v_mov_b32_e32 v2, s4
	v_mov_b32_e32 v3, s5
	flat_load_dwordx2 v[2:3], v[2:3]
	s_waitcnt vmcnt(0) lgkmcnt(0)
	v_mul_f32_e32 v4, s3, v3
	v_mul_f32_e32 v3, s2, v3
	v_fma_f32 v4, s2, v2, -v4
	v_fmac_f32_e32 v3, s3, v2
	v_add_f32_e32 v0, v0, v4
	v_add_f32_e32 v1, v1, v3
.LBB318_38:
	s_lshl_b64 s[0:1], s[0:1], 3
	s_add_u32 s0, s7, s0
	s_addc_u32 s1, s12, s1
	v_mov_b32_e32 v3, s1
	v_mov_b32_e32 v2, s0
	flat_store_dwordx2 v[2:3], v[0:1]
.LBB318_39:
	s_endpgm
	.section	.rodata,"a",@progbits
	.p2align	6, 0x0
	.amdhsa_kernel _ZL20rocblas_gemvt_kernelILb0ELi256EPK19rocblas_complex_numIfES3_KPS1_EviiT2_lPKT1_lilS9_lilS6_lPT3_lili
		.amdhsa_group_segment_fixed_size 2048
		.amdhsa_private_segment_fixed_size 0
		.amdhsa_kernarg_size 140
		.amdhsa_user_sgpr_count 6
		.amdhsa_user_sgpr_private_segment_buffer 1
		.amdhsa_user_sgpr_dispatch_ptr 0
		.amdhsa_user_sgpr_queue_ptr 0
		.amdhsa_user_sgpr_kernarg_segment_ptr 1
		.amdhsa_user_sgpr_dispatch_id 0
		.amdhsa_user_sgpr_flat_scratch_init 0
		.amdhsa_user_sgpr_private_segment_size 0
		.amdhsa_wavefront_size32 1
		.amdhsa_uses_dynamic_stack 0
		.amdhsa_system_sgpr_private_segment_wavefront_offset 0
		.amdhsa_system_sgpr_workgroup_id_x 1
		.amdhsa_system_sgpr_workgroup_id_y 0
		.amdhsa_system_sgpr_workgroup_id_z 1
		.amdhsa_system_sgpr_workgroup_info 0
		.amdhsa_system_vgpr_workitem_id 0
		.amdhsa_next_free_vgpr 14
		.amdhsa_next_free_sgpr 24
		.amdhsa_reserve_vcc 1
		.amdhsa_reserve_flat_scratch 0
		.amdhsa_float_round_mode_32 0
		.amdhsa_float_round_mode_16_64 0
		.amdhsa_float_denorm_mode_32 3
		.amdhsa_float_denorm_mode_16_64 3
		.amdhsa_dx10_clamp 1
		.amdhsa_ieee_mode 1
		.amdhsa_fp16_overflow 0
		.amdhsa_workgroup_processor_mode 1
		.amdhsa_memory_ordered 1
		.amdhsa_forward_progress 1
		.amdhsa_shared_vgpr_count 0
		.amdhsa_exception_fp_ieee_invalid_op 0
		.amdhsa_exception_fp_denorm_src 0
		.amdhsa_exception_fp_ieee_div_zero 0
		.amdhsa_exception_fp_ieee_overflow 0
		.amdhsa_exception_fp_ieee_underflow 0
		.amdhsa_exception_fp_ieee_inexact 0
		.amdhsa_exception_int_div_zero 0
	.end_amdhsa_kernel
	.section	.text._ZL20rocblas_gemvt_kernelILb0ELi256EPK19rocblas_complex_numIfES3_KPS1_EviiT2_lPKT1_lilS9_lilS6_lPT3_lili,"axG",@progbits,_ZL20rocblas_gemvt_kernelILb0ELi256EPK19rocblas_complex_numIfES3_KPS1_EviiT2_lPKT1_lilS9_lilS6_lPT3_lili,comdat
.Lfunc_end318:
	.size	_ZL20rocblas_gemvt_kernelILb0ELi256EPK19rocblas_complex_numIfES3_KPS1_EviiT2_lPKT1_lilS9_lilS6_lPT3_lili, .Lfunc_end318-_ZL20rocblas_gemvt_kernelILb0ELi256EPK19rocblas_complex_numIfES3_KPS1_EviiT2_lPKT1_lilS9_lilS6_lPT3_lili
                                        ; -- End function
	.set _ZL20rocblas_gemvt_kernelILb0ELi256EPK19rocblas_complex_numIfES3_KPS1_EviiT2_lPKT1_lilS9_lilS6_lPT3_lili.num_vgpr, 14
	.set _ZL20rocblas_gemvt_kernelILb0ELi256EPK19rocblas_complex_numIfES3_KPS1_EviiT2_lPKT1_lilS9_lilS6_lPT3_lili.num_agpr, 0
	.set _ZL20rocblas_gemvt_kernelILb0ELi256EPK19rocblas_complex_numIfES3_KPS1_EviiT2_lPKT1_lilS9_lilS6_lPT3_lili.numbered_sgpr, 24
	.set _ZL20rocblas_gemvt_kernelILb0ELi256EPK19rocblas_complex_numIfES3_KPS1_EviiT2_lPKT1_lilS9_lilS6_lPT3_lili.num_named_barrier, 0
	.set _ZL20rocblas_gemvt_kernelILb0ELi256EPK19rocblas_complex_numIfES3_KPS1_EviiT2_lPKT1_lilS9_lilS6_lPT3_lili.private_seg_size, 0
	.set _ZL20rocblas_gemvt_kernelILb0ELi256EPK19rocblas_complex_numIfES3_KPS1_EviiT2_lPKT1_lilS9_lilS6_lPT3_lili.uses_vcc, 1
	.set _ZL20rocblas_gemvt_kernelILb0ELi256EPK19rocblas_complex_numIfES3_KPS1_EviiT2_lPKT1_lilS9_lilS6_lPT3_lili.uses_flat_scratch, 0
	.set _ZL20rocblas_gemvt_kernelILb0ELi256EPK19rocblas_complex_numIfES3_KPS1_EviiT2_lPKT1_lilS9_lilS6_lPT3_lili.has_dyn_sized_stack, 0
	.set _ZL20rocblas_gemvt_kernelILb0ELi256EPK19rocblas_complex_numIfES3_KPS1_EviiT2_lPKT1_lilS9_lilS6_lPT3_lili.has_recursion, 0
	.set _ZL20rocblas_gemvt_kernelILb0ELi256EPK19rocblas_complex_numIfES3_KPS1_EviiT2_lPKT1_lilS9_lilS6_lPT3_lili.has_indirect_call, 0
	.section	.AMDGPU.csdata,"",@progbits
; Kernel info:
; codeLenInByte = 1620
; TotalNumSgprs: 26
; NumVgprs: 14
; ScratchSize: 0
; MemoryBound: 0
; FloatMode: 240
; IeeeMode: 1
; LDSByteSize: 2048 bytes/workgroup (compile time only)
; SGPRBlocks: 0
; VGPRBlocks: 1
; NumSGPRsForWavesPerEU: 26
; NumVGPRsForWavesPerEU: 14
; Occupancy: 16
; WaveLimiterHint : 1
; COMPUTE_PGM_RSRC2:SCRATCH_EN: 0
; COMPUTE_PGM_RSRC2:USER_SGPR: 6
; COMPUTE_PGM_RSRC2:TRAP_HANDLER: 0
; COMPUTE_PGM_RSRC2:TGID_X_EN: 1
; COMPUTE_PGM_RSRC2:TGID_Y_EN: 0
; COMPUTE_PGM_RSRC2:TGID_Z_EN: 1
; COMPUTE_PGM_RSRC2:TIDIG_COMP_CNT: 0
	.section	.text._ZL20rocblas_gemvt_kernelILb0ELi256EPK19rocblas_complex_numIfES1_KPS1_EviiT2_lPKT1_lilS9_lilS6_lPT3_lili,"axG",@progbits,_ZL20rocblas_gemvt_kernelILb0ELi256EPK19rocblas_complex_numIfES1_KPS1_EviiT2_lPKT1_lilS9_lilS6_lPT3_lili,comdat
	.globl	_ZL20rocblas_gemvt_kernelILb0ELi256EPK19rocblas_complex_numIfES1_KPS1_EviiT2_lPKT1_lilS9_lilS6_lPT3_lili ; -- Begin function _ZL20rocblas_gemvt_kernelILb0ELi256EPK19rocblas_complex_numIfES1_KPS1_EviiT2_lPKT1_lilS9_lilS6_lPT3_lili
	.p2align	8
	.type	_ZL20rocblas_gemvt_kernelILb0ELi256EPK19rocblas_complex_numIfES1_KPS1_EviiT2_lPKT1_lilS9_lilS6_lPT3_lili,@function
_ZL20rocblas_gemvt_kernelILb0ELi256EPK19rocblas_complex_numIfES1_KPS1_EviiT2_lPKT1_lilS9_lilS6_lPT3_lili: ; @_ZL20rocblas_gemvt_kernelILb0ELi256EPK19rocblas_complex_numIfES1_KPS1_EviiT2_lPKT1_lilS9_lilS6_lPT3_lili
; %bb.0:
	s_clause 0x1
	s_load_dwordx2 s[8:9], s[4:5], 0x8
	s_load_dwordx2 s[2:3], s[4:5], 0x58
	s_mov_b32 s0, s7
	s_waitcnt lgkmcnt(0)
	v_cmp_neq_f32_e64 s1, s8, 0
	v_cmp_neq_f32_e64 s7, s9, 0
	s_or_b32 s1, s1, s7
	s_and_b32 vcc_lo, exec_lo, s1
	s_mov_b32 s1, -1
	s_cbranch_vccnz .LBB319_2
; %bb.1:
	v_cmp_neq_f32_e64 s1, s2, 1.0
	v_cmp_neq_f32_e64 s7, s3, 0
	s_or_b32 s1, s1, s7
.LBB319_2:
	s_andn2_b32 vcc_lo, exec_lo, s1
	s_cbranch_vccnz .LBB319_41
; %bb.3:
	s_or_b32 s1, s8, s9
	s_bitset0_b32 s1, 31
	s_cmp_lg_u32 s1, 0
	s_cselect_b32 s7, -1, 0
	s_cmp_eq_u32 s1, 0
	s_mov_b32 s1, 0
	s_cselect_b32 s16, -1, 0
	s_and_b32 vcc_lo, exec_lo, s7
	s_cbranch_vccnz .LBB319_5
; %bb.4:
	s_mov_b32 s12, s1
	s_mov_b64 s[10:11], 0
	s_andn2_b32 vcc_lo, exec_lo, s12
	s_mov_b64 s[12:13], 0
	s_cbranch_vccz .LBB319_6
	s_branch .LBB319_7
.LBB319_5:
	s_mov_b64 s[10:11], 0
	s_mov_b64 s[12:13], 0
.LBB319_6:
	s_load_dwordx4 s[12:15], s[4:5], 0x18
	s_lshl_b64 s[18:19], s[0:1], 3
	s_waitcnt lgkmcnt(0)
	s_add_u32 s12, s12, s18
	s_addc_u32 s13, s13, s19
	s_lshl_b64 s[14:15], s[14:15], 3
	s_load_dwordx2 s[12:13], s[12:13], 0x0
	s_waitcnt lgkmcnt(0)
	s_add_u32 s12, s12, s14
	s_addc_u32 s13, s13, s15
.LBB319_7:
	s_andn2_b32 vcc_lo, exec_lo, s7
	s_cbranch_vccnz .LBB319_9
; %bb.8:
	s_load_dwordx4 s[20:23], s[4:5], 0x38
	s_lshl_b64 s[10:11], s[0:1], 3
	s_waitcnt lgkmcnt(0)
	s_add_u32 s10, s20, s10
	s_addc_u32 s11, s21, s11
	s_lshl_b64 s[14:15], s[22:23], 3
	s_load_dwordx2 s[10:11], s[10:11], 0x0
	s_waitcnt lgkmcnt(0)
	s_add_u32 s10, s10, s14
	s_addc_u32 s11, s11, s15
.LBB319_9:
	s_clause 0x1
	s_load_dwordx4 s[20:23], s[4:5], 0x68
	s_load_dword s15, s[4:5], 0x78
	s_lshl_b64 s[0:1], s[0:1], 3
	s_waitcnt lgkmcnt(0)
	s_add_u32 s0, s20, s0
	s_addc_u32 s1, s21, s1
	s_lshl_b64 s[20:21], s[22:23], 3
	s_load_dwordx2 s[18:19], s[0:1], 0x0
	v_cmp_eq_u32_e64 s0, 0, v0
	s_waitcnt lgkmcnt(0)
	s_add_u32 s7, s18, s20
	s_addc_u32 s14, s19, s21
	s_andn2_b32 vcc_lo, exec_lo, s16
	s_mov_b32 s16, -1
	s_cbranch_vccnz .LBB319_15
; %bb.10:
	s_mov_b32 s16, 0
	s_and_saveexec_b32 s17, s0
	s_cbranch_execz .LBB319_14
; %bb.11:
	v_cmp_neq_f32_e64 s0, s2, 0
	v_cmp_neq_f32_e64 s1, s3, 0
	v_mov_b32_e32 v1, 0
	v_mov_b32_e32 v2, 0
	s_or_b32 s0, s0, s1
	s_mul_hi_i32 s1, s15, s6
	s_andn2_b32 vcc_lo, exec_lo, s0
	s_mul_i32 s0, s15, s6
	s_cbranch_vccnz .LBB319_13
; %bb.12:
	s_lshl_b64 s[18:19], s[0:1], 3
	s_add_u32 s18, s7, s18
	s_addc_u32 s19, s14, s19
	v_mov_b32_e32 v1, s18
	v_mov_b32_e32 v2, s19
	flat_load_dwordx2 v[3:4], v[1:2]
	s_waitcnt vmcnt(0) lgkmcnt(0)
	v_mul_f32_e32 v1, s3, v4
	v_mul_f32_e32 v2, s2, v4
	v_fma_f32 v1, s2, v3, -v1
	v_fmac_f32_e32 v2, s3, v3
.LBB319_13:
	s_lshl_b64 s[0:1], s[0:1], 3
	s_add_u32 s0, s7, s0
	s_addc_u32 s1, s14, s1
	v_mov_b32_e32 v4, s1
	v_mov_b32_e32 v3, s0
	flat_store_dwordx2 v[3:4], v[1:2]
.LBB319_14:
	s_or_b32 exec_lo, exec_lo, s17
.LBB319_15:
	s_andn2_b32 vcc_lo, exec_lo, s16
	s_cbranch_vccnz .LBB319_41
; %bb.16:
	s_clause 0x2
	s_load_dword s16, s[4:5], 0x0
	s_load_dword s1, s[4:5], 0x28
	;; [unrolled: 1-line block ×3, first 2 shown]
	v_mov_b32_e32 v2, 0
	s_waitcnt lgkmcnt(0)
	v_cmp_gt_i32_e32 vcc_lo, s16, v0
	s_mul_hi_i32 s5, s1, s6
	s_mul_i32 s4, s1, s6
	s_ashr_i32 s1, s16, 31
	s_lshl_b64 s[4:5], s[4:5], 3
	v_cndmask_b32_e32 v1, 0, v0, vcc_lo
	s_lshr_b32 s1, s1, 24
	s_add_i32 s1, s16, s1
	v_lshlrev_b32_e32 v1, 3, v1
	v_add_co_u32 v1, s12, s12, v1
	v_add_co_ci_u32_e64 v4, null, s13, 0, s12
	v_add_co_u32 v3, vcc_lo, v1, s4
	v_add_co_ci_u32_e64 v4, null, s5, v4, vcc_lo
	v_mov_b32_e32 v1, v2
	s_and_b32 s4, s1, 0xffffff00
	s_cmpk_lt_i32 s16, 0x100
	s_mov_b32 s5, 0
	s_cbranch_scc1 .LBB319_19
; %bb.17:
	v_mad_i64_i32 v[1:2], null, s0, v0, 0
	v_mov_b32_e32 v6, v4
	v_mov_b32_e32 v5, v3
	s_ashr_i32 s1, s0, 31
	s_lshl_b64 s[12:13], s[0:1], 11
	v_lshlrev_b64 v[7:8], 3, v[1:2]
	v_mov_b32_e32 v2, 0
	v_mov_b32_e32 v1, v2
	v_add_co_u32 v7, vcc_lo, s10, v7
	v_add_co_ci_u32_e64 v8, null, s11, v8, vcc_lo
	.p2align	6
.LBB319_18:                             ; =>This Inner Loop Header: Depth=1
	flat_load_dwordx2 v[9:10], v[5:6]
	flat_load_dwordx2 v[11:12], v[7:8]
	v_add_co_u32 v7, vcc_lo, v7, s12
	v_add_co_ci_u32_e64 v8, null, s13, v8, vcc_lo
	v_add_co_u32 v5, vcc_lo, 0x800, v5
	v_add_co_ci_u32_e64 v6, null, 0, v6, vcc_lo
	s_addk_i32 s5, 0x100
	s_cmp_ge_i32 s5, s4
	s_waitcnt vmcnt(0) lgkmcnt(0)
	v_mul_f32_e32 v13, v12, v10
	v_mul_f32_e32 v10, v11, v10
	v_fma_f32 v11, v11, v9, -v13
	v_fmac_f32_e32 v10, v12, v9
	v_add_f32_e32 v1, v1, v11
	v_add_f32_e32 v2, v2, v10
	s_cbranch_scc0 .LBB319_18
.LBB319_19:
	v_add_nc_u32_e32 v5, s4, v0
	s_mov_b32 s1, exec_lo
	v_cmpx_gt_i32_e64 s16, v5
	s_cbranch_execz .LBB319_21
; %bb.20:
	v_mad_i64_i32 v[5:6], null, s0, v5, 0
	s_ashr_i32 s5, s4, 31
	s_lshl_b64 s[4:5], s[4:5], 3
	v_add_co_u32 v3, vcc_lo, v3, s4
	v_lshlrev_b64 v[5:6], 3, v[5:6]
	v_add_co_ci_u32_e64 v4, null, s5, v4, vcc_lo
	v_add_co_u32 v5, vcc_lo, s10, v5
	v_add_co_ci_u32_e64 v6, null, s11, v6, vcc_lo
	flat_load_dwordx2 v[3:4], v[3:4]
	flat_load_dwordx2 v[5:6], v[5:6]
	s_waitcnt vmcnt(0) lgkmcnt(0)
	v_mul_f32_e32 v7, v6, v4
	v_mul_f32_e32 v4, v5, v4
	v_fma_f32 v5, v5, v3, -v7
	v_fmac_f32_e32 v4, v6, v3
	v_add_f32_e32 v1, v1, v5
	v_add_f32_e32 v2, v2, v4
.LBB319_21:
	s_or_b32 exec_lo, exec_lo, s1
	v_lshlrev_b32_e32 v3, 3, v0
	s_mov_b32 s0, exec_lo
	ds_write_b64 v3, v[1:2]
	s_waitcnt lgkmcnt(0)
	s_waitcnt_vscnt null, 0x0
	s_barrier
	buffer_gl0_inv
	v_cmpx_gt_u32_e32 0x80, v0
	s_cbranch_execz .LBB319_23
; %bb.22:
	ds_read2st64_b64 v[4:7], v3 offset1:2
	s_waitcnt lgkmcnt(0)
	v_add_f32_e32 v1, v6, v4
	v_add_f32_e32 v2, v7, v5
	ds_write_b64 v3, v[1:2]
.LBB319_23:
	s_or_b32 exec_lo, exec_lo, s0
	s_mov_b32 s0, exec_lo
	s_waitcnt lgkmcnt(0)
	s_barrier
	buffer_gl0_inv
	v_cmpx_gt_u32_e32 64, v0
	s_cbranch_execz .LBB319_25
; %bb.24:
	ds_read2st64_b64 v[4:7], v3 offset1:1
	s_waitcnt lgkmcnt(0)
	v_add_f32_e32 v1, v6, v4
	v_add_f32_e32 v2, v7, v5
	ds_write_b64 v3, v[1:2]
.LBB319_25:
	s_or_b32 exec_lo, exec_lo, s0
	s_mov_b32 s0, exec_lo
	s_waitcnt lgkmcnt(0)
	s_barrier
	buffer_gl0_inv
	v_cmpx_gt_u32_e32 32, v0
	s_cbranch_execz .LBB319_27
; %bb.26:
	ds_read2_b64 v[4:7], v3 offset1:32
	s_waitcnt lgkmcnt(0)
	v_add_f32_e32 v1, v6, v4
	v_add_f32_e32 v2, v7, v5
	ds_write_b64 v3, v[1:2]
.LBB319_27:
	s_or_b32 exec_lo, exec_lo, s0
	s_mov_b32 s0, exec_lo
	s_waitcnt lgkmcnt(0)
	s_barrier
	buffer_gl0_inv
	v_cmpx_gt_u32_e32 16, v0
	s_cbranch_execz .LBB319_29
; %bb.28:
	ds_read2_b64 v[4:7], v3 offset1:16
	s_waitcnt lgkmcnt(0)
	v_add_f32_e32 v1, v6, v4
	v_add_f32_e32 v2, v7, v5
	ds_write_b64 v3, v[1:2]
.LBB319_29:
	;; [unrolled: 14-line block ×5, first 2 shown]
	s_or_b32 exec_lo, exec_lo, s0
	v_cmp_eq_u32_e32 vcc_lo, 0, v0
	s_waitcnt lgkmcnt(0)
	s_barrier
	buffer_gl0_inv
	s_and_saveexec_b32 s0, vcc_lo
	s_cbranch_execz .LBB319_37
; %bb.36:
	v_mov_b32_e32 v4, 0
	ds_read_b128 v[0:3], v4
	s_waitcnt lgkmcnt(0)
	v_add_f32_e32 v0, v2, v0
	v_add_f32_e32 v1, v3, v1
	ds_write_b64 v4, v[0:1]
.LBB319_37:
	s_or_b32 exec_lo, exec_lo, s0
	s_waitcnt lgkmcnt(0)
	s_barrier
	buffer_gl0_inv
	s_and_saveexec_b32 s0, vcc_lo
	s_cbranch_execz .LBB319_41
; %bb.38:
	v_mov_b32_e32 v0, 0
	v_cmp_neq_f32_e64 s0, s2, 0
	v_cmp_neq_f32_e64 s1, s3, 0
	ds_read_b64 v[2:3], v0
	s_or_b32 s0, s0, s1
	s_mul_hi_i32 s1, s15, s6
	s_andn2_b32 vcc_lo, exec_lo, s0
	s_mul_i32 s0, s15, s6
	s_waitcnt lgkmcnt(0)
	v_mul_f32_e32 v0, s9, v3
	v_mul_f32_e32 v1, s8, v3
	v_fma_f32 v0, v2, s8, -v0
	v_fmac_f32_e32 v1, s9, v2
	s_cbranch_vccnz .LBB319_40
; %bb.39:
	s_lshl_b64 s[4:5], s[0:1], 3
	s_add_u32 s4, s7, s4
	s_addc_u32 s5, s14, s5
	v_mov_b32_e32 v2, s4
	v_mov_b32_e32 v3, s5
	flat_load_dwordx2 v[2:3], v[2:3]
	s_waitcnt vmcnt(0) lgkmcnt(0)
	v_mul_f32_e32 v4, s3, v3
	v_mul_f32_e32 v3, s2, v3
	v_fma_f32 v4, s2, v2, -v4
	v_fmac_f32_e32 v3, s3, v2
	v_add_f32_e32 v0, v0, v4
	v_add_f32_e32 v1, v1, v3
.LBB319_40:
	s_lshl_b64 s[0:1], s[0:1], 3
	s_add_u32 s0, s7, s0
	s_addc_u32 s1, s14, s1
	v_mov_b32_e32 v3, s1
	v_mov_b32_e32 v2, s0
	flat_store_dwordx2 v[2:3], v[0:1]
.LBB319_41:
	s_endpgm
	.section	.rodata,"a",@progbits
	.p2align	6, 0x0
	.amdhsa_kernel _ZL20rocblas_gemvt_kernelILb0ELi256EPK19rocblas_complex_numIfES1_KPS1_EviiT2_lPKT1_lilS9_lilS6_lPT3_lili
		.amdhsa_group_segment_fixed_size 2048
		.amdhsa_private_segment_fixed_size 0
		.amdhsa_kernarg_size 140
		.amdhsa_user_sgpr_count 6
		.amdhsa_user_sgpr_private_segment_buffer 1
		.amdhsa_user_sgpr_dispatch_ptr 0
		.amdhsa_user_sgpr_queue_ptr 0
		.amdhsa_user_sgpr_kernarg_segment_ptr 1
		.amdhsa_user_sgpr_dispatch_id 0
		.amdhsa_user_sgpr_flat_scratch_init 0
		.amdhsa_user_sgpr_private_segment_size 0
		.amdhsa_wavefront_size32 1
		.amdhsa_uses_dynamic_stack 0
		.amdhsa_system_sgpr_private_segment_wavefront_offset 0
		.amdhsa_system_sgpr_workgroup_id_x 1
		.amdhsa_system_sgpr_workgroup_id_y 0
		.amdhsa_system_sgpr_workgroup_id_z 1
		.amdhsa_system_sgpr_workgroup_info 0
		.amdhsa_system_vgpr_workitem_id 0
		.amdhsa_next_free_vgpr 14
		.amdhsa_next_free_sgpr 24
		.amdhsa_reserve_vcc 1
		.amdhsa_reserve_flat_scratch 0
		.amdhsa_float_round_mode_32 0
		.amdhsa_float_round_mode_16_64 0
		.amdhsa_float_denorm_mode_32 3
		.amdhsa_float_denorm_mode_16_64 3
		.amdhsa_dx10_clamp 1
		.amdhsa_ieee_mode 1
		.amdhsa_fp16_overflow 0
		.amdhsa_workgroup_processor_mode 1
		.amdhsa_memory_ordered 1
		.amdhsa_forward_progress 1
		.amdhsa_shared_vgpr_count 0
		.amdhsa_exception_fp_ieee_invalid_op 0
		.amdhsa_exception_fp_denorm_src 0
		.amdhsa_exception_fp_ieee_div_zero 0
		.amdhsa_exception_fp_ieee_overflow 0
		.amdhsa_exception_fp_ieee_underflow 0
		.amdhsa_exception_fp_ieee_inexact 0
		.amdhsa_exception_int_div_zero 0
	.end_amdhsa_kernel
	.section	.text._ZL20rocblas_gemvt_kernelILb0ELi256EPK19rocblas_complex_numIfES1_KPS1_EviiT2_lPKT1_lilS9_lilS6_lPT3_lili,"axG",@progbits,_ZL20rocblas_gemvt_kernelILb0ELi256EPK19rocblas_complex_numIfES1_KPS1_EviiT2_lPKT1_lilS9_lilS6_lPT3_lili,comdat
.Lfunc_end319:
	.size	_ZL20rocblas_gemvt_kernelILb0ELi256EPK19rocblas_complex_numIfES1_KPS1_EviiT2_lPKT1_lilS9_lilS6_lPT3_lili, .Lfunc_end319-_ZL20rocblas_gemvt_kernelILb0ELi256EPK19rocblas_complex_numIfES1_KPS1_EviiT2_lPKT1_lilS9_lilS6_lPT3_lili
                                        ; -- End function
	.set _ZL20rocblas_gemvt_kernelILb0ELi256EPK19rocblas_complex_numIfES1_KPS1_EviiT2_lPKT1_lilS9_lilS6_lPT3_lili.num_vgpr, 14
	.set _ZL20rocblas_gemvt_kernelILb0ELi256EPK19rocblas_complex_numIfES1_KPS1_EviiT2_lPKT1_lilS9_lilS6_lPT3_lili.num_agpr, 0
	.set _ZL20rocblas_gemvt_kernelILb0ELi256EPK19rocblas_complex_numIfES1_KPS1_EviiT2_lPKT1_lilS9_lilS6_lPT3_lili.numbered_sgpr, 24
	.set _ZL20rocblas_gemvt_kernelILb0ELi256EPK19rocblas_complex_numIfES1_KPS1_EviiT2_lPKT1_lilS9_lilS6_lPT3_lili.num_named_barrier, 0
	.set _ZL20rocblas_gemvt_kernelILb0ELi256EPK19rocblas_complex_numIfES1_KPS1_EviiT2_lPKT1_lilS9_lilS6_lPT3_lili.private_seg_size, 0
	.set _ZL20rocblas_gemvt_kernelILb0ELi256EPK19rocblas_complex_numIfES1_KPS1_EviiT2_lPKT1_lilS9_lilS6_lPT3_lili.uses_vcc, 1
	.set _ZL20rocblas_gemvt_kernelILb0ELi256EPK19rocblas_complex_numIfES1_KPS1_EviiT2_lPKT1_lilS9_lilS6_lPT3_lili.uses_flat_scratch, 0
	.set _ZL20rocblas_gemvt_kernelILb0ELi256EPK19rocblas_complex_numIfES1_KPS1_EviiT2_lPKT1_lilS9_lilS6_lPT3_lili.has_dyn_sized_stack, 0
	.set _ZL20rocblas_gemvt_kernelILb0ELi256EPK19rocblas_complex_numIfES1_KPS1_EviiT2_lPKT1_lilS9_lilS6_lPT3_lili.has_recursion, 0
	.set _ZL20rocblas_gemvt_kernelILb0ELi256EPK19rocblas_complex_numIfES1_KPS1_EviiT2_lPKT1_lilS9_lilS6_lPT3_lili.has_indirect_call, 0
	.section	.AMDGPU.csdata,"",@progbits
; Kernel info:
; codeLenInByte = 1620
; TotalNumSgprs: 26
; NumVgprs: 14
; ScratchSize: 0
; MemoryBound: 0
; FloatMode: 240
; IeeeMode: 1
; LDSByteSize: 2048 bytes/workgroup (compile time only)
; SGPRBlocks: 0
; VGPRBlocks: 1
; NumSGPRsForWavesPerEU: 26
; NumVGPRsForWavesPerEU: 14
; Occupancy: 16
; WaveLimiterHint : 1
; COMPUTE_PGM_RSRC2:SCRATCH_EN: 0
; COMPUTE_PGM_RSRC2:USER_SGPR: 6
; COMPUTE_PGM_RSRC2:TRAP_HANDLER: 0
; COMPUTE_PGM_RSRC2:TGID_X_EN: 1
; COMPUTE_PGM_RSRC2:TGID_Y_EN: 0
; COMPUTE_PGM_RSRC2:TGID_Z_EN: 1
; COMPUTE_PGM_RSRC2:TIDIG_COMP_CNT: 0
	.section	.text._ZL32rocblas_gemvt_warp_reduce_kernelILb0ELi1024EiPK19rocblas_complex_numIfES3_KPS1_EviiT3_lPKT2_lT1_lS9_lSA_lS6_lPT4_lSA_li,"axG",@progbits,_ZL32rocblas_gemvt_warp_reduce_kernelILb0ELi1024EiPK19rocblas_complex_numIfES3_KPS1_EviiT3_lPKT2_lT1_lS9_lSA_lS6_lPT4_lSA_li,comdat
	.globl	_ZL32rocblas_gemvt_warp_reduce_kernelILb0ELi1024EiPK19rocblas_complex_numIfES3_KPS1_EviiT3_lPKT2_lT1_lS9_lSA_lS6_lPT4_lSA_li ; -- Begin function _ZL32rocblas_gemvt_warp_reduce_kernelILb0ELi1024EiPK19rocblas_complex_numIfES3_KPS1_EviiT3_lPKT2_lT1_lS9_lSA_lS6_lPT4_lSA_li
	.p2align	8
	.type	_ZL32rocblas_gemvt_warp_reduce_kernelILb0ELi1024EiPK19rocblas_complex_numIfES3_KPS1_EviiT3_lPKT2_lT1_lS9_lSA_lS6_lPT4_lSA_li,@function
_ZL32rocblas_gemvt_warp_reduce_kernelILb0ELi1024EiPK19rocblas_complex_numIfES3_KPS1_EviiT3_lPKT2_lT1_lS9_lSA_lS6_lPT4_lSA_li: ; @_ZL32rocblas_gemvt_warp_reduce_kernelILb0ELi1024EiPK19rocblas_complex_numIfES3_KPS1_EviiT3_lPKT2_lT1_lS9_lSA_lS6_lPT4_lSA_li
; %bb.0:
	s_clause 0x1
	s_load_dwordx8 s[16:23], s[4:5], 0x8
	s_load_dwordx8 s[8:15], s[4:5], 0x58
	s_mov_b32 s0, s7
	s_waitcnt lgkmcnt(0)
	s_mul_i32 s1, s19, s7
	s_mul_hi_u32 s3, s18, s7
	s_mul_i32 s2, s18, s7
	s_add_i32 s3, s3, s1
	s_mul_i32 s1, s11, s7
	s_lshl_b64 s[2:3], s[2:3], 3
	s_add_u32 s2, s16, s2
	s_addc_u32 s3, s17, s3
	s_load_dwordx2 s[16:17], s[2:3], 0x0
	s_mul_hi_u32 s3, s10, s7
	s_mul_i32 s2, s10, s7
	s_add_i32 s3, s3, s1
	s_lshl_b64 s[2:3], s[2:3], 3
	s_add_u32 s2, s8, s2
	s_addc_u32 s3, s9, s3
	s_load_dwordx2 s[2:3], s[2:3], 0x0
	s_waitcnt lgkmcnt(0)
	v_cmp_neq_f32_e64 s1, s16, 0
	v_cmp_neq_f32_e64 s7, s17, 0
	s_or_b32 s7, s1, s7
	s_mov_b32 s1, 0
	s_and_b32 vcc_lo, exec_lo, s7
	s_mov_b32 s7, -1
	s_cbranch_vccnz .LBB320_2
; %bb.1:
	v_cmp_neq_f32_e64 s7, s2, 1.0
	v_cmp_neq_f32_e64 s8, s3, 0
	s_or_b32 s7, s7, s8
.LBB320_2:
	s_andn2_b32 vcc_lo, exec_lo, s7
	s_cbranch_vccnz .LBB320_32
; %bb.3:
	s_or_b32 s7, s16, s17
	s_mov_b64 s[10:11], 0
	s_and_b32 s8, s7, 0x7fffffff
	s_cmp_lg_u32 s8, 0
	s_cselect_b32 s7, -1, 0
	s_cmp_eq_u32 s8, 0
	s_mov_b64 s[8:9], 0
	s_cselect_b32 s18, -1, 0
	s_and_b32 vcc_lo, exec_lo, s18
	s_cbranch_vccnz .LBB320_5
; %bb.4:
	s_lshl_b64 s[10:11], s[0:1], 3
	s_add_u32 s10, s20, s10
	s_addc_u32 s11, s21, s11
	s_lshl_b64 s[20:21], s[22:23], 3
	s_load_dwordx2 s[10:11], s[10:11], 0x0
	s_waitcnt lgkmcnt(0)
	s_add_u32 s10, s10, s20
	s_addc_u32 s11, s11, s21
.LBB320_5:
	s_andn2_b32 vcc_lo, exec_lo, s7
	s_cbranch_vccnz .LBB320_7
; %bb.6:
	s_load_dwordx4 s[20:23], s[4:5], 0x38
	s_lshl_b64 s[8:9], s[0:1], 3
	s_waitcnt lgkmcnt(0)
	s_add_u32 s8, s20, s8
	s_addc_u32 s9, s21, s9
	s_lshl_b64 s[20:21], s[22:23], 3
	s_load_dwordx2 s[8:9], s[8:9], 0x0
	s_waitcnt lgkmcnt(0)
	s_add_u32 s8, s8, s20
	s_addc_u32 s9, s9, s21
.LBB320_7:
	s_lshl_b64 s[0:1], s[0:1], 3
	s_add_u32 s0, s12, s0
	s_addc_u32 s1, s13, s1
	s_lshl_b64 s[14:15], s[14:15], 3
	s_load_dwordx2 s[20:21], s[0:1], 0x0
	s_load_dword s13, s[4:5], 0x78
	v_cmp_eq_u32_e64 s0, 0, v0
	s_waitcnt lgkmcnt(0)
	s_add_u32 s7, s20, s14
	s_addc_u32 s12, s21, s15
	s_andn2_b32 vcc_lo, exec_lo, s18
	s_mov_b32 s14, -1
	s_cbranch_vccnz .LBB320_13
; %bb.8:
	s_mov_b32 s14, 0
	s_and_saveexec_b32 s15, s0
	s_cbranch_execz .LBB320_12
; %bb.9:
	v_cmp_neq_f32_e64 s0, s2, 0
	v_cmp_neq_f32_e64 s1, s3, 0
	v_mov_b32_e32 v1, 0
	v_mov_b32_e32 v2, 0
	s_or_b32 s1, s0, s1
	s_mul_i32 s0, s13, s6
	s_andn2_b32 vcc_lo, exec_lo, s1
	s_ashr_i32 s1, s0, 31
	s_cbranch_vccnz .LBB320_11
; %bb.10:
	s_lshl_b64 s[18:19], s[0:1], 3
	s_add_u32 s18, s7, s18
	s_addc_u32 s19, s12, s19
	v_mov_b32_e32 v1, s18
	v_mov_b32_e32 v2, s19
	flat_load_dwordx2 v[3:4], v[1:2]
	s_waitcnt vmcnt(0) lgkmcnt(0)
	v_mul_f32_e32 v1, s3, v4
	v_mul_f32_e32 v2, s2, v4
	v_fma_f32 v1, s2, v3, -v1
	v_fmac_f32_e32 v2, s3, v3
.LBB320_11:
	s_lshl_b64 s[0:1], s[0:1], 3
	s_add_u32 s0, s7, s0
	s_addc_u32 s1, s12, s1
	v_mov_b32_e32 v4, s1
	v_mov_b32_e32 v3, s0
	flat_store_dwordx2 v[3:4], v[1:2]
.LBB320_12:
	s_or_b32 exec_lo, exec_lo, s15
.LBB320_13:
	s_andn2_b32 vcc_lo, exec_lo, s14
	s_cbranch_vccnz .LBB320_32
; %bb.14:
	s_clause 0x2
	s_load_dword s14, s[4:5], 0x0
	s_load_dword s0, s[4:5], 0x28
	s_load_dword s1, s[4:5], 0x48
	v_mov_b32_e32 v7, 0
	v_mov_b32_e32 v8, 0
	s_waitcnt lgkmcnt(0)
	v_cmp_gt_i32_e32 vcc_lo, s14, v0
	s_mul_i32 s4, s0, s6
	s_ashr_i32 s0, s14, 31
	s_ashr_i32 s5, s4, 31
	s_lshr_b32 s0, s0, 22
	v_cndmask_b32_e32 v1, 0, v0, vcc_lo
	s_add_i32 s0, s14, s0
	s_lshl_b64 s[18:19], s[4:5], 3
	s_and_b32 s4, s0, 0xfffffc00
	s_mov_b32 s5, 0
	v_lshlrev_b32_e32 v1, 3, v1
	v_add_co_u32 v1, s0, s10, v1
	v_add_co_ci_u32_e64 v2, null, s11, 0, s0
	v_add_co_u32 v1, s0, v1, s18
	v_add_co_ci_u32_e64 v2, null, s19, v2, s0
	s_mov_b32 s0, exec_lo
	v_cmpx_gt_i32_e64 s4, v0
	s_cbranch_execz .LBB320_18
; %bb.15:
	v_mul_lo_u32 v3, v0, s1
	v_mov_b32_e32 v6, v2
	v_mov_b32_e32 v7, 0
	;; [unrolled: 1-line block ×5, first 2 shown]
	s_lshl_b32 s10, s1, 10
	.p2align	6
.LBB320_16:                             ; =>This Inner Loop Header: Depth=1
	v_ashrrev_i32_e32 v4, 31, v3
	v_add_nc_u32_e32 v9, 0x400, v9
	v_lshlrev_b64 v[10:11], 3, v[3:4]
	v_add_nc_u32_e32 v3, s10, v3
	v_add_co_u32 v10, vcc_lo, s8, v10
	v_add_co_ci_u32_e64 v11, null, s9, v11, vcc_lo
	flat_load_dwordx2 v[12:13], v[5:6]
	flat_load_dwordx2 v[10:11], v[10:11]
	v_add_co_u32 v5, vcc_lo, 0x2000, v5
	v_add_co_ci_u32_e64 v6, null, 0, v6, vcc_lo
	v_cmp_le_i32_e32 vcc_lo, s4, v9
	s_or_b32 s5, vcc_lo, s5
	s_waitcnt vmcnt(0) lgkmcnt(0)
	v_mul_f32_e32 v4, v11, v13
	v_mul_f32_e32 v13, v10, v13
	v_fma_f32 v4, v10, v12, -v4
	v_fmac_f32_e32 v13, v11, v12
	v_add_f32_e32 v8, v8, v4
	v_add_f32_e32 v7, v7, v13
	s_andn2_b32 exec_lo, exec_lo, s5
	s_cbranch_execnz .LBB320_16
; %bb.17:
	s_or_b32 exec_lo, exec_lo, s5
.LBB320_18:
	s_or_b32 exec_lo, exec_lo, s0
	v_or_b32_e32 v3, s4, v0
	s_mov_b32 s0, exec_lo
	v_cmpx_gt_i32_e64 s14, v3
	s_cbranch_execz .LBB320_20
; %bb.19:
	v_mul_lo_u32 v3, s1, v3
	s_ashr_i32 s5, s4, 31
	s_lshl_b64 s[4:5], s[4:5], 3
	v_add_co_u32 v1, vcc_lo, v1, s4
	v_add_co_ci_u32_e64 v2, null, s5, v2, vcc_lo
	v_ashrrev_i32_e32 v4, 31, v3
	v_lshlrev_b64 v[3:4], 3, v[3:4]
	v_add_co_u32 v3, vcc_lo, s8, v3
	v_add_co_ci_u32_e64 v4, null, s9, v4, vcc_lo
	flat_load_dwordx2 v[1:2], v[1:2]
	flat_load_dwordx2 v[3:4], v[3:4]
	s_waitcnt vmcnt(0) lgkmcnt(0)
	v_mul_f32_e32 v5, v4, v2
	v_mul_f32_e32 v2, v3, v2
	v_fma_f32 v3, v3, v1, -v5
	v_fmac_f32_e32 v2, v4, v1
	v_add_f32_e32 v8, v8, v3
	v_add_f32_e32 v7, v7, v2
.LBB320_20:
	s_or_b32 exec_lo, exec_lo, s0
	v_and_b32_e32 v1, 31, v0
	v_cmp_gt_u32_e32 vcc_lo, 32, v0
	v_lshlrev_b32_e32 v5, 3, v1
	s_and_saveexec_b32 s0, vcc_lo
; %bb.21:
	v_mov_b32_e32 v2, 0
	v_mov_b32_e32 v3, v2
	ds_write_b64 v5, v[2:3]
; %bb.22:
	s_or_b32 exec_lo, exec_lo, s0
	v_mbcnt_lo_u32_b32 v2, -1, 0
	s_mov_b32 s1, exec_lo
	s_waitcnt lgkmcnt(0)
	s_waitcnt_vscnt null, 0x0
	s_barrier
	buffer_gl0_inv
	v_lshl_or_b32 v3, v2, 2, 64
	v_cmp_gt_u32_e64 s0, 24, v2
	ds_bpermute_b32 v6, v3, v8
	ds_bpermute_b32 v9, v3, v7
	v_cndmask_b32_e64 v4, 0, 8, s0
	v_cmp_gt_u32_e64 s0, 28, v2
	v_add_lshl_u32 v4, v4, v2, 2
	s_waitcnt lgkmcnt(1)
	v_add_f32_e32 v8, v8, v6
	s_waitcnt lgkmcnt(0)
	v_add_f32_e32 v7, v7, v9
	v_cndmask_b32_e64 v6, 0, 4, s0
	v_cmp_gt_u32_e64 s0, 30, v2
	ds_bpermute_b32 v9, v4, v8
	ds_bpermute_b32 v10, v4, v7
	v_add_lshl_u32 v6, v6, v2, 2
	s_waitcnt lgkmcnt(1)
	v_add_f32_e32 v8, v8, v9
	s_waitcnt lgkmcnt(0)
	v_add_f32_e32 v9, v7, v10
	v_cndmask_b32_e64 v7, 0, 2, s0
	v_cmp_ne_u32_e64 s0, 31, v2
	ds_bpermute_b32 v10, v6, v8
	ds_bpermute_b32 v11, v6, v9
	v_add_lshl_u32 v7, v7, v2, 2
	v_add_co_ci_u32_e64 v2, null, 0, v2, s0
	s_waitcnt lgkmcnt(1)
	v_add_f32_e32 v10, v8, v10
	s_waitcnt lgkmcnt(0)
	v_add_f32_e32 v9, v9, v11
	v_lshlrev_b32_e32 v8, 2, v2
	ds_bpermute_b32 v11, v7, v10
	ds_bpermute_b32 v12, v7, v9
	s_waitcnt lgkmcnt(1)
	v_add_f32_e32 v2, v10, v11
	s_waitcnt lgkmcnt(0)
	v_add_f32_e32 v10, v9, v12
	ds_bpermute_b32 v9, v8, v2
	ds_bpermute_b32 v11, v8, v10
	v_cmpx_eq_u32_e32 0, v1
	s_cbranch_execz .LBB320_24
; %bb.23:
	v_lshrrev_b32_e32 v1, 2, v0
	s_waitcnt lgkmcnt(0)
	v_add_f32_e32 v10, v10, v11
	v_add_f32_e32 v9, v2, v9
	v_and_b32_e32 v1, 0xf8, v1
	ds_write_b64 v1, v[9:10]
.LBB320_24:
	s_or_b32 exec_lo, exec_lo, s1
	v_mov_b32_e32 v2, 0
	v_mov_b32_e32 v1, 0
	s_waitcnt lgkmcnt(0)
	s_barrier
	buffer_gl0_inv
	s_and_saveexec_b32 s0, vcc_lo
; %bb.25:
	ds_read_b64 v[1:2], v5
; %bb.26:
	s_or_b32 exec_lo, exec_lo, s0
	s_and_saveexec_b32 s0, vcc_lo
	s_cbranch_execz .LBB320_28
; %bb.27:
	s_waitcnt lgkmcnt(0)
	ds_bpermute_b32 v5, v3, v1
	ds_bpermute_b32 v3, v3, v2
	s_waitcnt lgkmcnt(1)
	v_add_f32_e32 v1, v1, v5
	s_waitcnt lgkmcnt(0)
	v_add_f32_e32 v2, v2, v3
	ds_bpermute_b32 v3, v4, v1
	ds_bpermute_b32 v4, v4, v2
	s_waitcnt lgkmcnt(1)
	v_add_f32_e32 v1, v1, v3
	s_waitcnt lgkmcnt(0)
	v_add_f32_e32 v2, v2, v4
	;; [unrolled: 6-line block ×5, first 2 shown]
.LBB320_28:
	s_or_b32 exec_lo, exec_lo, s0
	s_mov_b32 s0, exec_lo
	v_cmpx_eq_u32_e32 0, v0
	s_cbranch_execz .LBB320_32
; %bb.29:
	s_waitcnt lgkmcnt(0)
	v_mul_f32_e32 v0, s17, v2
	v_mul_f32_e32 v3, s16, v2
	v_cmp_neq_f32_e64 s0, s2, 0
	v_cmp_neq_f32_e64 s1, s3, 0
	v_fma_f32 v2, v1, s16, -v0
	v_fmac_f32_e32 v3, s17, v1
	s_or_b32 s1, s0, s1
	s_mul_i32 s0, s13, s6
	s_andn2_b32 vcc_lo, exec_lo, s1
	s_ashr_i32 s1, s0, 31
	s_cbranch_vccnz .LBB320_31
; %bb.30:
	s_lshl_b64 s[4:5], s[0:1], 3
	s_add_u32 s4, s7, s4
	s_addc_u32 s5, s12, s5
	v_mov_b32_e32 v0, s4
	v_mov_b32_e32 v1, s5
	flat_load_dwordx2 v[0:1], v[0:1]
	s_waitcnt vmcnt(0) lgkmcnt(0)
	v_mul_f32_e32 v4, s3, v1
	v_mul_f32_e32 v1, s2, v1
	v_fma_f32 v4, s2, v0, -v4
	v_fmac_f32_e32 v1, s3, v0
	v_add_f32_e32 v2, v2, v4
	v_add_f32_e32 v3, v3, v1
.LBB320_31:
	s_lshl_b64 s[0:1], s[0:1], 3
	s_add_u32 s0, s7, s0
	s_addc_u32 s1, s12, s1
	v_mov_b32_e32 v0, s0
	v_mov_b32_e32 v1, s1
	flat_store_dwordx2 v[0:1], v[2:3]
.LBB320_32:
	s_endpgm
	.section	.rodata,"a",@progbits
	.p2align	6, 0x0
	.amdhsa_kernel _ZL32rocblas_gemvt_warp_reduce_kernelILb0ELi1024EiPK19rocblas_complex_numIfES3_KPS1_EviiT3_lPKT2_lT1_lS9_lSA_lS6_lPT4_lSA_li
		.amdhsa_group_segment_fixed_size 256
		.amdhsa_private_segment_fixed_size 0
		.amdhsa_kernarg_size 140
		.amdhsa_user_sgpr_count 6
		.amdhsa_user_sgpr_private_segment_buffer 1
		.amdhsa_user_sgpr_dispatch_ptr 0
		.amdhsa_user_sgpr_queue_ptr 0
		.amdhsa_user_sgpr_kernarg_segment_ptr 1
		.amdhsa_user_sgpr_dispatch_id 0
		.amdhsa_user_sgpr_flat_scratch_init 0
		.amdhsa_user_sgpr_private_segment_size 0
		.amdhsa_wavefront_size32 1
		.amdhsa_uses_dynamic_stack 0
		.amdhsa_system_sgpr_private_segment_wavefront_offset 0
		.amdhsa_system_sgpr_workgroup_id_x 1
		.amdhsa_system_sgpr_workgroup_id_y 0
		.amdhsa_system_sgpr_workgroup_id_z 1
		.amdhsa_system_sgpr_workgroup_info 0
		.amdhsa_system_vgpr_workitem_id 0
		.amdhsa_next_free_vgpr 14
		.amdhsa_next_free_sgpr 24
		.amdhsa_reserve_vcc 1
		.amdhsa_reserve_flat_scratch 0
		.amdhsa_float_round_mode_32 0
		.amdhsa_float_round_mode_16_64 0
		.amdhsa_float_denorm_mode_32 3
		.amdhsa_float_denorm_mode_16_64 3
		.amdhsa_dx10_clamp 1
		.amdhsa_ieee_mode 1
		.amdhsa_fp16_overflow 0
		.amdhsa_workgroup_processor_mode 1
		.amdhsa_memory_ordered 1
		.amdhsa_forward_progress 1
		.amdhsa_shared_vgpr_count 0
		.amdhsa_exception_fp_ieee_invalid_op 0
		.amdhsa_exception_fp_denorm_src 0
		.amdhsa_exception_fp_ieee_div_zero 0
		.amdhsa_exception_fp_ieee_overflow 0
		.amdhsa_exception_fp_ieee_underflow 0
		.amdhsa_exception_fp_ieee_inexact 0
		.amdhsa_exception_int_div_zero 0
	.end_amdhsa_kernel
	.section	.text._ZL32rocblas_gemvt_warp_reduce_kernelILb0ELi1024EiPK19rocblas_complex_numIfES3_KPS1_EviiT3_lPKT2_lT1_lS9_lSA_lS6_lPT4_lSA_li,"axG",@progbits,_ZL32rocblas_gemvt_warp_reduce_kernelILb0ELi1024EiPK19rocblas_complex_numIfES3_KPS1_EviiT3_lPKT2_lT1_lS9_lSA_lS6_lPT4_lSA_li,comdat
.Lfunc_end320:
	.size	_ZL32rocblas_gemvt_warp_reduce_kernelILb0ELi1024EiPK19rocblas_complex_numIfES3_KPS1_EviiT3_lPKT2_lT1_lS9_lSA_lS6_lPT4_lSA_li, .Lfunc_end320-_ZL32rocblas_gemvt_warp_reduce_kernelILb0ELi1024EiPK19rocblas_complex_numIfES3_KPS1_EviiT3_lPKT2_lT1_lS9_lSA_lS6_lPT4_lSA_li
                                        ; -- End function
	.set _ZL32rocblas_gemvt_warp_reduce_kernelILb0ELi1024EiPK19rocblas_complex_numIfES3_KPS1_EviiT3_lPKT2_lT1_lS9_lSA_lS6_lPT4_lSA_li.num_vgpr, 14
	.set _ZL32rocblas_gemvt_warp_reduce_kernelILb0ELi1024EiPK19rocblas_complex_numIfES3_KPS1_EviiT3_lPKT2_lT1_lS9_lSA_lS6_lPT4_lSA_li.num_agpr, 0
	.set _ZL32rocblas_gemvt_warp_reduce_kernelILb0ELi1024EiPK19rocblas_complex_numIfES3_KPS1_EviiT3_lPKT2_lT1_lS9_lSA_lS6_lPT4_lSA_li.numbered_sgpr, 24
	.set _ZL32rocblas_gemvt_warp_reduce_kernelILb0ELi1024EiPK19rocblas_complex_numIfES3_KPS1_EviiT3_lPKT2_lT1_lS9_lSA_lS6_lPT4_lSA_li.num_named_barrier, 0
	.set _ZL32rocblas_gemvt_warp_reduce_kernelILb0ELi1024EiPK19rocblas_complex_numIfES3_KPS1_EviiT3_lPKT2_lT1_lS9_lSA_lS6_lPT4_lSA_li.private_seg_size, 0
	.set _ZL32rocblas_gemvt_warp_reduce_kernelILb0ELi1024EiPK19rocblas_complex_numIfES3_KPS1_EviiT3_lPKT2_lT1_lS9_lSA_lS6_lPT4_lSA_li.uses_vcc, 1
	.set _ZL32rocblas_gemvt_warp_reduce_kernelILb0ELi1024EiPK19rocblas_complex_numIfES3_KPS1_EviiT3_lPKT2_lT1_lS9_lSA_lS6_lPT4_lSA_li.uses_flat_scratch, 0
	.set _ZL32rocblas_gemvt_warp_reduce_kernelILb0ELi1024EiPK19rocblas_complex_numIfES3_KPS1_EviiT3_lPKT2_lT1_lS9_lSA_lS6_lPT4_lSA_li.has_dyn_sized_stack, 0
	.set _ZL32rocblas_gemvt_warp_reduce_kernelILb0ELi1024EiPK19rocblas_complex_numIfES3_KPS1_EviiT3_lPKT2_lT1_lS9_lSA_lS6_lPT4_lSA_li.has_recursion, 0
	.set _ZL32rocblas_gemvt_warp_reduce_kernelILb0ELi1024EiPK19rocblas_complex_numIfES3_KPS1_EviiT3_lPKT2_lT1_lS9_lSA_lS6_lPT4_lSA_li.has_indirect_call, 0
	.section	.AMDGPU.csdata,"",@progbits
; Kernel info:
; codeLenInByte = 1704
; TotalNumSgprs: 26
; NumVgprs: 14
; ScratchSize: 0
; MemoryBound: 0
; FloatMode: 240
; IeeeMode: 1
; LDSByteSize: 256 bytes/workgroup (compile time only)
; SGPRBlocks: 0
; VGPRBlocks: 1
; NumSGPRsForWavesPerEU: 26
; NumVGPRsForWavesPerEU: 14
; Occupancy: 16
; WaveLimiterHint : 1
; COMPUTE_PGM_RSRC2:SCRATCH_EN: 0
; COMPUTE_PGM_RSRC2:USER_SGPR: 6
; COMPUTE_PGM_RSRC2:TRAP_HANDLER: 0
; COMPUTE_PGM_RSRC2:TGID_X_EN: 1
; COMPUTE_PGM_RSRC2:TGID_Y_EN: 0
; COMPUTE_PGM_RSRC2:TGID_Z_EN: 1
; COMPUTE_PGM_RSRC2:TIDIG_COMP_CNT: 0
	.section	.text._ZL32rocblas_gemvt_warp_reduce_kernelILb0ELi1024ElPK19rocblas_complex_numIfES3_KPS1_EviiT3_lPKT2_lT1_lS9_lSA_lS6_lPT4_lSA_li,"axG",@progbits,_ZL32rocblas_gemvt_warp_reduce_kernelILb0ELi1024ElPK19rocblas_complex_numIfES3_KPS1_EviiT3_lPKT2_lT1_lS9_lSA_lS6_lPT4_lSA_li,comdat
	.globl	_ZL32rocblas_gemvt_warp_reduce_kernelILb0ELi1024ElPK19rocblas_complex_numIfES3_KPS1_EviiT3_lPKT2_lT1_lS9_lSA_lS6_lPT4_lSA_li ; -- Begin function _ZL32rocblas_gemvt_warp_reduce_kernelILb0ELi1024ElPK19rocblas_complex_numIfES3_KPS1_EviiT3_lPKT2_lT1_lS9_lSA_lS6_lPT4_lSA_li
	.p2align	8
	.type	_ZL32rocblas_gemvt_warp_reduce_kernelILb0ELi1024ElPK19rocblas_complex_numIfES3_KPS1_EviiT3_lPKT2_lT1_lS9_lSA_lS6_lPT4_lSA_li,@function
_ZL32rocblas_gemvt_warp_reduce_kernelILb0ELi1024ElPK19rocblas_complex_numIfES3_KPS1_EviiT3_lPKT2_lT1_lS9_lSA_lS6_lPT4_lSA_li: ; @_ZL32rocblas_gemvt_warp_reduce_kernelILb0ELi1024ElPK19rocblas_complex_numIfES3_KPS1_EviiT3_lPKT2_lT1_lS9_lSA_lS6_lPT4_lSA_li
; %bb.0:
	s_clause 0x1
	s_load_dwordx8 s[16:23], s[4:5], 0x8
	s_load_dwordx8 s[8:15], s[4:5], 0x58
	s_mov_b32 s28, s7
	s_mov_b32 s29, 0
	s_waitcnt lgkmcnt(0)
	s_mul_i32 s1, s19, s7
	s_mul_hi_u32 s2, s18, s7
	s_mul_i32 s0, s18, s7
	s_add_i32 s1, s2, s1
	s_mul_hi_u32 s2, s10, s7
	s_lshl_b64 s[0:1], s[0:1], 3
	s_add_u32 s0, s16, s0
	s_addc_u32 s1, s17, s1
	s_load_dwordx2 s[16:17], s[0:1], 0x0
	s_mul_i32 s1, s11, s7
	s_mul_i32 s0, s10, s7
	s_add_i32 s1, s2, s1
	s_lshl_b64 s[0:1], s[0:1], 3
	s_add_u32 s0, s8, s0
	s_addc_u32 s1, s9, s1
	s_load_dwordx2 s[8:9], s[0:1], 0x0
	s_waitcnt lgkmcnt(0)
	v_cmp_neq_f32_e64 s0, s16, 0
	v_cmp_neq_f32_e64 s1, s17, 0
	s_or_b32 s0, s0, s1
	s_and_b32 vcc_lo, exec_lo, s0
	s_mov_b32 s0, -1
	s_cbranch_vccnz .LBB321_2
; %bb.1:
	v_cmp_neq_f32_e64 s0, s8, 1.0
	v_cmp_neq_f32_e64 s1, s9, 0
	s_or_b32 s0, s0, s1
.LBB321_2:
	s_andn2_b32 vcc_lo, exec_lo, s0
	s_cbranch_vccnz .LBB321_32
; %bb.3:
	s_clause 0x1
	s_load_dwordx2 s[24:25], s[4:5], 0x28
	s_load_dwordx2 s[10:11], s[4:5], 0x78
	s_or_b32 s0, s16, s17
	s_mov_b64 s[18:19], 0
	s_bitset0_b32 s0, 31
	s_mov_b64 s[26:27], 0
	s_cmp_lg_u32 s0, 0
	s_cselect_b32 s7, -1, 0
	s_cmp_eq_u32 s0, 0
	s_cselect_b32 s30, -1, 0
	s_and_b32 vcc_lo, exec_lo, s30
	s_cbranch_vccnz .LBB321_5
; %bb.4:
	s_lshl_b64 s[0:1], s[28:29], 3
	s_add_u32 s0, s20, s0
	s_addc_u32 s1, s21, s1
	s_lshl_b64 s[2:3], s[22:23], 3
	s_load_dwordx2 s[0:1], s[0:1], 0x0
	s_waitcnt lgkmcnt(0)
	s_add_u32 s26, s0, s2
	s_addc_u32 s27, s1, s3
.LBB321_5:
	s_clause 0x1
	s_load_dwordx4 s[0:3], s[4:5], 0x38
	s_load_dwordx2 s[20:21], s[4:5], 0x48
	s_andn2_b32 vcc_lo, exec_lo, s7
	s_cbranch_vccnz .LBB321_7
; %bb.6:
	s_lshl_b64 s[18:19], s[28:29], 3
	s_waitcnt lgkmcnt(0)
	s_add_u32 s0, s0, s18
	s_addc_u32 s1, s1, s19
	s_lshl_b64 s[2:3], s[2:3], 3
	s_load_dwordx2 s[0:1], s[0:1], 0x0
	s_waitcnt lgkmcnt(0)
	s_add_u32 s18, s0, s2
	s_addc_u32 s19, s1, s3
.LBB321_7:
	s_waitcnt lgkmcnt(0)
	s_lshl_b64 s[0:1], s[28:29], 3
	s_add_u32 s0, s12, s0
	s_addc_u32 s1, s13, s1
	s_lshl_b64 s[12:13], s[14:15], 3
	s_load_dwordx2 s[2:3], s[0:1], 0x0
	v_cmp_eq_u32_e64 s0, 0, v0
	s_waitcnt lgkmcnt(0)
	s_add_u32 s7, s2, s12
	s_addc_u32 s12, s3, s13
	s_andn2_b32 vcc_lo, exec_lo, s30
	s_mov_b32 s2, -1
	s_cbranch_vccnz .LBB321_13
; %bb.8:
	s_mov_b32 s2, 0
	s_and_saveexec_b32 s3, s0
	s_cbranch_execz .LBB321_12
; %bb.9:
	v_cmp_neq_f32_e64 s0, s8, 0
	v_cmp_neq_f32_e64 s1, s9, 0
	s_mul_hi_u32 s13, s10, s6
	v_mov_b32_e32 v1, 0
	v_mov_b32_e32 v2, 0
	s_or_b32 s0, s0, s1
	s_ashr_i32 s1, s6, 31
	s_andn2_b32 vcc_lo, exec_lo, s0
	s_mul_i32 s1, s10, s1
	s_mul_i32 s0, s10, s6
	s_add_i32 s1, s13, s1
	s_mul_i32 s13, s11, s6
	s_add_i32 s1, s1, s13
	s_cbranch_vccnz .LBB321_11
; %bb.10:
	s_lshl_b64 s[14:15], s[0:1], 3
	s_add_u32 s14, s7, s14
	s_addc_u32 s15, s12, s15
	v_mov_b32_e32 v1, s14
	v_mov_b32_e32 v2, s15
	flat_load_dwordx2 v[3:4], v[1:2]
	s_waitcnt vmcnt(0) lgkmcnt(0)
	v_mul_f32_e32 v1, s9, v4
	v_mul_f32_e32 v2, s8, v4
	v_fma_f32 v1, s8, v3, -v1
	v_fmac_f32_e32 v2, s9, v3
.LBB321_11:
	s_lshl_b64 s[0:1], s[0:1], 3
	s_add_u32 s0, s7, s0
	s_addc_u32 s1, s12, s1
	v_mov_b32_e32 v4, s1
	v_mov_b32_e32 v3, s0
	flat_store_dwordx2 v[3:4], v[1:2]
.LBB321_12:
	s_or_b32 exec_lo, exec_lo, s3
.LBB321_13:
	s_andn2_b32 vcc_lo, exec_lo, s2
	s_cbranch_vccnz .LBB321_32
; %bb.14:
	s_load_dword s3, s[4:5], 0x0
	s_ashr_i32 s1, s6, 31
	s_mul_hi_u32 s0, s24, s6
	s_mul_i32 s5, s24, s1
	s_mul_i32 s2, s25, s6
	s_add_i32 s0, s0, s5
	s_mul_i32 s4, s24, s6
	s_add_i32 s5, s0, s2
	v_mov_b32_e32 v7, 0
	s_lshl_b64 s[4:5], s[4:5], 3
	v_mov_b32_e32 v8, 0
	s_mov_b32 s14, 0
	s_waitcnt lgkmcnt(0)
	v_cmp_gt_i32_e32 vcc_lo, s3, v0
	s_ashr_i32 s13, s3, 31
	s_lshr_b32 s0, s13, 22
	s_mov_b32 s13, exec_lo
	v_cndmask_b32_e32 v1, 0, v0, vcc_lo
	s_add_i32 s0, s3, s0
	s_and_b32 s2, s0, 0xfffffc00
	v_lshlrev_b32_e32 v1, 3, v1
	v_add_co_u32 v1, s0, s26, v1
	v_add_co_ci_u32_e64 v2, null, s27, 0, s0
	v_add_co_u32 v1, s0, v1, s4
	v_add_co_ci_u32_e64 v2, null, s5, v2, s0
	v_cmpx_gt_i32_e64 s2, v0
	s_cbranch_execz .LBB321_18
; %bb.15:
	v_mad_u64_u32 v[3:4], null, s20, v0, 0
	v_mov_b32_e32 v7, 0
	v_mov_b32_e32 v9, v0
	;; [unrolled: 1-line block ×3, first 2 shown]
	s_lshl_b64 s[4:5], s[20:21], 13
	v_mad_u64_u32 v[4:5], null, s21, v0, v[4:5]
	v_lshlrev_b64 v[5:6], 3, v[3:4]
	v_mov_b32_e32 v4, v2
	v_mov_b32_e32 v3, v1
	v_add_co_u32 v5, vcc_lo, s18, v5
	v_add_co_ci_u32_e64 v6, null, s19, v6, vcc_lo
	.p2align	6
.LBB321_16:                             ; =>This Inner Loop Header: Depth=1
	flat_load_dwordx2 v[10:11], v[3:4]
	flat_load_dwordx2 v[12:13], v[5:6]
	v_add_nc_u32_e32 v9, 0x400, v9
	v_add_co_u32 v3, vcc_lo, 0x2000, v3
	v_add_co_ci_u32_e64 v4, null, 0, v4, vcc_lo
	v_add_co_u32 v5, vcc_lo, v5, s4
	v_cmp_le_i32_e64 s0, s2, v9
	v_add_co_ci_u32_e64 v6, null, s5, v6, vcc_lo
	s_or_b32 s14, s0, s14
	s_waitcnt vmcnt(0) lgkmcnt(0)
	v_mul_f32_e32 v14, v13, v11
	v_mul_f32_e32 v11, v12, v11
	v_fma_f32 v12, v12, v10, -v14
	v_fmac_f32_e32 v11, v13, v10
	v_add_f32_e32 v8, v8, v12
	v_add_f32_e32 v7, v7, v11
	s_andn2_b32 exec_lo, exec_lo, s14
	s_cbranch_execnz .LBB321_16
; %bb.17:
	s_or_b32 exec_lo, exec_lo, s14
.LBB321_18:
	s_or_b32 exec_lo, exec_lo, s13
	v_or_b32_e32 v3, s2, v0
	s_mov_b32 s0, exec_lo
	v_cmpx_gt_i32_e64 s3, v3
	s_cbranch_execz .LBB321_20
; %bb.19:
	v_ashrrev_i32_e32 v5, 31, v3
	v_mul_lo_u32 v6, s21, v3
	v_mad_u64_u32 v[3:4], null, s20, v3, 0
	s_ashr_i32 s3, s2, 31
	v_mul_lo_u32 v5, s20, v5
	s_lshl_b64 s[2:3], s[2:3], 3
	v_add_co_u32 v1, vcc_lo, v1, s2
	v_add_co_ci_u32_e64 v2, null, s3, v2, vcc_lo
	v_add3_u32 v4, v4, v5, v6
	v_lshlrev_b64 v[3:4], 3, v[3:4]
	v_add_co_u32 v3, vcc_lo, s18, v3
	v_add_co_ci_u32_e64 v4, null, s19, v4, vcc_lo
	flat_load_dwordx2 v[1:2], v[1:2]
	flat_load_dwordx2 v[3:4], v[3:4]
	s_waitcnt vmcnt(0) lgkmcnt(0)
	v_mul_f32_e32 v5, v4, v2
	v_mul_f32_e32 v2, v3, v2
	v_fma_f32 v3, v3, v1, -v5
	v_fmac_f32_e32 v2, v4, v1
	v_add_f32_e32 v8, v8, v3
	v_add_f32_e32 v7, v7, v2
.LBB321_20:
	s_or_b32 exec_lo, exec_lo, s0
	v_and_b32_e32 v1, 31, v0
	v_cmp_gt_u32_e32 vcc_lo, 32, v0
	v_lshlrev_b32_e32 v5, 3, v1
	s_and_saveexec_b32 s0, vcc_lo
; %bb.21:
	v_mov_b32_e32 v2, 0
	v_mov_b32_e32 v3, v2
	ds_write_b64 v5, v[2:3]
; %bb.22:
	s_or_b32 exec_lo, exec_lo, s0
	v_mbcnt_lo_u32_b32 v2, -1, 0
	s_mov_b32 s2, exec_lo
	s_waitcnt lgkmcnt(0)
	s_waitcnt_vscnt null, 0x0
	s_barrier
	buffer_gl0_inv
	v_lshl_or_b32 v3, v2, 2, 64
	v_cmp_gt_u32_e64 s0, 24, v2
	ds_bpermute_b32 v6, v3, v8
	ds_bpermute_b32 v9, v3, v7
	v_cndmask_b32_e64 v4, 0, 8, s0
	v_cmp_gt_u32_e64 s0, 28, v2
	v_add_lshl_u32 v4, v4, v2, 2
	s_waitcnt lgkmcnt(1)
	v_add_f32_e32 v8, v8, v6
	s_waitcnt lgkmcnt(0)
	v_add_f32_e32 v7, v7, v9
	v_cndmask_b32_e64 v6, 0, 4, s0
	v_cmp_gt_u32_e64 s0, 30, v2
	ds_bpermute_b32 v9, v4, v8
	ds_bpermute_b32 v10, v4, v7
	v_add_lshl_u32 v6, v6, v2, 2
	s_waitcnt lgkmcnt(1)
	v_add_f32_e32 v8, v8, v9
	s_waitcnt lgkmcnt(0)
	v_add_f32_e32 v9, v7, v10
	v_cndmask_b32_e64 v7, 0, 2, s0
	v_cmp_ne_u32_e64 s0, 31, v2
	ds_bpermute_b32 v10, v6, v8
	ds_bpermute_b32 v11, v6, v9
	v_add_lshl_u32 v7, v7, v2, 2
	v_add_co_ci_u32_e64 v2, null, 0, v2, s0
	s_waitcnt lgkmcnt(1)
	v_add_f32_e32 v10, v8, v10
	s_waitcnt lgkmcnt(0)
	v_add_f32_e32 v9, v9, v11
	v_lshlrev_b32_e32 v8, 2, v2
	ds_bpermute_b32 v11, v7, v10
	ds_bpermute_b32 v12, v7, v9
	s_waitcnt lgkmcnt(1)
	v_add_f32_e32 v2, v10, v11
	s_waitcnt lgkmcnt(0)
	v_add_f32_e32 v10, v9, v12
	ds_bpermute_b32 v9, v8, v2
	ds_bpermute_b32 v11, v8, v10
	v_cmpx_eq_u32_e32 0, v1
	s_cbranch_execz .LBB321_24
; %bb.23:
	v_lshrrev_b32_e32 v1, 2, v0
	s_waitcnt lgkmcnt(0)
	v_add_f32_e32 v10, v10, v11
	v_add_f32_e32 v9, v2, v9
	v_and_b32_e32 v1, 0xf8, v1
	ds_write_b64 v1, v[9:10]
.LBB321_24:
	s_or_b32 exec_lo, exec_lo, s2
	v_mov_b32_e32 v2, 0
	v_mov_b32_e32 v1, 0
	s_waitcnt lgkmcnt(0)
	s_barrier
	buffer_gl0_inv
	s_and_saveexec_b32 s0, vcc_lo
; %bb.25:
	ds_read_b64 v[1:2], v5
; %bb.26:
	s_or_b32 exec_lo, exec_lo, s0
	s_and_saveexec_b32 s0, vcc_lo
	s_cbranch_execz .LBB321_28
; %bb.27:
	s_waitcnt lgkmcnt(0)
	ds_bpermute_b32 v5, v3, v1
	ds_bpermute_b32 v3, v3, v2
	s_waitcnt lgkmcnt(1)
	v_add_f32_e32 v1, v1, v5
	s_waitcnt lgkmcnt(0)
	v_add_f32_e32 v2, v2, v3
	ds_bpermute_b32 v3, v4, v1
	ds_bpermute_b32 v4, v4, v2
	s_waitcnt lgkmcnt(1)
	v_add_f32_e32 v1, v1, v3
	s_waitcnt lgkmcnt(0)
	v_add_f32_e32 v2, v2, v4
	;; [unrolled: 6-line block ×5, first 2 shown]
.LBB321_28:
	s_or_b32 exec_lo, exec_lo, s0
	s_mov_b32 s0, exec_lo
	v_cmpx_eq_u32_e32 0, v0
	s_cbranch_execz .LBB321_32
; %bb.29:
	v_cmp_neq_f32_e64 s0, s8, 0
	v_cmp_neq_f32_e64 s2, s9, 0
	s_waitcnt lgkmcnt(0)
	v_mul_f32_e32 v0, s17, v2
	v_mul_f32_e32 v4, s16, v2
	s_mul_i32 s1, s10, s1
	s_or_b32 s0, s0, s2
	s_mul_hi_u32 s2, s10, s6
	v_fma_f32 v3, v1, s16, -v0
	v_fmac_f32_e32 v4, s17, v1
	s_add_i32 s1, s2, s1
	s_mul_i32 s2, s11, s6
	s_andn2_b32 vcc_lo, exec_lo, s0
	s_add_i32 s1, s1, s2
	s_mul_i32 s0, s10, s6
	s_cbranch_vccnz .LBB321_31
; %bb.30:
	s_lshl_b64 s[2:3], s[0:1], 3
	s_add_u32 s2, s7, s2
	s_addc_u32 s3, s12, s3
	v_mov_b32_e32 v0, s2
	v_mov_b32_e32 v1, s3
	flat_load_dwordx2 v[0:1], v[0:1]
	s_waitcnt vmcnt(0) lgkmcnt(0)
	v_mul_f32_e32 v2, s9, v1
	v_mul_f32_e32 v1, s8, v1
	v_fma_f32 v2, s8, v0, -v2
	v_fmac_f32_e32 v1, s9, v0
	v_add_f32_e32 v3, v3, v2
	v_add_f32_e32 v4, v4, v1
.LBB321_31:
	s_lshl_b64 s[0:1], s[0:1], 3
	s_add_u32 s0, s7, s0
	s_addc_u32 s1, s12, s1
	v_mov_b32_e32 v0, s0
	v_mov_b32_e32 v1, s1
	flat_store_dwordx2 v[0:1], v[3:4]
.LBB321_32:
	s_endpgm
	.section	.rodata,"a",@progbits
	.p2align	6, 0x0
	.amdhsa_kernel _ZL32rocblas_gemvt_warp_reduce_kernelILb0ELi1024ElPK19rocblas_complex_numIfES3_KPS1_EviiT3_lPKT2_lT1_lS9_lSA_lS6_lPT4_lSA_li
		.amdhsa_group_segment_fixed_size 256
		.amdhsa_private_segment_fixed_size 0
		.amdhsa_kernarg_size 140
		.amdhsa_user_sgpr_count 6
		.amdhsa_user_sgpr_private_segment_buffer 1
		.amdhsa_user_sgpr_dispatch_ptr 0
		.amdhsa_user_sgpr_queue_ptr 0
		.amdhsa_user_sgpr_kernarg_segment_ptr 1
		.amdhsa_user_sgpr_dispatch_id 0
		.amdhsa_user_sgpr_flat_scratch_init 0
		.amdhsa_user_sgpr_private_segment_size 0
		.amdhsa_wavefront_size32 1
		.amdhsa_uses_dynamic_stack 0
		.amdhsa_system_sgpr_private_segment_wavefront_offset 0
		.amdhsa_system_sgpr_workgroup_id_x 1
		.amdhsa_system_sgpr_workgroup_id_y 0
		.amdhsa_system_sgpr_workgroup_id_z 1
		.amdhsa_system_sgpr_workgroup_info 0
		.amdhsa_system_vgpr_workitem_id 0
		.amdhsa_next_free_vgpr 15
		.amdhsa_next_free_sgpr 31
		.amdhsa_reserve_vcc 1
		.amdhsa_reserve_flat_scratch 0
		.amdhsa_float_round_mode_32 0
		.amdhsa_float_round_mode_16_64 0
		.amdhsa_float_denorm_mode_32 3
		.amdhsa_float_denorm_mode_16_64 3
		.amdhsa_dx10_clamp 1
		.amdhsa_ieee_mode 1
		.amdhsa_fp16_overflow 0
		.amdhsa_workgroup_processor_mode 1
		.amdhsa_memory_ordered 1
		.amdhsa_forward_progress 1
		.amdhsa_shared_vgpr_count 0
		.amdhsa_exception_fp_ieee_invalid_op 0
		.amdhsa_exception_fp_denorm_src 0
		.amdhsa_exception_fp_ieee_div_zero 0
		.amdhsa_exception_fp_ieee_overflow 0
		.amdhsa_exception_fp_ieee_underflow 0
		.amdhsa_exception_fp_ieee_inexact 0
		.amdhsa_exception_int_div_zero 0
	.end_amdhsa_kernel
	.section	.text._ZL32rocblas_gemvt_warp_reduce_kernelILb0ELi1024ElPK19rocblas_complex_numIfES3_KPS1_EviiT3_lPKT2_lT1_lS9_lSA_lS6_lPT4_lSA_li,"axG",@progbits,_ZL32rocblas_gemvt_warp_reduce_kernelILb0ELi1024ElPK19rocblas_complex_numIfES3_KPS1_EviiT3_lPKT2_lT1_lS9_lSA_lS6_lPT4_lSA_li,comdat
.Lfunc_end321:
	.size	_ZL32rocblas_gemvt_warp_reduce_kernelILb0ELi1024ElPK19rocblas_complex_numIfES3_KPS1_EviiT3_lPKT2_lT1_lS9_lSA_lS6_lPT4_lSA_li, .Lfunc_end321-_ZL32rocblas_gemvt_warp_reduce_kernelILb0ELi1024ElPK19rocblas_complex_numIfES3_KPS1_EviiT3_lPKT2_lT1_lS9_lSA_lS6_lPT4_lSA_li
                                        ; -- End function
	.set _ZL32rocblas_gemvt_warp_reduce_kernelILb0ELi1024ElPK19rocblas_complex_numIfES3_KPS1_EviiT3_lPKT2_lT1_lS9_lSA_lS6_lPT4_lSA_li.num_vgpr, 15
	.set _ZL32rocblas_gemvt_warp_reduce_kernelILb0ELi1024ElPK19rocblas_complex_numIfES3_KPS1_EviiT3_lPKT2_lT1_lS9_lSA_lS6_lPT4_lSA_li.num_agpr, 0
	.set _ZL32rocblas_gemvt_warp_reduce_kernelILb0ELi1024ElPK19rocblas_complex_numIfES3_KPS1_EviiT3_lPKT2_lT1_lS9_lSA_lS6_lPT4_lSA_li.numbered_sgpr, 31
	.set _ZL32rocblas_gemvt_warp_reduce_kernelILb0ELi1024ElPK19rocblas_complex_numIfES3_KPS1_EviiT3_lPKT2_lT1_lS9_lSA_lS6_lPT4_lSA_li.num_named_barrier, 0
	.set _ZL32rocblas_gemvt_warp_reduce_kernelILb0ELi1024ElPK19rocblas_complex_numIfES3_KPS1_EviiT3_lPKT2_lT1_lS9_lSA_lS6_lPT4_lSA_li.private_seg_size, 0
	.set _ZL32rocblas_gemvt_warp_reduce_kernelILb0ELi1024ElPK19rocblas_complex_numIfES3_KPS1_EviiT3_lPKT2_lT1_lS9_lSA_lS6_lPT4_lSA_li.uses_vcc, 1
	.set _ZL32rocblas_gemvt_warp_reduce_kernelILb0ELi1024ElPK19rocblas_complex_numIfES3_KPS1_EviiT3_lPKT2_lT1_lS9_lSA_lS6_lPT4_lSA_li.uses_flat_scratch, 0
	.set _ZL32rocblas_gemvt_warp_reduce_kernelILb0ELi1024ElPK19rocblas_complex_numIfES3_KPS1_EviiT3_lPKT2_lT1_lS9_lSA_lS6_lPT4_lSA_li.has_dyn_sized_stack, 0
	.set _ZL32rocblas_gemvt_warp_reduce_kernelILb0ELi1024ElPK19rocblas_complex_numIfES3_KPS1_EviiT3_lPKT2_lT1_lS9_lSA_lS6_lPT4_lSA_li.has_recursion, 0
	.set _ZL32rocblas_gemvt_warp_reduce_kernelILb0ELi1024ElPK19rocblas_complex_numIfES3_KPS1_EviiT3_lPKT2_lT1_lS9_lSA_lS6_lPT4_lSA_li.has_indirect_call, 0
	.section	.AMDGPU.csdata,"",@progbits
; Kernel info:
; codeLenInByte = 1796
; TotalNumSgprs: 33
; NumVgprs: 15
; ScratchSize: 0
; MemoryBound: 0
; FloatMode: 240
; IeeeMode: 1
; LDSByteSize: 256 bytes/workgroup (compile time only)
; SGPRBlocks: 0
; VGPRBlocks: 1
; NumSGPRsForWavesPerEU: 33
; NumVGPRsForWavesPerEU: 15
; Occupancy: 16
; WaveLimiterHint : 1
; COMPUTE_PGM_RSRC2:SCRATCH_EN: 0
; COMPUTE_PGM_RSRC2:USER_SGPR: 6
; COMPUTE_PGM_RSRC2:TRAP_HANDLER: 0
; COMPUTE_PGM_RSRC2:TGID_X_EN: 1
; COMPUTE_PGM_RSRC2:TGID_Y_EN: 0
; COMPUTE_PGM_RSRC2:TGID_Z_EN: 1
; COMPUTE_PGM_RSRC2:TIDIG_COMP_CNT: 0
	.section	.text._ZL32rocblas_gemvt_warp_reduce_kernelILb0ELi1024EiPK19rocblas_complex_numIfES1_KPS1_EviiT3_lPKT2_lT1_lS9_lSA_lS6_lPT4_lSA_li,"axG",@progbits,_ZL32rocblas_gemvt_warp_reduce_kernelILb0ELi1024EiPK19rocblas_complex_numIfES1_KPS1_EviiT3_lPKT2_lT1_lS9_lSA_lS6_lPT4_lSA_li,comdat
	.globl	_ZL32rocblas_gemvt_warp_reduce_kernelILb0ELi1024EiPK19rocblas_complex_numIfES1_KPS1_EviiT3_lPKT2_lT1_lS9_lSA_lS6_lPT4_lSA_li ; -- Begin function _ZL32rocblas_gemvt_warp_reduce_kernelILb0ELi1024EiPK19rocblas_complex_numIfES1_KPS1_EviiT3_lPKT2_lT1_lS9_lSA_lS6_lPT4_lSA_li
	.p2align	8
	.type	_ZL32rocblas_gemvt_warp_reduce_kernelILb0ELi1024EiPK19rocblas_complex_numIfES1_KPS1_EviiT3_lPKT2_lT1_lS9_lSA_lS6_lPT4_lSA_li,@function
_ZL32rocblas_gemvt_warp_reduce_kernelILb0ELi1024EiPK19rocblas_complex_numIfES1_KPS1_EviiT3_lPKT2_lT1_lS9_lSA_lS6_lPT4_lSA_li: ; @_ZL32rocblas_gemvt_warp_reduce_kernelILb0ELi1024EiPK19rocblas_complex_numIfES1_KPS1_EviiT3_lPKT2_lT1_lS9_lSA_lS6_lPT4_lSA_li
; %bb.0:
	s_clause 0x1
	s_load_dwordx2 s[8:9], s[4:5], 0x8
	s_load_dwordx2 s[2:3], s[4:5], 0x58
	s_mov_b32 s0, s7
	s_waitcnt lgkmcnt(0)
	v_cmp_neq_f32_e64 s1, s8, 0
	v_cmp_neq_f32_e64 s7, s9, 0
	s_or_b32 s1, s1, s7
	s_and_b32 vcc_lo, exec_lo, s1
	s_mov_b32 s1, -1
	s_cbranch_vccnz .LBB322_2
; %bb.1:
	v_cmp_neq_f32_e64 s1, s2, 1.0
	v_cmp_neq_f32_e64 s7, s3, 0
	s_or_b32 s1, s1, s7
.LBB322_2:
	s_andn2_b32 vcc_lo, exec_lo, s1
	s_cbranch_vccnz .LBB322_34
; %bb.3:
	s_or_b32 s1, s8, s9
	s_bitset0_b32 s1, 31
	s_cmp_lg_u32 s1, 0
	s_cselect_b32 s7, -1, 0
	s_cmp_eq_u32 s1, 0
	s_mov_b32 s1, 0
	s_cselect_b32 s16, -1, 0
	s_and_b32 vcc_lo, exec_lo, s7
	s_cbranch_vccnz .LBB322_5
; %bb.4:
	s_mov_b32 s12, s1
	s_mov_b64 s[10:11], 0
	s_andn2_b32 vcc_lo, exec_lo, s12
	s_mov_b64 s[12:13], 0
	s_cbranch_vccz .LBB322_6
	s_branch .LBB322_7
.LBB322_5:
	s_mov_b64 s[10:11], 0
	s_mov_b64 s[12:13], 0
.LBB322_6:
	s_load_dwordx4 s[12:15], s[4:5], 0x18
	s_lshl_b64 s[18:19], s[0:1], 3
	s_waitcnt lgkmcnt(0)
	s_add_u32 s12, s12, s18
	s_addc_u32 s13, s13, s19
	s_lshl_b64 s[14:15], s[14:15], 3
	s_load_dwordx2 s[12:13], s[12:13], 0x0
	s_waitcnt lgkmcnt(0)
	s_add_u32 s12, s12, s14
	s_addc_u32 s13, s13, s15
.LBB322_7:
	s_andn2_b32 vcc_lo, exec_lo, s7
	s_cbranch_vccnz .LBB322_9
; %bb.8:
	s_load_dwordx4 s[20:23], s[4:5], 0x38
	s_lshl_b64 s[10:11], s[0:1], 3
	s_waitcnt lgkmcnt(0)
	s_add_u32 s10, s20, s10
	s_addc_u32 s11, s21, s11
	s_lshl_b64 s[14:15], s[22:23], 3
	s_load_dwordx2 s[10:11], s[10:11], 0x0
	s_waitcnt lgkmcnt(0)
	s_add_u32 s10, s10, s14
	s_addc_u32 s11, s11, s15
.LBB322_9:
	s_clause 0x1
	s_load_dwordx4 s[20:23], s[4:5], 0x68
	s_load_dword s15, s[4:5], 0x78
	s_lshl_b64 s[0:1], s[0:1], 3
	s_waitcnt lgkmcnt(0)
	s_add_u32 s0, s20, s0
	s_addc_u32 s1, s21, s1
	s_lshl_b64 s[20:21], s[22:23], 3
	s_load_dwordx2 s[18:19], s[0:1], 0x0
	v_cmp_eq_u32_e64 s0, 0, v0
	s_waitcnt lgkmcnt(0)
	s_add_u32 s7, s18, s20
	s_addc_u32 s14, s19, s21
	s_andn2_b32 vcc_lo, exec_lo, s16
	s_mov_b32 s16, -1
	s_cbranch_vccnz .LBB322_15
; %bb.10:
	s_mov_b32 s16, 0
	s_and_saveexec_b32 s17, s0
	s_cbranch_execz .LBB322_14
; %bb.11:
	v_cmp_neq_f32_e64 s0, s2, 0
	v_cmp_neq_f32_e64 s1, s3, 0
	v_mov_b32_e32 v1, 0
	v_mov_b32_e32 v2, 0
	s_or_b32 s1, s0, s1
	s_mul_i32 s0, s15, s6
	s_andn2_b32 vcc_lo, exec_lo, s1
	s_ashr_i32 s1, s0, 31
	s_cbranch_vccnz .LBB322_13
; %bb.12:
	s_lshl_b64 s[18:19], s[0:1], 3
	s_add_u32 s18, s7, s18
	s_addc_u32 s19, s14, s19
	v_mov_b32_e32 v1, s18
	v_mov_b32_e32 v2, s19
	flat_load_dwordx2 v[3:4], v[1:2]
	s_waitcnt vmcnt(0) lgkmcnt(0)
	v_mul_f32_e32 v1, s3, v4
	v_mul_f32_e32 v2, s2, v4
	v_fma_f32 v1, s2, v3, -v1
	v_fmac_f32_e32 v2, s3, v3
.LBB322_13:
	s_lshl_b64 s[0:1], s[0:1], 3
	s_add_u32 s0, s7, s0
	s_addc_u32 s1, s14, s1
	v_mov_b32_e32 v4, s1
	v_mov_b32_e32 v3, s0
	flat_store_dwordx2 v[3:4], v[1:2]
.LBB322_14:
	s_or_b32 exec_lo, exec_lo, s17
.LBB322_15:
	s_andn2_b32 vcc_lo, exec_lo, s16
	s_cbranch_vccnz .LBB322_34
; %bb.16:
	s_clause 0x2
	s_load_dword s16, s[4:5], 0x0
	s_load_dword s0, s[4:5], 0x28
	;; [unrolled: 1-line block ×3, first 2 shown]
	v_mov_b32_e32 v7, 0
	v_mov_b32_e32 v8, 0
	s_waitcnt lgkmcnt(0)
	v_cmp_gt_i32_e32 vcc_lo, s16, v0
	s_mul_i32 s4, s0, s6
	s_ashr_i32 s0, s16, 31
	s_ashr_i32 s5, s4, 31
	s_lshr_b32 s0, s0, 22
	v_cndmask_b32_e32 v1, 0, v0, vcc_lo
	s_add_i32 s0, s16, s0
	s_lshl_b64 s[18:19], s[4:5], 3
	s_and_b32 s4, s0, 0xfffffc00
	s_mov_b32 s5, 0
	v_lshlrev_b32_e32 v1, 3, v1
	v_add_co_u32 v1, s0, s12, v1
	v_add_co_ci_u32_e64 v2, null, s13, 0, s0
	v_add_co_u32 v1, s0, v1, s18
	v_add_co_ci_u32_e64 v2, null, s19, v2, s0
	s_mov_b32 s0, exec_lo
	v_cmpx_gt_i32_e64 s4, v0
	s_cbranch_execz .LBB322_20
; %bb.17:
	v_mul_lo_u32 v3, v0, s1
	v_mov_b32_e32 v6, v2
	v_mov_b32_e32 v7, 0
	;; [unrolled: 1-line block ×5, first 2 shown]
	s_lshl_b32 s12, s1, 10
	.p2align	6
.LBB322_18:                             ; =>This Inner Loop Header: Depth=1
	v_ashrrev_i32_e32 v4, 31, v3
	v_add_nc_u32_e32 v9, 0x400, v9
	v_lshlrev_b64 v[10:11], 3, v[3:4]
	v_add_nc_u32_e32 v3, s12, v3
	v_add_co_u32 v10, vcc_lo, s10, v10
	v_add_co_ci_u32_e64 v11, null, s11, v11, vcc_lo
	flat_load_dwordx2 v[12:13], v[5:6]
	flat_load_dwordx2 v[10:11], v[10:11]
	v_add_co_u32 v5, vcc_lo, 0x2000, v5
	v_add_co_ci_u32_e64 v6, null, 0, v6, vcc_lo
	v_cmp_le_i32_e32 vcc_lo, s4, v9
	s_or_b32 s5, vcc_lo, s5
	s_waitcnt vmcnt(0) lgkmcnt(0)
	v_mul_f32_e32 v4, v11, v13
	v_mul_f32_e32 v13, v10, v13
	v_fma_f32 v4, v10, v12, -v4
	v_fmac_f32_e32 v13, v11, v12
	v_add_f32_e32 v8, v8, v4
	v_add_f32_e32 v7, v7, v13
	s_andn2_b32 exec_lo, exec_lo, s5
	s_cbranch_execnz .LBB322_18
; %bb.19:
	s_or_b32 exec_lo, exec_lo, s5
.LBB322_20:
	s_or_b32 exec_lo, exec_lo, s0
	v_or_b32_e32 v3, s4, v0
	s_mov_b32 s0, exec_lo
	v_cmpx_gt_i32_e64 s16, v3
	s_cbranch_execz .LBB322_22
; %bb.21:
	v_mul_lo_u32 v3, s1, v3
	s_ashr_i32 s5, s4, 31
	s_lshl_b64 s[4:5], s[4:5], 3
	v_add_co_u32 v1, vcc_lo, v1, s4
	v_add_co_ci_u32_e64 v2, null, s5, v2, vcc_lo
	v_ashrrev_i32_e32 v4, 31, v3
	v_lshlrev_b64 v[3:4], 3, v[3:4]
	v_add_co_u32 v3, vcc_lo, s10, v3
	v_add_co_ci_u32_e64 v4, null, s11, v4, vcc_lo
	flat_load_dwordx2 v[1:2], v[1:2]
	flat_load_dwordx2 v[3:4], v[3:4]
	s_waitcnt vmcnt(0) lgkmcnt(0)
	v_mul_f32_e32 v5, v4, v2
	v_mul_f32_e32 v2, v3, v2
	v_fma_f32 v3, v3, v1, -v5
	v_fmac_f32_e32 v2, v4, v1
	v_add_f32_e32 v8, v8, v3
	v_add_f32_e32 v7, v7, v2
.LBB322_22:
	s_or_b32 exec_lo, exec_lo, s0
	v_and_b32_e32 v1, 31, v0
	v_cmp_gt_u32_e32 vcc_lo, 32, v0
	v_lshlrev_b32_e32 v5, 3, v1
	s_and_saveexec_b32 s0, vcc_lo
; %bb.23:
	v_mov_b32_e32 v2, 0
	v_mov_b32_e32 v3, v2
	ds_write_b64 v5, v[2:3]
; %bb.24:
	s_or_b32 exec_lo, exec_lo, s0
	v_mbcnt_lo_u32_b32 v2, -1, 0
	s_mov_b32 s1, exec_lo
	s_waitcnt lgkmcnt(0)
	s_waitcnt_vscnt null, 0x0
	s_barrier
	buffer_gl0_inv
	v_lshl_or_b32 v3, v2, 2, 64
	v_cmp_gt_u32_e64 s0, 24, v2
	ds_bpermute_b32 v6, v3, v8
	ds_bpermute_b32 v9, v3, v7
	v_cndmask_b32_e64 v4, 0, 8, s0
	v_cmp_gt_u32_e64 s0, 28, v2
	v_add_lshl_u32 v4, v4, v2, 2
	s_waitcnt lgkmcnt(1)
	v_add_f32_e32 v8, v8, v6
	s_waitcnt lgkmcnt(0)
	v_add_f32_e32 v7, v7, v9
	v_cndmask_b32_e64 v6, 0, 4, s0
	v_cmp_gt_u32_e64 s0, 30, v2
	ds_bpermute_b32 v9, v4, v8
	ds_bpermute_b32 v10, v4, v7
	v_add_lshl_u32 v6, v6, v2, 2
	s_waitcnt lgkmcnt(1)
	v_add_f32_e32 v8, v8, v9
	s_waitcnt lgkmcnt(0)
	v_add_f32_e32 v9, v7, v10
	v_cndmask_b32_e64 v7, 0, 2, s0
	v_cmp_ne_u32_e64 s0, 31, v2
	ds_bpermute_b32 v10, v6, v8
	ds_bpermute_b32 v11, v6, v9
	v_add_lshl_u32 v7, v7, v2, 2
	v_add_co_ci_u32_e64 v2, null, 0, v2, s0
	s_waitcnt lgkmcnt(1)
	v_add_f32_e32 v10, v8, v10
	s_waitcnt lgkmcnt(0)
	v_add_f32_e32 v9, v9, v11
	v_lshlrev_b32_e32 v8, 2, v2
	ds_bpermute_b32 v11, v7, v10
	ds_bpermute_b32 v12, v7, v9
	s_waitcnt lgkmcnt(1)
	v_add_f32_e32 v2, v10, v11
	s_waitcnt lgkmcnt(0)
	v_add_f32_e32 v10, v9, v12
	ds_bpermute_b32 v9, v8, v2
	ds_bpermute_b32 v11, v8, v10
	v_cmpx_eq_u32_e32 0, v1
	s_cbranch_execz .LBB322_26
; %bb.25:
	v_lshrrev_b32_e32 v1, 2, v0
	s_waitcnt lgkmcnt(0)
	v_add_f32_e32 v10, v10, v11
	v_add_f32_e32 v9, v2, v9
	v_and_b32_e32 v1, 0xf8, v1
	ds_write_b64 v1, v[9:10]
.LBB322_26:
	s_or_b32 exec_lo, exec_lo, s1
	v_mov_b32_e32 v2, 0
	v_mov_b32_e32 v1, 0
	s_waitcnt lgkmcnt(0)
	s_barrier
	buffer_gl0_inv
	s_and_saveexec_b32 s0, vcc_lo
; %bb.27:
	ds_read_b64 v[1:2], v5
; %bb.28:
	s_or_b32 exec_lo, exec_lo, s0
	s_and_saveexec_b32 s0, vcc_lo
	s_cbranch_execz .LBB322_30
; %bb.29:
	s_waitcnt lgkmcnt(0)
	ds_bpermute_b32 v5, v3, v1
	ds_bpermute_b32 v3, v3, v2
	s_waitcnt lgkmcnt(1)
	v_add_f32_e32 v1, v1, v5
	s_waitcnt lgkmcnt(0)
	v_add_f32_e32 v2, v2, v3
	ds_bpermute_b32 v3, v4, v1
	ds_bpermute_b32 v4, v4, v2
	s_waitcnt lgkmcnt(1)
	v_add_f32_e32 v1, v1, v3
	s_waitcnt lgkmcnt(0)
	v_add_f32_e32 v2, v2, v4
	;; [unrolled: 6-line block ×5, first 2 shown]
.LBB322_30:
	s_or_b32 exec_lo, exec_lo, s0
	s_mov_b32 s0, exec_lo
	v_cmpx_eq_u32_e32 0, v0
	s_cbranch_execz .LBB322_34
; %bb.31:
	s_waitcnt lgkmcnt(0)
	v_mul_f32_e32 v0, s9, v2
	v_mul_f32_e32 v3, s8, v2
	v_cmp_neq_f32_e64 s0, s2, 0
	v_cmp_neq_f32_e64 s1, s3, 0
	v_fma_f32 v2, v1, s8, -v0
	v_fmac_f32_e32 v3, s9, v1
	s_or_b32 s1, s0, s1
	s_mul_i32 s0, s15, s6
	s_andn2_b32 vcc_lo, exec_lo, s1
	s_ashr_i32 s1, s0, 31
	s_cbranch_vccnz .LBB322_33
; %bb.32:
	s_lshl_b64 s[4:5], s[0:1], 3
	s_add_u32 s4, s7, s4
	s_addc_u32 s5, s14, s5
	v_mov_b32_e32 v0, s4
	v_mov_b32_e32 v1, s5
	flat_load_dwordx2 v[0:1], v[0:1]
	s_waitcnt vmcnt(0) lgkmcnt(0)
	v_mul_f32_e32 v4, s3, v1
	v_mul_f32_e32 v1, s2, v1
	v_fma_f32 v4, s2, v0, -v4
	v_fmac_f32_e32 v1, s3, v0
	v_add_f32_e32 v2, v2, v4
	v_add_f32_e32 v3, v3, v1
.LBB322_33:
	s_lshl_b64 s[0:1], s[0:1], 3
	s_add_u32 s0, s7, s0
	s_addc_u32 s1, s14, s1
	v_mov_b32_e32 v0, s0
	v_mov_b32_e32 v1, s1
	flat_store_dwordx2 v[0:1], v[2:3]
.LBB322_34:
	s_endpgm
	.section	.rodata,"a",@progbits
	.p2align	6, 0x0
	.amdhsa_kernel _ZL32rocblas_gemvt_warp_reduce_kernelILb0ELi1024EiPK19rocblas_complex_numIfES1_KPS1_EviiT3_lPKT2_lT1_lS9_lSA_lS6_lPT4_lSA_li
		.amdhsa_group_segment_fixed_size 256
		.amdhsa_private_segment_fixed_size 0
		.amdhsa_kernarg_size 140
		.amdhsa_user_sgpr_count 6
		.amdhsa_user_sgpr_private_segment_buffer 1
		.amdhsa_user_sgpr_dispatch_ptr 0
		.amdhsa_user_sgpr_queue_ptr 0
		.amdhsa_user_sgpr_kernarg_segment_ptr 1
		.amdhsa_user_sgpr_dispatch_id 0
		.amdhsa_user_sgpr_flat_scratch_init 0
		.amdhsa_user_sgpr_private_segment_size 0
		.amdhsa_wavefront_size32 1
		.amdhsa_uses_dynamic_stack 0
		.amdhsa_system_sgpr_private_segment_wavefront_offset 0
		.amdhsa_system_sgpr_workgroup_id_x 1
		.amdhsa_system_sgpr_workgroup_id_y 0
		.amdhsa_system_sgpr_workgroup_id_z 1
		.amdhsa_system_sgpr_workgroup_info 0
		.amdhsa_system_vgpr_workitem_id 0
		.amdhsa_next_free_vgpr 14
		.amdhsa_next_free_sgpr 24
		.amdhsa_reserve_vcc 1
		.amdhsa_reserve_flat_scratch 0
		.amdhsa_float_round_mode_32 0
		.amdhsa_float_round_mode_16_64 0
		.amdhsa_float_denorm_mode_32 3
		.amdhsa_float_denorm_mode_16_64 3
		.amdhsa_dx10_clamp 1
		.amdhsa_ieee_mode 1
		.amdhsa_fp16_overflow 0
		.amdhsa_workgroup_processor_mode 1
		.amdhsa_memory_ordered 1
		.amdhsa_forward_progress 1
		.amdhsa_shared_vgpr_count 0
		.amdhsa_exception_fp_ieee_invalid_op 0
		.amdhsa_exception_fp_denorm_src 0
		.amdhsa_exception_fp_ieee_div_zero 0
		.amdhsa_exception_fp_ieee_overflow 0
		.amdhsa_exception_fp_ieee_underflow 0
		.amdhsa_exception_fp_ieee_inexact 0
		.amdhsa_exception_int_div_zero 0
	.end_amdhsa_kernel
	.section	.text._ZL32rocblas_gemvt_warp_reduce_kernelILb0ELi1024EiPK19rocblas_complex_numIfES1_KPS1_EviiT3_lPKT2_lT1_lS9_lSA_lS6_lPT4_lSA_li,"axG",@progbits,_ZL32rocblas_gemvt_warp_reduce_kernelILb0ELi1024EiPK19rocblas_complex_numIfES1_KPS1_EviiT3_lPKT2_lT1_lS9_lSA_lS6_lPT4_lSA_li,comdat
.Lfunc_end322:
	.size	_ZL32rocblas_gemvt_warp_reduce_kernelILb0ELi1024EiPK19rocblas_complex_numIfES1_KPS1_EviiT3_lPKT2_lT1_lS9_lSA_lS6_lPT4_lSA_li, .Lfunc_end322-_ZL32rocblas_gemvt_warp_reduce_kernelILb0ELi1024EiPK19rocblas_complex_numIfES1_KPS1_EviiT3_lPKT2_lT1_lS9_lSA_lS6_lPT4_lSA_li
                                        ; -- End function
	.set _ZL32rocblas_gemvt_warp_reduce_kernelILb0ELi1024EiPK19rocblas_complex_numIfES1_KPS1_EviiT3_lPKT2_lT1_lS9_lSA_lS6_lPT4_lSA_li.num_vgpr, 14
	.set _ZL32rocblas_gemvt_warp_reduce_kernelILb0ELi1024EiPK19rocblas_complex_numIfES1_KPS1_EviiT3_lPKT2_lT1_lS9_lSA_lS6_lPT4_lSA_li.num_agpr, 0
	.set _ZL32rocblas_gemvt_warp_reduce_kernelILb0ELi1024EiPK19rocblas_complex_numIfES1_KPS1_EviiT3_lPKT2_lT1_lS9_lSA_lS6_lPT4_lSA_li.numbered_sgpr, 24
	.set _ZL32rocblas_gemvt_warp_reduce_kernelILb0ELi1024EiPK19rocblas_complex_numIfES1_KPS1_EviiT3_lPKT2_lT1_lS9_lSA_lS6_lPT4_lSA_li.num_named_barrier, 0
	.set _ZL32rocblas_gemvt_warp_reduce_kernelILb0ELi1024EiPK19rocblas_complex_numIfES1_KPS1_EviiT3_lPKT2_lT1_lS9_lSA_lS6_lPT4_lSA_li.private_seg_size, 0
	.set _ZL32rocblas_gemvt_warp_reduce_kernelILb0ELi1024EiPK19rocblas_complex_numIfES1_KPS1_EviiT3_lPKT2_lT1_lS9_lSA_lS6_lPT4_lSA_li.uses_vcc, 1
	.set _ZL32rocblas_gemvt_warp_reduce_kernelILb0ELi1024EiPK19rocblas_complex_numIfES1_KPS1_EviiT3_lPKT2_lT1_lS9_lSA_lS6_lPT4_lSA_li.uses_flat_scratch, 0
	.set _ZL32rocblas_gemvt_warp_reduce_kernelILb0ELi1024EiPK19rocblas_complex_numIfES1_KPS1_EviiT3_lPKT2_lT1_lS9_lSA_lS6_lPT4_lSA_li.has_dyn_sized_stack, 0
	.set _ZL32rocblas_gemvt_warp_reduce_kernelILb0ELi1024EiPK19rocblas_complex_numIfES1_KPS1_EviiT3_lPKT2_lT1_lS9_lSA_lS6_lPT4_lSA_li.has_recursion, 0
	.set _ZL32rocblas_gemvt_warp_reduce_kernelILb0ELi1024EiPK19rocblas_complex_numIfES1_KPS1_EviiT3_lPKT2_lT1_lS9_lSA_lS6_lPT4_lSA_li.has_indirect_call, 0
	.section	.AMDGPU.csdata,"",@progbits
; Kernel info:
; codeLenInByte = 1704
; TotalNumSgprs: 26
; NumVgprs: 14
; ScratchSize: 0
; MemoryBound: 0
; FloatMode: 240
; IeeeMode: 1
; LDSByteSize: 256 bytes/workgroup (compile time only)
; SGPRBlocks: 0
; VGPRBlocks: 1
; NumSGPRsForWavesPerEU: 26
; NumVGPRsForWavesPerEU: 14
; Occupancy: 16
; WaveLimiterHint : 1
; COMPUTE_PGM_RSRC2:SCRATCH_EN: 0
; COMPUTE_PGM_RSRC2:USER_SGPR: 6
; COMPUTE_PGM_RSRC2:TRAP_HANDLER: 0
; COMPUTE_PGM_RSRC2:TGID_X_EN: 1
; COMPUTE_PGM_RSRC2:TGID_Y_EN: 0
; COMPUTE_PGM_RSRC2:TGID_Z_EN: 1
; COMPUTE_PGM_RSRC2:TIDIG_COMP_CNT: 0
	.section	.text._ZL32rocblas_gemvt_warp_reduce_kernelILb0ELi1024ElPK19rocblas_complex_numIfES1_KPS1_EviiT3_lPKT2_lT1_lS9_lSA_lS6_lPT4_lSA_li,"axG",@progbits,_ZL32rocblas_gemvt_warp_reduce_kernelILb0ELi1024ElPK19rocblas_complex_numIfES1_KPS1_EviiT3_lPKT2_lT1_lS9_lSA_lS6_lPT4_lSA_li,comdat
	.globl	_ZL32rocblas_gemvt_warp_reduce_kernelILb0ELi1024ElPK19rocblas_complex_numIfES1_KPS1_EviiT3_lPKT2_lT1_lS9_lSA_lS6_lPT4_lSA_li ; -- Begin function _ZL32rocblas_gemvt_warp_reduce_kernelILb0ELi1024ElPK19rocblas_complex_numIfES1_KPS1_EviiT3_lPKT2_lT1_lS9_lSA_lS6_lPT4_lSA_li
	.p2align	8
	.type	_ZL32rocblas_gemvt_warp_reduce_kernelILb0ELi1024ElPK19rocblas_complex_numIfES1_KPS1_EviiT3_lPKT2_lT1_lS9_lSA_lS6_lPT4_lSA_li,@function
_ZL32rocblas_gemvt_warp_reduce_kernelILb0ELi1024ElPK19rocblas_complex_numIfES1_KPS1_EviiT3_lPKT2_lT1_lS9_lSA_lS6_lPT4_lSA_li: ; @_ZL32rocblas_gemvt_warp_reduce_kernelILb0ELi1024ElPK19rocblas_complex_numIfES1_KPS1_EviiT3_lPKT2_lT1_lS9_lSA_lS6_lPT4_lSA_li
; %bb.0:
	s_clause 0x1
	s_load_dwordx2 s[10:11], s[4:5], 0x8
	s_load_dwordx2 s[8:9], s[4:5], 0x58
	s_mov_b32 s20, s7
	s_waitcnt lgkmcnt(0)
	v_cmp_neq_f32_e64 s0, s10, 0
	v_cmp_neq_f32_e64 s1, s11, 0
	s_or_b32 s0, s0, s1
	s_and_b32 vcc_lo, exec_lo, s0
	s_mov_b32 s0, -1
	s_cbranch_vccnz .LBB323_2
; %bb.1:
	v_cmp_neq_f32_e64 s0, s8, 1.0
	v_cmp_neq_f32_e64 s1, s9, 0
	s_or_b32 s0, s0, s1
.LBB323_2:
	s_andn2_b32 vcc_lo, exec_lo, s0
	s_cbranch_vccnz .LBB323_34
; %bb.3:
	s_clause 0x1
	s_load_dwordx4 s[0:3], s[4:5], 0x18
	s_load_dwordx2 s[16:17], s[4:5], 0x28
	s_or_b32 s7, s10, s11
	s_mov_b32 s21, 0
	s_and_b32 s12, s7, 0x7fffffff
	s_cmp_lg_u32 s12, 0
	s_cselect_b32 s7, -1, 0
	s_cmp_eq_u32 s12, 0
	s_cselect_b32 s22, -1, 0
	s_and_b32 vcc_lo, exec_lo, s7
	s_cbranch_vccnz .LBB323_5
; %bb.4:
	s_mov_b32 s14, s21
	s_mov_b64 s[12:13], 0
	s_andn2_b32 vcc_lo, exec_lo, s14
	s_mov_b64 s[18:19], 0
	s_cbranch_vccz .LBB323_6
	s_branch .LBB323_7
.LBB323_5:
	s_mov_b64 s[12:13], 0
	s_mov_b64 s[18:19], 0
.LBB323_6:
	s_lshl_b64 s[14:15], s[20:21], 3
	s_waitcnt lgkmcnt(0)
	s_add_u32 s0, s0, s14
	s_addc_u32 s1, s1, s15
	s_lshl_b64 s[2:3], s[2:3], 3
	s_load_dwordx2 s[0:1], s[0:1], 0x0
	s_waitcnt lgkmcnt(0)
	s_add_u32 s18, s0, s2
	s_addc_u32 s19, s1, s3
.LBB323_7:
	s_waitcnt lgkmcnt(0)
	s_clause 0x1
	s_load_dwordx4 s[0:3], s[4:5], 0x38
	s_load_dwordx2 s[14:15], s[4:5], 0x48
	s_andn2_b32 vcc_lo, exec_lo, s7
	s_cbranch_vccnz .LBB323_9
; %bb.8:
	s_lshl_b64 s[12:13], s[20:21], 3
	s_waitcnt lgkmcnt(0)
	s_add_u32 s0, s0, s12
	s_addc_u32 s1, s1, s13
	s_lshl_b64 s[2:3], s[2:3], 3
	s_load_dwordx2 s[0:1], s[0:1], 0x0
	s_waitcnt lgkmcnt(0)
	s_add_u32 s12, s0, s2
	s_addc_u32 s13, s1, s3
.LBB323_9:
	s_load_dwordx4 s[24:27], s[4:5], 0x68
	s_waitcnt lgkmcnt(0)
	s_load_dwordx2 s[2:3], s[4:5], 0x78
	s_lshl_b64 s[0:1], s[20:21], 3
	s_add_u32 s0, s24, s0
	s_addc_u32 s1, s25, s1
	s_lshl_b64 s[24:25], s[26:27], 3
	s_load_dwordx2 s[20:21], s[0:1], 0x0
	v_cmp_eq_u32_e64 s0, 0, v0
	s_waitcnt lgkmcnt(0)
	s_add_u32 s7, s20, s24
	s_addc_u32 s20, s21, s25
	s_andn2_b32 vcc_lo, exec_lo, s22
	s_mov_b32 s21, -1
	s_cbranch_vccnz .LBB323_15
; %bb.10:
	s_mov_b32 s21, 0
	s_and_saveexec_b32 s22, s0
	s_cbranch_execz .LBB323_14
; %bb.11:
	v_cmp_neq_f32_e64 s0, s8, 0
	v_cmp_neq_f32_e64 s1, s9, 0
	s_mul_hi_u32 s23, s2, s6
	v_mov_b32_e32 v1, 0
	v_mov_b32_e32 v2, 0
	s_or_b32 s0, s0, s1
	s_ashr_i32 s1, s6, 31
	s_andn2_b32 vcc_lo, exec_lo, s0
	s_mul_i32 s1, s2, s1
	s_mul_i32 s0, s2, s6
	s_add_i32 s1, s23, s1
	s_mul_i32 s23, s3, s6
	s_add_i32 s1, s1, s23
	s_cbranch_vccnz .LBB323_13
; %bb.12:
	s_lshl_b64 s[24:25], s[0:1], 3
	s_add_u32 s24, s7, s24
	s_addc_u32 s25, s20, s25
	v_mov_b32_e32 v1, s24
	v_mov_b32_e32 v2, s25
	flat_load_dwordx2 v[3:4], v[1:2]
	s_waitcnt vmcnt(0) lgkmcnt(0)
	v_mul_f32_e32 v1, s9, v4
	v_mul_f32_e32 v2, s8, v4
	v_fma_f32 v1, s8, v3, -v1
	v_fmac_f32_e32 v2, s9, v3
.LBB323_13:
	s_lshl_b64 s[0:1], s[0:1], 3
	s_add_u32 s0, s7, s0
	s_addc_u32 s1, s20, s1
	v_mov_b32_e32 v4, s1
	v_mov_b32_e32 v3, s0
	flat_store_dwordx2 v[3:4], v[1:2]
.LBB323_14:
	s_or_b32 exec_lo, exec_lo, s22
.LBB323_15:
	s_andn2_b32 vcc_lo, exec_lo, s21
	s_cbranch_vccnz .LBB323_34
; %bb.16:
	s_load_dword s5, s[4:5], 0x0
	s_ashr_i32 s1, s6, 31
	s_mul_hi_u32 s0, s16, s6
	s_mul_i32 s22, s16, s6
	s_mul_i32 s16, s16, s1
	;; [unrolled: 1-line block ×3, first 2 shown]
	s_add_i32 s0, s0, s16
	v_mov_b32_e32 v7, 0
	s_add_i32 s23, s0, s4
	v_mov_b32_e32 v8, 0
	s_waitcnt lgkmcnt(0)
	v_cmp_gt_i32_e32 vcc_lo, s5, v0
	s_ashr_i32 s16, s5, 31
	s_lshr_b32 s0, s16, 22
	s_lshl_b64 s[16:17], s[22:23], 3
	v_cndmask_b32_e32 v1, 0, v0, vcc_lo
	s_add_i32 s0, s5, s0
	s_and_b32 s4, s0, 0xfffffc00
	v_lshlrev_b32_e32 v1, 3, v1
	v_add_co_u32 v1, s0, s18, v1
	v_add_co_ci_u32_e64 v2, null, s19, 0, s0
	s_mov_b32 s19, 0
	v_add_co_u32 v1, s0, v1, s16
	v_add_co_ci_u32_e64 v2, null, s17, v2, s0
	s_mov_b32 s18, exec_lo
	v_cmpx_gt_i32_e64 s4, v0
	s_cbranch_execz .LBB323_20
; %bb.17:
	v_mad_u64_u32 v[3:4], null, s14, v0, 0
	v_mov_b32_e32 v7, 0
	v_mov_b32_e32 v9, v0
	v_mov_b32_e32 v8, 0
	s_lshl_b64 s[16:17], s[14:15], 13
	v_mad_u64_u32 v[4:5], null, s15, v0, v[4:5]
	v_lshlrev_b64 v[5:6], 3, v[3:4]
	v_mov_b32_e32 v4, v2
	v_mov_b32_e32 v3, v1
	v_add_co_u32 v5, vcc_lo, s12, v5
	v_add_co_ci_u32_e64 v6, null, s13, v6, vcc_lo
	.p2align	6
.LBB323_18:                             ; =>This Inner Loop Header: Depth=1
	flat_load_dwordx2 v[10:11], v[3:4]
	flat_load_dwordx2 v[12:13], v[5:6]
	v_add_nc_u32_e32 v9, 0x400, v9
	v_add_co_u32 v3, vcc_lo, 0x2000, v3
	v_add_co_ci_u32_e64 v4, null, 0, v4, vcc_lo
	v_add_co_u32 v5, vcc_lo, v5, s16
	v_cmp_le_i32_e64 s0, s4, v9
	v_add_co_ci_u32_e64 v6, null, s17, v6, vcc_lo
	s_or_b32 s19, s0, s19
	s_waitcnt vmcnt(0) lgkmcnt(0)
	v_mul_f32_e32 v14, v13, v11
	v_mul_f32_e32 v11, v12, v11
	v_fma_f32 v12, v12, v10, -v14
	v_fmac_f32_e32 v11, v13, v10
	v_add_f32_e32 v8, v8, v12
	v_add_f32_e32 v7, v7, v11
	s_andn2_b32 exec_lo, exec_lo, s19
	s_cbranch_execnz .LBB323_18
; %bb.19:
	s_or_b32 exec_lo, exec_lo, s19
.LBB323_20:
	s_or_b32 exec_lo, exec_lo, s18
	v_or_b32_e32 v3, s4, v0
	s_mov_b32 s0, exec_lo
	v_cmpx_gt_i32_e64 s5, v3
	s_cbranch_execz .LBB323_22
; %bb.21:
	v_ashrrev_i32_e32 v5, 31, v3
	v_mul_lo_u32 v6, s15, v3
	v_mad_u64_u32 v[3:4], null, s14, v3, 0
	s_ashr_i32 s5, s4, 31
	v_mul_lo_u32 v5, s14, v5
	s_lshl_b64 s[4:5], s[4:5], 3
	v_add_co_u32 v1, vcc_lo, v1, s4
	v_add_co_ci_u32_e64 v2, null, s5, v2, vcc_lo
	v_add3_u32 v4, v4, v5, v6
	v_lshlrev_b64 v[3:4], 3, v[3:4]
	v_add_co_u32 v3, vcc_lo, s12, v3
	v_add_co_ci_u32_e64 v4, null, s13, v4, vcc_lo
	flat_load_dwordx2 v[1:2], v[1:2]
	flat_load_dwordx2 v[3:4], v[3:4]
	s_waitcnt vmcnt(0) lgkmcnt(0)
	v_mul_f32_e32 v5, v4, v2
	v_mul_f32_e32 v2, v3, v2
	v_fma_f32 v3, v3, v1, -v5
	v_fmac_f32_e32 v2, v4, v1
	v_add_f32_e32 v8, v8, v3
	v_add_f32_e32 v7, v7, v2
.LBB323_22:
	s_or_b32 exec_lo, exec_lo, s0
	v_and_b32_e32 v1, 31, v0
	v_cmp_gt_u32_e32 vcc_lo, 32, v0
	v_lshlrev_b32_e32 v5, 3, v1
	s_and_saveexec_b32 s0, vcc_lo
; %bb.23:
	v_mov_b32_e32 v2, 0
	v_mov_b32_e32 v3, v2
	ds_write_b64 v5, v[2:3]
; %bb.24:
	s_or_b32 exec_lo, exec_lo, s0
	v_mbcnt_lo_u32_b32 v2, -1, 0
	s_mov_b32 s4, exec_lo
	s_waitcnt lgkmcnt(0)
	s_waitcnt_vscnt null, 0x0
	s_barrier
	buffer_gl0_inv
	v_lshl_or_b32 v3, v2, 2, 64
	v_cmp_gt_u32_e64 s0, 24, v2
	ds_bpermute_b32 v6, v3, v8
	ds_bpermute_b32 v9, v3, v7
	v_cndmask_b32_e64 v4, 0, 8, s0
	v_cmp_gt_u32_e64 s0, 28, v2
	v_add_lshl_u32 v4, v4, v2, 2
	s_waitcnt lgkmcnt(1)
	v_add_f32_e32 v8, v8, v6
	s_waitcnt lgkmcnt(0)
	v_add_f32_e32 v7, v7, v9
	v_cndmask_b32_e64 v6, 0, 4, s0
	v_cmp_gt_u32_e64 s0, 30, v2
	ds_bpermute_b32 v9, v4, v8
	ds_bpermute_b32 v10, v4, v7
	v_add_lshl_u32 v6, v6, v2, 2
	s_waitcnt lgkmcnt(1)
	v_add_f32_e32 v8, v8, v9
	s_waitcnt lgkmcnt(0)
	v_add_f32_e32 v9, v7, v10
	v_cndmask_b32_e64 v7, 0, 2, s0
	v_cmp_ne_u32_e64 s0, 31, v2
	ds_bpermute_b32 v10, v6, v8
	ds_bpermute_b32 v11, v6, v9
	v_add_lshl_u32 v7, v7, v2, 2
	v_add_co_ci_u32_e64 v2, null, 0, v2, s0
	s_waitcnt lgkmcnt(1)
	v_add_f32_e32 v10, v8, v10
	s_waitcnt lgkmcnt(0)
	v_add_f32_e32 v9, v9, v11
	v_lshlrev_b32_e32 v8, 2, v2
	ds_bpermute_b32 v11, v7, v10
	ds_bpermute_b32 v12, v7, v9
	s_waitcnt lgkmcnt(1)
	v_add_f32_e32 v2, v10, v11
	s_waitcnt lgkmcnt(0)
	v_add_f32_e32 v10, v9, v12
	ds_bpermute_b32 v9, v8, v2
	ds_bpermute_b32 v11, v8, v10
	v_cmpx_eq_u32_e32 0, v1
	s_cbranch_execz .LBB323_26
; %bb.25:
	v_lshrrev_b32_e32 v1, 2, v0
	s_waitcnt lgkmcnt(0)
	v_add_f32_e32 v10, v10, v11
	v_add_f32_e32 v9, v2, v9
	v_and_b32_e32 v1, 0xf8, v1
	ds_write_b64 v1, v[9:10]
.LBB323_26:
	s_or_b32 exec_lo, exec_lo, s4
	v_mov_b32_e32 v2, 0
	v_mov_b32_e32 v1, 0
	s_waitcnt lgkmcnt(0)
	s_barrier
	buffer_gl0_inv
	s_and_saveexec_b32 s0, vcc_lo
; %bb.27:
	ds_read_b64 v[1:2], v5
; %bb.28:
	s_or_b32 exec_lo, exec_lo, s0
	s_and_saveexec_b32 s0, vcc_lo
	s_cbranch_execz .LBB323_30
; %bb.29:
	s_waitcnt lgkmcnt(0)
	ds_bpermute_b32 v5, v3, v1
	ds_bpermute_b32 v3, v3, v2
	s_waitcnt lgkmcnt(1)
	v_add_f32_e32 v1, v1, v5
	s_waitcnt lgkmcnt(0)
	v_add_f32_e32 v2, v2, v3
	ds_bpermute_b32 v3, v4, v1
	ds_bpermute_b32 v4, v4, v2
	s_waitcnt lgkmcnt(1)
	v_add_f32_e32 v1, v1, v3
	s_waitcnt lgkmcnt(0)
	v_add_f32_e32 v2, v2, v4
	;; [unrolled: 6-line block ×5, first 2 shown]
.LBB323_30:
	s_or_b32 exec_lo, exec_lo, s0
	s_mov_b32 s0, exec_lo
	v_cmpx_eq_u32_e32 0, v0
	s_cbranch_execz .LBB323_34
; %bb.31:
	v_cmp_neq_f32_e64 s0, s8, 0
	v_cmp_neq_f32_e64 s4, s9, 0
	s_waitcnt lgkmcnt(0)
	v_mul_f32_e32 v0, s11, v2
	v_mul_f32_e32 v4, s10, v2
	s_mul_i32 s1, s2, s1
	s_mul_i32 s3, s3, s6
	s_or_b32 s0, s0, s4
	s_mul_hi_u32 s4, s2, s6
	v_fma_f32 v3, v1, s10, -v0
	v_fmac_f32_e32 v4, s11, v1
	s_add_i32 s1, s4, s1
	s_andn2_b32 vcc_lo, exec_lo, s0
	s_add_i32 s1, s1, s3
	s_mul_i32 s0, s2, s6
	s_cbranch_vccnz .LBB323_33
; %bb.32:
	s_lshl_b64 s[2:3], s[0:1], 3
	s_add_u32 s2, s7, s2
	s_addc_u32 s3, s20, s3
	v_mov_b32_e32 v0, s2
	v_mov_b32_e32 v1, s3
	flat_load_dwordx2 v[0:1], v[0:1]
	s_waitcnt vmcnt(0) lgkmcnt(0)
	v_mul_f32_e32 v2, s9, v1
	v_mul_f32_e32 v1, s8, v1
	v_fma_f32 v2, s8, v0, -v2
	v_fmac_f32_e32 v1, s9, v0
	v_add_f32_e32 v3, v3, v2
	v_add_f32_e32 v4, v4, v1
.LBB323_33:
	s_lshl_b64 s[0:1], s[0:1], 3
	s_add_u32 s0, s7, s0
	s_addc_u32 s1, s20, s1
	v_mov_b32_e32 v0, s0
	v_mov_b32_e32 v1, s1
	flat_store_dwordx2 v[0:1], v[3:4]
.LBB323_34:
	s_endpgm
	.section	.rodata,"a",@progbits
	.p2align	6, 0x0
	.amdhsa_kernel _ZL32rocblas_gemvt_warp_reduce_kernelILb0ELi1024ElPK19rocblas_complex_numIfES1_KPS1_EviiT3_lPKT2_lT1_lS9_lSA_lS6_lPT4_lSA_li
		.amdhsa_group_segment_fixed_size 256
		.amdhsa_private_segment_fixed_size 0
		.amdhsa_kernarg_size 140
		.amdhsa_user_sgpr_count 6
		.amdhsa_user_sgpr_private_segment_buffer 1
		.amdhsa_user_sgpr_dispatch_ptr 0
		.amdhsa_user_sgpr_queue_ptr 0
		.amdhsa_user_sgpr_kernarg_segment_ptr 1
		.amdhsa_user_sgpr_dispatch_id 0
		.amdhsa_user_sgpr_flat_scratch_init 0
		.amdhsa_user_sgpr_private_segment_size 0
		.amdhsa_wavefront_size32 1
		.amdhsa_uses_dynamic_stack 0
		.amdhsa_system_sgpr_private_segment_wavefront_offset 0
		.amdhsa_system_sgpr_workgroup_id_x 1
		.amdhsa_system_sgpr_workgroup_id_y 0
		.amdhsa_system_sgpr_workgroup_id_z 1
		.amdhsa_system_sgpr_workgroup_info 0
		.amdhsa_system_vgpr_workitem_id 0
		.amdhsa_next_free_vgpr 15
		.amdhsa_next_free_sgpr 28
		.amdhsa_reserve_vcc 1
		.amdhsa_reserve_flat_scratch 0
		.amdhsa_float_round_mode_32 0
		.amdhsa_float_round_mode_16_64 0
		.amdhsa_float_denorm_mode_32 3
		.amdhsa_float_denorm_mode_16_64 3
		.amdhsa_dx10_clamp 1
		.amdhsa_ieee_mode 1
		.amdhsa_fp16_overflow 0
		.amdhsa_workgroup_processor_mode 1
		.amdhsa_memory_ordered 1
		.amdhsa_forward_progress 1
		.amdhsa_shared_vgpr_count 0
		.amdhsa_exception_fp_ieee_invalid_op 0
		.amdhsa_exception_fp_denorm_src 0
		.amdhsa_exception_fp_ieee_div_zero 0
		.amdhsa_exception_fp_ieee_overflow 0
		.amdhsa_exception_fp_ieee_underflow 0
		.amdhsa_exception_fp_ieee_inexact 0
		.amdhsa_exception_int_div_zero 0
	.end_amdhsa_kernel
	.section	.text._ZL32rocblas_gemvt_warp_reduce_kernelILb0ELi1024ElPK19rocblas_complex_numIfES1_KPS1_EviiT3_lPKT2_lT1_lS9_lSA_lS6_lPT4_lSA_li,"axG",@progbits,_ZL32rocblas_gemvt_warp_reduce_kernelILb0ELi1024ElPK19rocblas_complex_numIfES1_KPS1_EviiT3_lPKT2_lT1_lS9_lSA_lS6_lPT4_lSA_li,comdat
.Lfunc_end323:
	.size	_ZL32rocblas_gemvt_warp_reduce_kernelILb0ELi1024ElPK19rocblas_complex_numIfES1_KPS1_EviiT3_lPKT2_lT1_lS9_lSA_lS6_lPT4_lSA_li, .Lfunc_end323-_ZL32rocblas_gemvt_warp_reduce_kernelILb0ELi1024ElPK19rocblas_complex_numIfES1_KPS1_EviiT3_lPKT2_lT1_lS9_lSA_lS6_lPT4_lSA_li
                                        ; -- End function
	.set _ZL32rocblas_gemvt_warp_reduce_kernelILb0ELi1024ElPK19rocblas_complex_numIfES1_KPS1_EviiT3_lPKT2_lT1_lS9_lSA_lS6_lPT4_lSA_li.num_vgpr, 15
	.set _ZL32rocblas_gemvt_warp_reduce_kernelILb0ELi1024ElPK19rocblas_complex_numIfES1_KPS1_EviiT3_lPKT2_lT1_lS9_lSA_lS6_lPT4_lSA_li.num_agpr, 0
	.set _ZL32rocblas_gemvt_warp_reduce_kernelILb0ELi1024ElPK19rocblas_complex_numIfES1_KPS1_EviiT3_lPKT2_lT1_lS9_lSA_lS6_lPT4_lSA_li.numbered_sgpr, 28
	.set _ZL32rocblas_gemvt_warp_reduce_kernelILb0ELi1024ElPK19rocblas_complex_numIfES1_KPS1_EviiT3_lPKT2_lT1_lS9_lSA_lS6_lPT4_lSA_li.num_named_barrier, 0
	.set _ZL32rocblas_gemvt_warp_reduce_kernelILb0ELi1024ElPK19rocblas_complex_numIfES1_KPS1_EviiT3_lPKT2_lT1_lS9_lSA_lS6_lPT4_lSA_li.private_seg_size, 0
	.set _ZL32rocblas_gemvt_warp_reduce_kernelILb0ELi1024ElPK19rocblas_complex_numIfES1_KPS1_EviiT3_lPKT2_lT1_lS9_lSA_lS6_lPT4_lSA_li.uses_vcc, 1
	.set _ZL32rocblas_gemvt_warp_reduce_kernelILb0ELi1024ElPK19rocblas_complex_numIfES1_KPS1_EviiT3_lPKT2_lT1_lS9_lSA_lS6_lPT4_lSA_li.uses_flat_scratch, 0
	.set _ZL32rocblas_gemvt_warp_reduce_kernelILb0ELi1024ElPK19rocblas_complex_numIfES1_KPS1_EviiT3_lPKT2_lT1_lS9_lSA_lS6_lPT4_lSA_li.has_dyn_sized_stack, 0
	.set _ZL32rocblas_gemvt_warp_reduce_kernelILb0ELi1024ElPK19rocblas_complex_numIfES1_KPS1_EviiT3_lPKT2_lT1_lS9_lSA_lS6_lPT4_lSA_li.has_recursion, 0
	.set _ZL32rocblas_gemvt_warp_reduce_kernelILb0ELi1024ElPK19rocblas_complex_numIfES1_KPS1_EviiT3_lPKT2_lT1_lS9_lSA_lS6_lPT4_lSA_li.has_indirect_call, 0
	.section	.AMDGPU.csdata,"",@progbits
; Kernel info:
; codeLenInByte = 1796
; TotalNumSgprs: 30
; NumVgprs: 15
; ScratchSize: 0
; MemoryBound: 0
; FloatMode: 240
; IeeeMode: 1
; LDSByteSize: 256 bytes/workgroup (compile time only)
; SGPRBlocks: 0
; VGPRBlocks: 1
; NumSGPRsForWavesPerEU: 30
; NumVGPRsForWavesPerEU: 15
; Occupancy: 16
; WaveLimiterHint : 1
; COMPUTE_PGM_RSRC2:SCRATCH_EN: 0
; COMPUTE_PGM_RSRC2:USER_SGPR: 6
; COMPUTE_PGM_RSRC2:TRAP_HANDLER: 0
; COMPUTE_PGM_RSRC2:TGID_X_EN: 1
; COMPUTE_PGM_RSRC2:TGID_Y_EN: 0
; COMPUTE_PGM_RSRC2:TGID_Z_EN: 1
; COMPUTE_PGM_RSRC2:TIDIG_COMP_CNT: 0
	.section	.text._ZL22rocblas_gemvtsm_kernelILb1ELi256EPK19rocblas_complex_numIfES3_KPS1_EviiT2_lPKT1_lilS9_lilS6_lPT3_lil,"axG",@progbits,_ZL22rocblas_gemvtsm_kernelILb1ELi256EPK19rocblas_complex_numIfES3_KPS1_EviiT2_lPKT1_lilS9_lilS6_lPT3_lil,comdat
	.globl	_ZL22rocblas_gemvtsm_kernelILb1ELi256EPK19rocblas_complex_numIfES3_KPS1_EviiT2_lPKT1_lilS9_lilS6_lPT3_lil ; -- Begin function _ZL22rocblas_gemvtsm_kernelILb1ELi256EPK19rocblas_complex_numIfES3_KPS1_EviiT2_lPKT1_lilS9_lilS6_lPT3_lil
	.p2align	8
	.type	_ZL22rocblas_gemvtsm_kernelILb1ELi256EPK19rocblas_complex_numIfES3_KPS1_EviiT2_lPKT1_lilS9_lilS6_lPT3_lil,@function
_ZL22rocblas_gemvtsm_kernelILb1ELi256EPK19rocblas_complex_numIfES3_KPS1_EviiT2_lPKT1_lilS9_lilS6_lPT3_lil: ; @_ZL22rocblas_gemvtsm_kernelILb1ELi256EPK19rocblas_complex_numIfES3_KPS1_EviiT2_lPKT1_lilS9_lilS6_lPT3_lil
; %bb.0:
	s_clause 0x1
	s_load_dwordx8 s[16:23], s[4:5], 0x8
	s_load_dwordx8 s[8:15], s[4:5], 0x58
	s_mov_b32 s7, 0
	s_waitcnt lgkmcnt(0)
	s_mul_i32 s1, s19, s6
	s_mul_hi_u32 s2, s18, s6
	s_mul_i32 s0, s18, s6
	s_add_i32 s1, s2, s1
	s_mul_hi_u32 s2, s10, s6
	s_lshl_b64 s[0:1], s[0:1], 3
	s_add_u32 s0, s16, s0
	s_addc_u32 s1, s17, s1
	s_load_dwordx2 s[16:17], s[0:1], 0x0
	s_mul_i32 s1, s11, s6
	s_mul_i32 s0, s10, s6
	s_add_i32 s1, s2, s1
	s_lshl_b64 s[0:1], s[0:1], 3
	s_add_u32 s0, s8, s0
	s_addc_u32 s1, s9, s1
	s_load_dwordx2 s[0:1], s[0:1], 0x0
	s_waitcnt lgkmcnt(0)
	v_cmp_neq_f32_e64 s2, s16, 0
	v_cmp_neq_f32_e64 s3, s17, 0
	s_or_b32 s2, s2, s3
	s_and_b32 vcc_lo, exec_lo, s2
	s_mov_b32 s2, -1
	s_cbranch_vccnz .LBB324_2
; %bb.1:
	v_cmp_neq_f32_e64 s2, s0, 1.0
	v_cmp_neq_f32_e64 s3, s1, 0
	s_or_b32 s2, s2, s3
.LBB324_2:
	s_andn2_b32 vcc_lo, exec_lo, s2
	s_cbranch_vccnz .LBB324_40
; %bb.3:
	s_or_b32 s2, s16, s17
	s_mov_b64 s[10:11], 0
	s_and_b32 s3, s2, 0x7fffffff
	s_mov_b64 s[8:9], 0
	s_cmp_lg_u32 s3, 0
	s_cselect_b32 s2, -1, 0
	s_cmp_eq_u32 s3, 0
	s_cselect_b32 s18, -1, 0
	s_and_b32 vcc_lo, exec_lo, s18
	s_cbranch_vccnz .LBB324_5
; %bb.4:
	s_lshl_b64 s[8:9], s[6:7], 3
	s_add_u32 s8, s20, s8
	s_addc_u32 s9, s21, s9
	s_lshl_b64 s[20:21], s[22:23], 3
	s_load_dwordx2 s[8:9], s[8:9], 0x0
	s_waitcnt lgkmcnt(0)
	s_add_u32 s8, s8, s20
	s_addc_u32 s9, s9, s21
.LBB324_5:
	s_andn2_b32 vcc_lo, exec_lo, s2
	s_cbranch_vccnz .LBB324_7
; %bb.6:
	s_load_dwordx4 s[20:23], s[4:5], 0x38
	s_lshl_b64 s[2:3], s[6:7], 3
	s_waitcnt lgkmcnt(0)
	s_add_u32 s2, s20, s2
	s_addc_u32 s3, s21, s3
	s_lshl_b64 s[10:11], s[22:23], 3
	s_load_dwordx2 s[2:3], s[2:3], 0x0
	s_waitcnt lgkmcnt(0)
	s_add_u32 s10, s2, s10
	s_addc_u32 s11, s3, s11
.LBB324_7:
	s_lshl_b64 s[2:3], s[6:7], 3
	s_mov_b32 s7, -1
	s_add_u32 s12, s12, s2
	s_addc_u32 s13, s13, s3
	s_clause 0x1
	s_load_dwordx2 s[2:3], s[4:5], 0x0
	s_load_dword s6, s[4:5], 0x78
	s_load_dwordx2 s[12:13], s[12:13], 0x0
	s_andn2_b32 vcc_lo, exec_lo, s18
	s_cbranch_vccnz .LBB324_22
; %bb.8:
	v_cmp_neq_f32_e64 s7, s0, 0
	v_cmp_neq_f32_e64 s18, s1, 0
	s_or_b32 s7, s7, s18
	s_waitcnt lgkmcnt(0)
	s_cmp_gt_i32 s3, 0
	s_cselect_b32 s20, -1, 0
	s_and_b32 vcc_lo, exec_lo, s7
	s_mov_b32 s7, -1
	s_cbranch_vccnz .LBB324_15
; %bb.9:
	s_andn2_b32 vcc_lo, exec_lo, s20
	s_cbranch_vccnz .LBB324_14
; %bb.10:
	v_mad_i64_i32 v[1:2], null, s6, v0, 0
	s_lshl_b64 s[18:19], s[14:15], 3
	s_ashr_i32 s7, s6, 31
	s_add_u32 s18, s12, s18
	s_addc_u32 s19, s13, s19
	v_mov_b32_e32 v3, 0
	v_lshlrev_b64 v[1:2], 3, v[1:2]
	v_add_co_u32 v1, vcc_lo, s18, v1
	v_add_co_ci_u32_e64 v2, null, s19, v2, vcc_lo
	s_lshl_b64 s[18:19], s[6:7], 11
	s_mov_b32 s7, 0
	s_branch .LBB324_12
	.p2align	6
.LBB324_11:                             ;   in Loop: Header=BB324_12 Depth=1
	s_or_b32 exec_lo, exec_lo, s21
	v_add_co_u32 v1, vcc_lo, v1, s18
	v_add_co_ci_u32_e64 v2, null, s19, v2, vcc_lo
	s_addk_i32 s7, 0x100
	s_cmp_ge_i32 s7, s3
	s_cbranch_scc1 .LBB324_14
.LBB324_12:                             ; =>This Inner Loop Header: Depth=1
	v_add_nc_u32_e32 v4, s7, v0
	s_mov_b32 s21, exec_lo
	v_cmpx_gt_i32_e64 s3, v4
	s_cbranch_execz .LBB324_11
; %bb.13:                               ;   in Loop: Header=BB324_12 Depth=1
	v_mov_b32_e32 v4, v3
	flat_store_dwordx2 v[1:2], v[3:4]
	s_branch .LBB324_11
.LBB324_14:
	s_mov_b32 s7, 0
.LBB324_15:
	s_andn2_b32 vcc_lo, exec_lo, s7
	s_cbranch_vccnz .LBB324_21
; %bb.16:
	s_andn2_b32 vcc_lo, exec_lo, s20
	s_cbranch_vccnz .LBB324_21
; %bb.17:
	v_mad_i64_i32 v[1:2], null, s6, v0, 0
	s_lshl_b64 s[18:19], s[14:15], 3
	s_ashr_i32 s7, s6, 31
	s_add_u32 s18, s12, s18
	s_addc_u32 s19, s13, s19
	v_lshlrev_b64 v[1:2], 3, v[1:2]
	v_add_co_u32 v1, vcc_lo, s18, v1
	v_add_co_ci_u32_e64 v2, null, s19, v2, vcc_lo
	s_lshl_b64 s[18:19], s[6:7], 11
	s_mov_b32 s7, 0
	s_branch .LBB324_19
	.p2align	6
.LBB324_18:                             ;   in Loop: Header=BB324_19 Depth=1
	s_or_b32 exec_lo, exec_lo, s20
	v_add_co_u32 v1, vcc_lo, v1, s18
	v_add_co_ci_u32_e64 v2, null, s19, v2, vcc_lo
	s_addk_i32 s7, 0x100
	s_cmp_ge_i32 s7, s3
	s_cbranch_scc1 .LBB324_21
.LBB324_19:                             ; =>This Inner Loop Header: Depth=1
	v_add_nc_u32_e32 v3, s7, v0
	s_mov_b32 s20, exec_lo
	v_cmpx_gt_i32_e64 s3, v3
	s_cbranch_execz .LBB324_18
; %bb.20:                               ;   in Loop: Header=BB324_19 Depth=1
	flat_load_dwordx2 v[3:4], v[1:2]
	s_waitcnt vmcnt(0) lgkmcnt(0)
	v_mul_f32_e32 v6, s1, v4
	v_mul_f32_e32 v5, s0, v4
	v_fma_f32 v4, s0, v3, -v6
	v_fmac_f32_e32 v5, s1, v3
	flat_store_dwordx2 v[1:2], v[4:5]
	s_branch .LBB324_18
.LBB324_21:
	s_mov_b32 s7, 0
.LBB324_22:
	s_andn2_b32 vcc_lo, exec_lo, s7
	s_cbranch_vccnz .LBB324_40
; %bb.23:
	s_mov_b32 s7, exec_lo
	s_waitcnt lgkmcnt(0)
	v_cmpx_gt_i32_e64 s2, v0
	s_cbranch_execz .LBB324_25
; %bb.24:
	s_load_dword s18, s[4:5], 0x48
	s_waitcnt lgkmcnt(0)
	v_mad_i64_i32 v[1:2], null, s18, v0, 0
	v_lshlrev_b64 v[1:2], 3, v[1:2]
	v_add_co_u32 v1, vcc_lo, s10, v1
	v_add_co_ci_u32_e64 v2, null, s11, v2, vcc_lo
	flat_load_dwordx2 v[1:2], v[1:2]
	s_waitcnt vmcnt(0) lgkmcnt(0)
	v_mul_f32_e32 v4, s17, v2
	v_mul_f32_e32 v3, s16, v2
	v_fma_f32 v2, v1, s16, -v4
	v_fmac_f32_e32 v3, s17, v1
	v_lshlrev_b32_e32 v1, 3, v0
	ds_write_b64 v1, v[2:3]
.LBB324_25:
	s_or_b32 exec_lo, exec_lo, s7
	s_cmp_lt_i32 s3, 1
	s_waitcnt lgkmcnt(0)
	s_waitcnt_vscnt null, 0x0
	s_barrier
	buffer_gl0_inv
	s_cbranch_scc1 .LBB324_40
; %bb.26:
	s_load_dword s10, s[4:5], 0x28
	v_cmp_neq_f32_e64 s4, s0, 0
	v_cmp_neq_f32_e64 s11, s1, 0
	s_lshl_b64 s[14:15], s[14:15], 3
	s_mov_b32 s5, 0
	s_add_u32 s7, s12, s14
	s_addc_u32 s12, s13, s15
	s_ashr_i32 s13, s6, 31
	s_or_b32 s14, s4, s11
	s_mov_b32 s19, 0
	s_waitcnt lgkmcnt(0)
	v_mad_i64_i32 v[1:2], null, s10, v0, 0
	s_ashr_i32 s11, s10, 31
	s_cmp_gt_i32 s2, 0
	s_cselect_b32 s15, -1, 0
	s_and_b32 s16, s2, 7
	s_cmp_gt_u32 s2, 7
	v_lshlrev_b64 v[1:2], 3, v[1:2]
	s_cselect_b32 s17, -1, 0
	s_and_b32 s2, s2, 0x7ffffff8
	s_cmp_lg_u32 s16, 0
	s_cselect_b32 s18, -1, 0
	v_add_co_u32 v1, vcc_lo, s8, v1
	v_add_co_ci_u32_e64 v2, null, s9, v2, vcc_lo
	s_lshl_b64 s[8:9], s[10:11], 11
	s_branch .LBB324_29
.LBB324_27:                             ;   in Loop: Header=BB324_29 Depth=1
	v_add_co_u32 v3, vcc_lo, s7, v3
	v_add_co_ci_u32_e64 v4, null, s12, v4, vcc_lo
	flat_store_dwordx2 v[3:4], v[5:6]
.LBB324_28:                             ;   in Loop: Header=BB324_29 Depth=1
	s_or_b32 exec_lo, exec_lo, s20
	v_add_co_u32 v1, vcc_lo, v1, s8
	v_add_co_ci_u32_e64 v2, null, s9, v2, vcc_lo
	s_addk_i32 s19, 0x100
	s_cmp_ge_i32 s19, s3
	s_cbranch_scc1 .LBB324_40
.LBB324_29:                             ; =>This Loop Header: Depth=1
                                        ;     Child Loop BB324_35 Depth 2
                                        ;     Child Loop BB324_39 Depth 2
	v_add_nc_u32_e32 v3, s19, v0
	s_mov_b32 s20, exec_lo
	v_cmpx_gt_i32_e64 s3, v3
	s_cbranch_execz .LBB324_28
; %bb.30:                               ;   in Loop: Header=BB324_29 Depth=1
	v_mad_u64_u32 v[6:7], null, v3, s6, 0
	s_andn2_b32 vcc_lo, exec_lo, s14
	v_mov_b32_e32 v4, v7
	v_mad_u64_u32 v[3:4], null, v3, s13, v[4:5]
	v_mov_b32_e32 v5, 0
	v_mov_b32_e32 v7, v3
	v_lshlrev_b64 v[3:4], 3, v[6:7]
	v_mov_b32_e32 v6, 0
	s_cbranch_vccnz .LBB324_32
; %bb.31:                               ;   in Loop: Header=BB324_29 Depth=1
	v_add_co_u32 v5, vcc_lo, s7, v3
	v_add_co_ci_u32_e64 v6, null, s12, v4, vcc_lo
	flat_load_dwordx2 v[7:8], v[5:6]
	s_waitcnt vmcnt(0) lgkmcnt(0)
	v_mul_f32_e32 v5, s1, v8
	v_mul_f32_e32 v6, s0, v8
	v_fma_f32 v5, s0, v7, -v5
	v_fmac_f32_e32 v6, s1, v7
.LBB324_32:                             ;   in Loop: Header=BB324_29 Depth=1
	s_andn2_b32 vcc_lo, exec_lo, s15
	s_cbranch_vccnz .LBB324_27
; %bb.33:                               ;   in Loop: Header=BB324_29 Depth=1
	s_andn2_b32 vcc_lo, exec_lo, s17
	s_mov_b32 s4, 0
	s_cbranch_vccnz .LBB324_37
; %bb.34:                               ;   in Loop: Header=BB324_29 Depth=1
	v_mov_b32_e32 v8, v2
	v_mov_b32_e32 v7, v1
	s_mov_b32 s10, 0
.LBB324_35:                             ;   Parent Loop BB324_29 Depth=1
                                        ; =>  This Inner Loop Header: Depth=2
	s_clause 0x3
	flat_load_dwordx4 v[9:12], v[7:8]
	flat_load_dwordx4 v[13:16], v[7:8] offset:16
	flat_load_dwordx4 v[17:20], v[7:8] offset:32
	;; [unrolled: 1-line block ×3, first 2 shown]
	v_mov_b32_e32 v37, s4
	v_add_co_u32 v7, vcc_lo, v7, 64
	v_add_co_ci_u32_e64 v8, null, 0, v8, vcc_lo
	ds_read_b128 v[25:28], v37
	ds_read_b128 v[29:32], v37 offset:16
	ds_read_b128 v[33:36], v37 offset:32
	;; [unrolled: 1-line block ×3, first 2 shown]
	s_add_i32 s10, s10, 8
	s_add_i32 s4, s4, 64
	s_cmp_eq_u32 s2, s10
	s_waitcnt vmcnt(3) lgkmcnt(3)
	v_mul_f32_e32 v41, v10, v26
	v_mul_f32_e32 v10, v10, v25
	;; [unrolled: 1-line block ×4, first 2 shown]
	s_waitcnt vmcnt(2) lgkmcnt(2)
	v_mul_f32_e32 v43, v14, v30
	v_fmac_f32_e32 v41, v9, v25
	v_fma_f32 v9, v9, v26, -v10
	v_mul_f32_e32 v14, v14, v29
	v_fmac_f32_e32 v42, v11, v27
	v_fma_f32 v10, v11, v28, -v12
	v_add_f32_e32 v5, v5, v41
	v_add_f32_e32 v6, v6, v9
	v_mul_f32_e32 v44, v16, v32
	v_mul_f32_e32 v16, v16, v31
	v_fmac_f32_e32 v43, v13, v29
	v_fma_f32 v9, v13, v30, -v14
	v_add_f32_e32 v5, v5, v42
	v_add_f32_e32 v6, v6, v10
	s_waitcnt vmcnt(1) lgkmcnt(1)
	v_mul_f32_e32 v45, v18, v34
	v_mul_f32_e32 v18, v18, v33
	v_fmac_f32_e32 v44, v15, v31
	v_fma_f32 v10, v15, v32, -v16
	v_add_f32_e32 v5, v5, v43
	v_add_f32_e32 v6, v6, v9
	v_mul_f32_e32 v46, v20, v36
	v_mul_f32_e32 v20, v20, v35
	v_fmac_f32_e32 v45, v17, v33
	v_fma_f32 v9, v17, v34, -v18
	v_add_f32_e32 v5, v5, v44
	v_add_f32_e32 v6, v6, v10
	s_waitcnt vmcnt(0) lgkmcnt(0)
	v_mul_f32_e32 v47, v22, v38
	v_mul_f32_e32 v22, v22, v37
	v_fmac_f32_e32 v46, v19, v35
	v_fma_f32 v10, v19, v36, -v20
	v_add_f32_e32 v5, v5, v45
	v_add_f32_e32 v6, v6, v9
	v_mul_f32_e32 v48, v24, v40
	v_mul_f32_e32 v24, v24, v39
	v_fmac_f32_e32 v47, v21, v37
	v_fma_f32 v9, v21, v38, -v22
	v_add_f32_e32 v5, v5, v46
	v_add_f32_e32 v6, v6, v10
	v_fmac_f32_e32 v48, v23, v39
	v_fma_f32 v10, v23, v40, -v24
	v_add_f32_e32 v5, v5, v47
	v_add_f32_e32 v6, v6, v9
	;; [unrolled: 1-line block ×4, first 2 shown]
	s_cbranch_scc0 .LBB324_35
; %bb.36:                               ;   in Loop: Header=BB324_29 Depth=1
	s_mov_b32 s4, s2
.LBB324_37:                             ;   in Loop: Header=BB324_29 Depth=1
	s_andn2_b32 vcc_lo, exec_lo, s18
	s_cbranch_vccnz .LBB324_27
; %bb.38:                               ;   in Loop: Header=BB324_29 Depth=1
	s_lshl_b32 s21, s4, 3
	s_lshl_b64 s[10:11], s[4:5], 3
	s_mov_b32 s4, s16
	.p2align	6
.LBB324_39:                             ;   Parent Loop BB324_29 Depth=1
                                        ; =>  This Inner Loop Header: Depth=2
	v_add_co_u32 v7, vcc_lo, v1, s10
	v_add_co_ci_u32_e64 v8, null, s11, v2, vcc_lo
	v_mov_b32_e32 v9, s21
	s_add_i32 s21, s21, 8
	s_add_u32 s10, s10, 8
	flat_load_dwordx2 v[7:8], v[7:8]
	s_addc_u32 s11, s11, 0
	ds_read_b64 v[9:10], v9
	s_add_i32 s4, s4, -1
	s_cmp_lg_u32 s4, 0
	s_waitcnt vmcnt(0) lgkmcnt(0)
	v_mul_f32_e32 v11, v8, v10
	v_mul_f32_e32 v8, v8, v9
	v_fmac_f32_e32 v11, v7, v9
	v_fma_f32 v7, v7, v10, -v8
	v_add_f32_e32 v5, v5, v11
	v_add_f32_e32 v6, v6, v7
	s_cbranch_scc1 .LBB324_39
	s_branch .LBB324_27
.LBB324_40:
	s_endpgm
	.section	.rodata,"a",@progbits
	.p2align	6, 0x0
	.amdhsa_kernel _ZL22rocblas_gemvtsm_kernelILb1ELi256EPK19rocblas_complex_numIfES3_KPS1_EviiT2_lPKT1_lilS9_lilS6_lPT3_lil
		.amdhsa_group_segment_fixed_size 512
		.amdhsa_private_segment_fixed_size 0
		.amdhsa_kernarg_size 136
		.amdhsa_user_sgpr_count 6
		.amdhsa_user_sgpr_private_segment_buffer 1
		.amdhsa_user_sgpr_dispatch_ptr 0
		.amdhsa_user_sgpr_queue_ptr 0
		.amdhsa_user_sgpr_kernarg_segment_ptr 1
		.amdhsa_user_sgpr_dispatch_id 0
		.amdhsa_user_sgpr_flat_scratch_init 0
		.amdhsa_user_sgpr_private_segment_size 0
		.amdhsa_wavefront_size32 1
		.amdhsa_uses_dynamic_stack 0
		.amdhsa_system_sgpr_private_segment_wavefront_offset 0
		.amdhsa_system_sgpr_workgroup_id_x 1
		.amdhsa_system_sgpr_workgroup_id_y 0
		.amdhsa_system_sgpr_workgroup_id_z 0
		.amdhsa_system_sgpr_workgroup_info 0
		.amdhsa_system_vgpr_workitem_id 0
		.amdhsa_next_free_vgpr 49
		.amdhsa_next_free_sgpr 24
		.amdhsa_reserve_vcc 1
		.amdhsa_reserve_flat_scratch 1
		.amdhsa_float_round_mode_32 0
		.amdhsa_float_round_mode_16_64 0
		.amdhsa_float_denorm_mode_32 3
		.amdhsa_float_denorm_mode_16_64 3
		.amdhsa_dx10_clamp 1
		.amdhsa_ieee_mode 1
		.amdhsa_fp16_overflow 0
		.amdhsa_workgroup_processor_mode 1
		.amdhsa_memory_ordered 1
		.amdhsa_forward_progress 1
		.amdhsa_shared_vgpr_count 0
		.amdhsa_exception_fp_ieee_invalid_op 0
		.amdhsa_exception_fp_denorm_src 0
		.amdhsa_exception_fp_ieee_div_zero 0
		.amdhsa_exception_fp_ieee_overflow 0
		.amdhsa_exception_fp_ieee_underflow 0
		.amdhsa_exception_fp_ieee_inexact 0
		.amdhsa_exception_int_div_zero 0
	.end_amdhsa_kernel
	.section	.text._ZL22rocblas_gemvtsm_kernelILb1ELi256EPK19rocblas_complex_numIfES3_KPS1_EviiT2_lPKT1_lilS9_lilS6_lPT3_lil,"axG",@progbits,_ZL22rocblas_gemvtsm_kernelILb1ELi256EPK19rocblas_complex_numIfES3_KPS1_EviiT2_lPKT1_lilS9_lilS6_lPT3_lil,comdat
.Lfunc_end324:
	.size	_ZL22rocblas_gemvtsm_kernelILb1ELi256EPK19rocblas_complex_numIfES3_KPS1_EviiT2_lPKT1_lilS9_lilS6_lPT3_lil, .Lfunc_end324-_ZL22rocblas_gemvtsm_kernelILb1ELi256EPK19rocblas_complex_numIfES3_KPS1_EviiT2_lPKT1_lilS9_lilS6_lPT3_lil
                                        ; -- End function
	.set _ZL22rocblas_gemvtsm_kernelILb1ELi256EPK19rocblas_complex_numIfES3_KPS1_EviiT2_lPKT1_lilS9_lilS6_lPT3_lil.num_vgpr, 49
	.set _ZL22rocblas_gemvtsm_kernelILb1ELi256EPK19rocblas_complex_numIfES3_KPS1_EviiT2_lPKT1_lilS9_lilS6_lPT3_lil.num_agpr, 0
	.set _ZL22rocblas_gemvtsm_kernelILb1ELi256EPK19rocblas_complex_numIfES3_KPS1_EviiT2_lPKT1_lilS9_lilS6_lPT3_lil.numbered_sgpr, 24
	.set _ZL22rocblas_gemvtsm_kernelILb1ELi256EPK19rocblas_complex_numIfES3_KPS1_EviiT2_lPKT1_lilS9_lilS6_lPT3_lil.num_named_barrier, 0
	.set _ZL22rocblas_gemvtsm_kernelILb1ELi256EPK19rocblas_complex_numIfES3_KPS1_EviiT2_lPKT1_lilS9_lilS6_lPT3_lil.private_seg_size, 0
	.set _ZL22rocblas_gemvtsm_kernelILb1ELi256EPK19rocblas_complex_numIfES3_KPS1_EviiT2_lPKT1_lilS9_lilS6_lPT3_lil.uses_vcc, 1
	.set _ZL22rocblas_gemvtsm_kernelILb1ELi256EPK19rocblas_complex_numIfES3_KPS1_EviiT2_lPKT1_lilS9_lilS6_lPT3_lil.uses_flat_scratch, 1
	.set _ZL22rocblas_gemvtsm_kernelILb1ELi256EPK19rocblas_complex_numIfES3_KPS1_EviiT2_lPKT1_lilS9_lilS6_lPT3_lil.has_dyn_sized_stack, 0
	.set _ZL22rocblas_gemvtsm_kernelILb1ELi256EPK19rocblas_complex_numIfES3_KPS1_EviiT2_lPKT1_lilS9_lilS6_lPT3_lil.has_recursion, 0
	.set _ZL22rocblas_gemvtsm_kernelILb1ELi256EPK19rocblas_complex_numIfES3_KPS1_EviiT2_lPKT1_lilS9_lilS6_lPT3_lil.has_indirect_call, 0
	.section	.AMDGPU.csdata,"",@progbits
; Kernel info:
; codeLenInByte = 1764
; TotalNumSgprs: 26
; NumVgprs: 49
; ScratchSize: 0
; MemoryBound: 0
; FloatMode: 240
; IeeeMode: 1
; LDSByteSize: 512 bytes/workgroup (compile time only)
; SGPRBlocks: 0
; VGPRBlocks: 6
; NumSGPRsForWavesPerEU: 26
; NumVGPRsForWavesPerEU: 49
; Occupancy: 16
; WaveLimiterHint : 1
; COMPUTE_PGM_RSRC2:SCRATCH_EN: 0
; COMPUTE_PGM_RSRC2:USER_SGPR: 6
; COMPUTE_PGM_RSRC2:TRAP_HANDLER: 0
; COMPUTE_PGM_RSRC2:TGID_X_EN: 1
; COMPUTE_PGM_RSRC2:TGID_Y_EN: 0
; COMPUTE_PGM_RSRC2:TGID_Z_EN: 0
; COMPUTE_PGM_RSRC2:TIDIG_COMP_CNT: 0
	.section	.text._ZL22rocblas_gemvtsm_kernelILb1ELi256EPK19rocblas_complex_numIfES1_KPS1_EviiT2_lPKT1_lilS9_lilS6_lPT3_lil,"axG",@progbits,_ZL22rocblas_gemvtsm_kernelILb1ELi256EPK19rocblas_complex_numIfES1_KPS1_EviiT2_lPKT1_lilS9_lilS6_lPT3_lil,comdat
	.globl	_ZL22rocblas_gemvtsm_kernelILb1ELi256EPK19rocblas_complex_numIfES1_KPS1_EviiT2_lPKT1_lilS9_lilS6_lPT3_lil ; -- Begin function _ZL22rocblas_gemvtsm_kernelILb1ELi256EPK19rocblas_complex_numIfES1_KPS1_EviiT2_lPKT1_lilS9_lilS6_lPT3_lil
	.p2align	8
	.type	_ZL22rocblas_gemvtsm_kernelILb1ELi256EPK19rocblas_complex_numIfES1_KPS1_EviiT2_lPKT1_lilS9_lilS6_lPT3_lil,@function
_ZL22rocblas_gemvtsm_kernelILb1ELi256EPK19rocblas_complex_numIfES1_KPS1_EviiT2_lPKT1_lilS9_lilS6_lPT3_lil: ; @_ZL22rocblas_gemvtsm_kernelILb1ELi256EPK19rocblas_complex_numIfES1_KPS1_EviiT2_lPKT1_lilS9_lilS6_lPT3_lil
; %bb.0:
	s_clause 0x1
	s_load_dwordx4 s[0:3], s[4:5], 0x0
	s_load_dwordx2 s[12:13], s[4:5], 0x58
	s_waitcnt lgkmcnt(0)
	v_cmp_neq_f32_e64 s7, s2, 0
	v_cmp_neq_f32_e64 s8, s3, 0
	s_or_b32 s7, s7, s8
	s_and_b32 vcc_lo, exec_lo, s7
	s_mov_b32 s7, -1
	s_cbranch_vccnz .LBB325_2
; %bb.1:
	v_cmp_neq_f32_e64 s7, s12, 1.0
	v_cmp_neq_f32_e64 s8, s13, 0
	s_or_b32 s7, s7, s8
.LBB325_2:
	s_andn2_b32 vcc_lo, exec_lo, s7
	s_cbranch_vccnz .LBB325_42
; %bb.3:
	s_or_b32 s7, s2, s3
	s_bitset0_b32 s7, 31
	s_cmp_lg_u32 s7, 0
	s_cselect_b32 s8, -1, 0
	s_cmp_eq_u32 s7, 0
	s_mov_b32 s7, 0
	s_cselect_b32 s18, -1, 0
	s_and_b32 vcc_lo, exec_lo, s8
	s_cbranch_vccnz .LBB325_5
; %bb.4:
	s_mov_b32 s9, s7
	s_mov_b64 s[16:17], 0
	s_andn2_b32 vcc_lo, exec_lo, s9
	s_mov_b64 s[14:15], 0
	s_cbranch_vccz .LBB325_6
	s_branch .LBB325_7
.LBB325_5:
	s_mov_b64 s[16:17], 0
	s_mov_b64 s[14:15], 0
.LBB325_6:
	s_load_dwordx4 s[20:23], s[4:5], 0x18
	s_lshl_b64 s[10:11], s[6:7], 3
	s_waitcnt lgkmcnt(0)
	s_add_u32 s10, s20, s10
	s_addc_u32 s11, s21, s11
	s_lshl_b64 s[14:15], s[22:23], 3
	s_load_dwordx2 s[10:11], s[10:11], 0x0
	s_waitcnt lgkmcnt(0)
	s_add_u32 s14, s10, s14
	s_addc_u32 s15, s11, s15
.LBB325_7:
	s_andn2_b32 vcc_lo, exec_lo, s8
	s_cbranch_vccnz .LBB325_9
; %bb.8:
	s_load_dwordx4 s[8:11], s[4:5], 0x38
	s_lshl_b64 s[16:17], s[6:7], 3
	s_waitcnt lgkmcnt(0)
	s_add_u32 s8, s8, s16
	s_addc_u32 s9, s9, s17
	s_lshl_b64 s[10:11], s[10:11], 3
	s_load_dwordx2 s[8:9], s[8:9], 0x0
	s_waitcnt lgkmcnt(0)
	s_add_u32 s16, s8, s10
	s_addc_u32 s17, s9, s11
.LBB325_9:
	s_load_dwordx4 s[8:11], s[4:5], 0x68
	s_lshl_b64 s[20:21], s[6:7], 3
	s_load_dword s6, s[4:5], 0x78
	s_mov_b32 s7, -1
	s_waitcnt lgkmcnt(0)
	s_add_u32 s8, s8, s20
	s_addc_u32 s9, s9, s21
	s_andn2_b32 vcc_lo, exec_lo, s18
	s_load_dwordx2 s[8:9], s[8:9], 0x0
	s_cbranch_vccnz .LBB325_24
; %bb.10:
	v_cmp_neq_f32_e64 s7, s12, 0
	v_cmp_neq_f32_e64 s18, s13, 0
	s_or_b32 s7, s7, s18
	s_cmp_gt_i32 s1, 0
	s_cselect_b32 s20, -1, 0
	s_and_b32 vcc_lo, exec_lo, s7
	s_mov_b32 s7, -1
	s_cbranch_vccnz .LBB325_17
; %bb.11:
	s_andn2_b32 vcc_lo, exec_lo, s20
	s_cbranch_vccnz .LBB325_16
; %bb.12:
	v_mad_i64_i32 v[1:2], null, s6, v0, 0
	s_lshl_b64 s[18:19], s[10:11], 3
	s_ashr_i32 s7, s6, 31
	s_waitcnt lgkmcnt(0)
	s_add_u32 s18, s8, s18
	s_addc_u32 s19, s9, s19
	v_mov_b32_e32 v3, 0
	v_lshlrev_b64 v[1:2], 3, v[1:2]
	v_add_co_u32 v1, vcc_lo, s18, v1
	v_add_co_ci_u32_e64 v2, null, s19, v2, vcc_lo
	s_lshl_b64 s[18:19], s[6:7], 11
	s_mov_b32 s7, 0
	s_branch .LBB325_14
	.p2align	6
.LBB325_13:                             ;   in Loop: Header=BB325_14 Depth=1
	s_or_b32 exec_lo, exec_lo, s21
	v_add_co_u32 v1, vcc_lo, v1, s18
	v_add_co_ci_u32_e64 v2, null, s19, v2, vcc_lo
	s_addk_i32 s7, 0x100
	s_cmp_ge_i32 s7, s1
	s_cbranch_scc1 .LBB325_16
.LBB325_14:                             ; =>This Inner Loop Header: Depth=1
	v_add_nc_u32_e32 v4, s7, v0
	s_mov_b32 s21, exec_lo
	v_cmpx_gt_i32_e64 s1, v4
	s_cbranch_execz .LBB325_13
; %bb.15:                               ;   in Loop: Header=BB325_14 Depth=1
	v_mov_b32_e32 v4, v3
	flat_store_dwordx2 v[1:2], v[3:4]
	s_branch .LBB325_13
.LBB325_16:
	s_mov_b32 s7, 0
.LBB325_17:
	s_andn2_b32 vcc_lo, exec_lo, s7
	s_cbranch_vccnz .LBB325_23
; %bb.18:
	s_andn2_b32 vcc_lo, exec_lo, s20
	s_cbranch_vccnz .LBB325_23
; %bb.19:
	v_mad_i64_i32 v[1:2], null, s6, v0, 0
	s_lshl_b64 s[18:19], s[10:11], 3
	s_ashr_i32 s7, s6, 31
	s_waitcnt lgkmcnt(0)
	s_add_u32 s18, s8, s18
	s_addc_u32 s19, s9, s19
	v_lshlrev_b64 v[1:2], 3, v[1:2]
	v_add_co_u32 v1, vcc_lo, s18, v1
	v_add_co_ci_u32_e64 v2, null, s19, v2, vcc_lo
	s_lshl_b64 s[18:19], s[6:7], 11
	s_mov_b32 s7, 0
	s_branch .LBB325_21
	.p2align	6
.LBB325_20:                             ;   in Loop: Header=BB325_21 Depth=1
	s_or_b32 exec_lo, exec_lo, s20
	v_add_co_u32 v1, vcc_lo, v1, s18
	v_add_co_ci_u32_e64 v2, null, s19, v2, vcc_lo
	s_addk_i32 s7, 0x100
	s_cmp_ge_i32 s7, s1
	s_cbranch_scc1 .LBB325_23
.LBB325_21:                             ; =>This Inner Loop Header: Depth=1
	v_add_nc_u32_e32 v3, s7, v0
	s_mov_b32 s20, exec_lo
	v_cmpx_gt_i32_e64 s1, v3
	s_cbranch_execz .LBB325_20
; %bb.22:                               ;   in Loop: Header=BB325_21 Depth=1
	flat_load_dwordx2 v[3:4], v[1:2]
	s_waitcnt vmcnt(0) lgkmcnt(0)
	v_mul_f32_e32 v6, s13, v4
	v_mul_f32_e32 v5, s12, v4
	v_fma_f32 v4, s12, v3, -v6
	v_fmac_f32_e32 v5, s13, v3
	flat_store_dwordx2 v[1:2], v[4:5]
	s_branch .LBB325_20
.LBB325_23:
	s_mov_b32 s7, 0
.LBB325_24:
	s_andn2_b32 vcc_lo, exec_lo, s7
	s_cbranch_vccnz .LBB325_42
; %bb.25:
	s_mov_b32 s7, exec_lo
	v_cmpx_gt_i32_e64 s0, v0
	s_cbranch_execz .LBB325_27
; %bb.26:
	s_load_dword s18, s[4:5], 0x48
	s_waitcnt lgkmcnt(0)
	v_mad_i64_i32 v[1:2], null, s18, v0, 0
	v_lshlrev_b64 v[1:2], 3, v[1:2]
	v_add_co_u32 v1, vcc_lo, s16, v1
	v_add_co_ci_u32_e64 v2, null, s17, v2, vcc_lo
	flat_load_dwordx2 v[1:2], v[1:2]
	s_waitcnt vmcnt(0) lgkmcnt(0)
	v_mul_f32_e32 v4, s3, v2
	v_mul_f32_e32 v3, s2, v2
	v_fma_f32 v2, v1, s2, -v4
	v_fmac_f32_e32 v3, s3, v1
	v_lshlrev_b32_e32 v1, 3, v0
	ds_write_b64 v1, v[2:3]
.LBB325_27:
	s_or_b32 exec_lo, exec_lo, s7
	s_cmp_lt_i32 s1, 1
	s_waitcnt lgkmcnt(0)
	s_waitcnt_vscnt null, 0x0
	s_barrier
	buffer_gl0_inv
	s_cbranch_scc1 .LBB325_42
; %bb.28:
	s_load_dword s4, s[4:5], 0x28
	v_cmp_neq_f32_e64 s2, s12, 0
	v_cmp_neq_f32_e64 s5, s13, 0
	s_lshl_b64 s[10:11], s[10:11], 3
	s_mov_b32 s3, 0
	s_add_u32 s7, s8, s10
	s_addc_u32 s10, s9, s11
	s_ashr_i32 s11, s6, 31
	s_or_b32 s16, s2, s5
	s_waitcnt lgkmcnt(0)
	v_mad_i64_i32 v[1:2], null, s4, v0, 0
	s_ashr_i32 s5, s4, 31
	s_cmp_gt_i32 s0, 0
	s_cselect_b32 s17, -1, 0
	s_and_b32 s18, s0, 7
	s_cmp_gt_u32 s0, 7
	v_lshlrev_b64 v[1:2], 3, v[1:2]
	s_cselect_b32 s19, -1, 0
	s_and_b32 s0, s0, 0x7ffffff8
	s_cmp_lg_u32 s18, 0
	v_add_co_u32 v1, vcc_lo, s14, v1
	v_add_co_ci_u32_e64 v2, null, s15, v2, vcc_lo
	s_cselect_b32 s14, -1, 0
	s_lshl_b64 s[4:5], s[4:5], 11
	s_mov_b32 s15, 0
	s_branch .LBB325_31
.LBB325_29:                             ;   in Loop: Header=BB325_31 Depth=1
	v_add_co_u32 v3, vcc_lo, s7, v3
	v_add_co_ci_u32_e64 v4, null, s10, v4, vcc_lo
	flat_store_dwordx2 v[3:4], v[5:6]
.LBB325_30:                             ;   in Loop: Header=BB325_31 Depth=1
	s_or_b32 exec_lo, exec_lo, s20
	v_add_co_u32 v1, vcc_lo, v1, s4
	v_add_co_ci_u32_e64 v2, null, s5, v2, vcc_lo
	s_addk_i32 s15, 0x100
	s_cmp_ge_i32 s15, s1
	s_cbranch_scc1 .LBB325_42
.LBB325_31:                             ; =>This Loop Header: Depth=1
                                        ;     Child Loop BB325_37 Depth 2
                                        ;     Child Loop BB325_41 Depth 2
	v_add_nc_u32_e32 v3, s15, v0
	s_mov_b32 s20, exec_lo
	v_cmpx_gt_i32_e64 s1, v3
	s_cbranch_execz .LBB325_30
; %bb.32:                               ;   in Loop: Header=BB325_31 Depth=1
	v_mad_u64_u32 v[6:7], null, v3, s6, 0
	s_andn2_b32 vcc_lo, exec_lo, s16
	v_mov_b32_e32 v4, v7
	v_mad_u64_u32 v[3:4], null, v3, s11, v[4:5]
	v_mov_b32_e32 v5, 0
	v_mov_b32_e32 v7, v3
	v_lshlrev_b64 v[3:4], 3, v[6:7]
	v_mov_b32_e32 v6, 0
	s_cbranch_vccnz .LBB325_34
; %bb.33:                               ;   in Loop: Header=BB325_31 Depth=1
	v_add_co_u32 v5, vcc_lo, s7, v3
	v_add_co_ci_u32_e64 v6, null, s10, v4, vcc_lo
	flat_load_dwordx2 v[7:8], v[5:6]
	s_waitcnt vmcnt(0) lgkmcnt(0)
	v_mul_f32_e32 v5, s13, v8
	v_mul_f32_e32 v6, s12, v8
	v_fma_f32 v5, s12, v7, -v5
	v_fmac_f32_e32 v6, s13, v7
.LBB325_34:                             ;   in Loop: Header=BB325_31 Depth=1
	s_andn2_b32 vcc_lo, exec_lo, s17
	s_cbranch_vccnz .LBB325_29
; %bb.35:                               ;   in Loop: Header=BB325_31 Depth=1
	s_andn2_b32 vcc_lo, exec_lo, s19
	s_mov_b32 s2, 0
	s_cbranch_vccnz .LBB325_39
; %bb.36:                               ;   in Loop: Header=BB325_31 Depth=1
	v_mov_b32_e32 v8, v2
	v_mov_b32_e32 v7, v1
	s_mov_b32 s8, 0
.LBB325_37:                             ;   Parent Loop BB325_31 Depth=1
                                        ; =>  This Inner Loop Header: Depth=2
	s_clause 0x3
	flat_load_dwordx4 v[9:12], v[7:8]
	flat_load_dwordx4 v[13:16], v[7:8] offset:16
	flat_load_dwordx4 v[17:20], v[7:8] offset:32
	;; [unrolled: 1-line block ×3, first 2 shown]
	v_mov_b32_e32 v37, s2
	v_add_co_u32 v7, vcc_lo, v7, 64
	v_add_co_ci_u32_e64 v8, null, 0, v8, vcc_lo
	ds_read_b128 v[25:28], v37
	ds_read_b128 v[29:32], v37 offset:16
	ds_read_b128 v[33:36], v37 offset:32
	;; [unrolled: 1-line block ×3, first 2 shown]
	s_add_i32 s8, s8, 8
	s_add_i32 s2, s2, 64
	s_cmp_eq_u32 s0, s8
	s_waitcnt vmcnt(3) lgkmcnt(3)
	v_mul_f32_e32 v41, v10, v26
	v_mul_f32_e32 v10, v10, v25
	;; [unrolled: 1-line block ×4, first 2 shown]
	s_waitcnt vmcnt(2) lgkmcnt(2)
	v_mul_f32_e32 v43, v14, v30
	v_fmac_f32_e32 v41, v9, v25
	v_fma_f32 v9, v9, v26, -v10
	v_mul_f32_e32 v14, v14, v29
	v_fmac_f32_e32 v42, v11, v27
	v_fma_f32 v10, v11, v28, -v12
	v_add_f32_e32 v5, v5, v41
	v_add_f32_e32 v6, v6, v9
	v_mul_f32_e32 v44, v16, v32
	v_mul_f32_e32 v16, v16, v31
	v_fmac_f32_e32 v43, v13, v29
	v_fma_f32 v9, v13, v30, -v14
	v_add_f32_e32 v5, v5, v42
	v_add_f32_e32 v6, v6, v10
	s_waitcnt vmcnt(1) lgkmcnt(1)
	v_mul_f32_e32 v45, v18, v34
	v_mul_f32_e32 v18, v18, v33
	v_fmac_f32_e32 v44, v15, v31
	v_fma_f32 v10, v15, v32, -v16
	v_add_f32_e32 v5, v5, v43
	v_add_f32_e32 v6, v6, v9
	v_mul_f32_e32 v46, v20, v36
	v_mul_f32_e32 v20, v20, v35
	v_fmac_f32_e32 v45, v17, v33
	v_fma_f32 v9, v17, v34, -v18
	v_add_f32_e32 v5, v5, v44
	v_add_f32_e32 v6, v6, v10
	s_waitcnt vmcnt(0) lgkmcnt(0)
	v_mul_f32_e32 v47, v22, v38
	v_mul_f32_e32 v22, v22, v37
	v_fmac_f32_e32 v46, v19, v35
	v_fma_f32 v10, v19, v36, -v20
	v_add_f32_e32 v5, v5, v45
	v_add_f32_e32 v6, v6, v9
	v_mul_f32_e32 v48, v24, v40
	v_mul_f32_e32 v24, v24, v39
	v_fmac_f32_e32 v47, v21, v37
	v_fma_f32 v9, v21, v38, -v22
	v_add_f32_e32 v5, v5, v46
	v_add_f32_e32 v6, v6, v10
	v_fmac_f32_e32 v48, v23, v39
	v_fma_f32 v10, v23, v40, -v24
	v_add_f32_e32 v5, v5, v47
	v_add_f32_e32 v6, v6, v9
	;; [unrolled: 1-line block ×4, first 2 shown]
	s_cbranch_scc0 .LBB325_37
; %bb.38:                               ;   in Loop: Header=BB325_31 Depth=1
	s_mov_b32 s2, s0
.LBB325_39:                             ;   in Loop: Header=BB325_31 Depth=1
	s_andn2_b32 vcc_lo, exec_lo, s14
	s_cbranch_vccnz .LBB325_29
; %bb.40:                               ;   in Loop: Header=BB325_31 Depth=1
	s_lshl_b32 s21, s2, 3
	s_lshl_b64 s[8:9], s[2:3], 3
	s_mov_b32 s2, s18
	.p2align	6
.LBB325_41:                             ;   Parent Loop BB325_31 Depth=1
                                        ; =>  This Inner Loop Header: Depth=2
	v_add_co_u32 v7, vcc_lo, v1, s8
	v_add_co_ci_u32_e64 v8, null, s9, v2, vcc_lo
	v_mov_b32_e32 v9, s21
	s_add_i32 s21, s21, 8
	s_add_u32 s8, s8, 8
	flat_load_dwordx2 v[7:8], v[7:8]
	s_addc_u32 s9, s9, 0
	ds_read_b64 v[9:10], v9
	s_add_i32 s2, s2, -1
	s_cmp_lg_u32 s2, 0
	s_waitcnt vmcnt(0) lgkmcnt(0)
	v_mul_f32_e32 v11, v8, v10
	v_mul_f32_e32 v8, v8, v9
	v_fmac_f32_e32 v11, v7, v9
	v_fma_f32 v7, v7, v10, -v8
	v_add_f32_e32 v5, v5, v11
	v_add_f32_e32 v6, v6, v7
	s_cbranch_scc1 .LBB325_41
	s_branch .LBB325_29
.LBB325_42:
	s_endpgm
	.section	.rodata,"a",@progbits
	.p2align	6, 0x0
	.amdhsa_kernel _ZL22rocblas_gemvtsm_kernelILb1ELi256EPK19rocblas_complex_numIfES1_KPS1_EviiT2_lPKT1_lilS9_lilS6_lPT3_lil
		.amdhsa_group_segment_fixed_size 512
		.amdhsa_private_segment_fixed_size 0
		.amdhsa_kernarg_size 136
		.amdhsa_user_sgpr_count 6
		.amdhsa_user_sgpr_private_segment_buffer 1
		.amdhsa_user_sgpr_dispatch_ptr 0
		.amdhsa_user_sgpr_queue_ptr 0
		.amdhsa_user_sgpr_kernarg_segment_ptr 1
		.amdhsa_user_sgpr_dispatch_id 0
		.amdhsa_user_sgpr_flat_scratch_init 0
		.amdhsa_user_sgpr_private_segment_size 0
		.amdhsa_wavefront_size32 1
		.amdhsa_uses_dynamic_stack 0
		.amdhsa_system_sgpr_private_segment_wavefront_offset 0
		.amdhsa_system_sgpr_workgroup_id_x 1
		.amdhsa_system_sgpr_workgroup_id_y 0
		.amdhsa_system_sgpr_workgroup_id_z 0
		.amdhsa_system_sgpr_workgroup_info 0
		.amdhsa_system_vgpr_workitem_id 0
		.amdhsa_next_free_vgpr 49
		.amdhsa_next_free_sgpr 24
		.amdhsa_reserve_vcc 1
		.amdhsa_reserve_flat_scratch 1
		.amdhsa_float_round_mode_32 0
		.amdhsa_float_round_mode_16_64 0
		.amdhsa_float_denorm_mode_32 3
		.amdhsa_float_denorm_mode_16_64 3
		.amdhsa_dx10_clamp 1
		.amdhsa_ieee_mode 1
		.amdhsa_fp16_overflow 0
		.amdhsa_workgroup_processor_mode 1
		.amdhsa_memory_ordered 1
		.amdhsa_forward_progress 1
		.amdhsa_shared_vgpr_count 0
		.amdhsa_exception_fp_ieee_invalid_op 0
		.amdhsa_exception_fp_denorm_src 0
		.amdhsa_exception_fp_ieee_div_zero 0
		.amdhsa_exception_fp_ieee_overflow 0
		.amdhsa_exception_fp_ieee_underflow 0
		.amdhsa_exception_fp_ieee_inexact 0
		.amdhsa_exception_int_div_zero 0
	.end_amdhsa_kernel
	.section	.text._ZL22rocblas_gemvtsm_kernelILb1ELi256EPK19rocblas_complex_numIfES1_KPS1_EviiT2_lPKT1_lilS9_lilS6_lPT3_lil,"axG",@progbits,_ZL22rocblas_gemvtsm_kernelILb1ELi256EPK19rocblas_complex_numIfES1_KPS1_EviiT2_lPKT1_lilS9_lilS6_lPT3_lil,comdat
.Lfunc_end325:
	.size	_ZL22rocblas_gemvtsm_kernelILb1ELi256EPK19rocblas_complex_numIfES1_KPS1_EviiT2_lPKT1_lilS9_lilS6_lPT3_lil, .Lfunc_end325-_ZL22rocblas_gemvtsm_kernelILb1ELi256EPK19rocblas_complex_numIfES1_KPS1_EviiT2_lPKT1_lilS9_lilS6_lPT3_lil
                                        ; -- End function
	.set _ZL22rocblas_gemvtsm_kernelILb1ELi256EPK19rocblas_complex_numIfES1_KPS1_EviiT2_lPKT1_lilS9_lilS6_lPT3_lil.num_vgpr, 49
	.set _ZL22rocblas_gemvtsm_kernelILb1ELi256EPK19rocblas_complex_numIfES1_KPS1_EviiT2_lPKT1_lilS9_lilS6_lPT3_lil.num_agpr, 0
	.set _ZL22rocblas_gemvtsm_kernelILb1ELi256EPK19rocblas_complex_numIfES1_KPS1_EviiT2_lPKT1_lilS9_lilS6_lPT3_lil.numbered_sgpr, 24
	.set _ZL22rocblas_gemvtsm_kernelILb1ELi256EPK19rocblas_complex_numIfES1_KPS1_EviiT2_lPKT1_lilS9_lilS6_lPT3_lil.num_named_barrier, 0
	.set _ZL22rocblas_gemvtsm_kernelILb1ELi256EPK19rocblas_complex_numIfES1_KPS1_EviiT2_lPKT1_lilS9_lilS6_lPT3_lil.private_seg_size, 0
	.set _ZL22rocblas_gemvtsm_kernelILb1ELi256EPK19rocblas_complex_numIfES1_KPS1_EviiT2_lPKT1_lilS9_lilS6_lPT3_lil.uses_vcc, 1
	.set _ZL22rocblas_gemvtsm_kernelILb1ELi256EPK19rocblas_complex_numIfES1_KPS1_EviiT2_lPKT1_lilS9_lilS6_lPT3_lil.uses_flat_scratch, 1
	.set _ZL22rocblas_gemvtsm_kernelILb1ELi256EPK19rocblas_complex_numIfES1_KPS1_EviiT2_lPKT1_lilS9_lilS6_lPT3_lil.has_dyn_sized_stack, 0
	.set _ZL22rocblas_gemvtsm_kernelILb1ELi256EPK19rocblas_complex_numIfES1_KPS1_EviiT2_lPKT1_lilS9_lilS6_lPT3_lil.has_recursion, 0
	.set _ZL22rocblas_gemvtsm_kernelILb1ELi256EPK19rocblas_complex_numIfES1_KPS1_EviiT2_lPKT1_lilS9_lilS6_lPT3_lil.has_indirect_call, 0
	.section	.AMDGPU.csdata,"",@progbits
; Kernel info:
; codeLenInByte = 1700
; TotalNumSgprs: 26
; NumVgprs: 49
; ScratchSize: 0
; MemoryBound: 0
; FloatMode: 240
; IeeeMode: 1
; LDSByteSize: 512 bytes/workgroup (compile time only)
; SGPRBlocks: 0
; VGPRBlocks: 6
; NumSGPRsForWavesPerEU: 26
; NumVGPRsForWavesPerEU: 49
; Occupancy: 16
; WaveLimiterHint : 1
; COMPUTE_PGM_RSRC2:SCRATCH_EN: 0
; COMPUTE_PGM_RSRC2:USER_SGPR: 6
; COMPUTE_PGM_RSRC2:TRAP_HANDLER: 0
; COMPUTE_PGM_RSRC2:TGID_X_EN: 1
; COMPUTE_PGM_RSRC2:TGID_Y_EN: 0
; COMPUTE_PGM_RSRC2:TGID_Z_EN: 0
; COMPUTE_PGM_RSRC2:TIDIG_COMP_CNT: 0
	.section	.text._ZL23rocblas_gemvt_sn_kernelILb1ELi256ELi4EiPK19rocblas_complex_numIfES3_S1_EviiT4_lPKT3_lilS7_lilPT5_i,"axG",@progbits,_ZL23rocblas_gemvt_sn_kernelILb1ELi256ELi4EiPK19rocblas_complex_numIfES3_S1_EviiT4_lPKT3_lilS7_lilPT5_i,comdat
	.globl	_ZL23rocblas_gemvt_sn_kernelILb1ELi256ELi4EiPK19rocblas_complex_numIfES3_S1_EviiT4_lPKT3_lilS7_lilPT5_i ; -- Begin function _ZL23rocblas_gemvt_sn_kernelILb1ELi256ELi4EiPK19rocblas_complex_numIfES3_S1_EviiT4_lPKT3_lilS7_lilPT5_i
	.p2align	8
	.type	_ZL23rocblas_gemvt_sn_kernelILb1ELi256ELi4EiPK19rocblas_complex_numIfES3_S1_EviiT4_lPKT3_lilS7_lilPT5_i,@function
_ZL23rocblas_gemvt_sn_kernelILb1ELi256ELi4EiPK19rocblas_complex_numIfES3_S1_EviiT4_lPKT3_lilS7_lilPT5_i: ; @_ZL23rocblas_gemvt_sn_kernelILb1ELi256ELi4EiPK19rocblas_complex_numIfES3_S1_EviiT4_lPKT3_lilS7_lilPT5_i
; %bb.0:
	s_add_u32 s0, s0, s8
	s_load_dwordx8 s[8:15], s[4:5], 0x8
	s_mov_b32 s20, s7
	s_addc_u32 s1, s1, 0
	s_mov_b32 s21, 0
	s_mov_b64 s[18:19], 0
	s_waitcnt lgkmcnt(0)
	s_mul_i32 s7, s11, s7
	s_mul_hi_u32 s11, s10, s20
	s_mul_i32 s10, s10, s20
	s_add_i32 s11, s11, s7
	s_lshl_b64 s[10:11], s[10:11], 3
	s_add_u32 s8, s8, s10
	s_addc_u32 s9, s9, s11
	s_load_dwordx2 s[16:17], s[8:9], 0x0
	s_waitcnt lgkmcnt(0)
	s_or_b32 s7, s16, s17
	s_and_b32 s8, s7, 0x7fffffff
	s_cmp_lg_u32 s8, 0
	s_cselect_b32 s7, -1, 0
	s_cmp_eq_u32 s8, 0
	s_mov_b64 s[8:9], 0
	s_cselect_b32 s22, -1, 0
	s_and_b32 vcc_lo, exec_lo, s22
	s_cbranch_vccnz .LBB326_2
; %bb.1:
	s_lshl_b64 s[8:9], s[20:21], 3
	s_add_u32 s8, s12, s8
	s_addc_u32 s9, s13, s9
	s_lshl_b64 s[10:11], s[14:15], 3
	s_load_dwordx2 s[8:9], s[8:9], 0x0
	s_waitcnt lgkmcnt(0)
	s_add_u32 s8, s8, s10
	s_addc_u32 s9, s9, s11
.LBB326_2:
	s_andn2_b32 vcc_lo, exec_lo, s7
	s_cbranch_vccnz .LBB326_4
; %bb.3:
	s_load_dwordx4 s[12:15], s[4:5], 0x38
	s_lshl_b64 s[10:11], s[20:21], 3
	s_waitcnt lgkmcnt(0)
	s_add_u32 s10, s12, s10
	s_addc_u32 s11, s13, s11
	s_lshl_b64 s[12:13], s[14:15], 3
	s_load_dwordx2 s[10:11], s[10:11], 0x0
	s_waitcnt lgkmcnt(0)
	s_add_u32 s18, s10, s12
	s_addc_u32 s19, s11, s13
.LBB326_4:
	s_clause 0x2
	s_load_dwordx2 s[12:13], s[4:5], 0x0
	s_load_dword s14, s[4:5], 0x68
	s_load_dwordx2 s[10:11], s[4:5], 0x58
	s_andn2_b32 vcc_lo, exec_lo, s22
	v_cmp_eq_u32_e64 s7, 0, v0
	s_mov_b32 s15, 0
	s_waitcnt lgkmcnt(0)
	s_ashr_i32 s26, s13, 31
	s_mul_hi_u32 s21, s13, s20
	s_mul_i32 s22, s26, s20
	s_mul_i32 s20, s13, s20
	s_add_i32 s21, s21, s22
	s_mul_hi_u32 s22, s20, s14
	s_mul_i32 s21, s21, s14
	s_mul_i32 s20, s20, s14
	s_add_i32 s21, s22, s21
	s_mov_b32 s22, -1
	s_cbranch_vccnz .LBB326_9
; %bb.5:
	s_cmp_gt_i32 s13, 0
	s_cselect_b32 s22, -1, 0
	s_and_b32 s7, s7, s22
	s_and_saveexec_b32 s27, s7
	s_cbranch_execz .LBB326_8
; %bb.6:
	s_mov_b32 s7, 0
	v_mov_b32_e32 v1, 0
	s_lshl_b64 s[22:23], s[20:21], 3
	s_lshl_b64 s[24:25], s[6:7], 3
	s_add_u32 s7, s22, s24
	s_addc_u32 s22, s23, s25
	s_add_u32 s7, s10, s7
	v_mov_b32_e32 v2, v1
	s_addc_u32 s23, s11, s22
	s_add_u32 s22, s7, 4
	s_addc_u32 s23, s23, 0
	s_lshl_b64 s[24:25], s[14:15], 3
	s_mov_b32 s7, s13
.LBB326_7:                              ; =>This Inner Loop Header: Depth=1
	s_add_i32 s7, s7, -1
	global_store_dwordx2 v1, v[1:2], s[22:23] offset:-4
	s_add_u32 s22, s22, s24
	s_addc_u32 s23, s23, s25
	s_cmp_eq_u32 s7, 0
	s_cbranch_scc0 .LBB326_7
.LBB326_8:
	s_or_b32 exec_lo, exec_lo, s27
	s_mov_b32 s22, 0
.LBB326_9:
	s_andn2_b32 vcc_lo, exec_lo, s22
	s_cbranch_vccnz .LBB326_81
; %bb.10:
	s_lshl_b64 s[20:21], s[20:21], 3
	s_clause 0x1
	s_load_dword s15, s[4:5], 0x48
	s_load_dword s30, s[4:5], 0x28
	s_add_u32 s34, s10, s20
	s_addc_u32 s11, s11, s21
	s_lshl_b32 s7, s6, 10
	s_ashr_i32 s4, s12, 31
	v_lshl_or_b32 v2, v0, 2, s7
	s_lshr_b32 s4, s4, 30
	s_lshr_b32 s5, s26, 30
	s_add_i32 s4, s12, s4
	s_add_i32 s5, s13, s5
	v_ashrrev_i32_e32 v3, 31, v2
	s_and_b32 s4, s4, -4
	s_and_b32 s35, s5, -4
	s_sub_i32 s31, s12, s4
	v_add_nc_u32_e32 v26, 4, v2
	v_lshlrev_b64 v[3:4], 3, v[2:3]
	v_add_nc_u32_e32 v27, s31, v2
	v_and_b32_e32 v24, 31, v0
	v_cmp_gt_u32_e64 s4, 32, v0
	s_waitcnt lgkmcnt(0)
	v_mul_lo_u32 v1, s15, v2
	v_mbcnt_lo_u32_b32 v25, -1, 0
	v_add_co_u32 v21, vcc_lo, s8, v3
	v_add_co_ci_u32_e64 v22, null, s9, v4, vcc_lo
	v_cmp_gt_u32_e64 s5, 8, v0
	v_lshrrev_b32_e32 v23, 2, v0
	s_cmp_lt_i32 s35, 1
	s_cbranch_scc1 .LBB326_58
; %bb.11:
	v_cmp_gt_u32_e32 vcc_lo, 24, v25
	v_mul_lo_u32 v2, s15, v2
	v_cmp_ge_i32_e64 s7, s12, v26
	v_cmp_ge_i32_e64 s8, s12, v27
	v_lshl_or_b32 v28, v25, 2, 64
	v_cndmask_b32_e64 v3, 0, 8, vcc_lo
	v_cmp_gt_u32_e32 vcc_lo, 28, v25
	v_cmp_eq_u32_e64 s9, 0, v24
	v_lshlrev_b32_e32 v33, 3, v24
	v_and_b32_e32 v34, 56, v23
	v_add_lshl_u32 v29, v3, v25, 2
	v_cndmask_b32_e64 v4, 0, 4, vcc_lo
	v_cmp_gt_u32_e32 vcc_lo, 30, v25
	v_ashrrev_i32_e32 v3, 31, v2
	v_cmp_eq_u32_e64 s10, 0, v0
	s_cmp_gt_i32 s31, 0
	v_add_lshl_u32 v30, v4, v25, 2
	v_cndmask_b32_e64 v5, 0, 2, vcc_lo
	v_cmp_ne_u32_e32 vcc_lo, 31, v25
	v_add_nc_u32_e32 v4, s15, v2
	v_lshlrev_b64 v[8:9], 3, v[2:3]
	s_mov_b32 s21, 0
	v_add_lshl_u32 v31, v5, v25, 2
	v_add_co_ci_u32_e64 v6, null, 0, v25, vcc_lo
	v_ashrrev_i32_e32 v5, 31, v4
	v_add_co_u32 v3, vcc_lo, s18, v8
	v_lshlrev_b32_e32 v32, 2, v6
	v_add_nc_u32_e32 v6, s15, v4
	v_lshlrev_b64 v[10:11], 3, v[4:5]
	v_add_co_ci_u32_e64 v4, null, s19, v9, vcc_lo
	s_cselect_b32 s36, -1, 0
	v_add_nc_u32_e32 v12, s15, v6
	v_ashrrev_i32_e32 v7, 31, v6
	v_add_co_u32 v5, vcc_lo, s18, v10
	s_lshl_b32 s37, s30, 2
	v_ashrrev_i32_e32 v13, 31, v12
	v_lshlrev_b64 v[7:8], 3, v[6:7]
	v_add_co_ci_u32_e64 v6, null, s19, v11, vcc_lo
	v_mov_b32_e32 v11, 0
	v_lshlrev_b64 v[9:10], 3, v[12:13]
	s_lshl_b32 s38, s30, 1
	v_add_co_u32 v7, vcc_lo, s18, v7
	v_add_co_ci_u32_e64 v8, null, s19, v8, vcc_lo
	v_add_co_u32 v9, vcc_lo, s18, v9
	v_add_co_ci_u32_e64 v10, null, s19, v10, vcc_lo
	s_mul_i32 s39, s30, 3
	s_mov_b32 s22, s21
	s_mov_b32 s40, s30
	s_mov_b32 s33, 0
	s_branch .LBB326_13
.LBB326_12:                             ;   in Loop: Header=BB326_13 Depth=1
	s_or_b32 exec_lo, exec_lo, s23
	s_add_i32 s33, s33, 4
	s_add_i32 s40, s40, s37
	s_add_i32 s38, s38, s37
	s_add_i32 s39, s39, s37
	s_add_i32 s22, s22, s37
	s_cmp_ge_i32 s33, s35
	s_cbranch_scc1 .LBB326_59
.LBB326_13:                             ; =>This Loop Header: Depth=1
                                        ;     Child Loop BB326_44 Depth 2
                                        ;     Child Loop BB326_46 Depth 2
                                        ; implicit-def: $vgpr14
                                        ; implicit-def: $vgpr35
                                        ; implicit-def: $vgpr15
                                        ; implicit-def: $vgpr16
                                        ; implicit-def: $vgpr17
                                        ; implicit-def: $vgpr18
                                        ; implicit-def: $vgpr20
                                        ; implicit-def: $vgpr19
	s_and_saveexec_b32 s20, s7
	s_xor_b32 s20, exec_lo, s20
	s_cbranch_execnz .LBB326_40
; %bb.14:                               ;   in Loop: Header=BB326_13 Depth=1
	s_andn2_saveexec_b32 s20, s20
	s_cbranch_execnz .LBB326_41
.LBB326_15:                             ;   in Loop: Header=BB326_13 Depth=1
	s_or_b32 exec_lo, exec_lo, s20
	s_and_saveexec_b32 s20, s4
.LBB326_16:                             ;   in Loop: Header=BB326_13 Depth=1
	v_mov_b32_e32 v12, v11
	ds_write_b64 v33, v[11:12]
.LBB326_17:                             ;   in Loop: Header=BB326_13 Depth=1
	s_or_b32 exec_lo, exec_lo, s20
	ds_bpermute_b32 v12, v28, v14
	ds_bpermute_b32 v13, v28, v35
	s_waitcnt lgkmcnt(0)
	s_waitcnt_vscnt null, 0x0
	s_barrier
	buffer_gl0_inv
	v_add_f32_e32 v12, v14, v12
	v_add_f32_e32 v13, v35, v13
	ds_bpermute_b32 v14, v29, v12
	ds_bpermute_b32 v35, v29, v13
	s_waitcnt lgkmcnt(1)
	v_add_f32_e32 v12, v12, v14
	s_waitcnt lgkmcnt(0)
	v_add_f32_e32 v13, v13, v35
	ds_bpermute_b32 v14, v30, v12
	ds_bpermute_b32 v35, v30, v13
	s_waitcnt lgkmcnt(1)
	v_add_f32_e32 v12, v12, v14
	s_waitcnt lgkmcnt(0)
	v_add_f32_e32 v13, v13, v35
	ds_bpermute_b32 v14, v31, v12
	ds_bpermute_b32 v35, v31, v13
	s_waitcnt lgkmcnt(1)
	v_add_f32_e32 v12, v12, v14
	s_waitcnt lgkmcnt(0)
	v_add_f32_e32 v13, v13, v35
	ds_bpermute_b32 v14, v32, v12
	ds_bpermute_b32 v35, v32, v13
	s_and_saveexec_b32 s20, s9
	s_cbranch_execz .LBB326_19
; %bb.18:                               ;   in Loop: Header=BB326_13 Depth=1
	s_waitcnt lgkmcnt(0)
	v_add_f32_e32 v13, v13, v35
	v_add_f32_e32 v12, v12, v14
	ds_write_b64 v34, v[12:13]
.LBB326_19:                             ;   in Loop: Header=BB326_13 Depth=1
	s_or_b32 exec_lo, exec_lo, s20
	s_waitcnt lgkmcnt(1)
	v_mov_b32_e32 v14, 0
	v_mov_b32_e32 v13, 0
	s_waitcnt lgkmcnt(0)
	s_barrier
	buffer_gl0_inv
	s_and_saveexec_b32 s20, s5
	s_cbranch_execnz .LBB326_47
; %bb.20:                               ;   in Loop: Header=BB326_13 Depth=1
	s_or_b32 exec_lo, exec_lo, s20
	s_and_saveexec_b32 s20, s4
	s_cbranch_execnz .LBB326_48
.LBB326_21:                             ;   in Loop: Header=BB326_13 Depth=1
	s_or_b32 exec_lo, exec_lo, s20
	s_and_saveexec_b32 s20, s4
.LBB326_22:                             ;   in Loop: Header=BB326_13 Depth=1
	v_mov_b32_e32 v12, v11
	ds_write_b64 v33, v[11:12]
.LBB326_23:                             ;   in Loop: Header=BB326_13 Depth=1
	s_or_b32 exec_lo, exec_lo, s20
	ds_bpermute_b32 v12, v28, v15
	ds_bpermute_b32 v35, v28, v16
	s_waitcnt lgkmcnt(0)
	s_barrier
	buffer_gl0_inv
	v_add_f32_e32 v12, v15, v12
	v_add_f32_e32 v15, v16, v35
	ds_bpermute_b32 v16, v29, v12
	ds_bpermute_b32 v35, v29, v15
	s_waitcnt lgkmcnt(1)
	v_add_f32_e32 v12, v12, v16
	s_waitcnt lgkmcnt(0)
	v_add_f32_e32 v15, v15, v35
	ds_bpermute_b32 v16, v30, v12
	ds_bpermute_b32 v35, v30, v15
	s_waitcnt lgkmcnt(1)
	v_add_f32_e32 v12, v12, v16
	s_waitcnt lgkmcnt(0)
	;; [unrolled: 6-line block ×3, first 2 shown]
	v_add_f32_e32 v15, v15, v35
	ds_bpermute_b32 v16, v32, v12
	ds_bpermute_b32 v35, v32, v15
	s_and_saveexec_b32 s20, s9
	s_cbranch_execz .LBB326_25
; %bb.24:                               ;   in Loop: Header=BB326_13 Depth=1
	s_waitcnt lgkmcnt(0)
	v_add_f32_e32 v36, v15, v35
	v_add_f32_e32 v35, v12, v16
	ds_write_b64 v34, v[35:36]
.LBB326_25:                             ;   in Loop: Header=BB326_13 Depth=1
	s_or_b32 exec_lo, exec_lo, s20
	s_waitcnt lgkmcnt(1)
	v_mov_b32_e32 v16, 0
	v_mov_b32_e32 v15, 0
	s_waitcnt lgkmcnt(0)
	s_barrier
	buffer_gl0_inv
	s_and_saveexec_b32 s20, s5
	s_cbranch_execnz .LBB326_49
; %bb.26:                               ;   in Loop: Header=BB326_13 Depth=1
	s_or_b32 exec_lo, exec_lo, s20
	s_and_saveexec_b32 s20, s4
	s_cbranch_execnz .LBB326_50
.LBB326_27:                             ;   in Loop: Header=BB326_13 Depth=1
	s_or_b32 exec_lo, exec_lo, s20
	s_and_saveexec_b32 s20, s4
.LBB326_28:                             ;   in Loop: Header=BB326_13 Depth=1
	v_mov_b32_e32 v12, v11
	ds_write_b64 v33, v[11:12]
.LBB326_29:                             ;   in Loop: Header=BB326_13 Depth=1
	s_or_b32 exec_lo, exec_lo, s20
	ds_bpermute_b32 v12, v28, v17
	ds_bpermute_b32 v35, v28, v18
	s_waitcnt lgkmcnt(0)
	s_barrier
	buffer_gl0_inv
	v_add_f32_e32 v12, v17, v12
	v_add_f32_e32 v17, v18, v35
	ds_bpermute_b32 v18, v29, v12
	ds_bpermute_b32 v35, v29, v17
	s_waitcnt lgkmcnt(1)
	v_add_f32_e32 v12, v12, v18
	s_waitcnt lgkmcnt(0)
	v_add_f32_e32 v17, v17, v35
	ds_bpermute_b32 v18, v30, v12
	ds_bpermute_b32 v35, v30, v17
	s_waitcnt lgkmcnt(1)
	v_add_f32_e32 v12, v12, v18
	s_waitcnt lgkmcnt(0)
	;; [unrolled: 6-line block ×3, first 2 shown]
	v_add_f32_e32 v17, v17, v35
	ds_bpermute_b32 v18, v32, v12
	ds_bpermute_b32 v35, v32, v17
	s_and_saveexec_b32 s20, s9
	s_cbranch_execz .LBB326_31
; %bb.30:                               ;   in Loop: Header=BB326_13 Depth=1
	s_waitcnt lgkmcnt(0)
	v_add_f32_e32 v36, v17, v35
	v_add_f32_e32 v35, v12, v18
	ds_write_b64 v34, v[35:36]
.LBB326_31:                             ;   in Loop: Header=BB326_13 Depth=1
	s_or_b32 exec_lo, exec_lo, s20
	s_waitcnt lgkmcnt(1)
	v_mov_b32_e32 v18, 0
	v_mov_b32_e32 v17, 0
	s_waitcnt lgkmcnt(0)
	s_barrier
	buffer_gl0_inv
	s_and_saveexec_b32 s20, s5
	s_cbranch_execnz .LBB326_51
; %bb.32:                               ;   in Loop: Header=BB326_13 Depth=1
	s_or_b32 exec_lo, exec_lo, s20
	s_and_saveexec_b32 s20, s4
	s_cbranch_execnz .LBB326_52
.LBB326_33:                             ;   in Loop: Header=BB326_13 Depth=1
	s_or_b32 exec_lo, exec_lo, s20
	s_and_saveexec_b32 s20, s4
.LBB326_34:                             ;   in Loop: Header=BB326_13 Depth=1
	v_mov_b32_e32 v12, v11
	ds_write_b64 v33, v[11:12]
.LBB326_35:                             ;   in Loop: Header=BB326_13 Depth=1
	s_or_b32 exec_lo, exec_lo, s20
	ds_bpermute_b32 v12, v28, v20
	ds_bpermute_b32 v35, v28, v19
	s_waitcnt lgkmcnt(0)
	s_barrier
	buffer_gl0_inv
	v_add_f32_e32 v12, v20, v12
	v_add_f32_e32 v19, v19, v35
	ds_bpermute_b32 v20, v29, v12
	ds_bpermute_b32 v35, v29, v19
	s_waitcnt lgkmcnt(1)
	v_add_f32_e32 v12, v12, v20
	s_waitcnt lgkmcnt(0)
	v_add_f32_e32 v19, v19, v35
	ds_bpermute_b32 v20, v30, v12
	ds_bpermute_b32 v35, v30, v19
	s_waitcnt lgkmcnt(1)
	v_add_f32_e32 v12, v12, v20
	s_waitcnt lgkmcnt(0)
	;; [unrolled: 6-line block ×3, first 2 shown]
	v_add_f32_e32 v19, v19, v35
	ds_bpermute_b32 v20, v32, v12
	ds_bpermute_b32 v35, v32, v19
	s_and_saveexec_b32 s20, s9
	s_cbranch_execz .LBB326_37
; %bb.36:                               ;   in Loop: Header=BB326_13 Depth=1
	s_waitcnt lgkmcnt(0)
	v_add_f32_e32 v36, v19, v35
	v_add_f32_e32 v35, v12, v20
	ds_write_b64 v34, v[35:36]
.LBB326_37:                             ;   in Loop: Header=BB326_13 Depth=1
	s_or_b32 exec_lo, exec_lo, s20
	s_waitcnt lgkmcnt(1)
	v_mov_b32_e32 v20, 0
	v_mov_b32_e32 v19, 0
	s_waitcnt lgkmcnt(0)
	s_barrier
	buffer_gl0_inv
	s_and_saveexec_b32 s20, s5
	s_cbranch_execnz .LBB326_53
; %bb.38:                               ;   in Loop: Header=BB326_13 Depth=1
	s_or_b32 exec_lo, exec_lo, s20
	s_and_saveexec_b32 s20, s4
	s_cbranch_execnz .LBB326_54
.LBB326_39:                             ;   in Loop: Header=BB326_13 Depth=1
	s_or_b32 exec_lo, exec_lo, s20
	s_and_saveexec_b32 s23, s10
	s_cbranch_execz .LBB326_12
	s_branch .LBB326_55
.LBB326_40:                             ;   in Loop: Header=BB326_13 Depth=1
	flat_load_dwordx2 v[43:44], v[3:4]
	s_mul_i32 s24, s33, s30
	s_waitcnt vmcnt(0) lgkmcnt(0)
	buffer_store_dword v44, off, s[0:3], 0 offset:4
	buffer_store_dword v43, off, s[0:3], 0
	flat_load_dwordx2 v[45:46], v[5:6]
	s_ashr_i32 s25, s24, 31
	s_waitcnt vmcnt(0) lgkmcnt(0)
	buffer_store_dword v46, off, s[0:3], 0 offset:12
	buffer_store_dword v45, off, s[0:3], 0 offset:8
	flat_load_dwordx2 v[47:48], v[7:8]
	s_lshl_b64 s[26:27], s[24:25], 3
	s_add_i32 s24, s24, s30
	v_add_co_u32 v51, vcc_lo, v21, s26
	v_add_co_ci_u32_e64 v52, null, s27, v22, vcc_lo
	s_ashr_i32 s25, s24, 31
	s_waitcnt vmcnt(0) lgkmcnt(0)
	buffer_store_dword v48, off, s[0:3], 0 offset:20
	buffer_store_dword v47, off, s[0:3], 0 offset:16
	flat_load_dwordx2 v[49:50], v[9:10]
	s_lshl_b64 s[26:27], s[24:25], 3
	s_add_i32 s24, s24, s30
	v_add_co_u32 v53, vcc_lo, v21, s26
	s_ashr_i32 s25, s24, 31
	v_add_co_ci_u32_e64 v54, null, s27, v22, vcc_lo
	s_lshl_b64 s[26:27], s[24:25], 3
	s_add_i32 s24, s24, s30
	v_add_co_u32 v55, vcc_lo, v21, s26
	v_add_co_ci_u32_e64 v56, null, s27, v22, vcc_lo
	s_ashr_i32 s25, s24, 31
	s_waitcnt vmcnt(0) lgkmcnt(0)
	buffer_store_dword v50, off, s[0:3], 0 offset:28
	buffer_store_dword v49, off, s[0:3], 0 offset:24
	s_clause 0x1
	flat_load_dwordx4 v[12:15], v[51:52]
	flat_load_dwordx4 v[35:38], v[55:56]
	s_lshl_b64 s[24:25], s[24:25], 3
	v_add_co_u32 v57, vcc_lo, v21, s24
	v_add_co_ci_u32_e64 v58, null, s25, v22, vcc_lo
	flat_load_dwordx4 v[39:42], v[57:58]
	s_waitcnt vmcnt(2) lgkmcnt(2)
	v_mul_f32_e32 v16, v13, v44
	v_mul_f32_e32 v13, v13, v43
	v_fmac_f32_e32 v16, v12, v43
	v_fma_f32 v12, v12, v44, -v13
	v_add_f32_e32 v13, 0, v16
	flat_load_dwordx4 v[16:19], v[53:54]
	v_add_f32_e32 v12, 0, v12
	s_waitcnt vmcnt(0) lgkmcnt(0)
	v_mul_f32_e32 v20, v17, v44
	v_mul_f32_e32 v17, v17, v43
	v_fmac_f32_e32 v20, v16, v43
	v_fma_f32 v16, v16, v44, -v17
	v_add_f32_e32 v17, 0, v20
	v_mul_f32_e32 v20, v36, v44
	v_mul_f32_e32 v36, v36, v43
	v_add_f32_e32 v16, 0, v16
	v_fmac_f32_e32 v20, v35, v43
	v_fma_f32 v35, v35, v44, -v36
	v_mul_f32_e32 v36, v40, v44
	v_mul_f32_e32 v40, v40, v43
	v_add_f32_e32 v20, 0, v20
	v_add_f32_e32 v35, 0, v35
	v_fmac_f32_e32 v36, v39, v43
	v_fma_f32 v39, v39, v44, -v40
	v_mul_f32_e32 v40, v15, v46
	v_mul_f32_e32 v15, v15, v45
	v_add_f32_e32 v36, 0, v36
	v_add_f32_e32 v39, 0, v39
	v_fmac_f32_e32 v40, v14, v45
	v_fma_f32 v14, v14, v46, -v15
	v_add_f32_e32 v40, v13, v40
	v_add_f32_e32 v43, v12, v14
	v_mul_f32_e32 v12, v19, v46
	v_mul_f32_e32 v13, v19, v45
	v_fmac_f32_e32 v12, v18, v45
	v_fma_f32 v13, v18, v46, -v13
	v_add_f32_e32 v44, v17, v12
	v_add_f32_e32 v59, v16, v13
	v_mul_f32_e32 v12, v38, v46
	v_mul_f32_e32 v13, v38, v45
	;; [unrolled: 6-line block ×3, first 2 shown]
	v_fmac_f32_e32 v12, v41, v45
	v_fma_f32 v13, v41, v46, -v13
	v_add_f32_e32 v45, v36, v12
	v_add_f32_e32 v46, v39, v13
	flat_load_dwordx4 v[12:15], v[51:52] offset:16
	s_waitcnt vmcnt(0) lgkmcnt(0)
	v_mul_f32_e32 v16, v48, v13
	v_mul_f32_e32 v13, v47, v13
	v_fmac_f32_e32 v16, v47, v12
	v_fma_f32 v12, v48, v12, -v13
	v_add_f32_e32 v13, v40, v16
	flat_load_dwordx4 v[16:19], v[53:54] offset:16
	v_add_f32_e32 v12, v43, v12
	s_waitcnt vmcnt(0) lgkmcnt(0)
	v_mul_f32_e32 v35, v48, v17
	v_mul_f32_e32 v17, v47, v17
	v_fmac_f32_e32 v35, v47, v16
	v_fma_f32 v16, v48, v16, -v17
	v_add_f32_e32 v17, v44, v35
	flat_load_dwordx4 v[35:38], v[55:56] offset:16
	v_add_f32_e32 v16, v59, v16
	;; [unrolled: 8-line block ×3, first 2 shown]
	s_waitcnt vmcnt(0) lgkmcnt(0)
	v_mul_f32_e32 v35, v48, v40
	v_mul_f32_e32 v40, v47, v40
	v_fmac_f32_e32 v35, v47, v39
	v_fma_f32 v39, v48, v39, -v40
	v_add_f32_e32 v40, v45, v35
	v_mul_f32_e32 v35, v50, v15
	v_mul_f32_e32 v15, v49, v15
	v_add_f32_e32 v39, v46, v39
	v_fmac_f32_e32 v35, v49, v14
	v_fma_f32 v15, v50, v14, -v15
	v_add_f32_e32 v14, v13, v35
	v_add_f32_e32 v35, v12, v15
	v_mul_f32_e32 v12, v50, v19
	v_mul_f32_e32 v13, v49, v19
	v_fmac_f32_e32 v12, v49, v18
	v_fma_f32 v13, v50, v18, -v13
	v_add_f32_e32 v15, v17, v12
	v_add_f32_e32 v16, v16, v13
	v_mul_f32_e32 v12, v50, v38
	v_mul_f32_e32 v13, v49, v38
	;; [unrolled: 6-line block ×3, first 2 shown]
	v_fmac_f32_e32 v12, v49, v41
	v_fma_f32 v13, v50, v41, -v13
	v_add_f32_e32 v20, v40, v12
	v_add_f32_e32 v19, v39, v13
	s_andn2_saveexec_b32 s20, s20
	s_cbranch_execz .LBB326_15
.LBB326_41:                             ;   in Loop: Header=BB326_13 Depth=1
	v_mov_b32_e32 v14, 0
	v_mov_b32_e32 v35, 0
	;; [unrolled: 1-line block ×6, first 2 shown]
	s_waitcnt lgkmcnt(0)
	v_mov_b32_e32 v20, 0
	v_mov_b32_e32 v19, 0
	s_and_saveexec_b32 s41, s8
	s_cbranch_execz .LBB326_57
; %bb.42:                               ;   in Loop: Header=BB326_13 Depth=1
	s_andn2_b32 vcc_lo, exec_lo, s36
	s_cbranch_vccnz .LBB326_56
; %bb.43:                               ;   in Loop: Header=BB326_13 Depth=1
	v_mov_b32_e32 v12, v2
	s_mov_b32 s23, 0
	s_mov_b32 s24, s31
	.p2align	6
.LBB326_44:                             ;   Parent Loop BB326_13 Depth=1
                                        ; =>  This Inner Loop Header: Depth=2
	v_ashrrev_i32_e32 v13, 31, v12
	v_mov_b32_e32 v15, s23
	s_add_i32 s24, s24, -1
	s_add_i32 s23, s23, 8
	s_cmp_eq_u32 s24, 0
	v_lshlrev_b64 v[13:14], 3, v[12:13]
	v_add_nc_u32_e32 v12, s15, v12
	v_add_co_u32 v13, vcc_lo, s18, v13
	v_add_co_ci_u32_e64 v14, null, s19, v14, vcc_lo
	flat_load_dwordx2 v[13:14], v[13:14]
	s_waitcnt vmcnt(0) lgkmcnt(0)
	buffer_store_dword v14, v15, s[0:3], 0 offen offset:4
	buffer_store_dword v13, v15, s[0:3], 0 offen
	s_cbranch_scc0 .LBB326_44
; %bb.45:                               ;   in Loop: Header=BB326_13 Depth=1
	s_ashr_i32 s23, s22, 31
	v_mov_b32_e32 v19, 0
	s_lshl_b64 s[24:25], s[22:23], 3
	v_mov_b32_e32 v20, 0
	v_add_co_u32 v12, vcc_lo, v21, s24
	v_add_co_ci_u32_e64 v13, null, s25, v22, vcc_lo
	v_mov_b32_e32 v18, 0
	v_mov_b32_e32 v17, 0
	;; [unrolled: 1-line block ×6, first 2 shown]
	s_mov_b32 s23, 0
	s_mov_b32 s24, s39
	;; [unrolled: 1-line block ×5, first 2 shown]
.LBB326_46:                             ;   Parent Loop BB326_13 Depth=1
                                        ; =>  This Inner Loop Header: Depth=2
	s_ashr_i32 s29, s28, 31
	s_ashr_i32 s27, s26, 31
	s_lshl_b64 s[44:45], s[28:29], 3
	s_ashr_i32 s25, s24, 31
	s_lshl_b64 s[46:47], s[26:27], 3
	v_add_co_u32 v38, vcc_lo, v21, s44
	s_lshl_b64 s[48:49], s[24:25], 3
	v_add_co_ci_u32_e64 v39, null, s45, v22, vcc_lo
	v_add_co_u32 v40, vcc_lo, v21, s46
	v_mov_b32_e32 v44, s23
	v_add_co_ci_u32_e64 v41, null, s47, v22, vcc_lo
	v_add_co_u32 v42, vcc_lo, v21, s48
	v_add_co_ci_u32_e64 v43, null, s49, v22, vcc_lo
	flat_load_dwordx2 v[36:37], v[12:13]
	s_clause 0x1
	buffer_load_dword v45, v44, s[0:3], 0 offen offset:4
	buffer_load_dword v44, v44, s[0:3], 0 offen
	s_clause 0x2
	flat_load_dwordx2 v[38:39], v[38:39]
	flat_load_dwordx2 v[40:41], v[40:41]
	;; [unrolled: 1-line block ×3, first 2 shown]
	v_add_co_u32 v12, vcc_lo, v12, 8
	v_add_co_ci_u32_e64 v13, null, 0, v13, vcc_lo
	s_add_i32 s42, s42, -1
	s_add_i32 s23, s23, 8
	s_add_i32 s28, s28, 1
	;; [unrolled: 1-line block ×4, first 2 shown]
	s_cmp_lg_u32 s42, 0
	s_waitcnt vmcnt(4) lgkmcnt(3)
	v_mul_f32_e32 v46, v45, v37
	s_waitcnt vmcnt(3)
	v_mul_f32_e32 v37, v44, v37
	s_waitcnt vmcnt(2) lgkmcnt(2)
	v_mul_f32_e32 v47, v45, v39
	v_mul_f32_e32 v39, v44, v39
	s_waitcnt vmcnt(1) lgkmcnt(1)
	v_mul_f32_e32 v48, v45, v41
	;; [unrolled: 3-line block ×3, first 2 shown]
	v_mul_f32_e32 v43, v44, v43
	v_fmac_f32_e32 v46, v44, v36
	v_fma_f32 v36, v45, v36, -v37
	v_fmac_f32_e32 v47, v44, v38
	v_fma_f32 v37, v45, v38, -v39
	;; [unrolled: 2-line block ×4, first 2 shown]
	v_add_f32_e32 v14, v14, v46
	v_add_f32_e32 v35, v35, v36
	;; [unrolled: 1-line block ×8, first 2 shown]
	s_cbranch_scc1 .LBB326_46
	s_branch .LBB326_57
.LBB326_47:                             ;   in Loop: Header=BB326_13 Depth=1
	ds_read_b64 v[13:14], v33
	s_or_b32 exec_lo, exec_lo, s20
	s_and_saveexec_b32 s20, s4
	s_cbranch_execz .LBB326_21
.LBB326_48:                             ;   in Loop: Header=BB326_13 Depth=1
	s_waitcnt lgkmcnt(0)
	ds_bpermute_b32 v12, v30, v13
	ds_bpermute_b32 v35, v30, v14
	s_waitcnt lgkmcnt(1)
	v_add_f32_e32 v12, v13, v12
	s_waitcnt lgkmcnt(0)
	v_add_f32_e32 v13, v14, v35
	ds_bpermute_b32 v14, v31, v12
	ds_bpermute_b32 v35, v31, v13
	s_waitcnt lgkmcnt(1)
	v_add_f32_e32 v12, v12, v14
	s_waitcnt lgkmcnt(0)
	v_add_f32_e32 v14, v13, v35
	;; [unrolled: 6-line block ×3, first 2 shown]
	s_or_b32 exec_lo, exec_lo, s20
	s_and_saveexec_b32 s20, s4
	s_cbranch_execnz .LBB326_22
	s_branch .LBB326_23
.LBB326_49:                             ;   in Loop: Header=BB326_13 Depth=1
	ds_read_b64 v[15:16], v33
	s_or_b32 exec_lo, exec_lo, s20
	s_and_saveexec_b32 s20, s4
	s_cbranch_execz .LBB326_27
.LBB326_50:                             ;   in Loop: Header=BB326_13 Depth=1
	s_waitcnt lgkmcnt(0)
	ds_bpermute_b32 v12, v30, v15
	ds_bpermute_b32 v35, v30, v16
	s_waitcnt lgkmcnt(1)
	v_add_f32_e32 v12, v15, v12
	s_waitcnt lgkmcnt(0)
	v_add_f32_e32 v15, v16, v35
	ds_bpermute_b32 v16, v31, v12
	ds_bpermute_b32 v35, v31, v15
	s_waitcnt lgkmcnt(1)
	v_add_f32_e32 v12, v12, v16
	s_waitcnt lgkmcnt(0)
	v_add_f32_e32 v16, v15, v35
	;; [unrolled: 6-line block ×3, first 2 shown]
	s_or_b32 exec_lo, exec_lo, s20
	s_and_saveexec_b32 s20, s4
	s_cbranch_execnz .LBB326_28
	s_branch .LBB326_29
.LBB326_51:                             ;   in Loop: Header=BB326_13 Depth=1
	ds_read_b64 v[17:18], v33
	s_or_b32 exec_lo, exec_lo, s20
	s_and_saveexec_b32 s20, s4
	s_cbranch_execz .LBB326_33
.LBB326_52:                             ;   in Loop: Header=BB326_13 Depth=1
	s_waitcnt lgkmcnt(0)
	ds_bpermute_b32 v12, v30, v17
	ds_bpermute_b32 v35, v30, v18
	s_waitcnt lgkmcnt(1)
	v_add_f32_e32 v12, v17, v12
	s_waitcnt lgkmcnt(0)
	v_add_f32_e32 v17, v18, v35
	ds_bpermute_b32 v18, v31, v12
	ds_bpermute_b32 v35, v31, v17
	s_waitcnt lgkmcnt(1)
	v_add_f32_e32 v12, v12, v18
	s_waitcnt lgkmcnt(0)
	v_add_f32_e32 v18, v17, v35
	;; [unrolled: 6-line block ×3, first 2 shown]
	s_or_b32 exec_lo, exec_lo, s20
	s_and_saveexec_b32 s20, s4
	s_cbranch_execnz .LBB326_34
	s_branch .LBB326_35
.LBB326_53:                             ;   in Loop: Header=BB326_13 Depth=1
	ds_read_b64 v[19:20], v33
	s_or_b32 exec_lo, exec_lo, s20
	s_and_saveexec_b32 s20, s4
	s_cbranch_execz .LBB326_39
.LBB326_54:                             ;   in Loop: Header=BB326_13 Depth=1
	s_waitcnt lgkmcnt(0)
	ds_bpermute_b32 v12, v30, v19
	ds_bpermute_b32 v35, v30, v20
	s_waitcnt lgkmcnt(1)
	v_add_f32_e32 v12, v19, v12
	s_waitcnt lgkmcnt(0)
	v_add_f32_e32 v19, v20, v35
	ds_bpermute_b32 v20, v31, v12
	ds_bpermute_b32 v35, v31, v19
	s_waitcnt lgkmcnt(1)
	v_add_f32_e32 v12, v12, v20
	s_waitcnt lgkmcnt(0)
	v_add_f32_e32 v20, v19, v35
	;; [unrolled: 6-line block ×3, first 2 shown]
	s_or_b32 exec_lo, exec_lo, s20
	s_and_saveexec_b32 s23, s10
	s_cbranch_execz .LBB326_12
.LBB326_55:                             ;   in Loop: Header=BB326_13 Depth=1
	v_mul_f32_e32 v12, s17, v14
	v_mul_f32_e32 v36, s16, v14
	s_mul_i32 s20, s33, s14
	v_mul_f32_e32 v14, s17, v18
	s_add_i32 s20, s20, s6
	v_fma_f32 v35, v13, s16, -v12
	s_lshl_b64 s[24:25], s[20:21], 3
	v_fmac_f32_e32 v36, s17, v13
	s_add_u32 s24, s34, s24
	s_addc_u32 s25, s11, s25
	s_add_i32 s20, s20, s14
	v_mul_f32_e32 v12, s17, v16
	global_store_dwordx2 v11, v[35:36], s[24:25]
	v_mul_f32_e32 v13, s16, v16
	s_lshl_b64 s[24:25], s[20:21], 3
	v_mul_f32_e32 v16, s16, v18
	s_add_u32 s24, s34, s24
	s_addc_u32 s25, s11, s25
	s_add_i32 s20, s20, s14
	v_fma_f32 v12, v15, s16, -v12
	v_fmac_f32_e32 v13, s17, v15
	v_fma_f32 v15, v17, s16, -v14
	s_waitcnt lgkmcnt(0)
	v_mul_f32_e32 v14, s17, v20
	s_lshl_b64 s[26:27], s[20:21], 3
	v_mul_f32_e32 v18, s16, v20
	s_add_u32 s26, s34, s26
	s_addc_u32 s27, s11, s27
	s_add_i32 s20, s20, s14
	v_fmac_f32_e32 v16, s17, v17
	v_fma_f32 v17, v19, s16, -v14
	v_fmac_f32_e32 v18, s17, v19
	s_lshl_b64 s[28:29], s[20:21], 3
	global_store_dwordx2 v11, v[12:13], s[24:25]
	s_add_u32 s24, s34, s28
	s_addc_u32 s25, s11, s29
	global_store_dwordx2 v11, v[15:16], s[26:27]
	global_store_dwordx2 v11, v[17:18], s[24:25]
	s_branch .LBB326_12
.LBB326_56:                             ;   in Loop: Header=BB326_13 Depth=1
	v_mov_b32_e32 v14, 0
	v_mov_b32_e32 v35, 0
	;; [unrolled: 1-line block ×8, first 2 shown]
.LBB326_57:                             ;   in Loop: Header=BB326_13 Depth=1
	s_or_b32 exec_lo, exec_lo, s41
	s_or_b32 exec_lo, exec_lo, s20
	s_and_saveexec_b32 s20, s4
	s_cbranch_execnz .LBB326_16
	s_branch .LBB326_17
.LBB326_58:
	s_mov_b32 s33, 0
.LBB326_59:
	s_cmp_ge_i32 s33, s13
	s_cbranch_scc1 .LBB326_81
; %bb.60:
	v_cmp_gt_u32_e64 s5, 24, v25
	s_cmp_gt_i32 s31, 0
	s_mov_b32 s7, 0
	s_cselect_b32 s22, -1, 0
	s_lshl_b64 s[20:21], s[6:7], 3
	v_cndmask_b32_e64 v2, 0, 8, s5
	v_cmp_gt_u32_e64 s5, 28, v25
	v_cmp_ge_i32_e64 s10, s12, v27
	v_cmp_gt_u32_e64 s4, 32, v0
	v_lshlrev_b32_e32 v13, 3, v24
	v_add_lshl_u32 v15, v2, v25, 2
	v_cndmask_b32_e64 v3, 0, 4, s5
	v_cmp_gt_u32_e64 s5, 30, v25
	v_ashrrev_i32_e32 v2, 31, v1
	v_lshl_or_b32 v14, v25, 2, 64
	s_waitcnt lgkmcnt(0)
	v_and_b32_e32 v19, 56, v23
	v_add_lshl_u32 v16, v3, v25, 2
	v_cndmask_b32_e64 v4, 0, 2, s5
	v_cmp_ne_u32_e64 s5, 31, v25
	v_add_nc_u32_e32 v3, s15, v1
	v_lshlrev_b64 v[7:8], 3, v[1:2]
	v_cmp_gt_u32_e64 s8, 8, v0
	v_add_lshl_u32 v17, v4, v25, 2
	v_add_co_ci_u32_e64 v5, null, 0, v25, s5
	v_ashrrev_i32_e32 v4, 31, v3
	v_add_co_u32 v2, s6, s18, v7
	v_lshlrev_b32_e32 v18, 2, v5
	v_add_nc_u32_e32 v5, s15, v3
	v_lshlrev_b64 v[9:10], 3, v[3:4]
	v_add_co_ci_u32_e64 v3, null, s19, v8, s6
	v_cmp_eq_u32_e64 s5, 0, v24
	v_add_nc_u32_e32 v11, s15, v5
	v_ashrrev_i32_e32 v6, 31, v5
	v_add_co_u32 v4, s6, s18, v9
	v_cmp_eq_u32_e64 s9, 0, v0
	v_ashrrev_i32_e32 v12, 31, v11
	v_lshlrev_b64 v[6:7], 3, v[5:6]
	v_add_co_ci_u32_e64 v5, null, s19, v10, s6
	v_mov_b32_e32 v10, 0
	v_lshlrev_b64 v[8:9], 3, v[11:12]
	s_add_u32 s7, s34, s20
	v_add_co_u32 v6, s6, s18, v6
	v_add_co_ci_u32_e64 v7, null, s19, v7, s6
	v_add_co_u32 v8, s6, s18, v8
	v_add_co_ci_u32_e64 v9, null, s19, v9, s6
	v_cmp_ge_i32_e32 vcc_lo, s12, v26
	s_addc_u32 s12, s11, s21
	s_and_b32 s20, s22, s10
	s_mul_i32 s10, s33, s30
	s_branch .LBB326_62
.LBB326_61:                             ;   in Loop: Header=BB326_62 Depth=1
	s_or_b32 exec_lo, exec_lo, s6
	s_add_i32 s33, s33, 1
	s_add_i32 s10, s10, s30
	s_cmp_lt_i32 s33, s13
	s_cbranch_scc0 .LBB326_81
.LBB326_62:                             ; =>This Loop Header: Depth=1
                                        ;     Child Loop BB326_74 Depth 2
                                        ;     Child Loop BB326_76 Depth 2
                                        ; implicit-def: $vgpr0
                                        ; implicit-def: $vgpr20
	s_and_saveexec_b32 s6, vcc_lo
	s_xor_b32 s11, exec_lo, s6
	s_cbranch_execnz .LBB326_71
; %bb.63:                               ;   in Loop: Header=BB326_62 Depth=1
	s_andn2_saveexec_b32 s21, s11
	s_cbranch_execnz .LBB326_72
.LBB326_64:                             ;   in Loop: Header=BB326_62 Depth=1
	s_or_b32 exec_lo, exec_lo, s21
	s_and_saveexec_b32 s6, s4
	s_cbranch_execz .LBB326_66
.LBB326_65:                             ;   in Loop: Header=BB326_62 Depth=1
	s_waitcnt lgkmcnt(0)
	v_mov_b32_e32 v11, v10
	ds_write_b64 v13, v[10:11]
.LBB326_66:                             ;   in Loop: Header=BB326_62 Depth=1
	s_or_b32 exec_lo, exec_lo, s6
	s_waitcnt lgkmcnt(0)
	ds_bpermute_b32 v11, v14, v0
	ds_bpermute_b32 v12, v14, v20
	s_waitcnt lgkmcnt(0)
	s_waitcnt_vscnt null, 0x0
	s_barrier
	buffer_gl0_inv
	v_add_f32_e32 v0, v0, v11
	v_add_f32_e32 v11, v20, v12
	ds_bpermute_b32 v12, v15, v0
	ds_bpermute_b32 v20, v15, v11
	s_waitcnt lgkmcnt(1)
	v_add_f32_e32 v0, v0, v12
	s_waitcnt lgkmcnt(0)
	v_add_f32_e32 v11, v11, v20
	ds_bpermute_b32 v12, v16, v0
	ds_bpermute_b32 v20, v16, v11
	s_waitcnt lgkmcnt(1)
	v_add_f32_e32 v0, v0, v12
	s_waitcnt lgkmcnt(0)
	;; [unrolled: 6-line block ×3, first 2 shown]
	v_add_f32_e32 v11, v11, v20
	ds_bpermute_b32 v12, v18, v0
	ds_bpermute_b32 v20, v18, v11
	s_and_saveexec_b32 s6, s5
	s_cbranch_execz .LBB326_68
; %bb.67:                               ;   in Loop: Header=BB326_62 Depth=1
	s_waitcnt lgkmcnt(0)
	v_add_f32_e32 v24, v11, v20
	v_add_f32_e32 v23, v0, v12
	ds_write_b64 v19, v[23:24]
.LBB326_68:                             ;   in Loop: Header=BB326_62 Depth=1
	s_or_b32 exec_lo, exec_lo, s6
	s_waitcnt lgkmcnt(1)
	v_mov_b32_e32 v12, 0
	v_mov_b32_e32 v11, 0
	s_waitcnt lgkmcnt(0)
	s_barrier
	buffer_gl0_inv
	s_and_saveexec_b32 s6, s8
	s_cbranch_execnz .LBB326_78
; %bb.69:                               ;   in Loop: Header=BB326_62 Depth=1
	s_or_b32 exec_lo, exec_lo, s6
	s_and_saveexec_b32 s6, s4
	s_cbranch_execnz .LBB326_79
.LBB326_70:                             ;   in Loop: Header=BB326_62 Depth=1
	s_or_b32 exec_lo, exec_lo, s6
	s_and_saveexec_b32 s6, s9
	s_cbranch_execz .LBB326_61
	s_branch .LBB326_80
.LBB326_71:                             ;   in Loop: Header=BB326_62 Depth=1
	s_mul_i32 s22, s33, s30
	s_ashr_i32 s23, s22, 31
	s_lshl_b64 s[22:23], s[22:23], 3
	s_waitcnt lgkmcnt(0)
	v_add_co_u32 v11, s6, v21, s22
	v_add_co_ci_u32_e64 v12, null, s23, v22, s6
	flat_load_dwordx4 v[23:26], v[11:12]
	s_clause 0x1
	flat_load_dwordx2 v[31:32], v[2:3]
	flat_load_dwordx2 v[33:34], v[4:5]
	flat_load_dwordx4 v[27:30], v[11:12] offset:16
	s_clause 0x1
	flat_load_dwordx2 v[11:12], v[6:7]
	flat_load_dwordx2 v[35:36], v[8:9]
	s_waitcnt vmcnt(4) lgkmcnt(4)
	v_mul_f32_e32 v0, v24, v32
	v_mul_f32_e32 v20, v24, v31
	s_waitcnt vmcnt(3) lgkmcnt(3)
	v_mul_f32_e32 v24, v26, v34
	v_mul_f32_e32 v26, v26, v33
	s_waitcnt vmcnt(1) lgkmcnt(1)
	v_mul_f32_e32 v37, v28, v12
	v_fmac_f32_e32 v0, v23, v31
	v_fma_f32 v20, v23, v32, -v20
	v_mul_f32_e32 v28, v28, v11
	v_fmac_f32_e32 v24, v25, v33
	v_fma_f32 v25, v25, v34, -v26
	v_add_f32_e32 v0, 0, v0
	v_add_f32_e32 v20, 0, v20
	s_waitcnt vmcnt(0) lgkmcnt(0)
	v_mul_f32_e32 v23, v30, v36
	v_mul_f32_e32 v26, v30, v35
	v_fmac_f32_e32 v37, v27, v11
	v_fma_f32 v27, v27, v12, -v28
	v_add_f32_e32 v0, v0, v24
	v_add_f32_e32 v20, v20, v25
	v_fmac_f32_e32 v23, v29, v35
	v_fma_f32 v24, v29, v36, -v26
	buffer_store_dword v32, off, s[0:3], 0 offset:4
	v_add_f32_e32 v0, v0, v37
	v_add_f32_e32 v20, v20, v27
	buffer_store_dword v31, off, s[0:3], 0
	buffer_store_dword v34, off, s[0:3], 0 offset:12
	buffer_store_dword v33, off, s[0:3], 0 offset:8
	;; [unrolled: 1-line block ×6, first 2 shown]
	v_add_f32_e32 v0, v0, v23
	v_add_f32_e32 v20, v20, v24
	s_andn2_saveexec_b32 s21, s11
	s_cbranch_execz .LBB326_64
.LBB326_72:                             ;   in Loop: Header=BB326_62 Depth=1
	v_mov_b32_e32 v0, 0
	v_mov_b32_e32 v20, 0
	s_and_saveexec_b32 s22, s20
	s_cbranch_execz .LBB326_77
; %bb.73:                               ;   in Loop: Header=BB326_62 Depth=1
	s_waitcnt lgkmcnt(0)
	v_mov_b32_e32 v11, v1
	s_mov_b32 s11, 0
	s_mov_b32 s23, s31
	.p2align	6
.LBB326_74:                             ;   Parent Loop BB326_62 Depth=1
                                        ; =>  This Inner Loop Header: Depth=2
	v_ashrrev_i32_e32 v12, 31, v11
	v_mov_b32_e32 v0, s11
	s_add_i32 s23, s23, -1
	s_add_i32 s11, s11, 8
	s_cmp_eq_u32 s23, 0
	v_lshlrev_b64 v[23:24], 3, v[11:12]
	v_add_nc_u32_e32 v11, s15, v11
	v_add_co_u32 v23, s6, s18, v23
	v_add_co_ci_u32_e64 v24, null, s19, v24, s6
	flat_load_dwordx2 v[23:24], v[23:24]
	s_waitcnt vmcnt(0) lgkmcnt(0)
	buffer_store_dword v24, v0, s[0:3], 0 offen offset:4
	buffer_store_dword v23, v0, s[0:3], 0 offen
	s_cbranch_scc0 .LBB326_74
; %bb.75:                               ;   in Loop: Header=BB326_62 Depth=1
	s_ashr_i32 s11, s10, 31
	v_mov_b32_e32 v0, 0
	s_lshl_b64 s[24:25], s[10:11], 3
	v_mov_b32_e32 v20, 0
	v_add_co_u32 v11, s6, v21, s24
	v_add_co_ci_u32_e64 v12, null, s25, v22, s6
	s_mov_b32 s11, 0
	s_mov_b32 s23, s31
	.p2align	6
.LBB326_76:                             ;   Parent Loop BB326_62 Depth=1
                                        ; =>  This Inner Loop Header: Depth=2
	v_mov_b32_e32 v25, s11
	flat_load_dwordx2 v[23:24], v[11:12]
	v_add_co_u32 v11, s6, v11, 8
	v_add_co_ci_u32_e64 v12, null, 0, v12, s6
	s_clause 0x1
	buffer_load_dword v26, v25, s[0:3], 0 offen offset:4
	buffer_load_dword v25, v25, s[0:3], 0 offen
	s_add_i32 s23, s23, -1
	s_add_i32 s11, s11, 8
	s_cmp_lg_u32 s23, 0
	s_waitcnt vmcnt(1) lgkmcnt(0)
	v_mul_f32_e32 v27, v24, v26
	s_waitcnt vmcnt(0)
	v_mul_f32_e32 v24, v24, v25
	v_fmac_f32_e32 v27, v23, v25
	v_fma_f32 v23, v23, v26, -v24
	v_add_f32_e32 v0, v0, v27
	v_add_f32_e32 v20, v20, v23
	s_cbranch_scc1 .LBB326_76
.LBB326_77:                             ;   in Loop: Header=BB326_62 Depth=1
	s_or_b32 exec_lo, exec_lo, s22
	s_or_b32 exec_lo, exec_lo, s21
	s_and_saveexec_b32 s6, s4
	s_cbranch_execnz .LBB326_65
	s_branch .LBB326_66
.LBB326_78:                             ;   in Loop: Header=BB326_62 Depth=1
	ds_read_b64 v[11:12], v13
	s_or_b32 exec_lo, exec_lo, s6
	s_and_saveexec_b32 s6, s4
	s_cbranch_execz .LBB326_70
.LBB326_79:                             ;   in Loop: Header=BB326_62 Depth=1
	s_waitcnt lgkmcnt(0)
	ds_bpermute_b32 v0, v16, v11
	ds_bpermute_b32 v20, v16, v12
	s_waitcnt lgkmcnt(1)
	v_add_f32_e32 v0, v11, v0
	s_waitcnt lgkmcnt(0)
	v_add_f32_e32 v11, v12, v20
	ds_bpermute_b32 v12, v17, v0
	ds_bpermute_b32 v20, v17, v11
	s_waitcnt lgkmcnt(1)
	v_add_f32_e32 v0, v0, v12
	s_waitcnt lgkmcnt(0)
	v_add_f32_e32 v12, v11, v20
	;; [unrolled: 6-line block ×3, first 2 shown]
	s_or_b32 exec_lo, exec_lo, s6
	s_and_saveexec_b32 s6, s9
	s_cbranch_execz .LBB326_61
.LBB326_80:                             ;   in Loop: Header=BB326_62 Depth=1
	s_waitcnt lgkmcnt(0)
	v_mul_f32_e32 v0, s17, v12
	v_mul_f32_e32 v24, s16, v12
	s_mul_hi_u32 s23, s33, s14
	s_mul_i32 s22, s33, s14
	s_lshl_b64 s[22:23], s[22:23], 3
	v_fma_f32 v23, v11, s16, -v0
	v_fmac_f32_e32 v24, s17, v11
	s_add_u32 s22, s7, s22
	s_addc_u32 s23, s12, s23
	global_store_dwordx2 v10, v[23:24], s[22:23]
	s_branch .LBB326_61
.LBB326_81:
	s_endpgm
	.section	.rodata,"a",@progbits
	.p2align	6, 0x0
	.amdhsa_kernel _ZL23rocblas_gemvt_sn_kernelILb1ELi256ELi4EiPK19rocblas_complex_numIfES3_S1_EviiT4_lPKT3_lilS7_lilPT5_i
		.amdhsa_group_segment_fixed_size 256
		.amdhsa_private_segment_fixed_size 48
		.amdhsa_kernarg_size 360
		.amdhsa_user_sgpr_count 6
		.amdhsa_user_sgpr_private_segment_buffer 1
		.amdhsa_user_sgpr_dispatch_ptr 0
		.amdhsa_user_sgpr_queue_ptr 0
		.amdhsa_user_sgpr_kernarg_segment_ptr 1
		.amdhsa_user_sgpr_dispatch_id 0
		.amdhsa_user_sgpr_flat_scratch_init 0
		.amdhsa_user_sgpr_private_segment_size 0
		.amdhsa_wavefront_size32 1
		.amdhsa_uses_dynamic_stack 0
		.amdhsa_system_sgpr_private_segment_wavefront_offset 1
		.amdhsa_system_sgpr_workgroup_id_x 1
		.amdhsa_system_sgpr_workgroup_id_y 0
		.amdhsa_system_sgpr_workgroup_id_z 1
		.amdhsa_system_sgpr_workgroup_info 0
		.amdhsa_system_vgpr_workitem_id 0
		.amdhsa_next_free_vgpr 61
		.amdhsa_next_free_sgpr 50
		.amdhsa_reserve_vcc 1
		.amdhsa_reserve_flat_scratch 1
		.amdhsa_float_round_mode_32 0
		.amdhsa_float_round_mode_16_64 0
		.amdhsa_float_denorm_mode_32 3
		.amdhsa_float_denorm_mode_16_64 3
		.amdhsa_dx10_clamp 1
		.amdhsa_ieee_mode 1
		.amdhsa_fp16_overflow 0
		.amdhsa_workgroup_processor_mode 1
		.amdhsa_memory_ordered 1
		.amdhsa_forward_progress 1
		.amdhsa_shared_vgpr_count 0
		.amdhsa_exception_fp_ieee_invalid_op 0
		.amdhsa_exception_fp_denorm_src 0
		.amdhsa_exception_fp_ieee_div_zero 0
		.amdhsa_exception_fp_ieee_overflow 0
		.amdhsa_exception_fp_ieee_underflow 0
		.amdhsa_exception_fp_ieee_inexact 0
		.amdhsa_exception_int_div_zero 0
	.end_amdhsa_kernel
	.section	.text._ZL23rocblas_gemvt_sn_kernelILb1ELi256ELi4EiPK19rocblas_complex_numIfES3_S1_EviiT4_lPKT3_lilS7_lilPT5_i,"axG",@progbits,_ZL23rocblas_gemvt_sn_kernelILb1ELi256ELi4EiPK19rocblas_complex_numIfES3_S1_EviiT4_lPKT3_lilS7_lilPT5_i,comdat
.Lfunc_end326:
	.size	_ZL23rocblas_gemvt_sn_kernelILb1ELi256ELi4EiPK19rocblas_complex_numIfES3_S1_EviiT4_lPKT3_lilS7_lilPT5_i, .Lfunc_end326-_ZL23rocblas_gemvt_sn_kernelILb1ELi256ELi4EiPK19rocblas_complex_numIfES3_S1_EviiT4_lPKT3_lilS7_lilPT5_i
                                        ; -- End function
	.set _ZL23rocblas_gemvt_sn_kernelILb1ELi256ELi4EiPK19rocblas_complex_numIfES3_S1_EviiT4_lPKT3_lilS7_lilPT5_i.num_vgpr, 61
	.set _ZL23rocblas_gemvt_sn_kernelILb1ELi256ELi4EiPK19rocblas_complex_numIfES3_S1_EviiT4_lPKT3_lilS7_lilPT5_i.num_agpr, 0
	.set _ZL23rocblas_gemvt_sn_kernelILb1ELi256ELi4EiPK19rocblas_complex_numIfES3_S1_EviiT4_lPKT3_lilS7_lilPT5_i.numbered_sgpr, 50
	.set _ZL23rocblas_gemvt_sn_kernelILb1ELi256ELi4EiPK19rocblas_complex_numIfES3_S1_EviiT4_lPKT3_lilS7_lilPT5_i.num_named_barrier, 0
	.set _ZL23rocblas_gemvt_sn_kernelILb1ELi256ELi4EiPK19rocblas_complex_numIfES3_S1_EviiT4_lPKT3_lilS7_lilPT5_i.private_seg_size, 48
	.set _ZL23rocblas_gemvt_sn_kernelILb1ELi256ELi4EiPK19rocblas_complex_numIfES3_S1_EviiT4_lPKT3_lilS7_lilPT5_i.uses_vcc, 1
	.set _ZL23rocblas_gemvt_sn_kernelILb1ELi256ELi4EiPK19rocblas_complex_numIfES3_S1_EviiT4_lPKT3_lilS7_lilPT5_i.uses_flat_scratch, 1
	.set _ZL23rocblas_gemvt_sn_kernelILb1ELi256ELi4EiPK19rocblas_complex_numIfES3_S1_EviiT4_lPKT3_lilS7_lilPT5_i.has_dyn_sized_stack, 0
	.set _ZL23rocblas_gemvt_sn_kernelILb1ELi256ELi4EiPK19rocblas_complex_numIfES3_S1_EviiT4_lPKT3_lilS7_lilPT5_i.has_recursion, 0
	.set _ZL23rocblas_gemvt_sn_kernelILb1ELi256ELi4EiPK19rocblas_complex_numIfES3_S1_EviiT4_lPKT3_lilS7_lilPT5_i.has_indirect_call, 0
	.section	.AMDGPU.csdata,"",@progbits
; Kernel info:
; codeLenInByte = 5496
; TotalNumSgprs: 52
; NumVgprs: 61
; ScratchSize: 48
; MemoryBound: 0
; FloatMode: 240
; IeeeMode: 1
; LDSByteSize: 256 bytes/workgroup (compile time only)
; SGPRBlocks: 0
; VGPRBlocks: 7
; NumSGPRsForWavesPerEU: 52
; NumVGPRsForWavesPerEU: 61
; Occupancy: 16
; WaveLimiterHint : 0
; COMPUTE_PGM_RSRC2:SCRATCH_EN: 1
; COMPUTE_PGM_RSRC2:USER_SGPR: 6
; COMPUTE_PGM_RSRC2:TRAP_HANDLER: 0
; COMPUTE_PGM_RSRC2:TGID_X_EN: 1
; COMPUTE_PGM_RSRC2:TGID_Y_EN: 0
; COMPUTE_PGM_RSRC2:TGID_Z_EN: 1
; COMPUTE_PGM_RSRC2:TIDIG_COMP_CNT: 0
	.section	.text._ZL23rocblas_gemvt_sn_kernelILb1ELi256ELi4ElPK19rocblas_complex_numIfES3_S1_EviiT4_lPKT3_lilS7_lilPT5_i,"axG",@progbits,_ZL23rocblas_gemvt_sn_kernelILb1ELi256ELi4ElPK19rocblas_complex_numIfES3_S1_EviiT4_lPKT3_lilS7_lilPT5_i,comdat
	.globl	_ZL23rocblas_gemvt_sn_kernelILb1ELi256ELi4ElPK19rocblas_complex_numIfES3_S1_EviiT4_lPKT3_lilS7_lilPT5_i ; -- Begin function _ZL23rocblas_gemvt_sn_kernelILb1ELi256ELi4ElPK19rocblas_complex_numIfES3_S1_EviiT4_lPKT3_lilS7_lilPT5_i
	.p2align	8
	.type	_ZL23rocblas_gemvt_sn_kernelILb1ELi256ELi4ElPK19rocblas_complex_numIfES3_S1_EviiT4_lPKT3_lilS7_lilPT5_i,@function
_ZL23rocblas_gemvt_sn_kernelILb1ELi256ELi4ElPK19rocblas_complex_numIfES3_S1_EviiT4_lPKT3_lilS7_lilPT5_i: ; @_ZL23rocblas_gemvt_sn_kernelILb1ELi256ELi4ElPK19rocblas_complex_numIfES3_S1_EviiT4_lPKT3_lilS7_lilPT5_i
; %bb.0:
	s_add_u32 s0, s0, s8
	s_load_dwordx8 s[8:15], s[4:5], 0x8
	s_mov_b32 s18, s7
	s_addc_u32 s1, s1, 0
	s_mov_b32 s19, 0
	s_mov_b64 s[22:23], 0
	s_mov_b64 s[20:21], 0
	s_waitcnt lgkmcnt(0)
	s_mul_i32 s7, s11, s7
	s_mul_hi_u32 s11, s10, s18
	s_mul_i32 s10, s10, s18
	s_add_i32 s11, s11, s7
	s_lshl_b64 s[10:11], s[10:11], 3
	s_add_u32 s8, s8, s10
	s_addc_u32 s9, s9, s11
	s_load_dwordx2 s[16:17], s[8:9], 0x0
	s_waitcnt lgkmcnt(0)
	s_or_b32 s7, s16, s17
	s_and_b32 s8, s7, 0x7fffffff
	s_cmp_lg_u32 s8, 0
	s_cselect_b32 s7, -1, 0
	s_cmp_eq_u32 s8, 0
	s_cselect_b32 s10, -1, 0
	s_and_b32 vcc_lo, exec_lo, s10
	s_cbranch_vccnz .LBB327_2
; %bb.1:
	s_lshl_b64 s[8:9], s[18:19], 3
	s_add_u32 s8, s12, s8
	s_addc_u32 s9, s13, s9
	s_lshl_b64 s[12:13], s[14:15], 3
	s_load_dwordx2 s[8:9], s[8:9], 0x0
	s_waitcnt lgkmcnt(0)
	s_add_u32 s20, s8, s12
	s_addc_u32 s21, s9, s13
.LBB327_2:
	s_andn2_b32 vcc_lo, exec_lo, s7
	s_cbranch_vccnz .LBB327_4
; %bb.3:
	s_load_dwordx4 s[12:15], s[4:5], 0x38
	s_lshl_b64 s[8:9], s[18:19], 3
	s_waitcnt lgkmcnt(0)
	s_add_u32 s8, s12, s8
	s_addc_u32 s9, s13, s9
	s_lshl_b64 s[12:13], s[14:15], 3
	s_load_dwordx2 s[8:9], s[8:9], 0x0
	s_waitcnt lgkmcnt(0)
	s_add_u32 s22, s8, s12
	s_addc_u32 s23, s9, s13
.LBB327_4:
	s_clause 0x2
	s_load_dwordx2 s[12:13], s[4:5], 0x0
	s_load_dword s14, s[4:5], 0x68
	s_load_dwordx2 s[8:9], s[4:5], 0x58
	s_andn2_b32 vcc_lo, exec_lo, s10
	v_cmp_eq_u32_e64 s7, 0, v0
	s_mov_b32 s15, 0
	s_waitcnt lgkmcnt(0)
	s_ashr_i32 s26, s13, 31
	s_mul_hi_u32 s10, s13, s18
	s_mul_i32 s11, s26, s18
	s_mul_i32 s18, s13, s18
	s_add_i32 s10, s10, s11
	s_mul_hi_u32 s11, s18, s14
	s_mul_i32 s19, s10, s14
	s_mul_i32 s10, s18, s14
	s_add_i32 s11, s11, s19
	s_mov_b32 s18, -1
	s_cbranch_vccnz .LBB327_9
; %bb.5:
	s_cmp_gt_i32 s13, 0
	s_cselect_b32 s18, -1, 0
	s_and_b32 s7, s7, s18
	s_and_saveexec_b32 s27, s7
	s_cbranch_execz .LBB327_8
; %bb.6:
	s_mov_b32 s7, 0
	v_mov_b32_e32 v1, 0
	s_lshl_b64 s[18:19], s[10:11], 3
	s_lshl_b64 s[24:25], s[6:7], 3
	s_add_u32 s7, s18, s24
	s_addc_u32 s18, s19, s25
	s_add_u32 s7, s8, s7
	v_mov_b32_e32 v2, v1
	s_addc_u32 s19, s9, s18
	s_add_u32 s18, s7, 4
	s_addc_u32 s19, s19, 0
	s_lshl_b64 s[24:25], s[14:15], 3
	s_mov_b32 s7, s13
.LBB327_7:                              ; =>This Inner Loop Header: Depth=1
	s_add_i32 s7, s7, -1
	global_store_dwordx2 v1, v[1:2], s[18:19] offset:-4
	s_add_u32 s18, s18, s24
	s_addc_u32 s19, s19, s25
	s_cmp_eq_u32 s7, 0
	s_cbranch_scc0 .LBB327_7
.LBB327_8:
	s_or_b32 exec_lo, exec_lo, s27
	s_mov_b32 s18, 0
.LBB327_9:
	s_andn2_b32 vcc_lo, exec_lo, s18
	s_cbranch_vccnz .LBB327_81
; %bb.10:
	s_clause 0x1
	s_load_dword s18, s[4:5], 0x28
	s_load_dword s24, s[4:5], 0x48
	s_lshl_b64 s[10:11], s[10:11], 3
	v_and_b32_e32 v28, 31, v0
	v_cmp_gt_u32_e64 s4, 32, v0
	v_mbcnt_lo_u32_b32 v30, -1, 0
	v_cmp_gt_u32_e64 s5, 8, v0
	v_lshrrev_b32_e32 v31, 2, v0
	s_waitcnt lgkmcnt(0)
	s_ashr_i32 s19, s18, 31
	s_ashr_i32 s25, s24, 31
	s_add_u32 s33, s8, s10
	s_addc_u32 s34, s9, s11
	s_lshl_b32 s7, s6, 10
	s_ashr_i32 s8, s12, 31
	v_lshl_or_b32 v5, v0, 2, s7
	s_lshr_b32 s7, s26, 30
	s_lshr_b32 s8, s8, 30
	s_add_i32 s7, s13, s7
	s_add_i32 s8, s12, s8
	v_ashrrev_i32_e32 v6, 31, v5
	s_and_b32 s35, s7, -4
	s_and_b32 s7, s8, -4
	v_add_nc_u32_e32 v32, 4, v5
	s_sub_i32 s15, s12, s7
	v_lshlrev_b64 v[3:4], 3, v[5:6]
	v_or_b32_e32 v29, 1, v5
	v_or_b32_e32 v27, 2, v5
	v_add_nc_u32_e32 v33, s15, v5
	v_or_b32_e32 v26, 3, v5
	s_cmp_lt_i32 s35, 1
	v_add_co_u32 v1, vcc_lo, s20, v3
	v_add_co_ci_u32_e64 v2, null, s21, v4, vcc_lo
	s_cbranch_scc1 .LBB327_58
; %bb.11:
	v_cmp_gt_u32_e32 vcc_lo, 24, v30
	v_mad_i64_i32 v[10:11], null, s24, v27, 0
	v_mad_i64_i32 v[12:13], null, s24, v26, 0
	v_cndmask_b32_e64 v6, 0, 8, vcc_lo
	v_cmp_gt_u32_e32 vcc_lo, 28, v30
	s_cmp_gt_i32 s15, 0
	s_mov_b32 s7, 0
	v_lshlrev_b64 v[10:11], 3, v[10:11]
	v_add_lshl_u32 v35, v6, v30, 2
	v_cndmask_b32_e64 v7, 0, 4, vcc_lo
	v_cmp_gt_u32_e32 vcc_lo, 30, v30
	v_lshlrev_b64 v[12:13], 3, v[12:13]
	v_mov_b32_e32 v17, v2
	v_cmp_ge_i32_e64 s8, s12, v32
	v_add_lshl_u32 v36, v7, v30, 2
	v_cndmask_b32_e64 v8, 0, 2, vcc_lo
	v_cmp_ne_u32_e32 vcc_lo, 31, v30
	v_mad_i64_i32 v[6:7], null, s24, v5, 0
	v_cmp_ge_i32_e64 s9, s12, v33
	v_add_lshl_u32 v37, v8, v30, 2
	v_add_co_ci_u32_e64 v9, null, 0, v30, vcc_lo
	s_cselect_b32 s36, -1, 0
	v_lshl_or_b32 v34, v30, 2, 64
	v_lshlrev_b64 v[6:7], 3, v[6:7]
	v_lshlrev_b32_e32 v38, 2, v9
	v_mad_i64_i32 v[8:9], null, s24, v29, 0
	v_cmp_eq_u32_e64 s10, 0, v28
	v_lshlrev_b32_e32 v39, 3, v28
	v_add_co_u32 v6, vcc_lo, s22, v6
	v_add_co_ci_u32_e64 v7, null, s23, v7, vcc_lo
	v_lshlrev_b64 v[8:9], 3, v[8:9]
	v_and_b32_e32 v40, 56, v31
	s_lshl_b64 s[26:27], s[6:7], 3
	v_cmp_eq_u32_e64 s11, 0, v0
	v_mov_b32_e32 v14, 0
	v_mov_b32_e32 v16, v1
	v_add_co_u32 v8, vcc_lo, s22, v8
	v_add_co_ci_u32_e64 v9, null, s23, v9, vcc_lo
	v_add_co_u32 v10, vcc_lo, s22, v10
	v_add_co_ci_u32_e64 v11, null, s23, v11, vcc_lo
	;; [unrolled: 2-line block ×3, first 2 shown]
	s_add_u32 s37, s33, s26
	s_addc_u32 s38, s34, s27
	s_lshl_b64 s[26:27], s[24:25], 3
	s_lshl_b64 s[28:29], s[18:19], 5
	;; [unrolled: 1-line block ×3, first 2 shown]
	s_branch .LBB327_13
.LBB327_12:                             ;   in Loop: Header=BB327_13 Depth=1
	s_or_b32 exec_lo, exec_lo, s39
	v_add_co_u32 v16, vcc_lo, v16, s28
	v_add_co_ci_u32_e64 v17, null, s29, v17, vcc_lo
	s_add_i32 s7, s7, 4
	s_cmp_ge_i32 s7, s35
	s_cbranch_scc1 .LBB327_59
.LBB327_13:                             ; =>This Loop Header: Depth=1
                                        ;     Child Loop BB327_44 Depth 2
                                        ;     Child Loop BB327_46 Depth 2
                                        ; implicit-def: $vgpr41
                                        ; implicit-def: $vgpr42
                                        ; implicit-def: $vgpr20
                                        ; implicit-def: $vgpr21
                                        ; implicit-def: $vgpr22
                                        ; implicit-def: $vgpr23
                                        ; implicit-def: $vgpr25
                                        ; implicit-def: $vgpr24
	s_and_saveexec_b32 s39, s8
	s_xor_b32 s39, exec_lo, s39
	s_cbranch_execnz .LBB327_40
; %bb.14:                               ;   in Loop: Header=BB327_13 Depth=1
	s_andn2_saveexec_b32 s39, s39
	s_cbranch_execnz .LBB327_41
.LBB327_15:                             ;   in Loop: Header=BB327_13 Depth=1
	s_or_b32 exec_lo, exec_lo, s39
	s_and_saveexec_b32 s39, s4
.LBB327_16:                             ;   in Loop: Header=BB327_13 Depth=1
	v_mov_b32_e32 v15, v14
	ds_write_b64 v39, v[14:15]
.LBB327_17:                             ;   in Loop: Header=BB327_13 Depth=1
	s_or_b32 exec_lo, exec_lo, s39
	ds_bpermute_b32 v15, v34, v41
	ds_bpermute_b32 v18, v34, v42
	s_waitcnt lgkmcnt(0)
	s_waitcnt_vscnt null, 0x0
	s_barrier
	buffer_gl0_inv
	v_add_f32_e32 v15, v41, v15
	v_add_f32_e32 v18, v42, v18
	ds_bpermute_b32 v19, v35, v15
	ds_bpermute_b32 v41, v35, v18
	s_waitcnt lgkmcnt(1)
	v_add_f32_e32 v15, v15, v19
	s_waitcnt lgkmcnt(0)
	v_add_f32_e32 v18, v18, v41
	ds_bpermute_b32 v19, v36, v15
	ds_bpermute_b32 v41, v36, v18
	s_waitcnt lgkmcnt(1)
	v_add_f32_e32 v15, v15, v19
	s_waitcnt lgkmcnt(0)
	;; [unrolled: 6-line block ×3, first 2 shown]
	v_add_f32_e32 v18, v18, v41
	ds_bpermute_b32 v19, v38, v15
	ds_bpermute_b32 v41, v38, v18
	s_and_saveexec_b32 s39, s10
	s_cbranch_execz .LBB327_19
; %bb.18:                               ;   in Loop: Header=BB327_13 Depth=1
	s_waitcnt lgkmcnt(0)
	v_add_f32_e32 v42, v18, v41
	v_add_f32_e32 v41, v15, v19
	ds_write_b64 v40, v[41:42]
.LBB327_19:                             ;   in Loop: Header=BB327_13 Depth=1
	s_or_b32 exec_lo, exec_lo, s39
	s_waitcnt lgkmcnt(1)
	v_mov_b32_e32 v19, 0
	v_mov_b32_e32 v18, 0
	s_waitcnt lgkmcnt(0)
	s_barrier
	buffer_gl0_inv
	s_and_saveexec_b32 s39, s5
	s_cbranch_execnz .LBB327_47
; %bb.20:                               ;   in Loop: Header=BB327_13 Depth=1
	s_or_b32 exec_lo, exec_lo, s39
	s_and_saveexec_b32 s39, s4
	s_cbranch_execnz .LBB327_48
.LBB327_21:                             ;   in Loop: Header=BB327_13 Depth=1
	s_or_b32 exec_lo, exec_lo, s39
	s_and_saveexec_b32 s39, s4
.LBB327_22:                             ;   in Loop: Header=BB327_13 Depth=1
	v_mov_b32_e32 v15, v14
	ds_write_b64 v39, v[14:15]
.LBB327_23:                             ;   in Loop: Header=BB327_13 Depth=1
	s_or_b32 exec_lo, exec_lo, s39
	ds_bpermute_b32 v15, v34, v20
	ds_bpermute_b32 v41, v34, v21
	s_waitcnt lgkmcnt(0)
	s_barrier
	buffer_gl0_inv
	v_add_f32_e32 v15, v20, v15
	v_add_f32_e32 v20, v21, v41
	ds_bpermute_b32 v21, v35, v15
	ds_bpermute_b32 v41, v35, v20
	s_waitcnt lgkmcnt(1)
	v_add_f32_e32 v15, v15, v21
	s_waitcnt lgkmcnt(0)
	v_add_f32_e32 v20, v20, v41
	ds_bpermute_b32 v21, v36, v15
	ds_bpermute_b32 v41, v36, v20
	s_waitcnt lgkmcnt(1)
	v_add_f32_e32 v15, v15, v21
	s_waitcnt lgkmcnt(0)
	;; [unrolled: 6-line block ×3, first 2 shown]
	v_add_f32_e32 v20, v20, v41
	ds_bpermute_b32 v21, v38, v15
	ds_bpermute_b32 v41, v38, v20
	s_and_saveexec_b32 s39, s10
	s_cbranch_execz .LBB327_25
; %bb.24:                               ;   in Loop: Header=BB327_13 Depth=1
	s_waitcnt lgkmcnt(0)
	v_add_f32_e32 v42, v20, v41
	v_add_f32_e32 v41, v15, v21
	ds_write_b64 v40, v[41:42]
.LBB327_25:                             ;   in Loop: Header=BB327_13 Depth=1
	s_or_b32 exec_lo, exec_lo, s39
	s_waitcnt lgkmcnt(1)
	v_mov_b32_e32 v21, 0
	v_mov_b32_e32 v20, 0
	s_waitcnt lgkmcnt(0)
	s_barrier
	buffer_gl0_inv
	s_and_saveexec_b32 s39, s5
	s_cbranch_execnz .LBB327_49
; %bb.26:                               ;   in Loop: Header=BB327_13 Depth=1
	s_or_b32 exec_lo, exec_lo, s39
	s_and_saveexec_b32 s39, s4
	s_cbranch_execnz .LBB327_50
.LBB327_27:                             ;   in Loop: Header=BB327_13 Depth=1
	s_or_b32 exec_lo, exec_lo, s39
	s_and_saveexec_b32 s39, s4
.LBB327_28:                             ;   in Loop: Header=BB327_13 Depth=1
	v_mov_b32_e32 v15, v14
	ds_write_b64 v39, v[14:15]
.LBB327_29:                             ;   in Loop: Header=BB327_13 Depth=1
	s_or_b32 exec_lo, exec_lo, s39
	ds_bpermute_b32 v15, v34, v22
	ds_bpermute_b32 v41, v34, v23
	s_waitcnt lgkmcnt(0)
	s_barrier
	buffer_gl0_inv
	v_add_f32_e32 v15, v22, v15
	v_add_f32_e32 v22, v23, v41
	ds_bpermute_b32 v23, v35, v15
	ds_bpermute_b32 v41, v35, v22
	s_waitcnt lgkmcnt(1)
	v_add_f32_e32 v15, v15, v23
	s_waitcnt lgkmcnt(0)
	v_add_f32_e32 v22, v22, v41
	ds_bpermute_b32 v23, v36, v15
	ds_bpermute_b32 v41, v36, v22
	s_waitcnt lgkmcnt(1)
	v_add_f32_e32 v15, v15, v23
	s_waitcnt lgkmcnt(0)
	;; [unrolled: 6-line block ×3, first 2 shown]
	v_add_f32_e32 v22, v22, v41
	ds_bpermute_b32 v23, v38, v15
	ds_bpermute_b32 v41, v38, v22
	s_and_saveexec_b32 s39, s10
	s_cbranch_execz .LBB327_31
; %bb.30:                               ;   in Loop: Header=BB327_13 Depth=1
	s_waitcnt lgkmcnt(0)
	v_add_f32_e32 v42, v22, v41
	v_add_f32_e32 v41, v15, v23
	ds_write_b64 v40, v[41:42]
.LBB327_31:                             ;   in Loop: Header=BB327_13 Depth=1
	s_or_b32 exec_lo, exec_lo, s39
	s_waitcnt lgkmcnt(1)
	v_mov_b32_e32 v23, 0
	v_mov_b32_e32 v22, 0
	s_waitcnt lgkmcnt(0)
	s_barrier
	buffer_gl0_inv
	s_and_saveexec_b32 s39, s5
	s_cbranch_execnz .LBB327_51
; %bb.32:                               ;   in Loop: Header=BB327_13 Depth=1
	s_or_b32 exec_lo, exec_lo, s39
	s_and_saveexec_b32 s39, s4
	s_cbranch_execnz .LBB327_52
.LBB327_33:                             ;   in Loop: Header=BB327_13 Depth=1
	s_or_b32 exec_lo, exec_lo, s39
	s_and_saveexec_b32 s39, s4
.LBB327_34:                             ;   in Loop: Header=BB327_13 Depth=1
	v_mov_b32_e32 v15, v14
	ds_write_b64 v39, v[14:15]
.LBB327_35:                             ;   in Loop: Header=BB327_13 Depth=1
	s_or_b32 exec_lo, exec_lo, s39
	ds_bpermute_b32 v15, v34, v25
	ds_bpermute_b32 v41, v34, v24
	s_waitcnt lgkmcnt(0)
	s_barrier
	buffer_gl0_inv
	v_add_f32_e32 v15, v25, v15
	v_add_f32_e32 v24, v24, v41
	ds_bpermute_b32 v25, v35, v15
	ds_bpermute_b32 v41, v35, v24
	s_waitcnt lgkmcnt(1)
	v_add_f32_e32 v15, v15, v25
	s_waitcnt lgkmcnt(0)
	v_add_f32_e32 v24, v24, v41
	ds_bpermute_b32 v25, v36, v15
	ds_bpermute_b32 v41, v36, v24
	s_waitcnt lgkmcnt(1)
	v_add_f32_e32 v15, v15, v25
	s_waitcnt lgkmcnt(0)
	;; [unrolled: 6-line block ×3, first 2 shown]
	v_add_f32_e32 v24, v24, v41
	ds_bpermute_b32 v25, v38, v15
	ds_bpermute_b32 v41, v38, v24
	s_and_saveexec_b32 s39, s10
	s_cbranch_execz .LBB327_37
; %bb.36:                               ;   in Loop: Header=BB327_13 Depth=1
	s_waitcnt lgkmcnt(0)
	v_add_f32_e32 v42, v24, v41
	v_add_f32_e32 v41, v15, v25
	ds_write_b64 v40, v[41:42]
.LBB327_37:                             ;   in Loop: Header=BB327_13 Depth=1
	s_or_b32 exec_lo, exec_lo, s39
	s_waitcnt lgkmcnt(1)
	v_mov_b32_e32 v25, 0
	v_mov_b32_e32 v24, 0
	s_waitcnt lgkmcnt(0)
	s_barrier
	buffer_gl0_inv
	s_and_saveexec_b32 s39, s5
	s_cbranch_execnz .LBB327_53
; %bb.38:                               ;   in Loop: Header=BB327_13 Depth=1
	s_or_b32 exec_lo, exec_lo, s39
	s_and_saveexec_b32 s39, s4
	s_cbranch_execnz .LBB327_54
.LBB327_39:                             ;   in Loop: Header=BB327_13 Depth=1
	s_or_b32 exec_lo, exec_lo, s39
	s_and_saveexec_b32 s39, s11
	s_cbranch_execz .LBB327_12
	s_branch .LBB327_55
.LBB327_40:                             ;   in Loop: Header=BB327_13 Depth=1
	s_mul_i32 s40, s7, s19
	s_mul_hi_u32 s41, s7, s18
	s_or_b32 s42, s7, 1
	s_add_i32 s41, s41, s40
	s_mul_i32 s40, s7, s18
	s_mul_i32 s43, s42, s19
	s_mul_hi_u32 s44, s42, s18
	s_lshl_b64 s[40:41], s[40:41], 3
	s_add_i32 s43, s44, s43
	s_mul_i32 s42, s42, s18
	v_add_co_u32 v41, vcc_lo, v1, s40
	v_add_co_ci_u32_e64 v42, null, s41, v2, vcc_lo
	s_lshl_b64 s[40:41], s[42:43], 3
	s_or_b32 s42, s7, 2
	v_add_co_u32 v53, vcc_lo, v1, s40
	v_add_co_ci_u32_e64 v54, null, s41, v2, vcc_lo
	s_mul_i32 s40, s42, s19
	s_mul_hi_u32 s41, s42, s18
	s_clause 0x3
	flat_load_dwordx2 v[65:66], v[6:7]
	flat_load_dwordx2 v[67:68], v[8:9]
	;; [unrolled: 1-line block ×4, first 2 shown]
	s_add_i32 s41, s41, s40
	s_mul_i32 s40, s42, s18
	s_or_b32 s42, s7, 3
	s_lshl_b64 s[40:41], s[40:41], 3
	flat_load_dwordx4 v[18:21], v[41:42]
	s_waitcnt lgkmcnt(5)
	flat_load_dwordx4 v[22:25], v[53:54]
	v_add_co_u32 v57, vcc_lo, v1, s40
	v_add_co_ci_u32_e64 v58, null, s41, v2, vcc_lo
	s_mul_i32 s40, s42, s19
	s_mul_hi_u32 s41, s42, s18
	s_clause 0x1
	flat_load_dwordx4 v[41:44], v[41:42] offset:16
	flat_load_dwordx4 v[45:48], v[57:58]
	s_add_i32 s41, s41, s40
	s_mul_i32 s40, s42, s18
	s_lshl_b64 s[40:41], s[40:41], 3
	v_add_co_u32 v61, vcc_lo, v1, s40
	v_add_co_ci_u32_e64 v62, null, s41, v2, vcc_lo
	s_clause 0x3
	flat_load_dwordx4 v[49:52], v[61:62]
	flat_load_dwordx4 v[53:56], v[53:54] offset:16
	flat_load_dwordx4 v[57:60], v[57:58] offset:16
	;; [unrolled: 1-line block ×3, first 2 shown]
	s_waitcnt vmcnt(11) lgkmcnt(11)
	buffer_store_dword v66, off, s[0:3], 0 offset:4
	buffer_store_dword v65, off, s[0:3], 0
	s_waitcnt vmcnt(10) lgkmcnt(10)
	buffer_store_dword v68, off, s[0:3], 0 offset:12
	buffer_store_dword v67, off, s[0:3], 0 offset:8
	s_waitcnt vmcnt(9) lgkmcnt(9)
	buffer_store_dword v70, off, s[0:3], 0 offset:20
	buffer_store_dword v69, off, s[0:3], 0 offset:16
	;; [unrolled: 3-line block ×3, first 2 shown]
	s_waitcnt vmcnt(7) lgkmcnt(7)
	v_mul_f32_e32 v15, v19, v66
	v_mul_f32_e32 v19, v19, v65
	;; [unrolled: 1-line block ×4, first 2 shown]
	s_waitcnt vmcnt(6) lgkmcnt(6)
	v_mul_f32_e32 v76, v23, v66
	v_mul_f32_e32 v23, v23, v65
	v_fmac_f32_e32 v15, v18, v65
	v_fma_f32 v18, v18, v66, -v19
	v_fma_f32 v19, v20, v68, -v21
	v_mul_f32_e32 v21, v25, v68
	v_mul_f32_e32 v25, v25, v67
	v_fmac_f32_e32 v73, v20, v67
	s_waitcnt vmcnt(4) lgkmcnt(4)
	v_mul_f32_e32 v20, v46, v66
	v_mul_f32_e32 v46, v46, v65
	v_fmac_f32_e32 v76, v22, v65
	v_fma_f32 v22, v22, v66, -v23
	v_fmac_f32_e32 v21, v24, v67
	v_fma_f32 v23, v24, v68, -v25
	v_mul_f32_e32 v25, v48, v68
	s_waitcnt vmcnt(3) lgkmcnt(3)
	v_mul_f32_e32 v24, v50, v66
	v_mul_f32_e32 v48, v48, v67
	;; [unrolled: 1-line block ×3, first 2 shown]
	v_fmac_f32_e32 v20, v45, v65
	v_fma_f32 v45, v45, v66, -v46
	v_fmac_f32_e32 v25, v47, v67
	v_fma_f32 v46, v47, v68, -v48
	v_mul_f32_e32 v47, v52, v68
	v_mul_f32_e32 v48, v52, v67
	s_waitcnt vmcnt(2) lgkmcnt(2)
	v_mul_f32_e32 v52, v70, v54
	v_mul_f32_e32 v54, v69, v54
	v_fmac_f32_e32 v24, v49, v65
	v_fma_f32 v49, v49, v66, -v50
	s_waitcnt vmcnt(1) lgkmcnt(1)
	v_mul_f32_e32 v50, v70, v58
	v_mul_f32_e32 v58, v69, v58
	;; [unrolled: 1-line block ×6, first 2 shown]
	v_fmac_f32_e32 v47, v51, v67
	v_fma_f32 v48, v51, v68, -v48
	s_waitcnt vmcnt(0) lgkmcnt(0)
	v_mul_f32_e32 v51, v70, v62
	v_mul_f32_e32 v62, v69, v62
	v_fmac_f32_e32 v52, v69, v53
	v_fma_f32 v53, v70, v53, -v54
	v_fma_f32 v54, v70, v57, -v58
	v_add_f32_e32 v15, 0, v15
	v_add_f32_e32 v18, 0, v18
	;; [unrolled: 1-line block ×8, first 2 shown]
	v_mul_f32_e32 v65, v72, v56
	v_mul_f32_e32 v56, v71, v56
	;; [unrolled: 1-line block ×4, first 2 shown]
	v_fmac_f32_e32 v74, v69, v41
	v_fma_f32 v41, v70, v41, -v42
	v_fmac_f32_e32 v75, v71, v43
	v_fma_f32 v42, v72, v43, -v44
	v_mul_f32_e32 v43, v72, v64
	v_mul_f32_e32 v44, v71, v64
	v_fmac_f32_e32 v50, v69, v57
	v_fmac_f32_e32 v51, v69, v61
	v_fma_f32 v57, v70, v61, -v62
	v_add_f32_e32 v15, v15, v73
	v_add_f32_e32 v18, v18, v19
	;; [unrolled: 1-line block ×8, first 2 shown]
	v_fmac_f32_e32 v65, v71, v55
	v_fma_f32 v55, v72, v55, -v56
	v_fmac_f32_e32 v66, v71, v59
	v_fma_f32 v56, v72, v59, -v60
	;; [unrolled: 2-line block ×3, first 2 shown]
	v_add_f32_e32 v15, v15, v74
	v_add_f32_e32 v18, v18, v41
	;; [unrolled: 1-line block ×16, first 2 shown]
	s_andn2_saveexec_b32 s39, s39
	s_cbranch_execz .LBB327_15
.LBB327_41:                             ;   in Loop: Header=BB327_13 Depth=1
	v_mov_b32_e32 v41, 0
	v_mov_b32_e32 v42, 0
	;; [unrolled: 1-line block ×6, first 2 shown]
	s_waitcnt lgkmcnt(0)
	v_mov_b32_e32 v25, 0
	v_mov_b32_e32 v24, 0
	s_and_saveexec_b32 s40, s9
	s_cbranch_execz .LBB327_57
; %bb.42:                               ;   in Loop: Header=BB327_13 Depth=1
	s_andn2_b32 vcc_lo, exec_lo, s36
	s_cbranch_vccnz .LBB327_56
; %bb.43:                               ;   in Loop: Header=BB327_13 Depth=1
	v_mov_b32_e32 v19, v7
	v_mov_b32_e32 v18, v6
	s_mov_b32 s41, 0
	s_mov_b32 s42, s15
.LBB327_44:                             ;   Parent Loop BB327_13 Depth=1
                                        ; =>  This Inner Loop Header: Depth=2
	flat_load_dwordx2 v[20:21], v[18:19]
	v_add_co_u32 v18, vcc_lo, v18, s26
	v_mov_b32_e32 v15, s41
	v_add_co_ci_u32_e64 v19, null, s27, v19, vcc_lo
	s_add_i32 s42, s42, -1
	s_add_i32 s41, s41, 8
	s_cmp_eq_u32 s42, 0
	s_waitcnt vmcnt(0) lgkmcnt(0)
	buffer_store_dword v21, v15, s[0:3], 0 offen offset:4
	buffer_store_dword v20, v15, s[0:3], 0 offen
	s_cbranch_scc0 .LBB327_44
; %bb.45:                               ;   in Loop: Header=BB327_13 Depth=1
	v_mov_b32_e32 v19, v17
	v_mov_b32_e32 v24, 0
	;; [unrolled: 1-line block ×10, first 2 shown]
	s_mov_b32 s41, 0
	s_mov_b32 s42, s15
.LBB327_46:                             ;   Parent Loop BB327_13 Depth=1
                                        ; =>  This Inner Loop Header: Depth=2
	v_add_co_u32 v43, vcc_lo, v18, s30
	v_mov_b32_e32 v15, s41
	v_add_co_ci_u32_e64 v44, null, s31, v19, vcc_lo
	flat_load_dwordx2 v[45:46], v[18:19]
	s_clause 0x1
	buffer_load_dword v51, v15, s[0:3], 0 offen
	buffer_load_dword v15, v15, s[0:3], 0 offen offset:4
	flat_load_dwordx2 v[47:48], v[43:44]
	v_add_co_u32 v43, vcc_lo, v43, s30
	v_add_co_ci_u32_e64 v44, null, s31, v44, vcc_lo
	s_add_i32 s42, s42, -1
	v_add_co_u32 v49, vcc_lo, v43, s30
	v_add_co_ci_u32_e64 v50, null, s31, v44, vcc_lo
	s_clause 0x1
	flat_load_dwordx2 v[43:44], v[43:44]
	flat_load_dwordx2 v[49:50], v[49:50]
	v_add_co_u32 v18, vcc_lo, v18, 8
	v_add_co_ci_u32_e64 v19, null, 0, v19, vcc_lo
	s_add_i32 s41, s41, 8
	s_cmp_lg_u32 s42, 0
	s_waitcnt vmcnt(3) lgkmcnt(3)
	v_mul_f32_e32 v52, v15, v46
	v_mul_f32_e32 v46, v51, v46
	s_waitcnt vmcnt(2) lgkmcnt(2)
	v_mul_f32_e32 v53, v15, v48
	v_mul_f32_e32 v48, v51, v48
	v_fmac_f32_e32 v52, v51, v45
	v_fma_f32 v45, v15, v45, -v46
	v_fmac_f32_e32 v53, v51, v47
	v_fma_f32 v46, v15, v47, -v48
	v_add_f32_e32 v41, v41, v52
	v_add_f32_e32 v42, v42, v45
	s_waitcnt vmcnt(1) lgkmcnt(1)
	v_mul_f32_e32 v47, v15, v44
	v_mul_f32_e32 v44, v51, v44
	s_waitcnt vmcnt(0) lgkmcnt(0)
	v_mul_f32_e32 v45, v15, v50
	v_mul_f32_e32 v48, v51, v50
	v_add_f32_e32 v20, v20, v53
	v_fmac_f32_e32 v47, v51, v43
	v_fma_f32 v43, v15, v43, -v44
	v_fmac_f32_e32 v45, v51, v49
	v_fma_f32 v15, v15, v49, -v48
	v_add_f32_e32 v21, v21, v46
	v_add_f32_e32 v22, v22, v47
	;; [unrolled: 1-line block ×5, first 2 shown]
	s_cbranch_scc1 .LBB327_46
	s_branch .LBB327_57
.LBB327_47:                             ;   in Loop: Header=BB327_13 Depth=1
	ds_read_b64 v[18:19], v39
	s_or_b32 exec_lo, exec_lo, s39
	s_and_saveexec_b32 s39, s4
	s_cbranch_execz .LBB327_21
.LBB327_48:                             ;   in Loop: Header=BB327_13 Depth=1
	s_waitcnt lgkmcnt(0)
	ds_bpermute_b32 v15, v36, v18
	ds_bpermute_b32 v41, v36, v19
	s_waitcnt lgkmcnt(1)
	v_add_f32_e32 v15, v18, v15
	s_waitcnt lgkmcnt(0)
	v_add_f32_e32 v18, v19, v41
	ds_bpermute_b32 v19, v37, v15
	ds_bpermute_b32 v41, v37, v18
	s_waitcnt lgkmcnt(1)
	v_add_f32_e32 v15, v15, v19
	s_waitcnt lgkmcnt(0)
	v_add_f32_e32 v19, v18, v41
	;; [unrolled: 6-line block ×3, first 2 shown]
	s_or_b32 exec_lo, exec_lo, s39
	s_and_saveexec_b32 s39, s4
	s_cbranch_execnz .LBB327_22
	s_branch .LBB327_23
.LBB327_49:                             ;   in Loop: Header=BB327_13 Depth=1
	ds_read_b64 v[20:21], v39
	s_or_b32 exec_lo, exec_lo, s39
	s_and_saveexec_b32 s39, s4
	s_cbranch_execz .LBB327_27
.LBB327_50:                             ;   in Loop: Header=BB327_13 Depth=1
	s_waitcnt lgkmcnt(0)
	ds_bpermute_b32 v15, v36, v20
	ds_bpermute_b32 v41, v36, v21
	s_waitcnt lgkmcnt(1)
	v_add_f32_e32 v15, v20, v15
	s_waitcnt lgkmcnt(0)
	v_add_f32_e32 v20, v21, v41
	ds_bpermute_b32 v21, v37, v15
	ds_bpermute_b32 v41, v37, v20
	s_waitcnt lgkmcnt(1)
	v_add_f32_e32 v15, v15, v21
	s_waitcnt lgkmcnt(0)
	v_add_f32_e32 v21, v20, v41
	;; [unrolled: 6-line block ×3, first 2 shown]
	s_or_b32 exec_lo, exec_lo, s39
	s_and_saveexec_b32 s39, s4
	s_cbranch_execnz .LBB327_28
	s_branch .LBB327_29
.LBB327_51:                             ;   in Loop: Header=BB327_13 Depth=1
	ds_read_b64 v[22:23], v39
	s_or_b32 exec_lo, exec_lo, s39
	s_and_saveexec_b32 s39, s4
	s_cbranch_execz .LBB327_33
.LBB327_52:                             ;   in Loop: Header=BB327_13 Depth=1
	s_waitcnt lgkmcnt(0)
	ds_bpermute_b32 v15, v36, v22
	ds_bpermute_b32 v41, v36, v23
	s_waitcnt lgkmcnt(1)
	v_add_f32_e32 v15, v22, v15
	s_waitcnt lgkmcnt(0)
	v_add_f32_e32 v22, v23, v41
	ds_bpermute_b32 v23, v37, v15
	ds_bpermute_b32 v41, v37, v22
	s_waitcnt lgkmcnt(1)
	v_add_f32_e32 v15, v15, v23
	s_waitcnt lgkmcnt(0)
	v_add_f32_e32 v23, v22, v41
	;; [unrolled: 6-line block ×3, first 2 shown]
	s_or_b32 exec_lo, exec_lo, s39
	s_and_saveexec_b32 s39, s4
	s_cbranch_execnz .LBB327_34
	s_branch .LBB327_35
.LBB327_53:                             ;   in Loop: Header=BB327_13 Depth=1
	ds_read_b64 v[24:25], v39
	s_or_b32 exec_lo, exec_lo, s39
	s_and_saveexec_b32 s39, s4
	s_cbranch_execz .LBB327_39
.LBB327_54:                             ;   in Loop: Header=BB327_13 Depth=1
	s_waitcnt lgkmcnt(0)
	ds_bpermute_b32 v15, v36, v24
	ds_bpermute_b32 v41, v36, v25
	s_waitcnt lgkmcnt(1)
	v_add_f32_e32 v15, v24, v15
	s_waitcnt lgkmcnt(0)
	v_add_f32_e32 v24, v25, v41
	ds_bpermute_b32 v25, v37, v15
	ds_bpermute_b32 v41, v37, v24
	s_waitcnt lgkmcnt(1)
	v_add_f32_e32 v15, v15, v25
	s_waitcnt lgkmcnt(0)
	v_add_f32_e32 v25, v24, v41
	;; [unrolled: 6-line block ×3, first 2 shown]
	s_or_b32 exec_lo, exec_lo, s39
	s_and_saveexec_b32 s39, s11
	s_cbranch_execz .LBB327_12
.LBB327_55:                             ;   in Loop: Header=BB327_13 Depth=1
	v_mul_f32_e32 v15, s17, v19
	v_mul_f32_e32 v42, s16, v19
	s_mul_hi_u32 s41, s7, s14
	s_mul_i32 s40, s7, s14
	v_mul_f32_e32 v19, s16, v21
	s_lshl_b64 s[40:41], s[40:41], 3
	v_fma_f32 v41, v18, s16, -v15
	v_fmac_f32_e32 v42, s17, v18
	s_add_u32 s40, s37, s40
	s_addc_u32 s41, s38, s41
	v_mul_f32_e32 v15, s17, v21
	v_mul_f32_e32 v21, s16, v23
	global_store_dwordx2 v14, v[41:42], s[40:41]
	s_or_b32 s40, s7, 1
	v_fmac_f32_e32 v19, s17, v20
	s_mul_hi_u32 s41, s40, s14
	s_mul_i32 s40, s40, s14
	v_fma_f32 v18, v20, s16, -v15
	s_lshl_b64 s[40:41], s[40:41], 3
	v_mul_f32_e32 v15, s17, v23
	s_add_u32 s40, s37, s40
	s_addc_u32 s41, s38, s41
	s_or_b32 s42, s7, 2
	s_waitcnt lgkmcnt(0)
	v_mul_f32_e32 v23, s16, v25
	s_mul_hi_u32 s43, s42, s14
	s_mul_i32 s42, s42, s14
	v_fma_f32 v20, v22, s16, -v15
	s_lshl_b64 s[42:43], s[42:43], 3
	v_mul_f32_e32 v15, s17, v25
	s_add_u32 s42, s37, s42
	s_addc_u32 s43, s38, s43
	s_or_b32 s44, s7, 3
	v_fmac_f32_e32 v21, s17, v22
	s_mul_hi_u32 s45, s44, s14
	s_mul_i32 s44, s44, s14
	v_fma_f32 v22, v24, s16, -v15
	v_fmac_f32_e32 v23, s17, v24
	s_lshl_b64 s[44:45], s[44:45], 3
	global_store_dwordx2 v14, v[18:19], s[40:41]
	s_add_u32 s40, s37, s44
	s_addc_u32 s41, s38, s45
	global_store_dwordx2 v14, v[20:21], s[42:43]
	global_store_dwordx2 v14, v[22:23], s[40:41]
	s_branch .LBB327_12
.LBB327_56:                             ;   in Loop: Header=BB327_13 Depth=1
	v_mov_b32_e32 v41, 0
	v_mov_b32_e32 v42, 0
	;; [unrolled: 1-line block ×8, first 2 shown]
.LBB327_57:                             ;   in Loop: Header=BB327_13 Depth=1
	s_or_b32 exec_lo, exec_lo, s40
	s_or_b32 exec_lo, exec_lo, s39
	s_and_saveexec_b32 s39, s4
	s_cbranch_execnz .LBB327_16
	s_branch .LBB327_17
.LBB327_58:
	s_mov_b32 s7, 0
.LBB327_59:
	s_cmp_ge_i32 s7, s13
	s_cbranch_scc1 .LBB327_81
; %bb.60:
	v_cmp_gt_u32_e64 s5, 24, v30
	v_mad_i64_i32 v[11:12], null, s24, v26, 0
	s_cmp_gt_i32 s15, 0
	s_mov_b32 s11, 0
	v_cndmask_b32_e64 v6, 0, 8, s5
	v_cmp_gt_u32_e64 s5, 28, v30
	s_mov_b32 s10, s6
	s_cselect_b32 s27, -1, 0
	s_lshl_b64 s[10:11], s[10:11], 3
	v_add_lshl_u32 v18, v6, v30, 2
	v_cndmask_b32_e64 v7, 0, 4, s5
	v_cmp_gt_u32_e64 s5, 30, v30
	v_mad_i64_i32 v[5:6], null, s24, v5, 0
	v_cmp_ge_i32_e32 vcc_lo, s12, v32
	v_add_lshl_u32 v19, v7, v30, 2
	v_cndmask_b32_e64 v8, 0, 2, s5
	v_cmp_ne_u32_e64 s5, 31, v30
	v_cmp_ge_i32_e64 s9, s12, v33
	s_add_u32 s12, s33, s10
	v_lshlrev_b64 v[5:6], 3, v[5:6]
	v_add_lshl_u32 v20, v8, v30, 2
	v_add_co_ci_u32_e64 v9, null, 0, v30, s5
	v_mad_i64_i32 v[7:8], null, s24, v29, 0
	v_add_co_u32 v5, s10, s22, v5
	v_lshlrev_b32_e32 v21, 2, v9
	v_mad_i64_i32 v[9:10], null, s24, v27, 0
	v_lshlrev_b64 v[11:12], 3, v[11:12]
	v_lshlrev_b64 v[7:8], 3, v[7:8]
	v_add_co_ci_u32_e64 v6, null, s23, v6, s10
	s_addc_u32 s26, s34, s11
	s_mul_i32 s11, s19, s7
	v_lshlrev_b64 v[9:10], 3, v[9:10]
	v_add_co_u32 v7, s10, s22, v7
	v_add_co_ci_u32_e64 v8, null, s23, v8, s10
	s_mul_hi_u32 s28, s18, s7
	v_add_co_u32 v9, s10, s22, v9
	v_add_co_ci_u32_e64 v10, null, s23, v10, s10
	v_add_co_u32 v11, s10, s22, v11
	v_add_co_ci_u32_e64 v12, null, s23, v12, s10
	s_add_i32 s11, s28, s11
	s_mul_i32 s10, s18, s7
	s_and_b32 s22, s27, s9
	s_lshl_b64 s[28:29], s[10:11], 3
	s_lshl_b64 s[10:11], s[24:25], 3
	s_add_u32 s9, s20, s28
	s_addc_u32 s20, s21, s29
	v_add_co_u32 v3, s9, s9, v3
	v_cmp_gt_u32_e64 s4, 32, v0
	v_lshlrev_b32_e32 v16, 3, v28
	v_lshl_or_b32 v17, v30, 2, 64
	v_cmp_eq_u32_e64 s5, 0, v28
	v_and_b32_e32 v22, 56, v31
	v_cmp_gt_u32_e64 s8, 8, v0
	v_cmp_eq_u32_e64 s6, 0, v0
	v_add_co_ci_u32_e64 v4, null, s20, v4, s9
	v_mov_b32_e32 v13, 0
	s_lshl_b64 s[20:21], s[18:19], 3
	s_branch .LBB327_62
.LBB327_61:                             ;   in Loop: Header=BB327_62 Depth=1
	s_or_b32 exec_lo, exec_lo, s9
	v_add_co_u32 v3, s9, v3, s20
	v_add_co_ci_u32_e64 v4, null, s21, v4, s9
	s_add_i32 s7, s7, 1
	s_cmp_lt_i32 s7, s13
	s_cbranch_scc0 .LBB327_81
.LBB327_62:                             ; =>This Loop Header: Depth=1
                                        ;     Child Loop BB327_74 Depth 2
                                        ;     Child Loop BB327_76 Depth 2
                                        ; implicit-def: $vgpr0
                                        ; implicit-def: $vgpr23
	s_and_saveexec_b32 s9, vcc_lo
	s_xor_b32 s23, exec_lo, s9
	s_cbranch_execnz .LBB327_71
; %bb.63:                               ;   in Loop: Header=BB327_62 Depth=1
	s_andn2_saveexec_b32 s23, s23
	s_cbranch_execnz .LBB327_72
.LBB327_64:                             ;   in Loop: Header=BB327_62 Depth=1
	s_or_b32 exec_lo, exec_lo, s23
	s_and_saveexec_b32 s9, s4
	s_cbranch_execz .LBB327_66
.LBB327_65:                             ;   in Loop: Header=BB327_62 Depth=1
	s_waitcnt lgkmcnt(0)
	v_mov_b32_e32 v14, v13
	ds_write_b64 v16, v[13:14]
.LBB327_66:                             ;   in Loop: Header=BB327_62 Depth=1
	s_or_b32 exec_lo, exec_lo, s9
	s_waitcnt lgkmcnt(0)
	ds_bpermute_b32 v14, v17, v0
	ds_bpermute_b32 v15, v17, v23
	s_waitcnt lgkmcnt(0)
	s_waitcnt_vscnt null, 0x0
	s_barrier
	buffer_gl0_inv
	v_add_f32_e32 v0, v0, v14
	v_add_f32_e32 v14, v23, v15
	ds_bpermute_b32 v15, v18, v0
	ds_bpermute_b32 v23, v18, v14
	s_waitcnt lgkmcnt(1)
	v_add_f32_e32 v0, v0, v15
	s_waitcnt lgkmcnt(0)
	v_add_f32_e32 v14, v14, v23
	ds_bpermute_b32 v15, v19, v0
	ds_bpermute_b32 v23, v19, v14
	s_waitcnt lgkmcnt(1)
	v_add_f32_e32 v0, v0, v15
	s_waitcnt lgkmcnt(0)
	v_add_f32_e32 v14, v14, v23
	ds_bpermute_b32 v15, v20, v0
	ds_bpermute_b32 v23, v20, v14
	s_waitcnt lgkmcnt(1)
	v_add_f32_e32 v0, v0, v15
	s_waitcnt lgkmcnt(0)
	v_add_f32_e32 v14, v14, v23
	ds_bpermute_b32 v15, v21, v0
	ds_bpermute_b32 v23, v21, v14
	s_and_saveexec_b32 s9, s5
	s_cbranch_execz .LBB327_68
; %bb.67:                               ;   in Loop: Header=BB327_62 Depth=1
	s_waitcnt lgkmcnt(0)
	v_add_f32_e32 v24, v14, v23
	v_add_f32_e32 v23, v0, v15
	ds_write_b64 v22, v[23:24]
.LBB327_68:                             ;   in Loop: Header=BB327_62 Depth=1
	s_or_b32 exec_lo, exec_lo, s9
	s_waitcnt lgkmcnt(1)
	v_mov_b32_e32 v15, 0
	v_mov_b32_e32 v14, 0
	s_waitcnt lgkmcnt(0)
	s_barrier
	buffer_gl0_inv
	s_and_saveexec_b32 s9, s8
	s_cbranch_execnz .LBB327_78
; %bb.69:                               ;   in Loop: Header=BB327_62 Depth=1
	s_or_b32 exec_lo, exec_lo, s9
	s_and_saveexec_b32 s9, s4
	s_cbranch_execnz .LBB327_79
.LBB327_70:                             ;   in Loop: Header=BB327_62 Depth=1
	s_or_b32 exec_lo, exec_lo, s9
	s_and_saveexec_b32 s9, s6
	s_cbranch_execz .LBB327_61
	s_branch .LBB327_80
.LBB327_71:                             ;   in Loop: Header=BB327_62 Depth=1
	s_mul_i32 s9, s7, s19
	s_mul_hi_u32 s25, s7, s18
	s_mul_i32 s24, s7, s18
	s_add_i32 s25, s25, s9
	s_lshl_b64 s[24:25], s[24:25], 3
	s_waitcnt lgkmcnt(0)
	v_add_co_u32 v14, s9, v1, s24
	v_add_co_ci_u32_e64 v15, null, s25, v2, s9
	s_waitcnt lgkmcnt(0)
	flat_load_dwordx4 v[23:26], v[14:15]
	s_clause 0x1
	flat_load_dwordx2 v[31:32], v[5:6]
	flat_load_dwordx2 v[33:34], v[7:8]
	flat_load_dwordx4 v[27:30], v[14:15] offset:16
	s_clause 0x1
	flat_load_dwordx2 v[14:15], v[9:10]
	flat_load_dwordx2 v[35:36], v[11:12]
	s_waitcnt vmcnt(4) lgkmcnt(4)
	v_mul_f32_e32 v0, v24, v32
	v_mul_f32_e32 v24, v24, v31
	s_waitcnt vmcnt(3) lgkmcnt(3)
	v_mul_f32_e32 v37, v26, v34
	v_mul_f32_e32 v26, v26, v33
	s_waitcnt vmcnt(1) lgkmcnt(1)
	v_mul_f32_e32 v38, v28, v15
	v_fmac_f32_e32 v0, v23, v31
	v_fma_f32 v23, v23, v32, -v24
	v_mul_f32_e32 v28, v28, v14
	v_fmac_f32_e32 v37, v25, v33
	v_fma_f32 v25, v25, v34, -v26
	v_add_f32_e32 v0, 0, v0
	v_add_f32_e32 v23, 0, v23
	s_waitcnt vmcnt(0) lgkmcnt(0)
	v_mul_f32_e32 v24, v30, v36
	v_mul_f32_e32 v26, v30, v35
	v_fmac_f32_e32 v38, v27, v14
	v_fma_f32 v27, v27, v15, -v28
	v_add_f32_e32 v0, v0, v37
	v_add_f32_e32 v23, v23, v25
	v_fmac_f32_e32 v24, v29, v35
	v_fma_f32 v25, v29, v36, -v26
	buffer_store_dword v32, off, s[0:3], 0 offset:4
	v_add_f32_e32 v0, v0, v38
	v_add_f32_e32 v23, v23, v27
	buffer_store_dword v31, off, s[0:3], 0
	buffer_store_dword v34, off, s[0:3], 0 offset:12
	buffer_store_dword v33, off, s[0:3], 0 offset:8
	;; [unrolled: 1-line block ×6, first 2 shown]
	v_add_f32_e32 v0, v0, v24
	v_add_f32_e32 v23, v23, v25
	s_andn2_saveexec_b32 s23, s23
	s_cbranch_execz .LBB327_64
.LBB327_72:                             ;   in Loop: Header=BB327_62 Depth=1
	v_mov_b32_e32 v0, 0
	v_mov_b32_e32 v23, 0
	s_and_saveexec_b32 s24, s22
	s_cbranch_execz .LBB327_77
; %bb.73:                               ;   in Loop: Header=BB327_62 Depth=1
	s_waitcnt lgkmcnt(0)
	v_mov_b32_e32 v15, v6
	v_mov_b32_e32 v14, v5
	s_mov_b32 s25, 0
	s_mov_b32 s27, s15
.LBB327_74:                             ;   Parent Loop BB327_62 Depth=1
                                        ; =>  This Inner Loop Header: Depth=2
	s_waitcnt lgkmcnt(0)
	flat_load_dwordx2 v[23:24], v[14:15]
	v_add_co_u32 v14, s9, v14, s10
	v_mov_b32_e32 v0, s25
	v_add_co_ci_u32_e64 v15, null, s11, v15, s9
	s_add_i32 s27, s27, -1
	s_add_i32 s25, s25, 8
	s_cmp_eq_u32 s27, 0
	s_waitcnt vmcnt(0) lgkmcnt(0)
	buffer_store_dword v24, v0, s[0:3], 0 offen offset:4
	buffer_store_dword v23, v0, s[0:3], 0 offen
	s_cbranch_scc0 .LBB327_74
; %bb.75:                               ;   in Loop: Header=BB327_62 Depth=1
	v_mov_b32_e32 v15, v4
	v_mov_b32_e32 v0, 0
	;; [unrolled: 1-line block ×4, first 2 shown]
	s_mov_b32 s25, 0
	s_mov_b32 s27, s15
	.p2align	6
.LBB327_76:                             ;   Parent Loop BB327_62 Depth=1
                                        ; =>  This Inner Loop Header: Depth=2
	v_mov_b32_e32 v26, s25
	flat_load_dwordx2 v[24:25], v[14:15]
	v_add_co_u32 v14, s9, v14, 8
	v_add_co_ci_u32_e64 v15, null, 0, v15, s9
	s_clause 0x1
	buffer_load_dword v27, v26, s[0:3], 0 offen offset:4
	buffer_load_dword v26, v26, s[0:3], 0 offen
	s_add_i32 s27, s27, -1
	s_add_i32 s25, s25, 8
	s_cmp_lg_u32 s27, 0
	s_waitcnt vmcnt(1) lgkmcnt(0)
	v_mul_f32_e32 v28, v25, v27
	s_waitcnt vmcnt(0)
	v_mul_f32_e32 v25, v25, v26
	v_fmac_f32_e32 v28, v24, v26
	v_fma_f32 v24, v24, v27, -v25
	v_add_f32_e32 v0, v0, v28
	v_add_f32_e32 v23, v23, v24
	s_cbranch_scc1 .LBB327_76
.LBB327_77:                             ;   in Loop: Header=BB327_62 Depth=1
	s_or_b32 exec_lo, exec_lo, s24
	s_or_b32 exec_lo, exec_lo, s23
	s_and_saveexec_b32 s9, s4
	s_cbranch_execnz .LBB327_65
	s_branch .LBB327_66
.LBB327_78:                             ;   in Loop: Header=BB327_62 Depth=1
	ds_read_b64 v[14:15], v16
	s_or_b32 exec_lo, exec_lo, s9
	s_and_saveexec_b32 s9, s4
	s_cbranch_execz .LBB327_70
.LBB327_79:                             ;   in Loop: Header=BB327_62 Depth=1
	s_waitcnt lgkmcnt(0)
	ds_bpermute_b32 v0, v19, v14
	ds_bpermute_b32 v23, v19, v15
	s_waitcnt lgkmcnt(1)
	v_add_f32_e32 v0, v14, v0
	s_waitcnt lgkmcnt(0)
	v_add_f32_e32 v14, v15, v23
	ds_bpermute_b32 v15, v20, v0
	ds_bpermute_b32 v23, v20, v14
	s_waitcnt lgkmcnt(1)
	v_add_f32_e32 v0, v0, v15
	s_waitcnt lgkmcnt(0)
	v_add_f32_e32 v15, v14, v23
	;; [unrolled: 6-line block ×3, first 2 shown]
	s_or_b32 exec_lo, exec_lo, s9
	s_and_saveexec_b32 s9, s6
	s_cbranch_execz .LBB327_61
.LBB327_80:                             ;   in Loop: Header=BB327_62 Depth=1
	s_waitcnt lgkmcnt(0)
	v_mul_f32_e32 v0, s17, v15
	v_mul_f32_e32 v24, s16, v15
	s_mul_hi_u32 s25, s7, s14
	s_mul_i32 s24, s7, s14
	s_lshl_b64 s[24:25], s[24:25], 3
	v_fma_f32 v23, v14, s16, -v0
	v_fmac_f32_e32 v24, s17, v14
	s_add_u32 s24, s12, s24
	s_addc_u32 s25, s26, s25
	global_store_dwordx2 v13, v[23:24], s[24:25]
	s_branch .LBB327_61
.LBB327_81:
	s_endpgm
	.section	.rodata,"a",@progbits
	.p2align	6, 0x0
	.amdhsa_kernel _ZL23rocblas_gemvt_sn_kernelILb1ELi256ELi4ElPK19rocblas_complex_numIfES3_S1_EviiT4_lPKT3_lilS7_lilPT5_i
		.amdhsa_group_segment_fixed_size 256
		.amdhsa_private_segment_fixed_size 48
		.amdhsa_kernarg_size 360
		.amdhsa_user_sgpr_count 6
		.amdhsa_user_sgpr_private_segment_buffer 1
		.amdhsa_user_sgpr_dispatch_ptr 0
		.amdhsa_user_sgpr_queue_ptr 0
		.amdhsa_user_sgpr_kernarg_segment_ptr 1
		.amdhsa_user_sgpr_dispatch_id 0
		.amdhsa_user_sgpr_flat_scratch_init 0
		.amdhsa_user_sgpr_private_segment_size 0
		.amdhsa_wavefront_size32 1
		.amdhsa_uses_dynamic_stack 0
		.amdhsa_system_sgpr_private_segment_wavefront_offset 1
		.amdhsa_system_sgpr_workgroup_id_x 1
		.amdhsa_system_sgpr_workgroup_id_y 0
		.amdhsa_system_sgpr_workgroup_id_z 1
		.amdhsa_system_sgpr_workgroup_info 0
		.amdhsa_system_vgpr_workitem_id 0
		.amdhsa_next_free_vgpr 77
		.amdhsa_next_free_sgpr 46
		.amdhsa_reserve_vcc 1
		.amdhsa_reserve_flat_scratch 1
		.amdhsa_float_round_mode_32 0
		.amdhsa_float_round_mode_16_64 0
		.amdhsa_float_denorm_mode_32 3
		.amdhsa_float_denorm_mode_16_64 3
		.amdhsa_dx10_clamp 1
		.amdhsa_ieee_mode 1
		.amdhsa_fp16_overflow 0
		.amdhsa_workgroup_processor_mode 1
		.amdhsa_memory_ordered 1
		.amdhsa_forward_progress 1
		.amdhsa_shared_vgpr_count 0
		.amdhsa_exception_fp_ieee_invalid_op 0
		.amdhsa_exception_fp_denorm_src 0
		.amdhsa_exception_fp_ieee_div_zero 0
		.amdhsa_exception_fp_ieee_overflow 0
		.amdhsa_exception_fp_ieee_underflow 0
		.amdhsa_exception_fp_ieee_inexact 0
		.amdhsa_exception_int_div_zero 0
	.end_amdhsa_kernel
	.section	.text._ZL23rocblas_gemvt_sn_kernelILb1ELi256ELi4ElPK19rocblas_complex_numIfES3_S1_EviiT4_lPKT3_lilS7_lilPT5_i,"axG",@progbits,_ZL23rocblas_gemvt_sn_kernelILb1ELi256ELi4ElPK19rocblas_complex_numIfES3_S1_EviiT4_lPKT3_lilS7_lilPT5_i,comdat
.Lfunc_end327:
	.size	_ZL23rocblas_gemvt_sn_kernelILb1ELi256ELi4ElPK19rocblas_complex_numIfES3_S1_EviiT4_lPKT3_lilS7_lilPT5_i, .Lfunc_end327-_ZL23rocblas_gemvt_sn_kernelILb1ELi256ELi4ElPK19rocblas_complex_numIfES3_S1_EviiT4_lPKT3_lilS7_lilPT5_i
                                        ; -- End function
	.set _ZL23rocblas_gemvt_sn_kernelILb1ELi256ELi4ElPK19rocblas_complex_numIfES3_S1_EviiT4_lPKT3_lilS7_lilPT5_i.num_vgpr, 77
	.set _ZL23rocblas_gemvt_sn_kernelILb1ELi256ELi4ElPK19rocblas_complex_numIfES3_S1_EviiT4_lPKT3_lilS7_lilPT5_i.num_agpr, 0
	.set _ZL23rocblas_gemvt_sn_kernelILb1ELi256ELi4ElPK19rocblas_complex_numIfES3_S1_EviiT4_lPKT3_lilS7_lilPT5_i.numbered_sgpr, 46
	.set _ZL23rocblas_gemvt_sn_kernelILb1ELi256ELi4ElPK19rocblas_complex_numIfES3_S1_EviiT4_lPKT3_lilS7_lilPT5_i.num_named_barrier, 0
	.set _ZL23rocblas_gemvt_sn_kernelILb1ELi256ELi4ElPK19rocblas_complex_numIfES3_S1_EviiT4_lPKT3_lilS7_lilPT5_i.private_seg_size, 48
	.set _ZL23rocblas_gemvt_sn_kernelILb1ELi256ELi4ElPK19rocblas_complex_numIfES3_S1_EviiT4_lPKT3_lilS7_lilPT5_i.uses_vcc, 1
	.set _ZL23rocblas_gemvt_sn_kernelILb1ELi256ELi4ElPK19rocblas_complex_numIfES3_S1_EviiT4_lPKT3_lilS7_lilPT5_i.uses_flat_scratch, 1
	.set _ZL23rocblas_gemvt_sn_kernelILb1ELi256ELi4ElPK19rocblas_complex_numIfES3_S1_EviiT4_lPKT3_lilS7_lilPT5_i.has_dyn_sized_stack, 0
	.set _ZL23rocblas_gemvt_sn_kernelILb1ELi256ELi4ElPK19rocblas_complex_numIfES3_S1_EviiT4_lPKT3_lilS7_lilPT5_i.has_recursion, 0
	.set _ZL23rocblas_gemvt_sn_kernelILb1ELi256ELi4ElPK19rocblas_complex_numIfES3_S1_EviiT4_lPKT3_lilS7_lilPT5_i.has_indirect_call, 0
	.section	.AMDGPU.csdata,"",@progbits
; Kernel info:
; codeLenInByte = 5560
; TotalNumSgprs: 48
; NumVgprs: 77
; ScratchSize: 48
; MemoryBound: 0
; FloatMode: 240
; IeeeMode: 1
; LDSByteSize: 256 bytes/workgroup (compile time only)
; SGPRBlocks: 0
; VGPRBlocks: 9
; NumSGPRsForWavesPerEU: 48
; NumVGPRsForWavesPerEU: 77
; Occupancy: 12
; WaveLimiterHint : 0
; COMPUTE_PGM_RSRC2:SCRATCH_EN: 1
; COMPUTE_PGM_RSRC2:USER_SGPR: 6
; COMPUTE_PGM_RSRC2:TRAP_HANDLER: 0
; COMPUTE_PGM_RSRC2:TGID_X_EN: 1
; COMPUTE_PGM_RSRC2:TGID_Y_EN: 0
; COMPUTE_PGM_RSRC2:TGID_Z_EN: 1
; COMPUTE_PGM_RSRC2:TIDIG_COMP_CNT: 0
	.section	.text._ZL23rocblas_gemvt_sn_kernelILb1ELi256ELi4EiPK19rocblas_complex_numIfES1_S1_EviiT4_lPKT3_lilS7_lilPT5_i,"axG",@progbits,_ZL23rocblas_gemvt_sn_kernelILb1ELi256ELi4EiPK19rocblas_complex_numIfES1_S1_EviiT4_lPKT3_lilS7_lilPT5_i,comdat
	.globl	_ZL23rocblas_gemvt_sn_kernelILb1ELi256ELi4EiPK19rocblas_complex_numIfES1_S1_EviiT4_lPKT3_lilS7_lilPT5_i ; -- Begin function _ZL23rocblas_gemvt_sn_kernelILb1ELi256ELi4EiPK19rocblas_complex_numIfES1_S1_EviiT4_lPKT3_lilS7_lilPT5_i
	.p2align	8
	.type	_ZL23rocblas_gemvt_sn_kernelILb1ELi256ELi4EiPK19rocblas_complex_numIfES1_S1_EviiT4_lPKT3_lilS7_lilPT5_i,@function
_ZL23rocblas_gemvt_sn_kernelILb1ELi256ELi4EiPK19rocblas_complex_numIfES1_S1_EviiT4_lPKT3_lilS7_lilPT5_i: ; @_ZL23rocblas_gemvt_sn_kernelILb1ELi256ELi4EiPK19rocblas_complex_numIfES1_S1_EviiT4_lPKT3_lilS7_lilPT5_i
; %bb.0:
	s_load_dwordx4 s[12:15], s[4:5], 0x0
	s_add_u32 s0, s0, s8
	s_addc_u32 s1, s1, 0
	s_mov_b32 s10, s7
	s_mov_b32 s11, 0
	s_waitcnt lgkmcnt(0)
	s_or_b32 s7, s14, s15
	s_and_b32 s8, s7, 0x7fffffff
	s_cmp_lg_u32 s8, 0
	s_cselect_b32 s7, -1, 0
	s_cmp_eq_u32 s8, 0
	s_cselect_b32 s22, -1, 0
	s_and_b32 vcc_lo, exec_lo, s7
	s_cbranch_vccnz .LBB328_2
; %bb.1:
	s_mov_b32 s8, s11
	s_mov_b64 s[16:17], 0
	s_andn2_b32 vcc_lo, exec_lo, s8
	s_mov_b64 s[8:9], 0
	s_cbranch_vccz .LBB328_3
	s_branch .LBB328_4
.LBB328_2:
	s_mov_b64 s[16:17], 0
	s_mov_b64 s[8:9], 0
.LBB328_3:
	s_load_dwordx4 s[24:27], s[4:5], 0x18
	s_lshl_b64 s[8:9], s[10:11], 3
	s_waitcnt lgkmcnt(0)
	s_add_u32 s8, s24, s8
	s_addc_u32 s9, s25, s9
	s_lshl_b64 s[18:19], s[26:27], 3
	s_load_dwordx2 s[8:9], s[8:9], 0x0
	s_waitcnt lgkmcnt(0)
	s_add_u32 s8, s8, s18
	s_addc_u32 s9, s9, s19
.LBB328_4:
	s_andn2_b32 vcc_lo, exec_lo, s7
	s_cbranch_vccnz .LBB328_6
; %bb.5:
	s_load_dwordx4 s[16:19], s[4:5], 0x38
	s_lshl_b64 s[20:21], s[10:11], 3
	s_waitcnt lgkmcnt(0)
	s_add_u32 s16, s16, s20
	s_addc_u32 s17, s17, s21
	s_lshl_b64 s[18:19], s[18:19], 3
	s_load_dwordx2 s[16:17], s[16:17], 0x0
	s_waitcnt lgkmcnt(0)
	s_add_u32 s16, s16, s18
	s_addc_u32 s17, s17, s19
.LBB328_6:
	s_clause 0x1
	s_load_dword s18, s[4:5], 0x68
	s_load_dwordx2 s[20:21], s[4:5], 0x58
	s_ashr_i32 s26, s13, 31
	s_mul_hi_u32 s11, s10, s13
	s_mul_i32 s23, s10, s13
	s_mul_i32 s10, s10, s26
	v_cmp_eq_u32_e64 s7, 0, v0
	s_add_i32 s10, s11, s10
	s_andn2_b32 vcc_lo, exec_lo, s22
	s_mov_b32 s19, 0
	s_waitcnt lgkmcnt(0)
	s_mul_i32 s11, s10, s18
	s_mul_hi_u32 s22, s23, s18
	s_mul_i32 s10, s23, s18
	s_add_i32 s11, s22, s11
	s_mov_b32 s22, -1
	s_cbranch_vccnz .LBB328_11
; %bb.7:
	s_cmp_gt_i32 s13, 0
	s_cselect_b32 s22, -1, 0
	s_and_b32 s7, s7, s22
	s_and_saveexec_b32 s27, s7
	s_cbranch_execz .LBB328_10
; %bb.8:
	s_mov_b32 s7, 0
	v_mov_b32_e32 v1, 0
	s_lshl_b64 s[22:23], s[10:11], 3
	s_lshl_b64 s[24:25], s[6:7], 3
	s_add_u32 s7, s22, s24
	s_addc_u32 s22, s23, s25
	s_add_u32 s7, s20, s7
	v_mov_b32_e32 v2, v1
	s_addc_u32 s23, s21, s22
	s_add_u32 s22, s7, 4
	s_addc_u32 s23, s23, 0
	s_lshl_b64 s[24:25], s[18:19], 3
	s_mov_b32 s7, s13
.LBB328_9:                              ; =>This Inner Loop Header: Depth=1
	s_add_i32 s7, s7, -1
	global_store_dwordx2 v1, v[1:2], s[22:23] offset:-4
	s_add_u32 s22, s22, s24
	s_addc_u32 s23, s23, s25
	s_cmp_eq_u32 s7, 0
	s_cbranch_scc0 .LBB328_9
.LBB328_10:
	s_or_b32 exec_lo, exec_lo, s27
	s_mov_b32 s22, 0
.LBB328_11:
	s_andn2_b32 vcc_lo, exec_lo, s22
	s_cbranch_vccnz .LBB328_83
; %bb.12:
	s_lshl_b64 s[10:11], s[10:11], 3
	s_clause 0x1
	s_load_dword s19, s[4:5], 0x48
	s_load_dword s30, s[4:5], 0x28
	s_add_u32 s34, s20, s10
	s_addc_u32 s11, s21, s11
	s_lshl_b32 s7, s6, 10
	s_ashr_i32 s4, s12, 31
	v_lshl_or_b32 v2, v0, 2, s7
	s_lshr_b32 s4, s4, 30
	s_lshr_b32 s5, s26, 30
	s_add_i32 s4, s12, s4
	s_add_i32 s5, s13, s5
	v_ashrrev_i32_e32 v3, 31, v2
	s_and_b32 s4, s4, -4
	s_and_b32 s35, s5, -4
	s_sub_i32 s31, s12, s4
	v_add_nc_u32_e32 v26, 4, v2
	v_lshlrev_b64 v[3:4], 3, v[2:3]
	v_add_nc_u32_e32 v27, s31, v2
	v_and_b32_e32 v24, 31, v0
	v_cmp_gt_u32_e64 s4, 32, v0
	s_waitcnt lgkmcnt(0)
	v_mul_lo_u32 v1, s19, v2
	v_mbcnt_lo_u32_b32 v25, -1, 0
	v_add_co_u32 v21, vcc_lo, s8, v3
	v_add_co_ci_u32_e64 v22, null, s9, v4, vcc_lo
	v_cmp_gt_u32_e64 s5, 8, v0
	v_lshrrev_b32_e32 v23, 2, v0
	s_cmp_lt_i32 s35, 1
	s_cbranch_scc1 .LBB328_60
; %bb.13:
	v_cmp_gt_u32_e32 vcc_lo, 24, v25
	v_mul_lo_u32 v2, s19, v2
	v_cmp_ge_i32_e64 s7, s12, v26
	v_cmp_ge_i32_e64 s8, s12, v27
	v_lshl_or_b32 v28, v25, 2, 64
	v_cndmask_b32_e64 v3, 0, 8, vcc_lo
	v_cmp_gt_u32_e32 vcc_lo, 28, v25
	v_cmp_eq_u32_e64 s9, 0, v24
	v_lshlrev_b32_e32 v33, 3, v24
	v_and_b32_e32 v34, 56, v23
	v_add_lshl_u32 v29, v3, v25, 2
	v_cndmask_b32_e64 v4, 0, 4, vcc_lo
	v_cmp_gt_u32_e32 vcc_lo, 30, v25
	v_ashrrev_i32_e32 v3, 31, v2
	v_cmp_eq_u32_e64 s10, 0, v0
	s_cmp_gt_i32 s31, 0
	v_add_lshl_u32 v30, v4, v25, 2
	v_cndmask_b32_e64 v5, 0, 2, vcc_lo
	v_cmp_ne_u32_e32 vcc_lo, 31, v25
	v_add_nc_u32_e32 v4, s19, v2
	v_lshlrev_b64 v[8:9], 3, v[2:3]
	s_mov_b32 s21, 0
	v_add_lshl_u32 v31, v5, v25, 2
	v_add_co_ci_u32_e64 v6, null, 0, v25, vcc_lo
	v_ashrrev_i32_e32 v5, 31, v4
	v_add_co_u32 v3, vcc_lo, s16, v8
	v_lshlrev_b32_e32 v32, 2, v6
	v_add_nc_u32_e32 v6, s19, v4
	v_lshlrev_b64 v[10:11], 3, v[4:5]
	v_add_co_ci_u32_e64 v4, null, s17, v9, vcc_lo
	s_cselect_b32 s36, -1, 0
	v_add_nc_u32_e32 v12, s19, v6
	v_ashrrev_i32_e32 v7, 31, v6
	v_add_co_u32 v5, vcc_lo, s16, v10
	s_lshl_b32 s37, s30, 2
	v_ashrrev_i32_e32 v13, 31, v12
	v_lshlrev_b64 v[7:8], 3, v[6:7]
	v_add_co_ci_u32_e64 v6, null, s17, v11, vcc_lo
	v_mov_b32_e32 v11, 0
	v_lshlrev_b64 v[9:10], 3, v[12:13]
	s_lshl_b32 s38, s30, 1
	v_add_co_u32 v7, vcc_lo, s16, v7
	v_add_co_ci_u32_e64 v8, null, s17, v8, vcc_lo
	v_add_co_u32 v9, vcc_lo, s16, v9
	v_add_co_ci_u32_e64 v10, null, s17, v10, vcc_lo
	s_mul_i32 s39, s30, 3
	s_mov_b32 s22, s21
	s_mov_b32 s40, s30
	;; [unrolled: 1-line block ×3, first 2 shown]
	s_branch .LBB328_15
.LBB328_14:                             ;   in Loop: Header=BB328_15 Depth=1
	s_or_b32 exec_lo, exec_lo, s23
	s_add_i32 s33, s33, 4
	s_add_i32 s40, s40, s37
	;; [unrolled: 1-line block ×5, first 2 shown]
	s_cmp_ge_i32 s33, s35
	s_cbranch_scc1 .LBB328_61
.LBB328_15:                             ; =>This Loop Header: Depth=1
                                        ;     Child Loop BB328_46 Depth 2
                                        ;     Child Loop BB328_48 Depth 2
                                        ; implicit-def: $vgpr14
                                        ; implicit-def: $vgpr35
                                        ; implicit-def: $vgpr15
                                        ; implicit-def: $vgpr16
                                        ; implicit-def: $vgpr17
                                        ; implicit-def: $vgpr18
                                        ; implicit-def: $vgpr20
                                        ; implicit-def: $vgpr19
	s_and_saveexec_b32 s20, s7
	s_xor_b32 s20, exec_lo, s20
	s_cbranch_execnz .LBB328_42
; %bb.16:                               ;   in Loop: Header=BB328_15 Depth=1
	s_andn2_saveexec_b32 s20, s20
	s_cbranch_execnz .LBB328_43
.LBB328_17:                             ;   in Loop: Header=BB328_15 Depth=1
	s_or_b32 exec_lo, exec_lo, s20
	s_and_saveexec_b32 s20, s4
.LBB328_18:                             ;   in Loop: Header=BB328_15 Depth=1
	v_mov_b32_e32 v12, v11
	ds_write_b64 v33, v[11:12]
.LBB328_19:                             ;   in Loop: Header=BB328_15 Depth=1
	s_or_b32 exec_lo, exec_lo, s20
	ds_bpermute_b32 v12, v28, v14
	ds_bpermute_b32 v13, v28, v35
	s_waitcnt lgkmcnt(0)
	s_waitcnt_vscnt null, 0x0
	s_barrier
	buffer_gl0_inv
	v_add_f32_e32 v12, v14, v12
	v_add_f32_e32 v13, v35, v13
	ds_bpermute_b32 v14, v29, v12
	ds_bpermute_b32 v35, v29, v13
	s_waitcnt lgkmcnt(1)
	v_add_f32_e32 v12, v12, v14
	s_waitcnt lgkmcnt(0)
	v_add_f32_e32 v13, v13, v35
	ds_bpermute_b32 v14, v30, v12
	ds_bpermute_b32 v35, v30, v13
	s_waitcnt lgkmcnt(1)
	v_add_f32_e32 v12, v12, v14
	s_waitcnt lgkmcnt(0)
	;; [unrolled: 6-line block ×3, first 2 shown]
	v_add_f32_e32 v13, v13, v35
	ds_bpermute_b32 v14, v32, v12
	ds_bpermute_b32 v35, v32, v13
	s_and_saveexec_b32 s20, s9
	s_cbranch_execz .LBB328_21
; %bb.20:                               ;   in Loop: Header=BB328_15 Depth=1
	s_waitcnt lgkmcnt(0)
	v_add_f32_e32 v13, v13, v35
	v_add_f32_e32 v12, v12, v14
	ds_write_b64 v34, v[12:13]
.LBB328_21:                             ;   in Loop: Header=BB328_15 Depth=1
	s_or_b32 exec_lo, exec_lo, s20
	s_waitcnt lgkmcnt(1)
	v_mov_b32_e32 v14, 0
	v_mov_b32_e32 v13, 0
	s_waitcnt lgkmcnt(0)
	s_barrier
	buffer_gl0_inv
	s_and_saveexec_b32 s20, s5
	s_cbranch_execnz .LBB328_49
; %bb.22:                               ;   in Loop: Header=BB328_15 Depth=1
	s_or_b32 exec_lo, exec_lo, s20
	s_and_saveexec_b32 s20, s4
	s_cbranch_execnz .LBB328_50
.LBB328_23:                             ;   in Loop: Header=BB328_15 Depth=1
	s_or_b32 exec_lo, exec_lo, s20
	s_and_saveexec_b32 s20, s4
.LBB328_24:                             ;   in Loop: Header=BB328_15 Depth=1
	v_mov_b32_e32 v12, v11
	ds_write_b64 v33, v[11:12]
.LBB328_25:                             ;   in Loop: Header=BB328_15 Depth=1
	s_or_b32 exec_lo, exec_lo, s20
	ds_bpermute_b32 v12, v28, v15
	ds_bpermute_b32 v35, v28, v16
	s_waitcnt lgkmcnt(0)
	s_barrier
	buffer_gl0_inv
	v_add_f32_e32 v12, v15, v12
	v_add_f32_e32 v15, v16, v35
	ds_bpermute_b32 v16, v29, v12
	ds_bpermute_b32 v35, v29, v15
	s_waitcnt lgkmcnt(1)
	v_add_f32_e32 v12, v12, v16
	s_waitcnt lgkmcnt(0)
	v_add_f32_e32 v15, v15, v35
	ds_bpermute_b32 v16, v30, v12
	ds_bpermute_b32 v35, v30, v15
	s_waitcnt lgkmcnt(1)
	v_add_f32_e32 v12, v12, v16
	s_waitcnt lgkmcnt(0)
	;; [unrolled: 6-line block ×3, first 2 shown]
	v_add_f32_e32 v15, v15, v35
	ds_bpermute_b32 v16, v32, v12
	ds_bpermute_b32 v35, v32, v15
	s_and_saveexec_b32 s20, s9
	s_cbranch_execz .LBB328_27
; %bb.26:                               ;   in Loop: Header=BB328_15 Depth=1
	s_waitcnt lgkmcnt(0)
	v_add_f32_e32 v36, v15, v35
	v_add_f32_e32 v35, v12, v16
	ds_write_b64 v34, v[35:36]
.LBB328_27:                             ;   in Loop: Header=BB328_15 Depth=1
	s_or_b32 exec_lo, exec_lo, s20
	s_waitcnt lgkmcnt(1)
	v_mov_b32_e32 v16, 0
	v_mov_b32_e32 v15, 0
	s_waitcnt lgkmcnt(0)
	s_barrier
	buffer_gl0_inv
	s_and_saveexec_b32 s20, s5
	s_cbranch_execnz .LBB328_51
; %bb.28:                               ;   in Loop: Header=BB328_15 Depth=1
	s_or_b32 exec_lo, exec_lo, s20
	s_and_saveexec_b32 s20, s4
	s_cbranch_execnz .LBB328_52
.LBB328_29:                             ;   in Loop: Header=BB328_15 Depth=1
	s_or_b32 exec_lo, exec_lo, s20
	s_and_saveexec_b32 s20, s4
.LBB328_30:                             ;   in Loop: Header=BB328_15 Depth=1
	v_mov_b32_e32 v12, v11
	ds_write_b64 v33, v[11:12]
.LBB328_31:                             ;   in Loop: Header=BB328_15 Depth=1
	s_or_b32 exec_lo, exec_lo, s20
	ds_bpermute_b32 v12, v28, v17
	ds_bpermute_b32 v35, v28, v18
	s_waitcnt lgkmcnt(0)
	s_barrier
	buffer_gl0_inv
	v_add_f32_e32 v12, v17, v12
	v_add_f32_e32 v17, v18, v35
	ds_bpermute_b32 v18, v29, v12
	ds_bpermute_b32 v35, v29, v17
	s_waitcnt lgkmcnt(1)
	v_add_f32_e32 v12, v12, v18
	s_waitcnt lgkmcnt(0)
	v_add_f32_e32 v17, v17, v35
	ds_bpermute_b32 v18, v30, v12
	ds_bpermute_b32 v35, v30, v17
	s_waitcnt lgkmcnt(1)
	v_add_f32_e32 v12, v12, v18
	s_waitcnt lgkmcnt(0)
	;; [unrolled: 6-line block ×3, first 2 shown]
	v_add_f32_e32 v17, v17, v35
	ds_bpermute_b32 v18, v32, v12
	ds_bpermute_b32 v35, v32, v17
	s_and_saveexec_b32 s20, s9
	s_cbranch_execz .LBB328_33
; %bb.32:                               ;   in Loop: Header=BB328_15 Depth=1
	s_waitcnt lgkmcnt(0)
	v_add_f32_e32 v36, v17, v35
	v_add_f32_e32 v35, v12, v18
	ds_write_b64 v34, v[35:36]
.LBB328_33:                             ;   in Loop: Header=BB328_15 Depth=1
	s_or_b32 exec_lo, exec_lo, s20
	s_waitcnt lgkmcnt(1)
	v_mov_b32_e32 v18, 0
	v_mov_b32_e32 v17, 0
	s_waitcnt lgkmcnt(0)
	s_barrier
	buffer_gl0_inv
	s_and_saveexec_b32 s20, s5
	s_cbranch_execnz .LBB328_53
; %bb.34:                               ;   in Loop: Header=BB328_15 Depth=1
	s_or_b32 exec_lo, exec_lo, s20
	s_and_saveexec_b32 s20, s4
	s_cbranch_execnz .LBB328_54
.LBB328_35:                             ;   in Loop: Header=BB328_15 Depth=1
	s_or_b32 exec_lo, exec_lo, s20
	s_and_saveexec_b32 s20, s4
.LBB328_36:                             ;   in Loop: Header=BB328_15 Depth=1
	v_mov_b32_e32 v12, v11
	ds_write_b64 v33, v[11:12]
.LBB328_37:                             ;   in Loop: Header=BB328_15 Depth=1
	s_or_b32 exec_lo, exec_lo, s20
	ds_bpermute_b32 v12, v28, v20
	ds_bpermute_b32 v35, v28, v19
	s_waitcnt lgkmcnt(0)
	s_barrier
	buffer_gl0_inv
	v_add_f32_e32 v12, v20, v12
	v_add_f32_e32 v19, v19, v35
	ds_bpermute_b32 v20, v29, v12
	ds_bpermute_b32 v35, v29, v19
	s_waitcnt lgkmcnt(1)
	v_add_f32_e32 v12, v12, v20
	s_waitcnt lgkmcnt(0)
	v_add_f32_e32 v19, v19, v35
	ds_bpermute_b32 v20, v30, v12
	ds_bpermute_b32 v35, v30, v19
	s_waitcnt lgkmcnt(1)
	v_add_f32_e32 v12, v12, v20
	s_waitcnt lgkmcnt(0)
	;; [unrolled: 6-line block ×3, first 2 shown]
	v_add_f32_e32 v19, v19, v35
	ds_bpermute_b32 v20, v32, v12
	ds_bpermute_b32 v35, v32, v19
	s_and_saveexec_b32 s20, s9
	s_cbranch_execz .LBB328_39
; %bb.38:                               ;   in Loop: Header=BB328_15 Depth=1
	s_waitcnt lgkmcnt(0)
	v_add_f32_e32 v36, v19, v35
	v_add_f32_e32 v35, v12, v20
	ds_write_b64 v34, v[35:36]
.LBB328_39:                             ;   in Loop: Header=BB328_15 Depth=1
	s_or_b32 exec_lo, exec_lo, s20
	s_waitcnt lgkmcnt(1)
	v_mov_b32_e32 v20, 0
	v_mov_b32_e32 v19, 0
	s_waitcnt lgkmcnt(0)
	s_barrier
	buffer_gl0_inv
	s_and_saveexec_b32 s20, s5
	s_cbranch_execnz .LBB328_55
; %bb.40:                               ;   in Loop: Header=BB328_15 Depth=1
	s_or_b32 exec_lo, exec_lo, s20
	s_and_saveexec_b32 s20, s4
	s_cbranch_execnz .LBB328_56
.LBB328_41:                             ;   in Loop: Header=BB328_15 Depth=1
	s_or_b32 exec_lo, exec_lo, s20
	s_and_saveexec_b32 s23, s10
	s_cbranch_execz .LBB328_14
	s_branch .LBB328_57
.LBB328_42:                             ;   in Loop: Header=BB328_15 Depth=1
	flat_load_dwordx2 v[43:44], v[3:4]
	s_mul_i32 s24, s33, s30
	s_waitcnt vmcnt(0) lgkmcnt(0)
	buffer_store_dword v44, off, s[0:3], 0 offset:4
	buffer_store_dword v43, off, s[0:3], 0
	flat_load_dwordx2 v[45:46], v[5:6]
	s_ashr_i32 s25, s24, 31
	s_waitcnt vmcnt(0) lgkmcnt(0)
	buffer_store_dword v46, off, s[0:3], 0 offset:12
	buffer_store_dword v45, off, s[0:3], 0 offset:8
	flat_load_dwordx2 v[47:48], v[7:8]
	s_lshl_b64 s[26:27], s[24:25], 3
	s_add_i32 s24, s24, s30
	v_add_co_u32 v51, vcc_lo, v21, s26
	v_add_co_ci_u32_e64 v52, null, s27, v22, vcc_lo
	s_ashr_i32 s25, s24, 31
	s_waitcnt vmcnt(0) lgkmcnt(0)
	buffer_store_dword v48, off, s[0:3], 0 offset:20
	buffer_store_dword v47, off, s[0:3], 0 offset:16
	flat_load_dwordx2 v[49:50], v[9:10]
	s_lshl_b64 s[26:27], s[24:25], 3
	s_add_i32 s24, s24, s30
	v_add_co_u32 v53, vcc_lo, v21, s26
	s_ashr_i32 s25, s24, 31
	v_add_co_ci_u32_e64 v54, null, s27, v22, vcc_lo
	s_lshl_b64 s[26:27], s[24:25], 3
	s_add_i32 s24, s24, s30
	v_add_co_u32 v55, vcc_lo, v21, s26
	v_add_co_ci_u32_e64 v56, null, s27, v22, vcc_lo
	s_ashr_i32 s25, s24, 31
	s_waitcnt vmcnt(0) lgkmcnt(0)
	buffer_store_dword v50, off, s[0:3], 0 offset:28
	buffer_store_dword v49, off, s[0:3], 0 offset:24
	s_clause 0x1
	flat_load_dwordx4 v[12:15], v[51:52]
	flat_load_dwordx4 v[35:38], v[55:56]
	s_lshl_b64 s[24:25], s[24:25], 3
	v_add_co_u32 v57, vcc_lo, v21, s24
	v_add_co_ci_u32_e64 v58, null, s25, v22, vcc_lo
	flat_load_dwordx4 v[39:42], v[57:58]
	s_waitcnt vmcnt(2) lgkmcnt(2)
	v_mul_f32_e32 v16, v13, v44
	v_mul_f32_e32 v13, v13, v43
	v_fmac_f32_e32 v16, v12, v43
	v_fma_f32 v12, v12, v44, -v13
	v_add_f32_e32 v13, 0, v16
	flat_load_dwordx4 v[16:19], v[53:54]
	v_add_f32_e32 v12, 0, v12
	s_waitcnt vmcnt(0) lgkmcnt(0)
	v_mul_f32_e32 v20, v17, v44
	v_mul_f32_e32 v17, v17, v43
	v_fmac_f32_e32 v20, v16, v43
	v_fma_f32 v16, v16, v44, -v17
	v_add_f32_e32 v17, 0, v20
	v_mul_f32_e32 v20, v36, v44
	v_mul_f32_e32 v36, v36, v43
	v_add_f32_e32 v16, 0, v16
	v_fmac_f32_e32 v20, v35, v43
	v_fma_f32 v35, v35, v44, -v36
	v_mul_f32_e32 v36, v40, v44
	v_mul_f32_e32 v40, v40, v43
	v_add_f32_e32 v20, 0, v20
	v_add_f32_e32 v35, 0, v35
	v_fmac_f32_e32 v36, v39, v43
	v_fma_f32 v39, v39, v44, -v40
	v_mul_f32_e32 v40, v15, v46
	v_mul_f32_e32 v15, v15, v45
	v_add_f32_e32 v36, 0, v36
	v_add_f32_e32 v39, 0, v39
	v_fmac_f32_e32 v40, v14, v45
	v_fma_f32 v14, v14, v46, -v15
	v_add_f32_e32 v40, v13, v40
	v_add_f32_e32 v43, v12, v14
	v_mul_f32_e32 v12, v19, v46
	v_mul_f32_e32 v13, v19, v45
	v_fmac_f32_e32 v12, v18, v45
	v_fma_f32 v13, v18, v46, -v13
	v_add_f32_e32 v44, v17, v12
	v_add_f32_e32 v59, v16, v13
	v_mul_f32_e32 v12, v38, v46
	v_mul_f32_e32 v13, v38, v45
	;; [unrolled: 6-line block ×3, first 2 shown]
	v_fmac_f32_e32 v12, v41, v45
	v_fma_f32 v13, v41, v46, -v13
	v_add_f32_e32 v45, v36, v12
	v_add_f32_e32 v46, v39, v13
	flat_load_dwordx4 v[12:15], v[51:52] offset:16
	s_waitcnt vmcnt(0) lgkmcnt(0)
	v_mul_f32_e32 v16, v48, v13
	v_mul_f32_e32 v13, v47, v13
	v_fmac_f32_e32 v16, v47, v12
	v_fma_f32 v12, v48, v12, -v13
	v_add_f32_e32 v13, v40, v16
	flat_load_dwordx4 v[16:19], v[53:54] offset:16
	v_add_f32_e32 v12, v43, v12
	s_waitcnt vmcnt(0) lgkmcnt(0)
	v_mul_f32_e32 v35, v48, v17
	v_mul_f32_e32 v17, v47, v17
	v_fmac_f32_e32 v35, v47, v16
	v_fma_f32 v16, v48, v16, -v17
	v_add_f32_e32 v17, v44, v35
	flat_load_dwordx4 v[35:38], v[55:56] offset:16
	v_add_f32_e32 v16, v59, v16
	;; [unrolled: 8-line block ×3, first 2 shown]
	s_waitcnt vmcnt(0) lgkmcnt(0)
	v_mul_f32_e32 v35, v48, v40
	v_mul_f32_e32 v40, v47, v40
	v_fmac_f32_e32 v35, v47, v39
	v_fma_f32 v39, v48, v39, -v40
	v_add_f32_e32 v40, v45, v35
	v_mul_f32_e32 v35, v50, v15
	v_mul_f32_e32 v15, v49, v15
	v_add_f32_e32 v39, v46, v39
	v_fmac_f32_e32 v35, v49, v14
	v_fma_f32 v15, v50, v14, -v15
	v_add_f32_e32 v14, v13, v35
	v_add_f32_e32 v35, v12, v15
	v_mul_f32_e32 v12, v50, v19
	v_mul_f32_e32 v13, v49, v19
	v_fmac_f32_e32 v12, v49, v18
	v_fma_f32 v13, v50, v18, -v13
	v_add_f32_e32 v15, v17, v12
	v_add_f32_e32 v16, v16, v13
	v_mul_f32_e32 v12, v50, v38
	v_mul_f32_e32 v13, v49, v38
	;; [unrolled: 6-line block ×3, first 2 shown]
	v_fmac_f32_e32 v12, v49, v41
	v_fma_f32 v13, v50, v41, -v13
	v_add_f32_e32 v20, v40, v12
	v_add_f32_e32 v19, v39, v13
	s_andn2_saveexec_b32 s20, s20
	s_cbranch_execz .LBB328_17
.LBB328_43:                             ;   in Loop: Header=BB328_15 Depth=1
	v_mov_b32_e32 v14, 0
	v_mov_b32_e32 v35, 0
	;; [unrolled: 1-line block ×6, first 2 shown]
	s_waitcnt lgkmcnt(0)
	v_mov_b32_e32 v20, 0
	v_mov_b32_e32 v19, 0
	s_and_saveexec_b32 s41, s8
	s_cbranch_execz .LBB328_59
; %bb.44:                               ;   in Loop: Header=BB328_15 Depth=1
	s_andn2_b32 vcc_lo, exec_lo, s36
	s_cbranch_vccnz .LBB328_58
; %bb.45:                               ;   in Loop: Header=BB328_15 Depth=1
	v_mov_b32_e32 v12, v2
	s_mov_b32 s23, 0
	s_mov_b32 s24, s31
	.p2align	6
.LBB328_46:                             ;   Parent Loop BB328_15 Depth=1
                                        ; =>  This Inner Loop Header: Depth=2
	v_ashrrev_i32_e32 v13, 31, v12
	v_mov_b32_e32 v15, s23
	s_add_i32 s24, s24, -1
	s_add_i32 s23, s23, 8
	s_cmp_eq_u32 s24, 0
	v_lshlrev_b64 v[13:14], 3, v[12:13]
	v_add_nc_u32_e32 v12, s19, v12
	v_add_co_u32 v13, vcc_lo, s16, v13
	v_add_co_ci_u32_e64 v14, null, s17, v14, vcc_lo
	flat_load_dwordx2 v[13:14], v[13:14]
	s_waitcnt vmcnt(0) lgkmcnt(0)
	buffer_store_dword v14, v15, s[0:3], 0 offen offset:4
	buffer_store_dword v13, v15, s[0:3], 0 offen
	s_cbranch_scc0 .LBB328_46
; %bb.47:                               ;   in Loop: Header=BB328_15 Depth=1
	s_ashr_i32 s23, s22, 31
	v_mov_b32_e32 v19, 0
	s_lshl_b64 s[24:25], s[22:23], 3
	v_mov_b32_e32 v20, 0
	v_add_co_u32 v12, vcc_lo, v21, s24
	v_add_co_ci_u32_e64 v13, null, s25, v22, vcc_lo
	v_mov_b32_e32 v18, 0
	v_mov_b32_e32 v17, 0
	;; [unrolled: 1-line block ×6, first 2 shown]
	s_mov_b32 s23, 0
	s_mov_b32 s24, s39
	;; [unrolled: 1-line block ×5, first 2 shown]
.LBB328_48:                             ;   Parent Loop BB328_15 Depth=1
                                        ; =>  This Inner Loop Header: Depth=2
	s_ashr_i32 s29, s28, 31
	s_ashr_i32 s27, s26, 31
	s_lshl_b64 s[44:45], s[28:29], 3
	s_ashr_i32 s25, s24, 31
	s_lshl_b64 s[46:47], s[26:27], 3
	v_add_co_u32 v38, vcc_lo, v21, s44
	s_lshl_b64 s[48:49], s[24:25], 3
	v_add_co_ci_u32_e64 v39, null, s45, v22, vcc_lo
	v_add_co_u32 v40, vcc_lo, v21, s46
	v_mov_b32_e32 v44, s23
	v_add_co_ci_u32_e64 v41, null, s47, v22, vcc_lo
	v_add_co_u32 v42, vcc_lo, v21, s48
	v_add_co_ci_u32_e64 v43, null, s49, v22, vcc_lo
	flat_load_dwordx2 v[36:37], v[12:13]
	s_clause 0x1
	buffer_load_dword v45, v44, s[0:3], 0 offen offset:4
	buffer_load_dword v44, v44, s[0:3], 0 offen
	s_clause 0x2
	flat_load_dwordx2 v[38:39], v[38:39]
	flat_load_dwordx2 v[40:41], v[40:41]
	;; [unrolled: 1-line block ×3, first 2 shown]
	v_add_co_u32 v12, vcc_lo, v12, 8
	v_add_co_ci_u32_e64 v13, null, 0, v13, vcc_lo
	s_add_i32 s42, s42, -1
	s_add_i32 s23, s23, 8
	s_add_i32 s28, s28, 1
	;; [unrolled: 1-line block ×4, first 2 shown]
	s_cmp_lg_u32 s42, 0
	s_waitcnt vmcnt(4) lgkmcnt(3)
	v_mul_f32_e32 v46, v45, v37
	s_waitcnt vmcnt(3)
	v_mul_f32_e32 v37, v44, v37
	s_waitcnt vmcnt(2) lgkmcnt(2)
	v_mul_f32_e32 v47, v45, v39
	v_mul_f32_e32 v39, v44, v39
	s_waitcnt vmcnt(1) lgkmcnt(1)
	v_mul_f32_e32 v48, v45, v41
	;; [unrolled: 3-line block ×3, first 2 shown]
	v_mul_f32_e32 v43, v44, v43
	v_fmac_f32_e32 v46, v44, v36
	v_fma_f32 v36, v45, v36, -v37
	v_fmac_f32_e32 v47, v44, v38
	v_fma_f32 v37, v45, v38, -v39
	;; [unrolled: 2-line block ×4, first 2 shown]
	v_add_f32_e32 v14, v14, v46
	v_add_f32_e32 v35, v35, v36
	;; [unrolled: 1-line block ×8, first 2 shown]
	s_cbranch_scc1 .LBB328_48
	s_branch .LBB328_59
.LBB328_49:                             ;   in Loop: Header=BB328_15 Depth=1
	ds_read_b64 v[13:14], v33
	s_or_b32 exec_lo, exec_lo, s20
	s_and_saveexec_b32 s20, s4
	s_cbranch_execz .LBB328_23
.LBB328_50:                             ;   in Loop: Header=BB328_15 Depth=1
	s_waitcnt lgkmcnt(0)
	ds_bpermute_b32 v12, v30, v13
	ds_bpermute_b32 v35, v30, v14
	s_waitcnt lgkmcnt(1)
	v_add_f32_e32 v12, v13, v12
	s_waitcnt lgkmcnt(0)
	v_add_f32_e32 v13, v14, v35
	ds_bpermute_b32 v14, v31, v12
	ds_bpermute_b32 v35, v31, v13
	s_waitcnt lgkmcnt(1)
	v_add_f32_e32 v12, v12, v14
	s_waitcnt lgkmcnt(0)
	v_add_f32_e32 v14, v13, v35
	ds_bpermute_b32 v13, v32, v12
	ds_bpermute_b32 v35, v32, v14
	s_waitcnt lgkmcnt(1)
	v_add_f32_e32 v13, v12, v13
	s_waitcnt lgkmcnt(0)
	v_add_f32_e32 v14, v14, v35
	s_or_b32 exec_lo, exec_lo, s20
	s_and_saveexec_b32 s20, s4
	s_cbranch_execnz .LBB328_24
	s_branch .LBB328_25
.LBB328_51:                             ;   in Loop: Header=BB328_15 Depth=1
	ds_read_b64 v[15:16], v33
	s_or_b32 exec_lo, exec_lo, s20
	s_and_saveexec_b32 s20, s4
	s_cbranch_execz .LBB328_29
.LBB328_52:                             ;   in Loop: Header=BB328_15 Depth=1
	s_waitcnt lgkmcnt(0)
	ds_bpermute_b32 v12, v30, v15
	ds_bpermute_b32 v35, v30, v16
	s_waitcnt lgkmcnt(1)
	v_add_f32_e32 v12, v15, v12
	s_waitcnt lgkmcnt(0)
	v_add_f32_e32 v15, v16, v35
	ds_bpermute_b32 v16, v31, v12
	ds_bpermute_b32 v35, v31, v15
	s_waitcnt lgkmcnt(1)
	v_add_f32_e32 v12, v12, v16
	s_waitcnt lgkmcnt(0)
	v_add_f32_e32 v16, v15, v35
	;; [unrolled: 6-line block ×3, first 2 shown]
	s_or_b32 exec_lo, exec_lo, s20
	s_and_saveexec_b32 s20, s4
	s_cbranch_execnz .LBB328_30
	s_branch .LBB328_31
.LBB328_53:                             ;   in Loop: Header=BB328_15 Depth=1
	ds_read_b64 v[17:18], v33
	s_or_b32 exec_lo, exec_lo, s20
	s_and_saveexec_b32 s20, s4
	s_cbranch_execz .LBB328_35
.LBB328_54:                             ;   in Loop: Header=BB328_15 Depth=1
	s_waitcnt lgkmcnt(0)
	ds_bpermute_b32 v12, v30, v17
	ds_bpermute_b32 v35, v30, v18
	s_waitcnt lgkmcnt(1)
	v_add_f32_e32 v12, v17, v12
	s_waitcnt lgkmcnt(0)
	v_add_f32_e32 v17, v18, v35
	ds_bpermute_b32 v18, v31, v12
	ds_bpermute_b32 v35, v31, v17
	s_waitcnt lgkmcnt(1)
	v_add_f32_e32 v12, v12, v18
	s_waitcnt lgkmcnt(0)
	v_add_f32_e32 v18, v17, v35
	;; [unrolled: 6-line block ×3, first 2 shown]
	s_or_b32 exec_lo, exec_lo, s20
	s_and_saveexec_b32 s20, s4
	s_cbranch_execnz .LBB328_36
	s_branch .LBB328_37
.LBB328_55:                             ;   in Loop: Header=BB328_15 Depth=1
	ds_read_b64 v[19:20], v33
	s_or_b32 exec_lo, exec_lo, s20
	s_and_saveexec_b32 s20, s4
	s_cbranch_execz .LBB328_41
.LBB328_56:                             ;   in Loop: Header=BB328_15 Depth=1
	s_waitcnt lgkmcnt(0)
	ds_bpermute_b32 v12, v30, v19
	ds_bpermute_b32 v35, v30, v20
	s_waitcnt lgkmcnt(1)
	v_add_f32_e32 v12, v19, v12
	s_waitcnt lgkmcnt(0)
	v_add_f32_e32 v19, v20, v35
	ds_bpermute_b32 v20, v31, v12
	ds_bpermute_b32 v35, v31, v19
	s_waitcnt lgkmcnt(1)
	v_add_f32_e32 v12, v12, v20
	s_waitcnt lgkmcnt(0)
	v_add_f32_e32 v20, v19, v35
	;; [unrolled: 6-line block ×3, first 2 shown]
	s_or_b32 exec_lo, exec_lo, s20
	s_and_saveexec_b32 s23, s10
	s_cbranch_execz .LBB328_14
.LBB328_57:                             ;   in Loop: Header=BB328_15 Depth=1
	v_mul_f32_e32 v12, s15, v14
	v_mul_f32_e32 v36, s14, v14
	s_mul_i32 s20, s33, s18
	v_mul_f32_e32 v14, s15, v18
	s_add_i32 s20, s20, s6
	v_fma_f32 v35, v13, s14, -v12
	s_lshl_b64 s[24:25], s[20:21], 3
	v_fmac_f32_e32 v36, s15, v13
	s_add_u32 s24, s34, s24
	s_addc_u32 s25, s11, s25
	s_add_i32 s20, s20, s18
	v_mul_f32_e32 v12, s15, v16
	global_store_dwordx2 v11, v[35:36], s[24:25]
	v_mul_f32_e32 v13, s14, v16
	s_lshl_b64 s[24:25], s[20:21], 3
	v_mul_f32_e32 v16, s14, v18
	s_add_u32 s24, s34, s24
	s_addc_u32 s25, s11, s25
	s_add_i32 s20, s20, s18
	v_fma_f32 v12, v15, s14, -v12
	v_fmac_f32_e32 v13, s15, v15
	v_fma_f32 v15, v17, s14, -v14
	s_waitcnt lgkmcnt(0)
	v_mul_f32_e32 v14, s15, v20
	s_lshl_b64 s[26:27], s[20:21], 3
	v_mul_f32_e32 v18, s14, v20
	s_add_u32 s26, s34, s26
	s_addc_u32 s27, s11, s27
	s_add_i32 s20, s20, s18
	v_fmac_f32_e32 v16, s15, v17
	v_fma_f32 v17, v19, s14, -v14
	v_fmac_f32_e32 v18, s15, v19
	s_lshl_b64 s[28:29], s[20:21], 3
	global_store_dwordx2 v11, v[12:13], s[24:25]
	s_add_u32 s24, s34, s28
	s_addc_u32 s25, s11, s29
	global_store_dwordx2 v11, v[15:16], s[26:27]
	global_store_dwordx2 v11, v[17:18], s[24:25]
	s_branch .LBB328_14
.LBB328_58:                             ;   in Loop: Header=BB328_15 Depth=1
	v_mov_b32_e32 v14, 0
	v_mov_b32_e32 v35, 0
	;; [unrolled: 1-line block ×8, first 2 shown]
.LBB328_59:                             ;   in Loop: Header=BB328_15 Depth=1
	s_or_b32 exec_lo, exec_lo, s41
	s_or_b32 exec_lo, exec_lo, s20
	s_and_saveexec_b32 s20, s4
	s_cbranch_execnz .LBB328_18
	s_branch .LBB328_19
.LBB328_60:
	s_mov_b32 s33, 0
.LBB328_61:
	s_cmp_ge_i32 s33, s13
	s_cbranch_scc1 .LBB328_83
; %bb.62:
	v_cmp_gt_u32_e64 s5, 24, v25
	s_cmp_gt_i32 s31, 0
	s_mov_b32 s7, 0
	s_cselect_b32 s22, -1, 0
	s_lshl_b64 s[20:21], s[6:7], 3
	v_cndmask_b32_e64 v2, 0, 8, s5
	v_cmp_gt_u32_e64 s5, 28, v25
	v_cmp_ge_i32_e64 s10, s12, v27
	v_cmp_gt_u32_e64 s4, 32, v0
	v_lshlrev_b32_e32 v13, 3, v24
	v_add_lshl_u32 v15, v2, v25, 2
	v_cndmask_b32_e64 v3, 0, 4, s5
	v_cmp_gt_u32_e64 s5, 30, v25
	v_ashrrev_i32_e32 v2, 31, v1
	v_lshl_or_b32 v14, v25, 2, 64
	s_waitcnt lgkmcnt(0)
	v_and_b32_e32 v19, 56, v23
	v_add_lshl_u32 v16, v3, v25, 2
	v_cndmask_b32_e64 v4, 0, 2, s5
	v_cmp_ne_u32_e64 s5, 31, v25
	v_add_nc_u32_e32 v3, s19, v1
	v_lshlrev_b64 v[7:8], 3, v[1:2]
	v_cmp_gt_u32_e64 s8, 8, v0
	v_add_lshl_u32 v17, v4, v25, 2
	v_add_co_ci_u32_e64 v5, null, 0, v25, s5
	v_ashrrev_i32_e32 v4, 31, v3
	v_add_co_u32 v2, s6, s16, v7
	v_lshlrev_b32_e32 v18, 2, v5
	v_add_nc_u32_e32 v5, s19, v3
	v_lshlrev_b64 v[9:10], 3, v[3:4]
	v_add_co_ci_u32_e64 v3, null, s17, v8, s6
	v_cmp_eq_u32_e64 s5, 0, v24
	v_add_nc_u32_e32 v11, s19, v5
	v_ashrrev_i32_e32 v6, 31, v5
	v_add_co_u32 v4, s6, s16, v9
	v_cmp_eq_u32_e64 s9, 0, v0
	v_ashrrev_i32_e32 v12, 31, v11
	v_lshlrev_b64 v[6:7], 3, v[5:6]
	v_add_co_ci_u32_e64 v5, null, s17, v10, s6
	v_mov_b32_e32 v10, 0
	v_lshlrev_b64 v[8:9], 3, v[11:12]
	s_add_u32 s7, s34, s20
	v_add_co_u32 v6, s6, s16, v6
	v_add_co_ci_u32_e64 v7, null, s17, v7, s6
	v_add_co_u32 v8, s6, s16, v8
	v_add_co_ci_u32_e64 v9, null, s17, v9, s6
	v_cmp_ge_i32_e32 vcc_lo, s12, v26
	s_addc_u32 s12, s11, s21
	s_and_b32 s20, s22, s10
	s_mul_i32 s10, s33, s30
	s_branch .LBB328_64
.LBB328_63:                             ;   in Loop: Header=BB328_64 Depth=1
	s_or_b32 exec_lo, exec_lo, s6
	s_add_i32 s33, s33, 1
	s_add_i32 s10, s10, s30
	s_cmp_lt_i32 s33, s13
	s_cbranch_scc0 .LBB328_83
.LBB328_64:                             ; =>This Loop Header: Depth=1
                                        ;     Child Loop BB328_76 Depth 2
                                        ;     Child Loop BB328_78 Depth 2
                                        ; implicit-def: $vgpr0
                                        ; implicit-def: $vgpr20
	s_and_saveexec_b32 s6, vcc_lo
	s_xor_b32 s11, exec_lo, s6
	s_cbranch_execnz .LBB328_73
; %bb.65:                               ;   in Loop: Header=BB328_64 Depth=1
	s_andn2_saveexec_b32 s21, s11
	s_cbranch_execnz .LBB328_74
.LBB328_66:                             ;   in Loop: Header=BB328_64 Depth=1
	s_or_b32 exec_lo, exec_lo, s21
	s_and_saveexec_b32 s6, s4
	s_cbranch_execz .LBB328_68
.LBB328_67:                             ;   in Loop: Header=BB328_64 Depth=1
	s_waitcnt lgkmcnt(0)
	v_mov_b32_e32 v11, v10
	ds_write_b64 v13, v[10:11]
.LBB328_68:                             ;   in Loop: Header=BB328_64 Depth=1
	s_or_b32 exec_lo, exec_lo, s6
	s_waitcnt lgkmcnt(0)
	ds_bpermute_b32 v11, v14, v0
	ds_bpermute_b32 v12, v14, v20
	s_waitcnt lgkmcnt(0)
	s_waitcnt_vscnt null, 0x0
	s_barrier
	buffer_gl0_inv
	v_add_f32_e32 v0, v0, v11
	v_add_f32_e32 v11, v20, v12
	ds_bpermute_b32 v12, v15, v0
	ds_bpermute_b32 v20, v15, v11
	s_waitcnt lgkmcnt(1)
	v_add_f32_e32 v0, v0, v12
	s_waitcnt lgkmcnt(0)
	v_add_f32_e32 v11, v11, v20
	ds_bpermute_b32 v12, v16, v0
	ds_bpermute_b32 v20, v16, v11
	s_waitcnt lgkmcnt(1)
	v_add_f32_e32 v0, v0, v12
	s_waitcnt lgkmcnt(0)
	v_add_f32_e32 v11, v11, v20
	ds_bpermute_b32 v12, v17, v0
	ds_bpermute_b32 v20, v17, v11
	s_waitcnt lgkmcnt(1)
	v_add_f32_e32 v0, v0, v12
	s_waitcnt lgkmcnt(0)
	v_add_f32_e32 v11, v11, v20
	ds_bpermute_b32 v12, v18, v0
	ds_bpermute_b32 v20, v18, v11
	s_and_saveexec_b32 s6, s5
	s_cbranch_execz .LBB328_70
; %bb.69:                               ;   in Loop: Header=BB328_64 Depth=1
	s_waitcnt lgkmcnt(0)
	v_add_f32_e32 v24, v11, v20
	v_add_f32_e32 v23, v0, v12
	ds_write_b64 v19, v[23:24]
.LBB328_70:                             ;   in Loop: Header=BB328_64 Depth=1
	s_or_b32 exec_lo, exec_lo, s6
	s_waitcnt lgkmcnt(1)
	v_mov_b32_e32 v12, 0
	v_mov_b32_e32 v11, 0
	s_waitcnt lgkmcnt(0)
	s_barrier
	buffer_gl0_inv
	s_and_saveexec_b32 s6, s8
	s_cbranch_execnz .LBB328_80
; %bb.71:                               ;   in Loop: Header=BB328_64 Depth=1
	s_or_b32 exec_lo, exec_lo, s6
	s_and_saveexec_b32 s6, s4
	s_cbranch_execnz .LBB328_81
.LBB328_72:                             ;   in Loop: Header=BB328_64 Depth=1
	s_or_b32 exec_lo, exec_lo, s6
	s_and_saveexec_b32 s6, s9
	s_cbranch_execz .LBB328_63
	s_branch .LBB328_82
.LBB328_73:                             ;   in Loop: Header=BB328_64 Depth=1
	s_mul_i32 s22, s33, s30
	s_ashr_i32 s23, s22, 31
	s_lshl_b64 s[22:23], s[22:23], 3
	s_waitcnt lgkmcnt(0)
	v_add_co_u32 v11, s6, v21, s22
	v_add_co_ci_u32_e64 v12, null, s23, v22, s6
	flat_load_dwordx4 v[23:26], v[11:12]
	s_clause 0x1
	flat_load_dwordx2 v[31:32], v[2:3]
	flat_load_dwordx2 v[33:34], v[4:5]
	flat_load_dwordx4 v[27:30], v[11:12] offset:16
	s_clause 0x1
	flat_load_dwordx2 v[11:12], v[6:7]
	flat_load_dwordx2 v[35:36], v[8:9]
	s_waitcnt vmcnt(4) lgkmcnt(4)
	v_mul_f32_e32 v0, v24, v32
	v_mul_f32_e32 v20, v24, v31
	s_waitcnt vmcnt(3) lgkmcnt(3)
	v_mul_f32_e32 v24, v26, v34
	v_mul_f32_e32 v26, v26, v33
	s_waitcnt vmcnt(1) lgkmcnt(1)
	v_mul_f32_e32 v37, v28, v12
	v_fmac_f32_e32 v0, v23, v31
	v_fma_f32 v20, v23, v32, -v20
	v_mul_f32_e32 v28, v28, v11
	v_fmac_f32_e32 v24, v25, v33
	v_fma_f32 v25, v25, v34, -v26
	v_add_f32_e32 v0, 0, v0
	v_add_f32_e32 v20, 0, v20
	s_waitcnt vmcnt(0) lgkmcnt(0)
	v_mul_f32_e32 v23, v30, v36
	v_mul_f32_e32 v26, v30, v35
	v_fmac_f32_e32 v37, v27, v11
	v_fma_f32 v27, v27, v12, -v28
	v_add_f32_e32 v0, v0, v24
	v_add_f32_e32 v20, v20, v25
	v_fmac_f32_e32 v23, v29, v35
	v_fma_f32 v24, v29, v36, -v26
	buffer_store_dword v32, off, s[0:3], 0 offset:4
	v_add_f32_e32 v0, v0, v37
	v_add_f32_e32 v20, v20, v27
	buffer_store_dword v31, off, s[0:3], 0
	buffer_store_dword v34, off, s[0:3], 0 offset:12
	buffer_store_dword v33, off, s[0:3], 0 offset:8
	;; [unrolled: 1-line block ×6, first 2 shown]
	v_add_f32_e32 v0, v0, v23
	v_add_f32_e32 v20, v20, v24
	s_andn2_saveexec_b32 s21, s11
	s_cbranch_execz .LBB328_66
.LBB328_74:                             ;   in Loop: Header=BB328_64 Depth=1
	v_mov_b32_e32 v0, 0
	v_mov_b32_e32 v20, 0
	s_and_saveexec_b32 s22, s20
	s_cbranch_execz .LBB328_79
; %bb.75:                               ;   in Loop: Header=BB328_64 Depth=1
	s_waitcnt lgkmcnt(0)
	v_mov_b32_e32 v11, v1
	s_mov_b32 s11, 0
	s_mov_b32 s23, s31
	.p2align	6
.LBB328_76:                             ;   Parent Loop BB328_64 Depth=1
                                        ; =>  This Inner Loop Header: Depth=2
	v_ashrrev_i32_e32 v12, 31, v11
	v_mov_b32_e32 v0, s11
	s_add_i32 s23, s23, -1
	s_add_i32 s11, s11, 8
	s_cmp_eq_u32 s23, 0
	v_lshlrev_b64 v[23:24], 3, v[11:12]
	v_add_nc_u32_e32 v11, s19, v11
	v_add_co_u32 v23, s6, s16, v23
	v_add_co_ci_u32_e64 v24, null, s17, v24, s6
	flat_load_dwordx2 v[23:24], v[23:24]
	s_waitcnt vmcnt(0) lgkmcnt(0)
	buffer_store_dword v24, v0, s[0:3], 0 offen offset:4
	buffer_store_dword v23, v0, s[0:3], 0 offen
	s_cbranch_scc0 .LBB328_76
; %bb.77:                               ;   in Loop: Header=BB328_64 Depth=1
	s_ashr_i32 s11, s10, 31
	v_mov_b32_e32 v0, 0
	s_lshl_b64 s[24:25], s[10:11], 3
	v_mov_b32_e32 v20, 0
	v_add_co_u32 v11, s6, v21, s24
	v_add_co_ci_u32_e64 v12, null, s25, v22, s6
	s_mov_b32 s11, 0
	s_mov_b32 s23, s31
	.p2align	6
.LBB328_78:                             ;   Parent Loop BB328_64 Depth=1
                                        ; =>  This Inner Loop Header: Depth=2
	v_mov_b32_e32 v25, s11
	flat_load_dwordx2 v[23:24], v[11:12]
	v_add_co_u32 v11, s6, v11, 8
	v_add_co_ci_u32_e64 v12, null, 0, v12, s6
	s_clause 0x1
	buffer_load_dword v26, v25, s[0:3], 0 offen offset:4
	buffer_load_dword v25, v25, s[0:3], 0 offen
	s_add_i32 s23, s23, -1
	s_add_i32 s11, s11, 8
	s_cmp_lg_u32 s23, 0
	s_waitcnt vmcnt(1) lgkmcnt(0)
	v_mul_f32_e32 v27, v24, v26
	s_waitcnt vmcnt(0)
	v_mul_f32_e32 v24, v24, v25
	v_fmac_f32_e32 v27, v23, v25
	v_fma_f32 v23, v23, v26, -v24
	v_add_f32_e32 v0, v0, v27
	v_add_f32_e32 v20, v20, v23
	s_cbranch_scc1 .LBB328_78
.LBB328_79:                             ;   in Loop: Header=BB328_64 Depth=1
	s_or_b32 exec_lo, exec_lo, s22
	s_or_b32 exec_lo, exec_lo, s21
	s_and_saveexec_b32 s6, s4
	s_cbranch_execnz .LBB328_67
	s_branch .LBB328_68
.LBB328_80:                             ;   in Loop: Header=BB328_64 Depth=1
	ds_read_b64 v[11:12], v13
	s_or_b32 exec_lo, exec_lo, s6
	s_and_saveexec_b32 s6, s4
	s_cbranch_execz .LBB328_72
.LBB328_81:                             ;   in Loop: Header=BB328_64 Depth=1
	s_waitcnt lgkmcnt(0)
	ds_bpermute_b32 v0, v16, v11
	ds_bpermute_b32 v20, v16, v12
	s_waitcnt lgkmcnt(1)
	v_add_f32_e32 v0, v11, v0
	s_waitcnt lgkmcnt(0)
	v_add_f32_e32 v11, v12, v20
	ds_bpermute_b32 v12, v17, v0
	ds_bpermute_b32 v20, v17, v11
	s_waitcnt lgkmcnt(1)
	v_add_f32_e32 v0, v0, v12
	s_waitcnt lgkmcnt(0)
	v_add_f32_e32 v12, v11, v20
	;; [unrolled: 6-line block ×3, first 2 shown]
	s_or_b32 exec_lo, exec_lo, s6
	s_and_saveexec_b32 s6, s9
	s_cbranch_execz .LBB328_63
.LBB328_82:                             ;   in Loop: Header=BB328_64 Depth=1
	s_waitcnt lgkmcnt(0)
	v_mul_f32_e32 v0, s15, v12
	v_mul_f32_e32 v24, s14, v12
	s_mul_hi_u32 s23, s33, s18
	s_mul_i32 s22, s33, s18
	s_lshl_b64 s[22:23], s[22:23], 3
	v_fma_f32 v23, v11, s14, -v0
	v_fmac_f32_e32 v24, s15, v11
	s_add_u32 s22, s7, s22
	s_addc_u32 s23, s12, s23
	global_store_dwordx2 v10, v[23:24], s[22:23]
	s_branch .LBB328_63
.LBB328_83:
	s_endpgm
	.section	.rodata,"a",@progbits
	.p2align	6, 0x0
	.amdhsa_kernel _ZL23rocblas_gemvt_sn_kernelILb1ELi256ELi4EiPK19rocblas_complex_numIfES1_S1_EviiT4_lPKT3_lilS7_lilPT5_i
		.amdhsa_group_segment_fixed_size 256
		.amdhsa_private_segment_fixed_size 48
		.amdhsa_kernarg_size 360
		.amdhsa_user_sgpr_count 6
		.amdhsa_user_sgpr_private_segment_buffer 1
		.amdhsa_user_sgpr_dispatch_ptr 0
		.amdhsa_user_sgpr_queue_ptr 0
		.amdhsa_user_sgpr_kernarg_segment_ptr 1
		.amdhsa_user_sgpr_dispatch_id 0
		.amdhsa_user_sgpr_flat_scratch_init 0
		.amdhsa_user_sgpr_private_segment_size 0
		.amdhsa_wavefront_size32 1
		.amdhsa_uses_dynamic_stack 0
		.amdhsa_system_sgpr_private_segment_wavefront_offset 1
		.amdhsa_system_sgpr_workgroup_id_x 1
		.amdhsa_system_sgpr_workgroup_id_y 0
		.amdhsa_system_sgpr_workgroup_id_z 1
		.amdhsa_system_sgpr_workgroup_info 0
		.amdhsa_system_vgpr_workitem_id 0
		.amdhsa_next_free_vgpr 61
		.amdhsa_next_free_sgpr 50
		.amdhsa_reserve_vcc 1
		.amdhsa_reserve_flat_scratch 1
		.amdhsa_float_round_mode_32 0
		.amdhsa_float_round_mode_16_64 0
		.amdhsa_float_denorm_mode_32 3
		.amdhsa_float_denorm_mode_16_64 3
		.amdhsa_dx10_clamp 1
		.amdhsa_ieee_mode 1
		.amdhsa_fp16_overflow 0
		.amdhsa_workgroup_processor_mode 1
		.amdhsa_memory_ordered 1
		.amdhsa_forward_progress 1
		.amdhsa_shared_vgpr_count 0
		.amdhsa_exception_fp_ieee_invalid_op 0
		.amdhsa_exception_fp_denorm_src 0
		.amdhsa_exception_fp_ieee_div_zero 0
		.amdhsa_exception_fp_ieee_overflow 0
		.amdhsa_exception_fp_ieee_underflow 0
		.amdhsa_exception_fp_ieee_inexact 0
		.amdhsa_exception_int_div_zero 0
	.end_amdhsa_kernel
	.section	.text._ZL23rocblas_gemvt_sn_kernelILb1ELi256ELi4EiPK19rocblas_complex_numIfES1_S1_EviiT4_lPKT3_lilS7_lilPT5_i,"axG",@progbits,_ZL23rocblas_gemvt_sn_kernelILb1ELi256ELi4EiPK19rocblas_complex_numIfES1_S1_EviiT4_lPKT3_lilS7_lilPT5_i,comdat
.Lfunc_end328:
	.size	_ZL23rocblas_gemvt_sn_kernelILb1ELi256ELi4EiPK19rocblas_complex_numIfES1_S1_EviiT4_lPKT3_lilS7_lilPT5_i, .Lfunc_end328-_ZL23rocblas_gemvt_sn_kernelILb1ELi256ELi4EiPK19rocblas_complex_numIfES1_S1_EviiT4_lPKT3_lilS7_lilPT5_i
                                        ; -- End function
	.set _ZL23rocblas_gemvt_sn_kernelILb1ELi256ELi4EiPK19rocblas_complex_numIfES1_S1_EviiT4_lPKT3_lilS7_lilPT5_i.num_vgpr, 61
	.set _ZL23rocblas_gemvt_sn_kernelILb1ELi256ELi4EiPK19rocblas_complex_numIfES1_S1_EviiT4_lPKT3_lilS7_lilPT5_i.num_agpr, 0
	.set _ZL23rocblas_gemvt_sn_kernelILb1ELi256ELi4EiPK19rocblas_complex_numIfES1_S1_EviiT4_lPKT3_lilS7_lilPT5_i.numbered_sgpr, 50
	.set _ZL23rocblas_gemvt_sn_kernelILb1ELi256ELi4EiPK19rocblas_complex_numIfES1_S1_EviiT4_lPKT3_lilS7_lilPT5_i.num_named_barrier, 0
	.set _ZL23rocblas_gemvt_sn_kernelILb1ELi256ELi4EiPK19rocblas_complex_numIfES1_S1_EviiT4_lPKT3_lilS7_lilPT5_i.private_seg_size, 48
	.set _ZL23rocblas_gemvt_sn_kernelILb1ELi256ELi4EiPK19rocblas_complex_numIfES1_S1_EviiT4_lPKT3_lilS7_lilPT5_i.uses_vcc, 1
	.set _ZL23rocblas_gemvt_sn_kernelILb1ELi256ELi4EiPK19rocblas_complex_numIfES1_S1_EviiT4_lPKT3_lilS7_lilPT5_i.uses_flat_scratch, 1
	.set _ZL23rocblas_gemvt_sn_kernelILb1ELi256ELi4EiPK19rocblas_complex_numIfES1_S1_EviiT4_lPKT3_lilS7_lilPT5_i.has_dyn_sized_stack, 0
	.set _ZL23rocblas_gemvt_sn_kernelILb1ELi256ELi4EiPK19rocblas_complex_numIfES1_S1_EviiT4_lPKT3_lilS7_lilPT5_i.has_recursion, 0
	.set _ZL23rocblas_gemvt_sn_kernelILb1ELi256ELi4EiPK19rocblas_complex_numIfES1_S1_EviiT4_lPKT3_lilS7_lilPT5_i.has_indirect_call, 0
	.section	.AMDGPU.csdata,"",@progbits
; Kernel info:
; codeLenInByte = 5496
; TotalNumSgprs: 52
; NumVgprs: 61
; ScratchSize: 48
; MemoryBound: 0
; FloatMode: 240
; IeeeMode: 1
; LDSByteSize: 256 bytes/workgroup (compile time only)
; SGPRBlocks: 0
; VGPRBlocks: 7
; NumSGPRsForWavesPerEU: 52
; NumVGPRsForWavesPerEU: 61
; Occupancy: 16
; WaveLimiterHint : 0
; COMPUTE_PGM_RSRC2:SCRATCH_EN: 1
; COMPUTE_PGM_RSRC2:USER_SGPR: 6
; COMPUTE_PGM_RSRC2:TRAP_HANDLER: 0
; COMPUTE_PGM_RSRC2:TGID_X_EN: 1
; COMPUTE_PGM_RSRC2:TGID_Y_EN: 0
; COMPUTE_PGM_RSRC2:TGID_Z_EN: 1
; COMPUTE_PGM_RSRC2:TIDIG_COMP_CNT: 0
	.section	.text._ZL23rocblas_gemvt_sn_kernelILb1ELi256ELi4ElPK19rocblas_complex_numIfES1_S1_EviiT4_lPKT3_lilS7_lilPT5_i,"axG",@progbits,_ZL23rocblas_gemvt_sn_kernelILb1ELi256ELi4ElPK19rocblas_complex_numIfES1_S1_EviiT4_lPKT3_lilS7_lilPT5_i,comdat
	.globl	_ZL23rocblas_gemvt_sn_kernelILb1ELi256ELi4ElPK19rocblas_complex_numIfES1_S1_EviiT4_lPKT3_lilS7_lilPT5_i ; -- Begin function _ZL23rocblas_gemvt_sn_kernelILb1ELi256ELi4ElPK19rocblas_complex_numIfES1_S1_EviiT4_lPKT3_lilS7_lilPT5_i
	.p2align	8
	.type	_ZL23rocblas_gemvt_sn_kernelILb1ELi256ELi4ElPK19rocblas_complex_numIfES1_S1_EviiT4_lPKT3_lilS7_lilPT5_i,@function
_ZL23rocblas_gemvt_sn_kernelILb1ELi256ELi4ElPK19rocblas_complex_numIfES1_S1_EviiT4_lPKT3_lilS7_lilPT5_i: ; @_ZL23rocblas_gemvt_sn_kernelILb1ELi256ELi4ElPK19rocblas_complex_numIfES1_S1_EviiT4_lPKT3_lilS7_lilPT5_i
; %bb.0:
	s_load_dwordx4 s[12:15], s[4:5], 0x0
	s_add_u32 s0, s0, s8
	s_addc_u32 s1, s1, 0
	s_mov_b32 s10, s7
	s_mov_b32 s11, 0
	s_waitcnt lgkmcnt(0)
	s_or_b32 s7, s14, s15
	s_and_b32 s8, s7, 0x7fffffff
	s_cmp_lg_u32 s8, 0
	s_cselect_b32 s7, -1, 0
	s_cmp_eq_u32 s8, 0
	s_cselect_b32 s18, -1, 0
	s_and_b32 vcc_lo, exec_lo, s7
	s_cbranch_vccnz .LBB329_2
; %bb.1:
	s_mov_b32 s8, s11
	s_mov_b64 s[22:23], 0
	s_andn2_b32 vcc_lo, exec_lo, s8
	s_mov_b64 s[20:21], 0
	s_cbranch_vccz .LBB329_3
	s_branch .LBB329_4
.LBB329_2:
	s_mov_b64 s[22:23], 0
	s_mov_b64 s[20:21], 0
.LBB329_3:
	s_load_dwordx4 s[24:27], s[4:5], 0x18
	s_lshl_b64 s[8:9], s[10:11], 3
	s_waitcnt lgkmcnt(0)
	s_add_u32 s8, s24, s8
	s_addc_u32 s9, s25, s9
	s_lshl_b64 s[16:17], s[26:27], 3
	s_load_dwordx2 s[8:9], s[8:9], 0x0
	s_waitcnt lgkmcnt(0)
	s_add_u32 s20, s8, s16
	s_addc_u32 s21, s9, s17
.LBB329_4:
	s_andn2_b32 vcc_lo, exec_lo, s7
	s_cbranch_vccnz .LBB329_6
; %bb.5:
	s_load_dwordx4 s[24:27], s[4:5], 0x38
	s_lshl_b64 s[8:9], s[10:11], 3
	s_waitcnt lgkmcnt(0)
	s_add_u32 s8, s24, s8
	s_addc_u32 s9, s25, s9
	s_lshl_b64 s[16:17], s[26:27], 3
	s_load_dwordx2 s[8:9], s[8:9], 0x0
	s_waitcnt lgkmcnt(0)
	s_add_u32 s22, s8, s16
	s_addc_u32 s23, s9, s17
.LBB329_6:
	s_clause 0x1
	s_load_dword s16, s[4:5], 0x68
	s_load_dwordx2 s[8:9], s[4:5], 0x58
	s_ashr_i32 s26, s13, 31
	s_mul_hi_u32 s11, s10, s13
	s_mul_i32 s19, s10, s13
	s_mul_i32 s10, s10, s26
	v_cmp_eq_u32_e64 s7, 0, v0
	s_add_i32 s10, s11, s10
	s_andn2_b32 vcc_lo, exec_lo, s18
	s_mov_b32 s17, 0
	s_waitcnt lgkmcnt(0)
	s_mul_i32 s11, s10, s16
	s_mul_hi_u32 s18, s19, s16
	s_mul_i32 s10, s19, s16
	s_add_i32 s11, s18, s11
	s_mov_b32 s18, -1
	s_cbranch_vccnz .LBB329_11
; %bb.7:
	s_cmp_gt_i32 s13, 0
	s_cselect_b32 s18, -1, 0
	s_and_b32 s7, s7, s18
	s_and_saveexec_b32 s27, s7
	s_cbranch_execz .LBB329_10
; %bb.8:
	s_mov_b32 s7, 0
	v_mov_b32_e32 v1, 0
	s_lshl_b64 s[18:19], s[10:11], 3
	s_lshl_b64 s[24:25], s[6:7], 3
	s_add_u32 s7, s18, s24
	s_addc_u32 s18, s19, s25
	s_add_u32 s7, s8, s7
	v_mov_b32_e32 v2, v1
	s_addc_u32 s19, s9, s18
	s_add_u32 s18, s7, 4
	s_addc_u32 s19, s19, 0
	s_lshl_b64 s[24:25], s[16:17], 3
	s_mov_b32 s7, s13
.LBB329_9:                              ; =>This Inner Loop Header: Depth=1
	s_add_i32 s7, s7, -1
	global_store_dwordx2 v1, v[1:2], s[18:19] offset:-4
	s_add_u32 s18, s18, s24
	s_addc_u32 s19, s19, s25
	s_cmp_eq_u32 s7, 0
	s_cbranch_scc0 .LBB329_9
.LBB329_10:
	s_or_b32 exec_lo, exec_lo, s27
	s_mov_b32 s18, 0
.LBB329_11:
	s_andn2_b32 vcc_lo, exec_lo, s18
	s_cbranch_vccnz .LBB329_83
; %bb.12:
	s_clause 0x1
	s_load_dword s18, s[4:5], 0x28
	s_load_dword s24, s[4:5], 0x48
	s_lshl_b64 s[10:11], s[10:11], 3
	v_and_b32_e32 v28, 31, v0
	v_cmp_gt_u32_e64 s4, 32, v0
	v_mbcnt_lo_u32_b32 v30, -1, 0
	v_cmp_gt_u32_e64 s5, 8, v0
	v_lshrrev_b32_e32 v31, 2, v0
	s_waitcnt lgkmcnt(0)
	s_ashr_i32 s19, s18, 31
	s_ashr_i32 s25, s24, 31
	s_add_u32 s33, s8, s10
	s_addc_u32 s34, s9, s11
	s_lshl_b32 s7, s6, 10
	s_ashr_i32 s8, s12, 31
	v_lshl_or_b32 v5, v0, 2, s7
	s_lshr_b32 s7, s26, 30
	s_lshr_b32 s8, s8, 30
	s_add_i32 s7, s13, s7
	s_add_i32 s8, s12, s8
	v_ashrrev_i32_e32 v6, 31, v5
	s_and_b32 s35, s7, -4
	s_and_b32 s7, s8, -4
	v_add_nc_u32_e32 v32, 4, v5
	s_sub_i32 s17, s12, s7
	v_lshlrev_b64 v[3:4], 3, v[5:6]
	v_or_b32_e32 v29, 1, v5
	v_or_b32_e32 v27, 2, v5
	v_add_nc_u32_e32 v33, s17, v5
	v_or_b32_e32 v26, 3, v5
	s_cmp_lt_i32 s35, 1
	v_add_co_u32 v1, vcc_lo, s20, v3
	v_add_co_ci_u32_e64 v2, null, s21, v4, vcc_lo
	s_cbranch_scc1 .LBB329_60
; %bb.13:
	v_cmp_gt_u32_e32 vcc_lo, 24, v30
	v_mad_i64_i32 v[10:11], null, s24, v27, 0
	v_mad_i64_i32 v[12:13], null, s24, v26, 0
	v_cndmask_b32_e64 v6, 0, 8, vcc_lo
	v_cmp_gt_u32_e32 vcc_lo, 28, v30
	s_cmp_gt_i32 s17, 0
	s_mov_b32 s7, 0
	v_lshlrev_b64 v[10:11], 3, v[10:11]
	v_add_lshl_u32 v35, v6, v30, 2
	v_cndmask_b32_e64 v7, 0, 4, vcc_lo
	v_cmp_gt_u32_e32 vcc_lo, 30, v30
	v_lshlrev_b64 v[12:13], 3, v[12:13]
	v_mov_b32_e32 v17, v2
	v_cmp_ge_i32_e64 s8, s12, v32
	v_add_lshl_u32 v36, v7, v30, 2
	v_cndmask_b32_e64 v8, 0, 2, vcc_lo
	v_cmp_ne_u32_e32 vcc_lo, 31, v30
	v_mad_i64_i32 v[6:7], null, s24, v5, 0
	v_cmp_ge_i32_e64 s9, s12, v33
	v_add_lshl_u32 v37, v8, v30, 2
	v_add_co_ci_u32_e64 v9, null, 0, v30, vcc_lo
	s_cselect_b32 s36, -1, 0
	v_lshl_or_b32 v34, v30, 2, 64
	v_lshlrev_b64 v[6:7], 3, v[6:7]
	v_lshlrev_b32_e32 v38, 2, v9
	v_mad_i64_i32 v[8:9], null, s24, v29, 0
	v_cmp_eq_u32_e64 s10, 0, v28
	v_lshlrev_b32_e32 v39, 3, v28
	v_add_co_u32 v6, vcc_lo, s22, v6
	v_add_co_ci_u32_e64 v7, null, s23, v7, vcc_lo
	v_lshlrev_b64 v[8:9], 3, v[8:9]
	v_and_b32_e32 v40, 56, v31
	s_lshl_b64 s[26:27], s[6:7], 3
	v_cmp_eq_u32_e64 s11, 0, v0
	v_mov_b32_e32 v14, 0
	v_mov_b32_e32 v16, v1
	v_add_co_u32 v8, vcc_lo, s22, v8
	v_add_co_ci_u32_e64 v9, null, s23, v9, vcc_lo
	v_add_co_u32 v10, vcc_lo, s22, v10
	v_add_co_ci_u32_e64 v11, null, s23, v11, vcc_lo
	;; [unrolled: 2-line block ×3, first 2 shown]
	s_add_u32 s37, s33, s26
	s_addc_u32 s38, s34, s27
	s_lshl_b64 s[26:27], s[24:25], 3
	s_lshl_b64 s[28:29], s[18:19], 5
	;; [unrolled: 1-line block ×3, first 2 shown]
	s_branch .LBB329_15
.LBB329_14:                             ;   in Loop: Header=BB329_15 Depth=1
	s_or_b32 exec_lo, exec_lo, s39
	v_add_co_u32 v16, vcc_lo, v16, s28
	v_add_co_ci_u32_e64 v17, null, s29, v17, vcc_lo
	s_add_i32 s7, s7, 4
	s_cmp_ge_i32 s7, s35
	s_cbranch_scc1 .LBB329_61
.LBB329_15:                             ; =>This Loop Header: Depth=1
                                        ;     Child Loop BB329_46 Depth 2
                                        ;     Child Loop BB329_48 Depth 2
                                        ; implicit-def: $vgpr41
                                        ; implicit-def: $vgpr42
                                        ; implicit-def: $vgpr20
                                        ; implicit-def: $vgpr21
                                        ; implicit-def: $vgpr22
                                        ; implicit-def: $vgpr23
                                        ; implicit-def: $vgpr25
                                        ; implicit-def: $vgpr24
	s_and_saveexec_b32 s39, s8
	s_xor_b32 s39, exec_lo, s39
	s_cbranch_execnz .LBB329_42
; %bb.16:                               ;   in Loop: Header=BB329_15 Depth=1
	s_andn2_saveexec_b32 s39, s39
	s_cbranch_execnz .LBB329_43
.LBB329_17:                             ;   in Loop: Header=BB329_15 Depth=1
	s_or_b32 exec_lo, exec_lo, s39
	s_and_saveexec_b32 s39, s4
.LBB329_18:                             ;   in Loop: Header=BB329_15 Depth=1
	v_mov_b32_e32 v15, v14
	ds_write_b64 v39, v[14:15]
.LBB329_19:                             ;   in Loop: Header=BB329_15 Depth=1
	s_or_b32 exec_lo, exec_lo, s39
	ds_bpermute_b32 v15, v34, v41
	ds_bpermute_b32 v18, v34, v42
	s_waitcnt lgkmcnt(0)
	s_waitcnt_vscnt null, 0x0
	s_barrier
	buffer_gl0_inv
	v_add_f32_e32 v15, v41, v15
	v_add_f32_e32 v18, v42, v18
	ds_bpermute_b32 v19, v35, v15
	ds_bpermute_b32 v41, v35, v18
	s_waitcnt lgkmcnt(1)
	v_add_f32_e32 v15, v15, v19
	s_waitcnt lgkmcnt(0)
	v_add_f32_e32 v18, v18, v41
	ds_bpermute_b32 v19, v36, v15
	ds_bpermute_b32 v41, v36, v18
	s_waitcnt lgkmcnt(1)
	v_add_f32_e32 v15, v15, v19
	s_waitcnt lgkmcnt(0)
	;; [unrolled: 6-line block ×3, first 2 shown]
	v_add_f32_e32 v18, v18, v41
	ds_bpermute_b32 v19, v38, v15
	ds_bpermute_b32 v41, v38, v18
	s_and_saveexec_b32 s39, s10
	s_cbranch_execz .LBB329_21
; %bb.20:                               ;   in Loop: Header=BB329_15 Depth=1
	s_waitcnt lgkmcnt(0)
	v_add_f32_e32 v42, v18, v41
	v_add_f32_e32 v41, v15, v19
	ds_write_b64 v40, v[41:42]
.LBB329_21:                             ;   in Loop: Header=BB329_15 Depth=1
	s_or_b32 exec_lo, exec_lo, s39
	s_waitcnt lgkmcnt(1)
	v_mov_b32_e32 v19, 0
	v_mov_b32_e32 v18, 0
	s_waitcnt lgkmcnt(0)
	s_barrier
	buffer_gl0_inv
	s_and_saveexec_b32 s39, s5
	s_cbranch_execnz .LBB329_49
; %bb.22:                               ;   in Loop: Header=BB329_15 Depth=1
	s_or_b32 exec_lo, exec_lo, s39
	s_and_saveexec_b32 s39, s4
	s_cbranch_execnz .LBB329_50
.LBB329_23:                             ;   in Loop: Header=BB329_15 Depth=1
	s_or_b32 exec_lo, exec_lo, s39
	s_and_saveexec_b32 s39, s4
.LBB329_24:                             ;   in Loop: Header=BB329_15 Depth=1
	v_mov_b32_e32 v15, v14
	ds_write_b64 v39, v[14:15]
.LBB329_25:                             ;   in Loop: Header=BB329_15 Depth=1
	s_or_b32 exec_lo, exec_lo, s39
	ds_bpermute_b32 v15, v34, v20
	ds_bpermute_b32 v41, v34, v21
	s_waitcnt lgkmcnt(0)
	s_barrier
	buffer_gl0_inv
	v_add_f32_e32 v15, v20, v15
	v_add_f32_e32 v20, v21, v41
	ds_bpermute_b32 v21, v35, v15
	ds_bpermute_b32 v41, v35, v20
	s_waitcnt lgkmcnt(1)
	v_add_f32_e32 v15, v15, v21
	s_waitcnt lgkmcnt(0)
	v_add_f32_e32 v20, v20, v41
	ds_bpermute_b32 v21, v36, v15
	ds_bpermute_b32 v41, v36, v20
	s_waitcnt lgkmcnt(1)
	v_add_f32_e32 v15, v15, v21
	s_waitcnt lgkmcnt(0)
	;; [unrolled: 6-line block ×3, first 2 shown]
	v_add_f32_e32 v20, v20, v41
	ds_bpermute_b32 v21, v38, v15
	ds_bpermute_b32 v41, v38, v20
	s_and_saveexec_b32 s39, s10
	s_cbranch_execz .LBB329_27
; %bb.26:                               ;   in Loop: Header=BB329_15 Depth=1
	s_waitcnt lgkmcnt(0)
	v_add_f32_e32 v42, v20, v41
	v_add_f32_e32 v41, v15, v21
	ds_write_b64 v40, v[41:42]
.LBB329_27:                             ;   in Loop: Header=BB329_15 Depth=1
	s_or_b32 exec_lo, exec_lo, s39
	s_waitcnt lgkmcnt(1)
	v_mov_b32_e32 v21, 0
	v_mov_b32_e32 v20, 0
	s_waitcnt lgkmcnt(0)
	s_barrier
	buffer_gl0_inv
	s_and_saveexec_b32 s39, s5
	s_cbranch_execnz .LBB329_51
; %bb.28:                               ;   in Loop: Header=BB329_15 Depth=1
	s_or_b32 exec_lo, exec_lo, s39
	s_and_saveexec_b32 s39, s4
	s_cbranch_execnz .LBB329_52
.LBB329_29:                             ;   in Loop: Header=BB329_15 Depth=1
	s_or_b32 exec_lo, exec_lo, s39
	s_and_saveexec_b32 s39, s4
.LBB329_30:                             ;   in Loop: Header=BB329_15 Depth=1
	v_mov_b32_e32 v15, v14
	ds_write_b64 v39, v[14:15]
.LBB329_31:                             ;   in Loop: Header=BB329_15 Depth=1
	s_or_b32 exec_lo, exec_lo, s39
	ds_bpermute_b32 v15, v34, v22
	ds_bpermute_b32 v41, v34, v23
	s_waitcnt lgkmcnt(0)
	s_barrier
	buffer_gl0_inv
	v_add_f32_e32 v15, v22, v15
	v_add_f32_e32 v22, v23, v41
	ds_bpermute_b32 v23, v35, v15
	ds_bpermute_b32 v41, v35, v22
	s_waitcnt lgkmcnt(1)
	v_add_f32_e32 v15, v15, v23
	s_waitcnt lgkmcnt(0)
	v_add_f32_e32 v22, v22, v41
	ds_bpermute_b32 v23, v36, v15
	ds_bpermute_b32 v41, v36, v22
	s_waitcnt lgkmcnt(1)
	v_add_f32_e32 v15, v15, v23
	s_waitcnt lgkmcnt(0)
	;; [unrolled: 6-line block ×3, first 2 shown]
	v_add_f32_e32 v22, v22, v41
	ds_bpermute_b32 v23, v38, v15
	ds_bpermute_b32 v41, v38, v22
	s_and_saveexec_b32 s39, s10
	s_cbranch_execz .LBB329_33
; %bb.32:                               ;   in Loop: Header=BB329_15 Depth=1
	s_waitcnt lgkmcnt(0)
	v_add_f32_e32 v42, v22, v41
	v_add_f32_e32 v41, v15, v23
	ds_write_b64 v40, v[41:42]
.LBB329_33:                             ;   in Loop: Header=BB329_15 Depth=1
	s_or_b32 exec_lo, exec_lo, s39
	s_waitcnt lgkmcnt(1)
	v_mov_b32_e32 v23, 0
	v_mov_b32_e32 v22, 0
	s_waitcnt lgkmcnt(0)
	s_barrier
	buffer_gl0_inv
	s_and_saveexec_b32 s39, s5
	s_cbranch_execnz .LBB329_53
; %bb.34:                               ;   in Loop: Header=BB329_15 Depth=1
	s_or_b32 exec_lo, exec_lo, s39
	s_and_saveexec_b32 s39, s4
	s_cbranch_execnz .LBB329_54
.LBB329_35:                             ;   in Loop: Header=BB329_15 Depth=1
	s_or_b32 exec_lo, exec_lo, s39
	s_and_saveexec_b32 s39, s4
.LBB329_36:                             ;   in Loop: Header=BB329_15 Depth=1
	v_mov_b32_e32 v15, v14
	ds_write_b64 v39, v[14:15]
.LBB329_37:                             ;   in Loop: Header=BB329_15 Depth=1
	s_or_b32 exec_lo, exec_lo, s39
	ds_bpermute_b32 v15, v34, v25
	ds_bpermute_b32 v41, v34, v24
	s_waitcnt lgkmcnt(0)
	s_barrier
	buffer_gl0_inv
	v_add_f32_e32 v15, v25, v15
	v_add_f32_e32 v24, v24, v41
	ds_bpermute_b32 v25, v35, v15
	ds_bpermute_b32 v41, v35, v24
	s_waitcnt lgkmcnt(1)
	v_add_f32_e32 v15, v15, v25
	s_waitcnt lgkmcnt(0)
	v_add_f32_e32 v24, v24, v41
	ds_bpermute_b32 v25, v36, v15
	ds_bpermute_b32 v41, v36, v24
	s_waitcnt lgkmcnt(1)
	v_add_f32_e32 v15, v15, v25
	s_waitcnt lgkmcnt(0)
	;; [unrolled: 6-line block ×3, first 2 shown]
	v_add_f32_e32 v24, v24, v41
	ds_bpermute_b32 v25, v38, v15
	ds_bpermute_b32 v41, v38, v24
	s_and_saveexec_b32 s39, s10
	s_cbranch_execz .LBB329_39
; %bb.38:                               ;   in Loop: Header=BB329_15 Depth=1
	s_waitcnt lgkmcnt(0)
	v_add_f32_e32 v42, v24, v41
	v_add_f32_e32 v41, v15, v25
	ds_write_b64 v40, v[41:42]
.LBB329_39:                             ;   in Loop: Header=BB329_15 Depth=1
	s_or_b32 exec_lo, exec_lo, s39
	s_waitcnt lgkmcnt(1)
	v_mov_b32_e32 v25, 0
	v_mov_b32_e32 v24, 0
	s_waitcnt lgkmcnt(0)
	s_barrier
	buffer_gl0_inv
	s_and_saveexec_b32 s39, s5
	s_cbranch_execnz .LBB329_55
; %bb.40:                               ;   in Loop: Header=BB329_15 Depth=1
	s_or_b32 exec_lo, exec_lo, s39
	s_and_saveexec_b32 s39, s4
	s_cbranch_execnz .LBB329_56
.LBB329_41:                             ;   in Loop: Header=BB329_15 Depth=1
	s_or_b32 exec_lo, exec_lo, s39
	s_and_saveexec_b32 s39, s11
	s_cbranch_execz .LBB329_14
	s_branch .LBB329_57
.LBB329_42:                             ;   in Loop: Header=BB329_15 Depth=1
	s_mul_i32 s40, s7, s19
	s_mul_hi_u32 s41, s7, s18
	s_or_b32 s42, s7, 1
	s_add_i32 s41, s41, s40
	s_mul_i32 s40, s7, s18
	s_mul_i32 s43, s42, s19
	s_mul_hi_u32 s44, s42, s18
	s_lshl_b64 s[40:41], s[40:41], 3
	s_add_i32 s43, s44, s43
	s_mul_i32 s42, s42, s18
	v_add_co_u32 v41, vcc_lo, v1, s40
	v_add_co_ci_u32_e64 v42, null, s41, v2, vcc_lo
	s_lshl_b64 s[40:41], s[42:43], 3
	s_or_b32 s42, s7, 2
	v_add_co_u32 v53, vcc_lo, v1, s40
	v_add_co_ci_u32_e64 v54, null, s41, v2, vcc_lo
	s_mul_i32 s40, s42, s19
	s_mul_hi_u32 s41, s42, s18
	s_clause 0x3
	flat_load_dwordx2 v[65:66], v[6:7]
	flat_load_dwordx2 v[67:68], v[8:9]
	flat_load_dwordx2 v[69:70], v[10:11]
	flat_load_dwordx2 v[71:72], v[12:13]
	s_add_i32 s41, s41, s40
	s_mul_i32 s40, s42, s18
	s_or_b32 s42, s7, 3
	s_lshl_b64 s[40:41], s[40:41], 3
	flat_load_dwordx4 v[18:21], v[41:42]
	s_waitcnt lgkmcnt(5)
	flat_load_dwordx4 v[22:25], v[53:54]
	v_add_co_u32 v57, vcc_lo, v1, s40
	v_add_co_ci_u32_e64 v58, null, s41, v2, vcc_lo
	s_mul_i32 s40, s42, s19
	s_mul_hi_u32 s41, s42, s18
	s_clause 0x1
	flat_load_dwordx4 v[41:44], v[41:42] offset:16
	flat_load_dwordx4 v[45:48], v[57:58]
	s_add_i32 s41, s41, s40
	s_mul_i32 s40, s42, s18
	s_lshl_b64 s[40:41], s[40:41], 3
	v_add_co_u32 v61, vcc_lo, v1, s40
	v_add_co_ci_u32_e64 v62, null, s41, v2, vcc_lo
	s_clause 0x3
	flat_load_dwordx4 v[49:52], v[61:62]
	flat_load_dwordx4 v[53:56], v[53:54] offset:16
	flat_load_dwordx4 v[57:60], v[57:58] offset:16
	;; [unrolled: 1-line block ×3, first 2 shown]
	s_waitcnt vmcnt(11) lgkmcnt(11)
	buffer_store_dword v66, off, s[0:3], 0 offset:4
	buffer_store_dword v65, off, s[0:3], 0
	s_waitcnt vmcnt(10) lgkmcnt(10)
	buffer_store_dword v68, off, s[0:3], 0 offset:12
	buffer_store_dword v67, off, s[0:3], 0 offset:8
	s_waitcnt vmcnt(9) lgkmcnt(9)
	buffer_store_dword v70, off, s[0:3], 0 offset:20
	buffer_store_dword v69, off, s[0:3], 0 offset:16
	;; [unrolled: 3-line block ×3, first 2 shown]
	s_waitcnt vmcnt(7) lgkmcnt(7)
	v_mul_f32_e32 v15, v19, v66
	v_mul_f32_e32 v19, v19, v65
	;; [unrolled: 1-line block ×4, first 2 shown]
	s_waitcnt vmcnt(6) lgkmcnt(6)
	v_mul_f32_e32 v76, v23, v66
	v_mul_f32_e32 v23, v23, v65
	v_fmac_f32_e32 v15, v18, v65
	v_fma_f32 v18, v18, v66, -v19
	v_fma_f32 v19, v20, v68, -v21
	v_mul_f32_e32 v21, v25, v68
	v_mul_f32_e32 v25, v25, v67
	v_fmac_f32_e32 v73, v20, v67
	s_waitcnt vmcnt(4) lgkmcnt(4)
	v_mul_f32_e32 v20, v46, v66
	v_mul_f32_e32 v46, v46, v65
	v_fmac_f32_e32 v76, v22, v65
	v_fma_f32 v22, v22, v66, -v23
	v_fmac_f32_e32 v21, v24, v67
	v_fma_f32 v23, v24, v68, -v25
	v_mul_f32_e32 v25, v48, v68
	s_waitcnt vmcnt(3) lgkmcnt(3)
	v_mul_f32_e32 v24, v50, v66
	v_mul_f32_e32 v48, v48, v67
	;; [unrolled: 1-line block ×3, first 2 shown]
	v_fmac_f32_e32 v20, v45, v65
	v_fma_f32 v45, v45, v66, -v46
	v_fmac_f32_e32 v25, v47, v67
	v_fma_f32 v46, v47, v68, -v48
	v_mul_f32_e32 v47, v52, v68
	v_mul_f32_e32 v48, v52, v67
	s_waitcnt vmcnt(2) lgkmcnt(2)
	v_mul_f32_e32 v52, v70, v54
	v_mul_f32_e32 v54, v69, v54
	v_fmac_f32_e32 v24, v49, v65
	v_fma_f32 v49, v49, v66, -v50
	s_waitcnt vmcnt(1) lgkmcnt(1)
	v_mul_f32_e32 v50, v70, v58
	v_mul_f32_e32 v58, v69, v58
	;; [unrolled: 1-line block ×6, first 2 shown]
	v_fmac_f32_e32 v47, v51, v67
	v_fma_f32 v48, v51, v68, -v48
	s_waitcnt vmcnt(0) lgkmcnt(0)
	v_mul_f32_e32 v51, v70, v62
	v_mul_f32_e32 v62, v69, v62
	v_fmac_f32_e32 v52, v69, v53
	v_fma_f32 v53, v70, v53, -v54
	v_fma_f32 v54, v70, v57, -v58
	v_add_f32_e32 v15, 0, v15
	v_add_f32_e32 v18, 0, v18
	;; [unrolled: 1-line block ×8, first 2 shown]
	v_mul_f32_e32 v65, v72, v56
	v_mul_f32_e32 v56, v71, v56
	;; [unrolled: 1-line block ×4, first 2 shown]
	v_fmac_f32_e32 v74, v69, v41
	v_fma_f32 v41, v70, v41, -v42
	v_fmac_f32_e32 v75, v71, v43
	v_fma_f32 v42, v72, v43, -v44
	v_mul_f32_e32 v43, v72, v64
	v_mul_f32_e32 v44, v71, v64
	v_fmac_f32_e32 v50, v69, v57
	v_fmac_f32_e32 v51, v69, v61
	v_fma_f32 v57, v70, v61, -v62
	v_add_f32_e32 v15, v15, v73
	v_add_f32_e32 v18, v18, v19
	;; [unrolled: 1-line block ×8, first 2 shown]
	v_fmac_f32_e32 v65, v71, v55
	v_fma_f32 v55, v72, v55, -v56
	v_fmac_f32_e32 v66, v71, v59
	v_fma_f32 v56, v72, v59, -v60
	;; [unrolled: 2-line block ×3, first 2 shown]
	v_add_f32_e32 v15, v15, v74
	v_add_f32_e32 v18, v18, v41
	;; [unrolled: 1-line block ×16, first 2 shown]
	s_andn2_saveexec_b32 s39, s39
	s_cbranch_execz .LBB329_17
.LBB329_43:                             ;   in Loop: Header=BB329_15 Depth=1
	v_mov_b32_e32 v41, 0
	v_mov_b32_e32 v42, 0
	v_mov_b32_e32 v20, 0
	v_mov_b32_e32 v21, 0
	v_mov_b32_e32 v22, 0
	v_mov_b32_e32 v23, 0
	s_waitcnt lgkmcnt(0)
	v_mov_b32_e32 v25, 0
	v_mov_b32_e32 v24, 0
	s_and_saveexec_b32 s40, s9
	s_cbranch_execz .LBB329_59
; %bb.44:                               ;   in Loop: Header=BB329_15 Depth=1
	s_andn2_b32 vcc_lo, exec_lo, s36
	s_cbranch_vccnz .LBB329_58
; %bb.45:                               ;   in Loop: Header=BB329_15 Depth=1
	v_mov_b32_e32 v19, v7
	v_mov_b32_e32 v18, v6
	s_mov_b32 s41, 0
	s_mov_b32 s42, s17
.LBB329_46:                             ;   Parent Loop BB329_15 Depth=1
                                        ; =>  This Inner Loop Header: Depth=2
	flat_load_dwordx2 v[20:21], v[18:19]
	v_add_co_u32 v18, vcc_lo, v18, s26
	v_mov_b32_e32 v15, s41
	v_add_co_ci_u32_e64 v19, null, s27, v19, vcc_lo
	s_add_i32 s42, s42, -1
	s_add_i32 s41, s41, 8
	s_cmp_eq_u32 s42, 0
	s_waitcnt vmcnt(0) lgkmcnt(0)
	buffer_store_dword v21, v15, s[0:3], 0 offen offset:4
	buffer_store_dword v20, v15, s[0:3], 0 offen
	s_cbranch_scc0 .LBB329_46
; %bb.47:                               ;   in Loop: Header=BB329_15 Depth=1
	v_mov_b32_e32 v19, v17
	v_mov_b32_e32 v24, 0
	;; [unrolled: 1-line block ×10, first 2 shown]
	s_mov_b32 s41, 0
	s_mov_b32 s42, s17
.LBB329_48:                             ;   Parent Loop BB329_15 Depth=1
                                        ; =>  This Inner Loop Header: Depth=2
	v_add_co_u32 v43, vcc_lo, v18, s30
	v_mov_b32_e32 v15, s41
	v_add_co_ci_u32_e64 v44, null, s31, v19, vcc_lo
	flat_load_dwordx2 v[45:46], v[18:19]
	s_clause 0x1
	buffer_load_dword v51, v15, s[0:3], 0 offen
	buffer_load_dword v15, v15, s[0:3], 0 offen offset:4
	flat_load_dwordx2 v[47:48], v[43:44]
	v_add_co_u32 v43, vcc_lo, v43, s30
	v_add_co_ci_u32_e64 v44, null, s31, v44, vcc_lo
	s_add_i32 s42, s42, -1
	v_add_co_u32 v49, vcc_lo, v43, s30
	v_add_co_ci_u32_e64 v50, null, s31, v44, vcc_lo
	s_clause 0x1
	flat_load_dwordx2 v[43:44], v[43:44]
	flat_load_dwordx2 v[49:50], v[49:50]
	v_add_co_u32 v18, vcc_lo, v18, 8
	v_add_co_ci_u32_e64 v19, null, 0, v19, vcc_lo
	s_add_i32 s41, s41, 8
	s_cmp_lg_u32 s42, 0
	s_waitcnt vmcnt(3) lgkmcnt(3)
	v_mul_f32_e32 v52, v15, v46
	v_mul_f32_e32 v46, v51, v46
	s_waitcnt vmcnt(2) lgkmcnt(2)
	v_mul_f32_e32 v53, v15, v48
	v_mul_f32_e32 v48, v51, v48
	v_fmac_f32_e32 v52, v51, v45
	v_fma_f32 v45, v15, v45, -v46
	v_fmac_f32_e32 v53, v51, v47
	v_fma_f32 v46, v15, v47, -v48
	v_add_f32_e32 v41, v41, v52
	v_add_f32_e32 v42, v42, v45
	s_waitcnt vmcnt(1) lgkmcnt(1)
	v_mul_f32_e32 v47, v15, v44
	v_mul_f32_e32 v44, v51, v44
	s_waitcnt vmcnt(0) lgkmcnt(0)
	v_mul_f32_e32 v45, v15, v50
	v_mul_f32_e32 v48, v51, v50
	v_add_f32_e32 v20, v20, v53
	v_fmac_f32_e32 v47, v51, v43
	v_fma_f32 v43, v15, v43, -v44
	v_fmac_f32_e32 v45, v51, v49
	v_fma_f32 v15, v15, v49, -v48
	v_add_f32_e32 v21, v21, v46
	v_add_f32_e32 v22, v22, v47
	;; [unrolled: 1-line block ×5, first 2 shown]
	s_cbranch_scc1 .LBB329_48
	s_branch .LBB329_59
.LBB329_49:                             ;   in Loop: Header=BB329_15 Depth=1
	ds_read_b64 v[18:19], v39
	s_or_b32 exec_lo, exec_lo, s39
	s_and_saveexec_b32 s39, s4
	s_cbranch_execz .LBB329_23
.LBB329_50:                             ;   in Loop: Header=BB329_15 Depth=1
	s_waitcnt lgkmcnt(0)
	ds_bpermute_b32 v15, v36, v18
	ds_bpermute_b32 v41, v36, v19
	s_waitcnt lgkmcnt(1)
	v_add_f32_e32 v15, v18, v15
	s_waitcnt lgkmcnt(0)
	v_add_f32_e32 v18, v19, v41
	ds_bpermute_b32 v19, v37, v15
	ds_bpermute_b32 v41, v37, v18
	s_waitcnt lgkmcnt(1)
	v_add_f32_e32 v15, v15, v19
	s_waitcnt lgkmcnt(0)
	v_add_f32_e32 v19, v18, v41
	;; [unrolled: 6-line block ×3, first 2 shown]
	s_or_b32 exec_lo, exec_lo, s39
	s_and_saveexec_b32 s39, s4
	s_cbranch_execnz .LBB329_24
	s_branch .LBB329_25
.LBB329_51:                             ;   in Loop: Header=BB329_15 Depth=1
	ds_read_b64 v[20:21], v39
	s_or_b32 exec_lo, exec_lo, s39
	s_and_saveexec_b32 s39, s4
	s_cbranch_execz .LBB329_29
.LBB329_52:                             ;   in Loop: Header=BB329_15 Depth=1
	s_waitcnt lgkmcnt(0)
	ds_bpermute_b32 v15, v36, v20
	ds_bpermute_b32 v41, v36, v21
	s_waitcnt lgkmcnt(1)
	v_add_f32_e32 v15, v20, v15
	s_waitcnt lgkmcnt(0)
	v_add_f32_e32 v20, v21, v41
	ds_bpermute_b32 v21, v37, v15
	ds_bpermute_b32 v41, v37, v20
	s_waitcnt lgkmcnt(1)
	v_add_f32_e32 v15, v15, v21
	s_waitcnt lgkmcnt(0)
	v_add_f32_e32 v21, v20, v41
	;; [unrolled: 6-line block ×3, first 2 shown]
	s_or_b32 exec_lo, exec_lo, s39
	s_and_saveexec_b32 s39, s4
	s_cbranch_execnz .LBB329_30
	s_branch .LBB329_31
.LBB329_53:                             ;   in Loop: Header=BB329_15 Depth=1
	ds_read_b64 v[22:23], v39
	s_or_b32 exec_lo, exec_lo, s39
	s_and_saveexec_b32 s39, s4
	s_cbranch_execz .LBB329_35
.LBB329_54:                             ;   in Loop: Header=BB329_15 Depth=1
	s_waitcnt lgkmcnt(0)
	ds_bpermute_b32 v15, v36, v22
	ds_bpermute_b32 v41, v36, v23
	s_waitcnt lgkmcnt(1)
	v_add_f32_e32 v15, v22, v15
	s_waitcnt lgkmcnt(0)
	v_add_f32_e32 v22, v23, v41
	ds_bpermute_b32 v23, v37, v15
	ds_bpermute_b32 v41, v37, v22
	s_waitcnt lgkmcnt(1)
	v_add_f32_e32 v15, v15, v23
	s_waitcnt lgkmcnt(0)
	v_add_f32_e32 v23, v22, v41
	ds_bpermute_b32 v22, v38, v15
	ds_bpermute_b32 v41, v38, v23
	s_waitcnt lgkmcnt(1)
	v_add_f32_e32 v22, v15, v22
	s_waitcnt lgkmcnt(0)
	v_add_f32_e32 v23, v23, v41
	s_or_b32 exec_lo, exec_lo, s39
	s_and_saveexec_b32 s39, s4
	s_cbranch_execnz .LBB329_36
	s_branch .LBB329_37
.LBB329_55:                             ;   in Loop: Header=BB329_15 Depth=1
	ds_read_b64 v[24:25], v39
	s_or_b32 exec_lo, exec_lo, s39
	s_and_saveexec_b32 s39, s4
	s_cbranch_execz .LBB329_41
.LBB329_56:                             ;   in Loop: Header=BB329_15 Depth=1
	s_waitcnt lgkmcnt(0)
	ds_bpermute_b32 v15, v36, v24
	ds_bpermute_b32 v41, v36, v25
	s_waitcnt lgkmcnt(1)
	v_add_f32_e32 v15, v24, v15
	s_waitcnt lgkmcnt(0)
	v_add_f32_e32 v24, v25, v41
	ds_bpermute_b32 v25, v37, v15
	ds_bpermute_b32 v41, v37, v24
	s_waitcnt lgkmcnt(1)
	v_add_f32_e32 v15, v15, v25
	s_waitcnt lgkmcnt(0)
	v_add_f32_e32 v25, v24, v41
	;; [unrolled: 6-line block ×3, first 2 shown]
	s_or_b32 exec_lo, exec_lo, s39
	s_and_saveexec_b32 s39, s11
	s_cbranch_execz .LBB329_14
.LBB329_57:                             ;   in Loop: Header=BB329_15 Depth=1
	v_mul_f32_e32 v15, s15, v19
	v_mul_f32_e32 v42, s14, v19
	s_mul_hi_u32 s41, s7, s16
	s_mul_i32 s40, s7, s16
	v_mul_f32_e32 v19, s14, v21
	s_lshl_b64 s[40:41], s[40:41], 3
	v_fma_f32 v41, v18, s14, -v15
	v_fmac_f32_e32 v42, s15, v18
	s_add_u32 s40, s37, s40
	s_addc_u32 s41, s38, s41
	v_mul_f32_e32 v15, s15, v21
	v_mul_f32_e32 v21, s14, v23
	global_store_dwordx2 v14, v[41:42], s[40:41]
	s_or_b32 s40, s7, 1
	v_fmac_f32_e32 v19, s15, v20
	s_mul_hi_u32 s41, s40, s16
	s_mul_i32 s40, s40, s16
	v_fma_f32 v18, v20, s14, -v15
	s_lshl_b64 s[40:41], s[40:41], 3
	v_mul_f32_e32 v15, s15, v23
	s_add_u32 s40, s37, s40
	s_addc_u32 s41, s38, s41
	s_or_b32 s42, s7, 2
	s_waitcnt lgkmcnt(0)
	v_mul_f32_e32 v23, s14, v25
	s_mul_hi_u32 s43, s42, s16
	s_mul_i32 s42, s42, s16
	v_fma_f32 v20, v22, s14, -v15
	s_lshl_b64 s[42:43], s[42:43], 3
	v_mul_f32_e32 v15, s15, v25
	s_add_u32 s42, s37, s42
	s_addc_u32 s43, s38, s43
	s_or_b32 s44, s7, 3
	v_fmac_f32_e32 v21, s15, v22
	s_mul_hi_u32 s45, s44, s16
	s_mul_i32 s44, s44, s16
	v_fma_f32 v22, v24, s14, -v15
	v_fmac_f32_e32 v23, s15, v24
	s_lshl_b64 s[44:45], s[44:45], 3
	global_store_dwordx2 v14, v[18:19], s[40:41]
	s_add_u32 s40, s37, s44
	s_addc_u32 s41, s38, s45
	global_store_dwordx2 v14, v[20:21], s[42:43]
	global_store_dwordx2 v14, v[22:23], s[40:41]
	s_branch .LBB329_14
.LBB329_58:                             ;   in Loop: Header=BB329_15 Depth=1
	v_mov_b32_e32 v41, 0
	v_mov_b32_e32 v42, 0
	;; [unrolled: 1-line block ×8, first 2 shown]
.LBB329_59:                             ;   in Loop: Header=BB329_15 Depth=1
	s_or_b32 exec_lo, exec_lo, s40
	s_or_b32 exec_lo, exec_lo, s39
	s_and_saveexec_b32 s39, s4
	s_cbranch_execnz .LBB329_18
	s_branch .LBB329_19
.LBB329_60:
	s_mov_b32 s7, 0
.LBB329_61:
	s_cmp_ge_i32 s7, s13
	s_cbranch_scc1 .LBB329_83
; %bb.62:
	v_cmp_gt_u32_e64 s5, 24, v30
	v_mad_i64_i32 v[11:12], null, s24, v26, 0
	s_cmp_gt_i32 s17, 0
	s_mov_b32 s11, 0
	v_cndmask_b32_e64 v6, 0, 8, s5
	v_cmp_gt_u32_e64 s5, 28, v30
	s_mov_b32 s10, s6
	s_cselect_b32 s27, -1, 0
	s_lshl_b64 s[10:11], s[10:11], 3
	v_add_lshl_u32 v18, v6, v30, 2
	v_cndmask_b32_e64 v7, 0, 4, s5
	v_cmp_gt_u32_e64 s5, 30, v30
	v_mad_i64_i32 v[5:6], null, s24, v5, 0
	v_cmp_ge_i32_e32 vcc_lo, s12, v32
	v_add_lshl_u32 v19, v7, v30, 2
	v_cndmask_b32_e64 v8, 0, 2, s5
	v_cmp_ne_u32_e64 s5, 31, v30
	v_cmp_ge_i32_e64 s9, s12, v33
	s_add_u32 s12, s33, s10
	v_lshlrev_b64 v[5:6], 3, v[5:6]
	v_add_lshl_u32 v20, v8, v30, 2
	v_add_co_ci_u32_e64 v9, null, 0, v30, s5
	v_mad_i64_i32 v[7:8], null, s24, v29, 0
	v_add_co_u32 v5, s10, s22, v5
	v_lshlrev_b32_e32 v21, 2, v9
	v_mad_i64_i32 v[9:10], null, s24, v27, 0
	v_lshlrev_b64 v[11:12], 3, v[11:12]
	v_lshlrev_b64 v[7:8], 3, v[7:8]
	v_add_co_ci_u32_e64 v6, null, s23, v6, s10
	s_addc_u32 s26, s34, s11
	s_mul_i32 s11, s19, s7
	v_lshlrev_b64 v[9:10], 3, v[9:10]
	v_add_co_u32 v7, s10, s22, v7
	v_add_co_ci_u32_e64 v8, null, s23, v8, s10
	s_mul_hi_u32 s28, s18, s7
	v_add_co_u32 v9, s10, s22, v9
	v_add_co_ci_u32_e64 v10, null, s23, v10, s10
	v_add_co_u32 v11, s10, s22, v11
	v_add_co_ci_u32_e64 v12, null, s23, v12, s10
	s_add_i32 s11, s28, s11
	s_mul_i32 s10, s18, s7
	s_and_b32 s22, s27, s9
	s_lshl_b64 s[28:29], s[10:11], 3
	s_lshl_b64 s[10:11], s[24:25], 3
	s_add_u32 s9, s20, s28
	s_addc_u32 s20, s21, s29
	v_add_co_u32 v3, s9, s9, v3
	v_cmp_gt_u32_e64 s4, 32, v0
	v_lshlrev_b32_e32 v16, 3, v28
	v_lshl_or_b32 v17, v30, 2, 64
	v_cmp_eq_u32_e64 s5, 0, v28
	v_and_b32_e32 v22, 56, v31
	v_cmp_gt_u32_e64 s8, 8, v0
	v_cmp_eq_u32_e64 s6, 0, v0
	v_add_co_ci_u32_e64 v4, null, s20, v4, s9
	v_mov_b32_e32 v13, 0
	s_lshl_b64 s[20:21], s[18:19], 3
	s_branch .LBB329_64
.LBB329_63:                             ;   in Loop: Header=BB329_64 Depth=1
	s_or_b32 exec_lo, exec_lo, s9
	v_add_co_u32 v3, s9, v3, s20
	v_add_co_ci_u32_e64 v4, null, s21, v4, s9
	s_add_i32 s7, s7, 1
	s_cmp_lt_i32 s7, s13
	s_cbranch_scc0 .LBB329_83
.LBB329_64:                             ; =>This Loop Header: Depth=1
                                        ;     Child Loop BB329_76 Depth 2
                                        ;     Child Loop BB329_78 Depth 2
                                        ; implicit-def: $vgpr0
                                        ; implicit-def: $vgpr23
	s_and_saveexec_b32 s9, vcc_lo
	s_xor_b32 s23, exec_lo, s9
	s_cbranch_execnz .LBB329_73
; %bb.65:                               ;   in Loop: Header=BB329_64 Depth=1
	s_andn2_saveexec_b32 s23, s23
	s_cbranch_execnz .LBB329_74
.LBB329_66:                             ;   in Loop: Header=BB329_64 Depth=1
	s_or_b32 exec_lo, exec_lo, s23
	s_and_saveexec_b32 s9, s4
	s_cbranch_execz .LBB329_68
.LBB329_67:                             ;   in Loop: Header=BB329_64 Depth=1
	s_waitcnt lgkmcnt(0)
	v_mov_b32_e32 v14, v13
	ds_write_b64 v16, v[13:14]
.LBB329_68:                             ;   in Loop: Header=BB329_64 Depth=1
	s_or_b32 exec_lo, exec_lo, s9
	s_waitcnt lgkmcnt(0)
	ds_bpermute_b32 v14, v17, v0
	ds_bpermute_b32 v15, v17, v23
	s_waitcnt lgkmcnt(0)
	s_waitcnt_vscnt null, 0x0
	s_barrier
	buffer_gl0_inv
	v_add_f32_e32 v0, v0, v14
	v_add_f32_e32 v14, v23, v15
	ds_bpermute_b32 v15, v18, v0
	ds_bpermute_b32 v23, v18, v14
	s_waitcnt lgkmcnt(1)
	v_add_f32_e32 v0, v0, v15
	s_waitcnt lgkmcnt(0)
	v_add_f32_e32 v14, v14, v23
	ds_bpermute_b32 v15, v19, v0
	ds_bpermute_b32 v23, v19, v14
	s_waitcnt lgkmcnt(1)
	v_add_f32_e32 v0, v0, v15
	s_waitcnt lgkmcnt(0)
	;; [unrolled: 6-line block ×3, first 2 shown]
	v_add_f32_e32 v14, v14, v23
	ds_bpermute_b32 v15, v21, v0
	ds_bpermute_b32 v23, v21, v14
	s_and_saveexec_b32 s9, s5
	s_cbranch_execz .LBB329_70
; %bb.69:                               ;   in Loop: Header=BB329_64 Depth=1
	s_waitcnt lgkmcnt(0)
	v_add_f32_e32 v24, v14, v23
	v_add_f32_e32 v23, v0, v15
	ds_write_b64 v22, v[23:24]
.LBB329_70:                             ;   in Loop: Header=BB329_64 Depth=1
	s_or_b32 exec_lo, exec_lo, s9
	s_waitcnt lgkmcnt(1)
	v_mov_b32_e32 v15, 0
	v_mov_b32_e32 v14, 0
	s_waitcnt lgkmcnt(0)
	s_barrier
	buffer_gl0_inv
	s_and_saveexec_b32 s9, s8
	s_cbranch_execnz .LBB329_80
; %bb.71:                               ;   in Loop: Header=BB329_64 Depth=1
	s_or_b32 exec_lo, exec_lo, s9
	s_and_saveexec_b32 s9, s4
	s_cbranch_execnz .LBB329_81
.LBB329_72:                             ;   in Loop: Header=BB329_64 Depth=1
	s_or_b32 exec_lo, exec_lo, s9
	s_and_saveexec_b32 s9, s6
	s_cbranch_execz .LBB329_63
	s_branch .LBB329_82
.LBB329_73:                             ;   in Loop: Header=BB329_64 Depth=1
	s_mul_i32 s9, s7, s19
	s_mul_hi_u32 s25, s7, s18
	s_mul_i32 s24, s7, s18
	s_add_i32 s25, s25, s9
	s_lshl_b64 s[24:25], s[24:25], 3
	s_waitcnt lgkmcnt(0)
	v_add_co_u32 v14, s9, v1, s24
	v_add_co_ci_u32_e64 v15, null, s25, v2, s9
	s_waitcnt lgkmcnt(0)
	flat_load_dwordx4 v[23:26], v[14:15]
	s_clause 0x1
	flat_load_dwordx2 v[31:32], v[5:6]
	flat_load_dwordx2 v[33:34], v[7:8]
	flat_load_dwordx4 v[27:30], v[14:15] offset:16
	s_clause 0x1
	flat_load_dwordx2 v[14:15], v[9:10]
	flat_load_dwordx2 v[35:36], v[11:12]
	s_waitcnt vmcnt(4) lgkmcnt(4)
	v_mul_f32_e32 v0, v24, v32
	v_mul_f32_e32 v24, v24, v31
	s_waitcnt vmcnt(3) lgkmcnt(3)
	v_mul_f32_e32 v37, v26, v34
	v_mul_f32_e32 v26, v26, v33
	s_waitcnt vmcnt(1) lgkmcnt(1)
	v_mul_f32_e32 v38, v28, v15
	v_fmac_f32_e32 v0, v23, v31
	v_fma_f32 v23, v23, v32, -v24
	v_mul_f32_e32 v28, v28, v14
	v_fmac_f32_e32 v37, v25, v33
	v_fma_f32 v25, v25, v34, -v26
	v_add_f32_e32 v0, 0, v0
	v_add_f32_e32 v23, 0, v23
	s_waitcnt vmcnt(0) lgkmcnt(0)
	v_mul_f32_e32 v24, v30, v36
	v_mul_f32_e32 v26, v30, v35
	v_fmac_f32_e32 v38, v27, v14
	v_fma_f32 v27, v27, v15, -v28
	v_add_f32_e32 v0, v0, v37
	v_add_f32_e32 v23, v23, v25
	v_fmac_f32_e32 v24, v29, v35
	v_fma_f32 v25, v29, v36, -v26
	buffer_store_dword v32, off, s[0:3], 0 offset:4
	v_add_f32_e32 v0, v0, v38
	v_add_f32_e32 v23, v23, v27
	buffer_store_dword v31, off, s[0:3], 0
	buffer_store_dword v34, off, s[0:3], 0 offset:12
	buffer_store_dword v33, off, s[0:3], 0 offset:8
	;; [unrolled: 1-line block ×6, first 2 shown]
	v_add_f32_e32 v0, v0, v24
	v_add_f32_e32 v23, v23, v25
	s_andn2_saveexec_b32 s23, s23
	s_cbranch_execz .LBB329_66
.LBB329_74:                             ;   in Loop: Header=BB329_64 Depth=1
	v_mov_b32_e32 v0, 0
	v_mov_b32_e32 v23, 0
	s_and_saveexec_b32 s24, s22
	s_cbranch_execz .LBB329_79
; %bb.75:                               ;   in Loop: Header=BB329_64 Depth=1
	s_waitcnt lgkmcnt(0)
	v_mov_b32_e32 v15, v6
	v_mov_b32_e32 v14, v5
	s_mov_b32 s25, 0
	s_mov_b32 s27, s17
.LBB329_76:                             ;   Parent Loop BB329_64 Depth=1
                                        ; =>  This Inner Loop Header: Depth=2
	s_waitcnt lgkmcnt(0)
	flat_load_dwordx2 v[23:24], v[14:15]
	v_add_co_u32 v14, s9, v14, s10
	v_mov_b32_e32 v0, s25
	v_add_co_ci_u32_e64 v15, null, s11, v15, s9
	s_add_i32 s27, s27, -1
	s_add_i32 s25, s25, 8
	s_cmp_eq_u32 s27, 0
	s_waitcnt vmcnt(0) lgkmcnt(0)
	buffer_store_dword v24, v0, s[0:3], 0 offen offset:4
	buffer_store_dword v23, v0, s[0:3], 0 offen
	s_cbranch_scc0 .LBB329_76
; %bb.77:                               ;   in Loop: Header=BB329_64 Depth=1
	v_mov_b32_e32 v15, v4
	v_mov_b32_e32 v0, 0
	;; [unrolled: 1-line block ×4, first 2 shown]
	s_mov_b32 s25, 0
	s_mov_b32 s27, s17
	.p2align	6
.LBB329_78:                             ;   Parent Loop BB329_64 Depth=1
                                        ; =>  This Inner Loop Header: Depth=2
	v_mov_b32_e32 v26, s25
	flat_load_dwordx2 v[24:25], v[14:15]
	v_add_co_u32 v14, s9, v14, 8
	v_add_co_ci_u32_e64 v15, null, 0, v15, s9
	s_clause 0x1
	buffer_load_dword v27, v26, s[0:3], 0 offen offset:4
	buffer_load_dword v26, v26, s[0:3], 0 offen
	s_add_i32 s27, s27, -1
	s_add_i32 s25, s25, 8
	s_cmp_lg_u32 s27, 0
	s_waitcnt vmcnt(1) lgkmcnt(0)
	v_mul_f32_e32 v28, v25, v27
	s_waitcnt vmcnt(0)
	v_mul_f32_e32 v25, v25, v26
	v_fmac_f32_e32 v28, v24, v26
	v_fma_f32 v24, v24, v27, -v25
	v_add_f32_e32 v0, v0, v28
	v_add_f32_e32 v23, v23, v24
	s_cbranch_scc1 .LBB329_78
.LBB329_79:                             ;   in Loop: Header=BB329_64 Depth=1
	s_or_b32 exec_lo, exec_lo, s24
	s_or_b32 exec_lo, exec_lo, s23
	s_and_saveexec_b32 s9, s4
	s_cbranch_execnz .LBB329_67
	s_branch .LBB329_68
.LBB329_80:                             ;   in Loop: Header=BB329_64 Depth=1
	ds_read_b64 v[14:15], v16
	s_or_b32 exec_lo, exec_lo, s9
	s_and_saveexec_b32 s9, s4
	s_cbranch_execz .LBB329_72
.LBB329_81:                             ;   in Loop: Header=BB329_64 Depth=1
	s_waitcnt lgkmcnt(0)
	ds_bpermute_b32 v0, v19, v14
	ds_bpermute_b32 v23, v19, v15
	s_waitcnt lgkmcnt(1)
	v_add_f32_e32 v0, v14, v0
	s_waitcnt lgkmcnt(0)
	v_add_f32_e32 v14, v15, v23
	ds_bpermute_b32 v15, v20, v0
	ds_bpermute_b32 v23, v20, v14
	s_waitcnt lgkmcnt(1)
	v_add_f32_e32 v0, v0, v15
	s_waitcnt lgkmcnt(0)
	v_add_f32_e32 v15, v14, v23
	ds_bpermute_b32 v14, v21, v0
	ds_bpermute_b32 v23, v21, v15
	s_waitcnt lgkmcnt(1)
	v_add_f32_e32 v14, v0, v14
	s_waitcnt lgkmcnt(0)
	v_add_f32_e32 v15, v15, v23
	s_or_b32 exec_lo, exec_lo, s9
	s_and_saveexec_b32 s9, s6
	s_cbranch_execz .LBB329_63
.LBB329_82:                             ;   in Loop: Header=BB329_64 Depth=1
	s_waitcnt lgkmcnt(0)
	v_mul_f32_e32 v0, s15, v15
	v_mul_f32_e32 v24, s14, v15
	s_mul_hi_u32 s25, s7, s16
	s_mul_i32 s24, s7, s16
	s_lshl_b64 s[24:25], s[24:25], 3
	v_fma_f32 v23, v14, s14, -v0
	v_fmac_f32_e32 v24, s15, v14
	s_add_u32 s24, s12, s24
	s_addc_u32 s25, s26, s25
	global_store_dwordx2 v13, v[23:24], s[24:25]
	s_branch .LBB329_63
.LBB329_83:
	s_endpgm
	.section	.rodata,"a",@progbits
	.p2align	6, 0x0
	.amdhsa_kernel _ZL23rocblas_gemvt_sn_kernelILb1ELi256ELi4ElPK19rocblas_complex_numIfES1_S1_EviiT4_lPKT3_lilS7_lilPT5_i
		.amdhsa_group_segment_fixed_size 256
		.amdhsa_private_segment_fixed_size 48
		.amdhsa_kernarg_size 360
		.amdhsa_user_sgpr_count 6
		.amdhsa_user_sgpr_private_segment_buffer 1
		.amdhsa_user_sgpr_dispatch_ptr 0
		.amdhsa_user_sgpr_queue_ptr 0
		.amdhsa_user_sgpr_kernarg_segment_ptr 1
		.amdhsa_user_sgpr_dispatch_id 0
		.amdhsa_user_sgpr_flat_scratch_init 0
		.amdhsa_user_sgpr_private_segment_size 0
		.amdhsa_wavefront_size32 1
		.amdhsa_uses_dynamic_stack 0
		.amdhsa_system_sgpr_private_segment_wavefront_offset 1
		.amdhsa_system_sgpr_workgroup_id_x 1
		.amdhsa_system_sgpr_workgroup_id_y 0
		.amdhsa_system_sgpr_workgroup_id_z 1
		.amdhsa_system_sgpr_workgroup_info 0
		.amdhsa_system_vgpr_workitem_id 0
		.amdhsa_next_free_vgpr 77
		.amdhsa_next_free_sgpr 46
		.amdhsa_reserve_vcc 1
		.amdhsa_reserve_flat_scratch 1
		.amdhsa_float_round_mode_32 0
		.amdhsa_float_round_mode_16_64 0
		.amdhsa_float_denorm_mode_32 3
		.amdhsa_float_denorm_mode_16_64 3
		.amdhsa_dx10_clamp 1
		.amdhsa_ieee_mode 1
		.amdhsa_fp16_overflow 0
		.amdhsa_workgroup_processor_mode 1
		.amdhsa_memory_ordered 1
		.amdhsa_forward_progress 1
		.amdhsa_shared_vgpr_count 0
		.amdhsa_exception_fp_ieee_invalid_op 0
		.amdhsa_exception_fp_denorm_src 0
		.amdhsa_exception_fp_ieee_div_zero 0
		.amdhsa_exception_fp_ieee_overflow 0
		.amdhsa_exception_fp_ieee_underflow 0
		.amdhsa_exception_fp_ieee_inexact 0
		.amdhsa_exception_int_div_zero 0
	.end_amdhsa_kernel
	.section	.text._ZL23rocblas_gemvt_sn_kernelILb1ELi256ELi4ElPK19rocblas_complex_numIfES1_S1_EviiT4_lPKT3_lilS7_lilPT5_i,"axG",@progbits,_ZL23rocblas_gemvt_sn_kernelILb1ELi256ELi4ElPK19rocblas_complex_numIfES1_S1_EviiT4_lPKT3_lilS7_lilPT5_i,comdat
.Lfunc_end329:
	.size	_ZL23rocblas_gemvt_sn_kernelILb1ELi256ELi4ElPK19rocblas_complex_numIfES1_S1_EviiT4_lPKT3_lilS7_lilPT5_i, .Lfunc_end329-_ZL23rocblas_gemvt_sn_kernelILb1ELi256ELi4ElPK19rocblas_complex_numIfES1_S1_EviiT4_lPKT3_lilS7_lilPT5_i
                                        ; -- End function
	.set _ZL23rocblas_gemvt_sn_kernelILb1ELi256ELi4ElPK19rocblas_complex_numIfES1_S1_EviiT4_lPKT3_lilS7_lilPT5_i.num_vgpr, 77
	.set _ZL23rocblas_gemvt_sn_kernelILb1ELi256ELi4ElPK19rocblas_complex_numIfES1_S1_EviiT4_lPKT3_lilS7_lilPT5_i.num_agpr, 0
	.set _ZL23rocblas_gemvt_sn_kernelILb1ELi256ELi4ElPK19rocblas_complex_numIfES1_S1_EviiT4_lPKT3_lilS7_lilPT5_i.numbered_sgpr, 46
	.set _ZL23rocblas_gemvt_sn_kernelILb1ELi256ELi4ElPK19rocblas_complex_numIfES1_S1_EviiT4_lPKT3_lilS7_lilPT5_i.num_named_barrier, 0
	.set _ZL23rocblas_gemvt_sn_kernelILb1ELi256ELi4ElPK19rocblas_complex_numIfES1_S1_EviiT4_lPKT3_lilS7_lilPT5_i.private_seg_size, 48
	.set _ZL23rocblas_gemvt_sn_kernelILb1ELi256ELi4ElPK19rocblas_complex_numIfES1_S1_EviiT4_lPKT3_lilS7_lilPT5_i.uses_vcc, 1
	.set _ZL23rocblas_gemvt_sn_kernelILb1ELi256ELi4ElPK19rocblas_complex_numIfES1_S1_EviiT4_lPKT3_lilS7_lilPT5_i.uses_flat_scratch, 1
	.set _ZL23rocblas_gemvt_sn_kernelILb1ELi256ELi4ElPK19rocblas_complex_numIfES1_S1_EviiT4_lPKT3_lilS7_lilPT5_i.has_dyn_sized_stack, 0
	.set _ZL23rocblas_gemvt_sn_kernelILb1ELi256ELi4ElPK19rocblas_complex_numIfES1_S1_EviiT4_lPKT3_lilS7_lilPT5_i.has_recursion, 0
	.set _ZL23rocblas_gemvt_sn_kernelILb1ELi256ELi4ElPK19rocblas_complex_numIfES1_S1_EviiT4_lPKT3_lilS7_lilPT5_i.has_indirect_call, 0
	.section	.AMDGPU.csdata,"",@progbits
; Kernel info:
; codeLenInByte = 5560
; TotalNumSgprs: 48
; NumVgprs: 77
; ScratchSize: 48
; MemoryBound: 0
; FloatMode: 240
; IeeeMode: 1
; LDSByteSize: 256 bytes/workgroup (compile time only)
; SGPRBlocks: 0
; VGPRBlocks: 9
; NumSGPRsForWavesPerEU: 48
; NumVGPRsForWavesPerEU: 77
; Occupancy: 12
; WaveLimiterHint : 0
; COMPUTE_PGM_RSRC2:SCRATCH_EN: 1
; COMPUTE_PGM_RSRC2:USER_SGPR: 6
; COMPUTE_PGM_RSRC2:TRAP_HANDLER: 0
; COMPUTE_PGM_RSRC2:TGID_X_EN: 1
; COMPUTE_PGM_RSRC2:TGID_Y_EN: 0
; COMPUTE_PGM_RSRC2:TGID_Z_EN: 1
; COMPUTE_PGM_RSRC2:TIDIG_COMP_CNT: 0
	.section	.text._ZL20rocblas_gemvt_kernelILb1ELi256EPK19rocblas_complex_numIfES3_KPS1_EviiT2_lPKT1_lilS9_lilS6_lPT3_lili,"axG",@progbits,_ZL20rocblas_gemvt_kernelILb1ELi256EPK19rocblas_complex_numIfES3_KPS1_EviiT2_lPKT1_lilS9_lilS6_lPT3_lili,comdat
	.globl	_ZL20rocblas_gemvt_kernelILb1ELi256EPK19rocblas_complex_numIfES3_KPS1_EviiT2_lPKT1_lilS9_lilS6_lPT3_lili ; -- Begin function _ZL20rocblas_gemvt_kernelILb1ELi256EPK19rocblas_complex_numIfES3_KPS1_EviiT2_lPKT1_lilS9_lilS6_lPT3_lili
	.p2align	8
	.type	_ZL20rocblas_gemvt_kernelILb1ELi256EPK19rocblas_complex_numIfES3_KPS1_EviiT2_lPKT1_lilS9_lilS6_lPT3_lili,@function
_ZL20rocblas_gemvt_kernelILb1ELi256EPK19rocblas_complex_numIfES3_KPS1_EviiT2_lPKT1_lilS9_lilS6_lPT3_lili: ; @_ZL20rocblas_gemvt_kernelILb1ELi256EPK19rocblas_complex_numIfES3_KPS1_EviiT2_lPKT1_lilS9_lilS6_lPT3_lili
; %bb.0:
	s_clause 0x1
	s_load_dwordx8 s[16:23], s[4:5], 0x8
	s_load_dwordx8 s[8:15], s[4:5], 0x58
	s_mov_b32 s0, s7
	s_waitcnt lgkmcnt(0)
	s_mul_i32 s1, s19, s7
	s_mul_hi_u32 s3, s18, s7
	s_mul_i32 s2, s18, s7
	s_add_i32 s3, s3, s1
	s_mul_i32 s1, s11, s7
	s_lshl_b64 s[2:3], s[2:3], 3
	s_add_u32 s2, s16, s2
	s_addc_u32 s3, s17, s3
	s_load_dwordx2 s[16:17], s[2:3], 0x0
	s_mul_hi_u32 s3, s10, s7
	s_mul_i32 s2, s10, s7
	s_add_i32 s3, s3, s1
	s_lshl_b64 s[2:3], s[2:3], 3
	s_add_u32 s2, s8, s2
	s_addc_u32 s3, s9, s3
	s_load_dwordx2 s[2:3], s[2:3], 0x0
	s_waitcnt lgkmcnt(0)
	v_cmp_neq_f32_e64 s1, s16, 0
	v_cmp_neq_f32_e64 s7, s17, 0
	s_or_b32 s7, s1, s7
	s_mov_b32 s1, 0
	s_and_b32 vcc_lo, exec_lo, s7
	s_mov_b32 s7, -1
	s_cbranch_vccnz .LBB330_2
; %bb.1:
	v_cmp_neq_f32_e64 s7, s2, 1.0
	v_cmp_neq_f32_e64 s8, s3, 0
	s_or_b32 s7, s7, s8
.LBB330_2:
	s_andn2_b32 vcc_lo, exec_lo, s7
	s_cbranch_vccnz .LBB330_39
; %bb.3:
	s_or_b32 s7, s16, s17
	s_mov_b64 s[10:11], 0
	s_and_b32 s8, s7, 0x7fffffff
	s_cmp_lg_u32 s8, 0
	s_cselect_b32 s7, -1, 0
	s_cmp_eq_u32 s8, 0
	s_mov_b64 s[8:9], 0
	s_cselect_b32 s18, -1, 0
	s_and_b32 vcc_lo, exec_lo, s18
	s_cbranch_vccnz .LBB330_5
; %bb.4:
	s_lshl_b64 s[10:11], s[0:1], 3
	s_add_u32 s10, s20, s10
	s_addc_u32 s11, s21, s11
	s_lshl_b64 s[20:21], s[22:23], 3
	s_load_dwordx2 s[10:11], s[10:11], 0x0
	s_waitcnt lgkmcnt(0)
	s_add_u32 s10, s10, s20
	s_addc_u32 s11, s11, s21
.LBB330_5:
	s_andn2_b32 vcc_lo, exec_lo, s7
	s_cbranch_vccnz .LBB330_7
; %bb.6:
	s_load_dwordx4 s[20:23], s[4:5], 0x38
	s_lshl_b64 s[8:9], s[0:1], 3
	s_waitcnt lgkmcnt(0)
	s_add_u32 s8, s20, s8
	s_addc_u32 s9, s21, s9
	s_lshl_b64 s[20:21], s[22:23], 3
	s_load_dwordx2 s[8:9], s[8:9], 0x0
	s_waitcnt lgkmcnt(0)
	s_add_u32 s8, s8, s20
	s_addc_u32 s9, s9, s21
.LBB330_7:
	s_lshl_b64 s[0:1], s[0:1], 3
	s_add_u32 s0, s12, s0
	s_addc_u32 s1, s13, s1
	s_lshl_b64 s[14:15], s[14:15], 3
	s_load_dwordx2 s[20:21], s[0:1], 0x0
	s_load_dword s13, s[4:5], 0x78
	v_cmp_eq_u32_e64 s0, 0, v0
	s_waitcnt lgkmcnt(0)
	s_add_u32 s7, s20, s14
	s_addc_u32 s12, s21, s15
	s_andn2_b32 vcc_lo, exec_lo, s18
	s_mov_b32 s14, -1
	s_cbranch_vccnz .LBB330_13
; %bb.8:
	s_mov_b32 s14, 0
	s_and_saveexec_b32 s15, s0
	s_cbranch_execz .LBB330_12
; %bb.9:
	v_cmp_neq_f32_e64 s0, s2, 0
	v_cmp_neq_f32_e64 s1, s3, 0
	v_mov_b32_e32 v1, 0
	v_mov_b32_e32 v2, 0
	s_or_b32 s0, s0, s1
	s_mul_hi_i32 s1, s13, s6
	s_andn2_b32 vcc_lo, exec_lo, s0
	s_mul_i32 s0, s13, s6
	s_cbranch_vccnz .LBB330_11
; %bb.10:
	s_lshl_b64 s[18:19], s[0:1], 3
	s_add_u32 s18, s7, s18
	s_addc_u32 s19, s12, s19
	v_mov_b32_e32 v1, s18
	v_mov_b32_e32 v2, s19
	flat_load_dwordx2 v[3:4], v[1:2]
	s_waitcnt vmcnt(0) lgkmcnt(0)
	v_mul_f32_e32 v1, s3, v4
	v_mul_f32_e32 v2, s2, v4
	v_fma_f32 v1, s2, v3, -v1
	v_fmac_f32_e32 v2, s3, v3
.LBB330_11:
	s_lshl_b64 s[0:1], s[0:1], 3
	s_add_u32 s0, s7, s0
	s_addc_u32 s1, s12, s1
	v_mov_b32_e32 v4, s1
	v_mov_b32_e32 v3, s0
	flat_store_dwordx2 v[3:4], v[1:2]
.LBB330_12:
	s_or_b32 exec_lo, exec_lo, s15
.LBB330_13:
	s_andn2_b32 vcc_lo, exec_lo, s14
	s_cbranch_vccnz .LBB330_39
; %bb.14:
	s_clause 0x2
	s_load_dword s14, s[4:5], 0x0
	s_load_dword s1, s[4:5], 0x28
	;; [unrolled: 1-line block ×3, first 2 shown]
	v_mov_b32_e32 v2, 0
	s_waitcnt lgkmcnt(0)
	v_cmp_gt_i32_e32 vcc_lo, s14, v0
	s_mul_hi_i32 s5, s1, s6
	s_mul_i32 s4, s1, s6
	s_ashr_i32 s1, s14, 31
	s_lshl_b64 s[4:5], s[4:5], 3
	v_cndmask_b32_e32 v1, 0, v0, vcc_lo
	s_lshr_b32 s1, s1, 24
	s_add_i32 s1, s14, s1
	v_lshlrev_b32_e32 v1, 3, v1
	v_add_co_u32 v1, s10, s10, v1
	v_add_co_ci_u32_e64 v4, null, s11, 0, s10
	v_add_co_u32 v3, vcc_lo, v1, s4
	v_add_co_ci_u32_e64 v4, null, s5, v4, vcc_lo
	v_mov_b32_e32 v1, v2
	s_and_b32 s4, s1, 0xffffff00
	s_cmpk_lt_i32 s14, 0x100
	s_mov_b32 s5, 0
	s_cbranch_scc1 .LBB330_17
; %bb.15:
	v_mad_i64_i32 v[1:2], null, s0, v0, 0
	v_mov_b32_e32 v6, v4
	v_mov_b32_e32 v5, v3
	s_ashr_i32 s1, s0, 31
	s_lshl_b64 s[10:11], s[0:1], 11
	v_lshlrev_b64 v[7:8], 3, v[1:2]
	v_mov_b32_e32 v2, 0
	v_mov_b32_e32 v1, v2
	v_add_co_u32 v7, vcc_lo, s8, v7
	v_add_co_ci_u32_e64 v8, null, s9, v8, vcc_lo
	.p2align	6
.LBB330_16:                             ; =>This Inner Loop Header: Depth=1
	flat_load_dwordx2 v[9:10], v[5:6]
	flat_load_dwordx2 v[11:12], v[7:8]
	v_add_co_u32 v7, vcc_lo, v7, s10
	v_add_co_ci_u32_e64 v8, null, s11, v8, vcc_lo
	v_add_co_u32 v5, vcc_lo, 0x800, v5
	v_add_co_ci_u32_e64 v6, null, 0, v6, vcc_lo
	s_addk_i32 s5, 0x100
	s_cmp_ge_i32 s5, s4
	s_waitcnt vmcnt(0) lgkmcnt(0)
	v_mul_f32_e32 v13, v10, v12
	v_mul_f32_e32 v10, v10, v11
	v_fmac_f32_e32 v13, v9, v11
	v_fma_f32 v9, v9, v12, -v10
	v_add_f32_e32 v1, v1, v13
	v_add_f32_e32 v2, v2, v9
	s_cbranch_scc0 .LBB330_16
.LBB330_17:
	v_add_nc_u32_e32 v5, s4, v0
	s_mov_b32 s1, exec_lo
	v_cmpx_gt_i32_e64 s14, v5
	s_cbranch_execz .LBB330_19
; %bb.18:
	v_mad_i64_i32 v[5:6], null, s0, v5, 0
	s_ashr_i32 s5, s4, 31
	s_lshl_b64 s[4:5], s[4:5], 3
	v_add_co_u32 v3, vcc_lo, v3, s4
	v_lshlrev_b64 v[5:6], 3, v[5:6]
	v_add_co_ci_u32_e64 v4, null, s5, v4, vcc_lo
	v_add_co_u32 v5, vcc_lo, s8, v5
	v_add_co_ci_u32_e64 v6, null, s9, v6, vcc_lo
	flat_load_dwordx2 v[3:4], v[3:4]
	flat_load_dwordx2 v[5:6], v[5:6]
	s_waitcnt vmcnt(0) lgkmcnt(0)
	v_mul_f32_e32 v7, v4, v6
	v_mul_f32_e32 v4, v4, v5
	v_fmac_f32_e32 v7, v3, v5
	v_fma_f32 v3, v3, v6, -v4
	v_add_f32_e32 v1, v1, v7
	v_add_f32_e32 v2, v2, v3
.LBB330_19:
	s_or_b32 exec_lo, exec_lo, s1
	v_lshlrev_b32_e32 v3, 3, v0
	s_mov_b32 s0, exec_lo
	ds_write_b64 v3, v[1:2]
	s_waitcnt lgkmcnt(0)
	s_waitcnt_vscnt null, 0x0
	s_barrier
	buffer_gl0_inv
	v_cmpx_gt_u32_e32 0x80, v0
	s_cbranch_execz .LBB330_21
; %bb.20:
	ds_read2st64_b64 v[4:7], v3 offset1:2
	s_waitcnt lgkmcnt(0)
	v_add_f32_e32 v1, v6, v4
	v_add_f32_e32 v2, v7, v5
	ds_write_b64 v3, v[1:2]
.LBB330_21:
	s_or_b32 exec_lo, exec_lo, s0
	s_mov_b32 s0, exec_lo
	s_waitcnt lgkmcnt(0)
	s_barrier
	buffer_gl0_inv
	v_cmpx_gt_u32_e32 64, v0
	s_cbranch_execz .LBB330_23
; %bb.22:
	ds_read2st64_b64 v[4:7], v3 offset1:1
	s_waitcnt lgkmcnt(0)
	v_add_f32_e32 v1, v6, v4
	v_add_f32_e32 v2, v7, v5
	ds_write_b64 v3, v[1:2]
.LBB330_23:
	s_or_b32 exec_lo, exec_lo, s0
	s_mov_b32 s0, exec_lo
	s_waitcnt lgkmcnt(0)
	s_barrier
	buffer_gl0_inv
	v_cmpx_gt_u32_e32 32, v0
	s_cbranch_execz .LBB330_25
; %bb.24:
	ds_read2_b64 v[4:7], v3 offset1:32
	s_waitcnt lgkmcnt(0)
	v_add_f32_e32 v1, v6, v4
	v_add_f32_e32 v2, v7, v5
	ds_write_b64 v3, v[1:2]
.LBB330_25:
	s_or_b32 exec_lo, exec_lo, s0
	s_mov_b32 s0, exec_lo
	s_waitcnt lgkmcnt(0)
	s_barrier
	buffer_gl0_inv
	v_cmpx_gt_u32_e32 16, v0
	s_cbranch_execz .LBB330_27
; %bb.26:
	ds_read2_b64 v[4:7], v3 offset1:16
	s_waitcnt lgkmcnt(0)
	v_add_f32_e32 v1, v6, v4
	v_add_f32_e32 v2, v7, v5
	ds_write_b64 v3, v[1:2]
.LBB330_27:
	;; [unrolled: 14-line block ×5, first 2 shown]
	s_or_b32 exec_lo, exec_lo, s0
	v_cmp_eq_u32_e32 vcc_lo, 0, v0
	s_waitcnt lgkmcnt(0)
	s_barrier
	buffer_gl0_inv
	s_and_saveexec_b32 s0, vcc_lo
	s_cbranch_execz .LBB330_35
; %bb.34:
	v_mov_b32_e32 v4, 0
	ds_read_b128 v[0:3], v4
	s_waitcnt lgkmcnt(0)
	v_add_f32_e32 v0, v2, v0
	v_add_f32_e32 v1, v3, v1
	ds_write_b64 v4, v[0:1]
.LBB330_35:
	s_or_b32 exec_lo, exec_lo, s0
	s_waitcnt lgkmcnt(0)
	s_barrier
	buffer_gl0_inv
	s_and_saveexec_b32 s0, vcc_lo
	s_cbranch_execz .LBB330_39
; %bb.36:
	v_mov_b32_e32 v0, 0
	v_cmp_neq_f32_e64 s0, s2, 0
	v_cmp_neq_f32_e64 s1, s3, 0
	ds_read_b64 v[2:3], v0
	s_or_b32 s0, s0, s1
	s_mul_hi_i32 s1, s13, s6
	s_andn2_b32 vcc_lo, exec_lo, s0
	s_mul_i32 s0, s13, s6
	s_waitcnt lgkmcnt(0)
	v_mul_f32_e32 v0, s17, v3
	v_mul_f32_e32 v1, s16, v3
	v_fma_f32 v0, v2, s16, -v0
	v_fmac_f32_e32 v1, s17, v2
	s_cbranch_vccnz .LBB330_38
; %bb.37:
	s_lshl_b64 s[4:5], s[0:1], 3
	s_add_u32 s4, s7, s4
	s_addc_u32 s5, s12, s5
	v_mov_b32_e32 v2, s4
	v_mov_b32_e32 v3, s5
	flat_load_dwordx2 v[2:3], v[2:3]
	s_waitcnt vmcnt(0) lgkmcnt(0)
	v_mul_f32_e32 v4, s3, v3
	v_mul_f32_e32 v3, s2, v3
	v_fma_f32 v4, s2, v2, -v4
	v_fmac_f32_e32 v3, s3, v2
	v_add_f32_e32 v0, v0, v4
	v_add_f32_e32 v1, v1, v3
.LBB330_38:
	s_lshl_b64 s[0:1], s[0:1], 3
	s_add_u32 s0, s7, s0
	s_addc_u32 s1, s12, s1
	v_mov_b32_e32 v3, s1
	v_mov_b32_e32 v2, s0
	flat_store_dwordx2 v[2:3], v[0:1]
.LBB330_39:
	s_endpgm
	.section	.rodata,"a",@progbits
	.p2align	6, 0x0
	.amdhsa_kernel _ZL20rocblas_gemvt_kernelILb1ELi256EPK19rocblas_complex_numIfES3_KPS1_EviiT2_lPKT1_lilS9_lilS6_lPT3_lili
		.amdhsa_group_segment_fixed_size 2048
		.amdhsa_private_segment_fixed_size 0
		.amdhsa_kernarg_size 140
		.amdhsa_user_sgpr_count 6
		.amdhsa_user_sgpr_private_segment_buffer 1
		.amdhsa_user_sgpr_dispatch_ptr 0
		.amdhsa_user_sgpr_queue_ptr 0
		.amdhsa_user_sgpr_kernarg_segment_ptr 1
		.amdhsa_user_sgpr_dispatch_id 0
		.amdhsa_user_sgpr_flat_scratch_init 0
		.amdhsa_user_sgpr_private_segment_size 0
		.amdhsa_wavefront_size32 1
		.amdhsa_uses_dynamic_stack 0
		.amdhsa_system_sgpr_private_segment_wavefront_offset 0
		.amdhsa_system_sgpr_workgroup_id_x 1
		.amdhsa_system_sgpr_workgroup_id_y 0
		.amdhsa_system_sgpr_workgroup_id_z 1
		.amdhsa_system_sgpr_workgroup_info 0
		.amdhsa_system_vgpr_workitem_id 0
		.amdhsa_next_free_vgpr 14
		.amdhsa_next_free_sgpr 24
		.amdhsa_reserve_vcc 1
		.amdhsa_reserve_flat_scratch 0
		.amdhsa_float_round_mode_32 0
		.amdhsa_float_round_mode_16_64 0
		.amdhsa_float_denorm_mode_32 3
		.amdhsa_float_denorm_mode_16_64 3
		.amdhsa_dx10_clamp 1
		.amdhsa_ieee_mode 1
		.amdhsa_fp16_overflow 0
		.amdhsa_workgroup_processor_mode 1
		.amdhsa_memory_ordered 1
		.amdhsa_forward_progress 1
		.amdhsa_shared_vgpr_count 0
		.amdhsa_exception_fp_ieee_invalid_op 0
		.amdhsa_exception_fp_denorm_src 0
		.amdhsa_exception_fp_ieee_div_zero 0
		.amdhsa_exception_fp_ieee_overflow 0
		.amdhsa_exception_fp_ieee_underflow 0
		.amdhsa_exception_fp_ieee_inexact 0
		.amdhsa_exception_int_div_zero 0
	.end_amdhsa_kernel
	.section	.text._ZL20rocblas_gemvt_kernelILb1ELi256EPK19rocblas_complex_numIfES3_KPS1_EviiT2_lPKT1_lilS9_lilS6_lPT3_lili,"axG",@progbits,_ZL20rocblas_gemvt_kernelILb1ELi256EPK19rocblas_complex_numIfES3_KPS1_EviiT2_lPKT1_lilS9_lilS6_lPT3_lili,comdat
.Lfunc_end330:
	.size	_ZL20rocblas_gemvt_kernelILb1ELi256EPK19rocblas_complex_numIfES3_KPS1_EviiT2_lPKT1_lilS9_lilS6_lPT3_lili, .Lfunc_end330-_ZL20rocblas_gemvt_kernelILb1ELi256EPK19rocblas_complex_numIfES3_KPS1_EviiT2_lPKT1_lilS9_lilS6_lPT3_lili
                                        ; -- End function
	.set _ZL20rocblas_gemvt_kernelILb1ELi256EPK19rocblas_complex_numIfES3_KPS1_EviiT2_lPKT1_lilS9_lilS6_lPT3_lili.num_vgpr, 14
	.set _ZL20rocblas_gemvt_kernelILb1ELi256EPK19rocblas_complex_numIfES3_KPS1_EviiT2_lPKT1_lilS9_lilS6_lPT3_lili.num_agpr, 0
	.set _ZL20rocblas_gemvt_kernelILb1ELi256EPK19rocblas_complex_numIfES3_KPS1_EviiT2_lPKT1_lilS9_lilS6_lPT3_lili.numbered_sgpr, 24
	.set _ZL20rocblas_gemvt_kernelILb1ELi256EPK19rocblas_complex_numIfES3_KPS1_EviiT2_lPKT1_lilS9_lilS6_lPT3_lili.num_named_barrier, 0
	.set _ZL20rocblas_gemvt_kernelILb1ELi256EPK19rocblas_complex_numIfES3_KPS1_EviiT2_lPKT1_lilS9_lilS6_lPT3_lili.private_seg_size, 0
	.set _ZL20rocblas_gemvt_kernelILb1ELi256EPK19rocblas_complex_numIfES3_KPS1_EviiT2_lPKT1_lilS9_lilS6_lPT3_lili.uses_vcc, 1
	.set _ZL20rocblas_gemvt_kernelILb1ELi256EPK19rocblas_complex_numIfES3_KPS1_EviiT2_lPKT1_lilS9_lilS6_lPT3_lili.uses_flat_scratch, 0
	.set _ZL20rocblas_gemvt_kernelILb1ELi256EPK19rocblas_complex_numIfES3_KPS1_EviiT2_lPKT1_lilS9_lilS6_lPT3_lili.has_dyn_sized_stack, 0
	.set _ZL20rocblas_gemvt_kernelILb1ELi256EPK19rocblas_complex_numIfES3_KPS1_EviiT2_lPKT1_lilS9_lilS6_lPT3_lili.has_recursion, 0
	.set _ZL20rocblas_gemvt_kernelILb1ELi256EPK19rocblas_complex_numIfES3_KPS1_EviiT2_lPKT1_lilS9_lilS6_lPT3_lili.has_indirect_call, 0
	.section	.AMDGPU.csdata,"",@progbits
; Kernel info:
; codeLenInByte = 1620
; TotalNumSgprs: 26
; NumVgprs: 14
; ScratchSize: 0
; MemoryBound: 0
; FloatMode: 240
; IeeeMode: 1
; LDSByteSize: 2048 bytes/workgroup (compile time only)
; SGPRBlocks: 0
; VGPRBlocks: 1
; NumSGPRsForWavesPerEU: 26
; NumVGPRsForWavesPerEU: 14
; Occupancy: 16
; WaveLimiterHint : 1
; COMPUTE_PGM_RSRC2:SCRATCH_EN: 0
; COMPUTE_PGM_RSRC2:USER_SGPR: 6
; COMPUTE_PGM_RSRC2:TRAP_HANDLER: 0
; COMPUTE_PGM_RSRC2:TGID_X_EN: 1
; COMPUTE_PGM_RSRC2:TGID_Y_EN: 0
; COMPUTE_PGM_RSRC2:TGID_Z_EN: 1
; COMPUTE_PGM_RSRC2:TIDIG_COMP_CNT: 0
	.section	.text._ZL20rocblas_gemvt_kernelILb1ELi256EPK19rocblas_complex_numIfES1_KPS1_EviiT2_lPKT1_lilS9_lilS6_lPT3_lili,"axG",@progbits,_ZL20rocblas_gemvt_kernelILb1ELi256EPK19rocblas_complex_numIfES1_KPS1_EviiT2_lPKT1_lilS9_lilS6_lPT3_lili,comdat
	.globl	_ZL20rocblas_gemvt_kernelILb1ELi256EPK19rocblas_complex_numIfES1_KPS1_EviiT2_lPKT1_lilS9_lilS6_lPT3_lili ; -- Begin function _ZL20rocblas_gemvt_kernelILb1ELi256EPK19rocblas_complex_numIfES1_KPS1_EviiT2_lPKT1_lilS9_lilS6_lPT3_lili
	.p2align	8
	.type	_ZL20rocblas_gemvt_kernelILb1ELi256EPK19rocblas_complex_numIfES1_KPS1_EviiT2_lPKT1_lilS9_lilS6_lPT3_lili,@function
_ZL20rocblas_gemvt_kernelILb1ELi256EPK19rocblas_complex_numIfES1_KPS1_EviiT2_lPKT1_lilS9_lilS6_lPT3_lili: ; @_ZL20rocblas_gemvt_kernelILb1ELi256EPK19rocblas_complex_numIfES1_KPS1_EviiT2_lPKT1_lilS9_lilS6_lPT3_lili
; %bb.0:
	s_clause 0x1
	s_load_dwordx2 s[8:9], s[4:5], 0x8
	s_load_dwordx2 s[2:3], s[4:5], 0x58
	s_mov_b32 s0, s7
	s_waitcnt lgkmcnt(0)
	v_cmp_neq_f32_e64 s1, s8, 0
	v_cmp_neq_f32_e64 s7, s9, 0
	s_or_b32 s1, s1, s7
	s_and_b32 vcc_lo, exec_lo, s1
	s_mov_b32 s1, -1
	s_cbranch_vccnz .LBB331_2
; %bb.1:
	v_cmp_neq_f32_e64 s1, s2, 1.0
	v_cmp_neq_f32_e64 s7, s3, 0
	s_or_b32 s1, s1, s7
.LBB331_2:
	s_andn2_b32 vcc_lo, exec_lo, s1
	s_cbranch_vccnz .LBB331_41
; %bb.3:
	s_or_b32 s1, s8, s9
	s_bitset0_b32 s1, 31
	s_cmp_lg_u32 s1, 0
	s_cselect_b32 s7, -1, 0
	s_cmp_eq_u32 s1, 0
	s_mov_b32 s1, 0
	s_cselect_b32 s16, -1, 0
	s_and_b32 vcc_lo, exec_lo, s7
	s_cbranch_vccnz .LBB331_5
; %bb.4:
	s_mov_b32 s12, s1
	s_mov_b64 s[10:11], 0
	s_andn2_b32 vcc_lo, exec_lo, s12
	s_mov_b64 s[12:13], 0
	s_cbranch_vccz .LBB331_6
	s_branch .LBB331_7
.LBB331_5:
	s_mov_b64 s[10:11], 0
	s_mov_b64 s[12:13], 0
.LBB331_6:
	s_load_dwordx4 s[12:15], s[4:5], 0x18
	s_lshl_b64 s[18:19], s[0:1], 3
	s_waitcnt lgkmcnt(0)
	s_add_u32 s12, s12, s18
	s_addc_u32 s13, s13, s19
	s_lshl_b64 s[14:15], s[14:15], 3
	s_load_dwordx2 s[12:13], s[12:13], 0x0
	s_waitcnt lgkmcnt(0)
	s_add_u32 s12, s12, s14
	s_addc_u32 s13, s13, s15
.LBB331_7:
	s_andn2_b32 vcc_lo, exec_lo, s7
	s_cbranch_vccnz .LBB331_9
; %bb.8:
	s_load_dwordx4 s[20:23], s[4:5], 0x38
	s_lshl_b64 s[10:11], s[0:1], 3
	s_waitcnt lgkmcnt(0)
	s_add_u32 s10, s20, s10
	s_addc_u32 s11, s21, s11
	s_lshl_b64 s[14:15], s[22:23], 3
	s_load_dwordx2 s[10:11], s[10:11], 0x0
	s_waitcnt lgkmcnt(0)
	s_add_u32 s10, s10, s14
	s_addc_u32 s11, s11, s15
.LBB331_9:
	s_clause 0x1
	s_load_dwordx4 s[20:23], s[4:5], 0x68
	s_load_dword s15, s[4:5], 0x78
	s_lshl_b64 s[0:1], s[0:1], 3
	s_waitcnt lgkmcnt(0)
	s_add_u32 s0, s20, s0
	s_addc_u32 s1, s21, s1
	s_lshl_b64 s[20:21], s[22:23], 3
	s_load_dwordx2 s[18:19], s[0:1], 0x0
	v_cmp_eq_u32_e64 s0, 0, v0
	s_waitcnt lgkmcnt(0)
	s_add_u32 s7, s18, s20
	s_addc_u32 s14, s19, s21
	s_andn2_b32 vcc_lo, exec_lo, s16
	s_mov_b32 s16, -1
	s_cbranch_vccnz .LBB331_15
; %bb.10:
	s_mov_b32 s16, 0
	s_and_saveexec_b32 s17, s0
	s_cbranch_execz .LBB331_14
; %bb.11:
	v_cmp_neq_f32_e64 s0, s2, 0
	v_cmp_neq_f32_e64 s1, s3, 0
	v_mov_b32_e32 v1, 0
	v_mov_b32_e32 v2, 0
	s_or_b32 s0, s0, s1
	s_mul_hi_i32 s1, s15, s6
	s_andn2_b32 vcc_lo, exec_lo, s0
	s_mul_i32 s0, s15, s6
	s_cbranch_vccnz .LBB331_13
; %bb.12:
	s_lshl_b64 s[18:19], s[0:1], 3
	s_add_u32 s18, s7, s18
	s_addc_u32 s19, s14, s19
	v_mov_b32_e32 v1, s18
	v_mov_b32_e32 v2, s19
	flat_load_dwordx2 v[3:4], v[1:2]
	s_waitcnt vmcnt(0) lgkmcnt(0)
	v_mul_f32_e32 v1, s3, v4
	v_mul_f32_e32 v2, s2, v4
	v_fma_f32 v1, s2, v3, -v1
	v_fmac_f32_e32 v2, s3, v3
.LBB331_13:
	s_lshl_b64 s[0:1], s[0:1], 3
	s_add_u32 s0, s7, s0
	s_addc_u32 s1, s14, s1
	v_mov_b32_e32 v4, s1
	v_mov_b32_e32 v3, s0
	flat_store_dwordx2 v[3:4], v[1:2]
.LBB331_14:
	s_or_b32 exec_lo, exec_lo, s17
.LBB331_15:
	s_andn2_b32 vcc_lo, exec_lo, s16
	s_cbranch_vccnz .LBB331_41
; %bb.16:
	s_clause 0x2
	s_load_dword s16, s[4:5], 0x0
	s_load_dword s1, s[4:5], 0x28
	;; [unrolled: 1-line block ×3, first 2 shown]
	v_mov_b32_e32 v2, 0
	s_waitcnt lgkmcnt(0)
	v_cmp_gt_i32_e32 vcc_lo, s16, v0
	s_mul_hi_i32 s5, s1, s6
	s_mul_i32 s4, s1, s6
	s_ashr_i32 s1, s16, 31
	s_lshl_b64 s[4:5], s[4:5], 3
	v_cndmask_b32_e32 v1, 0, v0, vcc_lo
	s_lshr_b32 s1, s1, 24
	s_add_i32 s1, s16, s1
	v_lshlrev_b32_e32 v1, 3, v1
	v_add_co_u32 v1, s12, s12, v1
	v_add_co_ci_u32_e64 v4, null, s13, 0, s12
	v_add_co_u32 v3, vcc_lo, v1, s4
	v_add_co_ci_u32_e64 v4, null, s5, v4, vcc_lo
	v_mov_b32_e32 v1, v2
	s_and_b32 s4, s1, 0xffffff00
	s_cmpk_lt_i32 s16, 0x100
	s_mov_b32 s5, 0
	s_cbranch_scc1 .LBB331_19
; %bb.17:
	v_mad_i64_i32 v[1:2], null, s0, v0, 0
	v_mov_b32_e32 v6, v4
	v_mov_b32_e32 v5, v3
	s_ashr_i32 s1, s0, 31
	s_lshl_b64 s[12:13], s[0:1], 11
	v_lshlrev_b64 v[7:8], 3, v[1:2]
	v_mov_b32_e32 v2, 0
	v_mov_b32_e32 v1, v2
	v_add_co_u32 v7, vcc_lo, s10, v7
	v_add_co_ci_u32_e64 v8, null, s11, v8, vcc_lo
	.p2align	6
.LBB331_18:                             ; =>This Inner Loop Header: Depth=1
	flat_load_dwordx2 v[9:10], v[5:6]
	flat_load_dwordx2 v[11:12], v[7:8]
	v_add_co_u32 v7, vcc_lo, v7, s12
	v_add_co_ci_u32_e64 v8, null, s13, v8, vcc_lo
	v_add_co_u32 v5, vcc_lo, 0x800, v5
	v_add_co_ci_u32_e64 v6, null, 0, v6, vcc_lo
	s_addk_i32 s5, 0x100
	s_cmp_ge_i32 s5, s4
	s_waitcnt vmcnt(0) lgkmcnt(0)
	v_mul_f32_e32 v13, v10, v12
	v_mul_f32_e32 v10, v10, v11
	v_fmac_f32_e32 v13, v9, v11
	v_fma_f32 v9, v9, v12, -v10
	v_add_f32_e32 v1, v1, v13
	v_add_f32_e32 v2, v2, v9
	s_cbranch_scc0 .LBB331_18
.LBB331_19:
	v_add_nc_u32_e32 v5, s4, v0
	s_mov_b32 s1, exec_lo
	v_cmpx_gt_i32_e64 s16, v5
	s_cbranch_execz .LBB331_21
; %bb.20:
	v_mad_i64_i32 v[5:6], null, s0, v5, 0
	s_ashr_i32 s5, s4, 31
	s_lshl_b64 s[4:5], s[4:5], 3
	v_add_co_u32 v3, vcc_lo, v3, s4
	v_lshlrev_b64 v[5:6], 3, v[5:6]
	v_add_co_ci_u32_e64 v4, null, s5, v4, vcc_lo
	v_add_co_u32 v5, vcc_lo, s10, v5
	v_add_co_ci_u32_e64 v6, null, s11, v6, vcc_lo
	flat_load_dwordx2 v[3:4], v[3:4]
	flat_load_dwordx2 v[5:6], v[5:6]
	s_waitcnt vmcnt(0) lgkmcnt(0)
	v_mul_f32_e32 v7, v4, v6
	v_mul_f32_e32 v4, v4, v5
	v_fmac_f32_e32 v7, v3, v5
	v_fma_f32 v3, v3, v6, -v4
	v_add_f32_e32 v1, v1, v7
	v_add_f32_e32 v2, v2, v3
.LBB331_21:
	s_or_b32 exec_lo, exec_lo, s1
	v_lshlrev_b32_e32 v3, 3, v0
	s_mov_b32 s0, exec_lo
	ds_write_b64 v3, v[1:2]
	s_waitcnt lgkmcnt(0)
	s_waitcnt_vscnt null, 0x0
	s_barrier
	buffer_gl0_inv
	v_cmpx_gt_u32_e32 0x80, v0
	s_cbranch_execz .LBB331_23
; %bb.22:
	ds_read2st64_b64 v[4:7], v3 offset1:2
	s_waitcnt lgkmcnt(0)
	v_add_f32_e32 v1, v6, v4
	v_add_f32_e32 v2, v7, v5
	ds_write_b64 v3, v[1:2]
.LBB331_23:
	s_or_b32 exec_lo, exec_lo, s0
	s_mov_b32 s0, exec_lo
	s_waitcnt lgkmcnt(0)
	s_barrier
	buffer_gl0_inv
	v_cmpx_gt_u32_e32 64, v0
	s_cbranch_execz .LBB331_25
; %bb.24:
	ds_read2st64_b64 v[4:7], v3 offset1:1
	s_waitcnt lgkmcnt(0)
	v_add_f32_e32 v1, v6, v4
	v_add_f32_e32 v2, v7, v5
	ds_write_b64 v3, v[1:2]
.LBB331_25:
	s_or_b32 exec_lo, exec_lo, s0
	s_mov_b32 s0, exec_lo
	s_waitcnt lgkmcnt(0)
	s_barrier
	buffer_gl0_inv
	v_cmpx_gt_u32_e32 32, v0
	s_cbranch_execz .LBB331_27
; %bb.26:
	ds_read2_b64 v[4:7], v3 offset1:32
	s_waitcnt lgkmcnt(0)
	v_add_f32_e32 v1, v6, v4
	v_add_f32_e32 v2, v7, v5
	ds_write_b64 v3, v[1:2]
.LBB331_27:
	s_or_b32 exec_lo, exec_lo, s0
	s_mov_b32 s0, exec_lo
	s_waitcnt lgkmcnt(0)
	s_barrier
	buffer_gl0_inv
	v_cmpx_gt_u32_e32 16, v0
	s_cbranch_execz .LBB331_29
; %bb.28:
	ds_read2_b64 v[4:7], v3 offset1:16
	s_waitcnt lgkmcnt(0)
	v_add_f32_e32 v1, v6, v4
	v_add_f32_e32 v2, v7, v5
	ds_write_b64 v3, v[1:2]
.LBB331_29:
	;; [unrolled: 14-line block ×5, first 2 shown]
	s_or_b32 exec_lo, exec_lo, s0
	v_cmp_eq_u32_e32 vcc_lo, 0, v0
	s_waitcnt lgkmcnt(0)
	s_barrier
	buffer_gl0_inv
	s_and_saveexec_b32 s0, vcc_lo
	s_cbranch_execz .LBB331_37
; %bb.36:
	v_mov_b32_e32 v4, 0
	ds_read_b128 v[0:3], v4
	s_waitcnt lgkmcnt(0)
	v_add_f32_e32 v0, v2, v0
	v_add_f32_e32 v1, v3, v1
	ds_write_b64 v4, v[0:1]
.LBB331_37:
	s_or_b32 exec_lo, exec_lo, s0
	s_waitcnt lgkmcnt(0)
	s_barrier
	buffer_gl0_inv
	s_and_saveexec_b32 s0, vcc_lo
	s_cbranch_execz .LBB331_41
; %bb.38:
	v_mov_b32_e32 v0, 0
	v_cmp_neq_f32_e64 s0, s2, 0
	v_cmp_neq_f32_e64 s1, s3, 0
	ds_read_b64 v[2:3], v0
	s_or_b32 s0, s0, s1
	s_mul_hi_i32 s1, s15, s6
	s_andn2_b32 vcc_lo, exec_lo, s0
	s_mul_i32 s0, s15, s6
	s_waitcnt lgkmcnt(0)
	v_mul_f32_e32 v0, s9, v3
	v_mul_f32_e32 v1, s8, v3
	v_fma_f32 v0, v2, s8, -v0
	v_fmac_f32_e32 v1, s9, v2
	s_cbranch_vccnz .LBB331_40
; %bb.39:
	s_lshl_b64 s[4:5], s[0:1], 3
	s_add_u32 s4, s7, s4
	s_addc_u32 s5, s14, s5
	v_mov_b32_e32 v2, s4
	v_mov_b32_e32 v3, s5
	flat_load_dwordx2 v[2:3], v[2:3]
	s_waitcnt vmcnt(0) lgkmcnt(0)
	v_mul_f32_e32 v4, s3, v3
	v_mul_f32_e32 v3, s2, v3
	v_fma_f32 v4, s2, v2, -v4
	v_fmac_f32_e32 v3, s3, v2
	v_add_f32_e32 v0, v0, v4
	v_add_f32_e32 v1, v1, v3
.LBB331_40:
	s_lshl_b64 s[0:1], s[0:1], 3
	s_add_u32 s0, s7, s0
	s_addc_u32 s1, s14, s1
	v_mov_b32_e32 v3, s1
	v_mov_b32_e32 v2, s0
	flat_store_dwordx2 v[2:3], v[0:1]
.LBB331_41:
	s_endpgm
	.section	.rodata,"a",@progbits
	.p2align	6, 0x0
	.amdhsa_kernel _ZL20rocblas_gemvt_kernelILb1ELi256EPK19rocblas_complex_numIfES1_KPS1_EviiT2_lPKT1_lilS9_lilS6_lPT3_lili
		.amdhsa_group_segment_fixed_size 2048
		.amdhsa_private_segment_fixed_size 0
		.amdhsa_kernarg_size 140
		.amdhsa_user_sgpr_count 6
		.amdhsa_user_sgpr_private_segment_buffer 1
		.amdhsa_user_sgpr_dispatch_ptr 0
		.amdhsa_user_sgpr_queue_ptr 0
		.amdhsa_user_sgpr_kernarg_segment_ptr 1
		.amdhsa_user_sgpr_dispatch_id 0
		.amdhsa_user_sgpr_flat_scratch_init 0
		.amdhsa_user_sgpr_private_segment_size 0
		.amdhsa_wavefront_size32 1
		.amdhsa_uses_dynamic_stack 0
		.amdhsa_system_sgpr_private_segment_wavefront_offset 0
		.amdhsa_system_sgpr_workgroup_id_x 1
		.amdhsa_system_sgpr_workgroup_id_y 0
		.amdhsa_system_sgpr_workgroup_id_z 1
		.amdhsa_system_sgpr_workgroup_info 0
		.amdhsa_system_vgpr_workitem_id 0
		.amdhsa_next_free_vgpr 14
		.amdhsa_next_free_sgpr 24
		.amdhsa_reserve_vcc 1
		.amdhsa_reserve_flat_scratch 0
		.amdhsa_float_round_mode_32 0
		.amdhsa_float_round_mode_16_64 0
		.amdhsa_float_denorm_mode_32 3
		.amdhsa_float_denorm_mode_16_64 3
		.amdhsa_dx10_clamp 1
		.amdhsa_ieee_mode 1
		.amdhsa_fp16_overflow 0
		.amdhsa_workgroup_processor_mode 1
		.amdhsa_memory_ordered 1
		.amdhsa_forward_progress 1
		.amdhsa_shared_vgpr_count 0
		.amdhsa_exception_fp_ieee_invalid_op 0
		.amdhsa_exception_fp_denorm_src 0
		.amdhsa_exception_fp_ieee_div_zero 0
		.amdhsa_exception_fp_ieee_overflow 0
		.amdhsa_exception_fp_ieee_underflow 0
		.amdhsa_exception_fp_ieee_inexact 0
		.amdhsa_exception_int_div_zero 0
	.end_amdhsa_kernel
	.section	.text._ZL20rocblas_gemvt_kernelILb1ELi256EPK19rocblas_complex_numIfES1_KPS1_EviiT2_lPKT1_lilS9_lilS6_lPT3_lili,"axG",@progbits,_ZL20rocblas_gemvt_kernelILb1ELi256EPK19rocblas_complex_numIfES1_KPS1_EviiT2_lPKT1_lilS9_lilS6_lPT3_lili,comdat
.Lfunc_end331:
	.size	_ZL20rocblas_gemvt_kernelILb1ELi256EPK19rocblas_complex_numIfES1_KPS1_EviiT2_lPKT1_lilS9_lilS6_lPT3_lili, .Lfunc_end331-_ZL20rocblas_gemvt_kernelILb1ELi256EPK19rocblas_complex_numIfES1_KPS1_EviiT2_lPKT1_lilS9_lilS6_lPT3_lili
                                        ; -- End function
	.set _ZL20rocblas_gemvt_kernelILb1ELi256EPK19rocblas_complex_numIfES1_KPS1_EviiT2_lPKT1_lilS9_lilS6_lPT3_lili.num_vgpr, 14
	.set _ZL20rocblas_gemvt_kernelILb1ELi256EPK19rocblas_complex_numIfES1_KPS1_EviiT2_lPKT1_lilS9_lilS6_lPT3_lili.num_agpr, 0
	.set _ZL20rocblas_gemvt_kernelILb1ELi256EPK19rocblas_complex_numIfES1_KPS1_EviiT2_lPKT1_lilS9_lilS6_lPT3_lili.numbered_sgpr, 24
	.set _ZL20rocblas_gemvt_kernelILb1ELi256EPK19rocblas_complex_numIfES1_KPS1_EviiT2_lPKT1_lilS9_lilS6_lPT3_lili.num_named_barrier, 0
	.set _ZL20rocblas_gemvt_kernelILb1ELi256EPK19rocblas_complex_numIfES1_KPS1_EviiT2_lPKT1_lilS9_lilS6_lPT3_lili.private_seg_size, 0
	.set _ZL20rocblas_gemvt_kernelILb1ELi256EPK19rocblas_complex_numIfES1_KPS1_EviiT2_lPKT1_lilS9_lilS6_lPT3_lili.uses_vcc, 1
	.set _ZL20rocblas_gemvt_kernelILb1ELi256EPK19rocblas_complex_numIfES1_KPS1_EviiT2_lPKT1_lilS9_lilS6_lPT3_lili.uses_flat_scratch, 0
	.set _ZL20rocblas_gemvt_kernelILb1ELi256EPK19rocblas_complex_numIfES1_KPS1_EviiT2_lPKT1_lilS9_lilS6_lPT3_lili.has_dyn_sized_stack, 0
	.set _ZL20rocblas_gemvt_kernelILb1ELi256EPK19rocblas_complex_numIfES1_KPS1_EviiT2_lPKT1_lilS9_lilS6_lPT3_lili.has_recursion, 0
	.set _ZL20rocblas_gemvt_kernelILb1ELi256EPK19rocblas_complex_numIfES1_KPS1_EviiT2_lPKT1_lilS9_lilS6_lPT3_lili.has_indirect_call, 0
	.section	.AMDGPU.csdata,"",@progbits
; Kernel info:
; codeLenInByte = 1620
; TotalNumSgprs: 26
; NumVgprs: 14
; ScratchSize: 0
; MemoryBound: 0
; FloatMode: 240
; IeeeMode: 1
; LDSByteSize: 2048 bytes/workgroup (compile time only)
; SGPRBlocks: 0
; VGPRBlocks: 1
; NumSGPRsForWavesPerEU: 26
; NumVGPRsForWavesPerEU: 14
; Occupancy: 16
; WaveLimiterHint : 1
; COMPUTE_PGM_RSRC2:SCRATCH_EN: 0
; COMPUTE_PGM_RSRC2:USER_SGPR: 6
; COMPUTE_PGM_RSRC2:TRAP_HANDLER: 0
; COMPUTE_PGM_RSRC2:TGID_X_EN: 1
; COMPUTE_PGM_RSRC2:TGID_Y_EN: 0
; COMPUTE_PGM_RSRC2:TGID_Z_EN: 1
; COMPUTE_PGM_RSRC2:TIDIG_COMP_CNT: 0
	.section	.text._ZL32rocblas_gemvt_warp_reduce_kernelILb1ELi1024EiPK19rocblas_complex_numIfES3_KPS1_EviiT3_lPKT2_lT1_lS9_lSA_lS6_lPT4_lSA_li,"axG",@progbits,_ZL32rocblas_gemvt_warp_reduce_kernelILb1ELi1024EiPK19rocblas_complex_numIfES3_KPS1_EviiT3_lPKT2_lT1_lS9_lSA_lS6_lPT4_lSA_li,comdat
	.globl	_ZL32rocblas_gemvt_warp_reduce_kernelILb1ELi1024EiPK19rocblas_complex_numIfES3_KPS1_EviiT3_lPKT2_lT1_lS9_lSA_lS6_lPT4_lSA_li ; -- Begin function _ZL32rocblas_gemvt_warp_reduce_kernelILb1ELi1024EiPK19rocblas_complex_numIfES3_KPS1_EviiT3_lPKT2_lT1_lS9_lSA_lS6_lPT4_lSA_li
	.p2align	8
	.type	_ZL32rocblas_gemvt_warp_reduce_kernelILb1ELi1024EiPK19rocblas_complex_numIfES3_KPS1_EviiT3_lPKT2_lT1_lS9_lSA_lS6_lPT4_lSA_li,@function
_ZL32rocblas_gemvt_warp_reduce_kernelILb1ELi1024EiPK19rocblas_complex_numIfES3_KPS1_EviiT3_lPKT2_lT1_lS9_lSA_lS6_lPT4_lSA_li: ; @_ZL32rocblas_gemvt_warp_reduce_kernelILb1ELi1024EiPK19rocblas_complex_numIfES3_KPS1_EviiT3_lPKT2_lT1_lS9_lSA_lS6_lPT4_lSA_li
; %bb.0:
	s_clause 0x1
	s_load_dwordx8 s[16:23], s[4:5], 0x8
	s_load_dwordx8 s[8:15], s[4:5], 0x58
	s_mov_b32 s0, s7
	s_waitcnt lgkmcnt(0)
	s_mul_i32 s1, s19, s7
	s_mul_hi_u32 s3, s18, s7
	s_mul_i32 s2, s18, s7
	s_add_i32 s3, s3, s1
	s_mul_i32 s1, s11, s7
	s_lshl_b64 s[2:3], s[2:3], 3
	s_add_u32 s2, s16, s2
	s_addc_u32 s3, s17, s3
	s_load_dwordx2 s[16:17], s[2:3], 0x0
	s_mul_hi_u32 s3, s10, s7
	s_mul_i32 s2, s10, s7
	s_add_i32 s3, s3, s1
	s_lshl_b64 s[2:3], s[2:3], 3
	s_add_u32 s2, s8, s2
	s_addc_u32 s3, s9, s3
	s_load_dwordx2 s[2:3], s[2:3], 0x0
	s_waitcnt lgkmcnt(0)
	v_cmp_neq_f32_e64 s1, s16, 0
	v_cmp_neq_f32_e64 s7, s17, 0
	s_or_b32 s7, s1, s7
	s_mov_b32 s1, 0
	s_and_b32 vcc_lo, exec_lo, s7
	s_mov_b32 s7, -1
	s_cbranch_vccnz .LBB332_2
; %bb.1:
	v_cmp_neq_f32_e64 s7, s2, 1.0
	v_cmp_neq_f32_e64 s8, s3, 0
	s_or_b32 s7, s7, s8
.LBB332_2:
	s_andn2_b32 vcc_lo, exec_lo, s7
	s_cbranch_vccnz .LBB332_32
; %bb.3:
	s_or_b32 s7, s16, s17
	s_mov_b64 s[10:11], 0
	s_and_b32 s8, s7, 0x7fffffff
	s_cmp_lg_u32 s8, 0
	s_cselect_b32 s7, -1, 0
	s_cmp_eq_u32 s8, 0
	s_mov_b64 s[8:9], 0
	s_cselect_b32 s18, -1, 0
	s_and_b32 vcc_lo, exec_lo, s18
	s_cbranch_vccnz .LBB332_5
; %bb.4:
	s_lshl_b64 s[10:11], s[0:1], 3
	s_add_u32 s10, s20, s10
	s_addc_u32 s11, s21, s11
	s_lshl_b64 s[20:21], s[22:23], 3
	s_load_dwordx2 s[10:11], s[10:11], 0x0
	s_waitcnt lgkmcnt(0)
	s_add_u32 s10, s10, s20
	s_addc_u32 s11, s11, s21
.LBB332_5:
	s_andn2_b32 vcc_lo, exec_lo, s7
	s_cbranch_vccnz .LBB332_7
; %bb.6:
	s_load_dwordx4 s[20:23], s[4:5], 0x38
	s_lshl_b64 s[8:9], s[0:1], 3
	s_waitcnt lgkmcnt(0)
	s_add_u32 s8, s20, s8
	s_addc_u32 s9, s21, s9
	s_lshl_b64 s[20:21], s[22:23], 3
	s_load_dwordx2 s[8:9], s[8:9], 0x0
	s_waitcnt lgkmcnt(0)
	s_add_u32 s8, s8, s20
	s_addc_u32 s9, s9, s21
.LBB332_7:
	s_lshl_b64 s[0:1], s[0:1], 3
	s_add_u32 s0, s12, s0
	s_addc_u32 s1, s13, s1
	s_lshl_b64 s[14:15], s[14:15], 3
	s_load_dwordx2 s[20:21], s[0:1], 0x0
	s_load_dword s13, s[4:5], 0x78
	v_cmp_eq_u32_e64 s0, 0, v0
	s_waitcnt lgkmcnt(0)
	s_add_u32 s7, s20, s14
	s_addc_u32 s12, s21, s15
	s_andn2_b32 vcc_lo, exec_lo, s18
	s_mov_b32 s14, -1
	s_cbranch_vccnz .LBB332_13
; %bb.8:
	s_mov_b32 s14, 0
	s_and_saveexec_b32 s15, s0
	s_cbranch_execz .LBB332_12
; %bb.9:
	v_cmp_neq_f32_e64 s0, s2, 0
	v_cmp_neq_f32_e64 s1, s3, 0
	v_mov_b32_e32 v1, 0
	v_mov_b32_e32 v2, 0
	s_or_b32 s1, s0, s1
	s_mul_i32 s0, s13, s6
	s_andn2_b32 vcc_lo, exec_lo, s1
	s_ashr_i32 s1, s0, 31
	s_cbranch_vccnz .LBB332_11
; %bb.10:
	s_lshl_b64 s[18:19], s[0:1], 3
	s_add_u32 s18, s7, s18
	s_addc_u32 s19, s12, s19
	v_mov_b32_e32 v1, s18
	v_mov_b32_e32 v2, s19
	flat_load_dwordx2 v[3:4], v[1:2]
	s_waitcnt vmcnt(0) lgkmcnt(0)
	v_mul_f32_e32 v1, s3, v4
	v_mul_f32_e32 v2, s2, v4
	v_fma_f32 v1, s2, v3, -v1
	v_fmac_f32_e32 v2, s3, v3
.LBB332_11:
	s_lshl_b64 s[0:1], s[0:1], 3
	s_add_u32 s0, s7, s0
	s_addc_u32 s1, s12, s1
	v_mov_b32_e32 v4, s1
	v_mov_b32_e32 v3, s0
	flat_store_dwordx2 v[3:4], v[1:2]
.LBB332_12:
	s_or_b32 exec_lo, exec_lo, s15
.LBB332_13:
	s_andn2_b32 vcc_lo, exec_lo, s14
	s_cbranch_vccnz .LBB332_32
; %bb.14:
	s_clause 0x2
	s_load_dword s14, s[4:5], 0x0
	s_load_dword s0, s[4:5], 0x28
	;; [unrolled: 1-line block ×3, first 2 shown]
	v_mov_b32_e32 v7, 0
	v_mov_b32_e32 v8, 0
	s_waitcnt lgkmcnt(0)
	v_cmp_gt_i32_e32 vcc_lo, s14, v0
	s_mul_i32 s4, s0, s6
	s_ashr_i32 s0, s14, 31
	s_ashr_i32 s5, s4, 31
	s_lshr_b32 s0, s0, 22
	v_cndmask_b32_e32 v1, 0, v0, vcc_lo
	s_add_i32 s0, s14, s0
	s_lshl_b64 s[18:19], s[4:5], 3
	s_and_b32 s4, s0, 0xfffffc00
	s_mov_b32 s5, 0
	v_lshlrev_b32_e32 v1, 3, v1
	v_add_co_u32 v1, s0, s10, v1
	v_add_co_ci_u32_e64 v2, null, s11, 0, s0
	v_add_co_u32 v1, s0, v1, s18
	v_add_co_ci_u32_e64 v2, null, s19, v2, s0
	s_mov_b32 s0, exec_lo
	v_cmpx_gt_i32_e64 s4, v0
	s_cbranch_execz .LBB332_18
; %bb.15:
	v_mul_lo_u32 v3, v0, s1
	v_mov_b32_e32 v6, v2
	v_mov_b32_e32 v7, 0
	;; [unrolled: 1-line block ×5, first 2 shown]
	s_lshl_b32 s10, s1, 10
	.p2align	6
.LBB332_16:                             ; =>This Inner Loop Header: Depth=1
	v_ashrrev_i32_e32 v4, 31, v3
	v_add_nc_u32_e32 v9, 0x400, v9
	v_lshlrev_b64 v[10:11], 3, v[3:4]
	v_add_nc_u32_e32 v3, s10, v3
	v_add_co_u32 v10, vcc_lo, s8, v10
	v_add_co_ci_u32_e64 v11, null, s9, v11, vcc_lo
	flat_load_dwordx2 v[12:13], v[5:6]
	flat_load_dwordx2 v[10:11], v[10:11]
	v_add_co_u32 v5, vcc_lo, 0x2000, v5
	v_add_co_ci_u32_e64 v6, null, 0, v6, vcc_lo
	v_cmp_le_i32_e32 vcc_lo, s4, v9
	s_or_b32 s5, vcc_lo, s5
	s_waitcnt vmcnt(0) lgkmcnt(0)
	v_mul_f32_e32 v4, v13, v11
	v_mul_f32_e32 v13, v13, v10
	v_fmac_f32_e32 v4, v12, v10
	v_fma_f32 v10, v12, v11, -v13
	v_add_f32_e32 v8, v8, v4
	v_add_f32_e32 v7, v7, v10
	s_andn2_b32 exec_lo, exec_lo, s5
	s_cbranch_execnz .LBB332_16
; %bb.17:
	s_or_b32 exec_lo, exec_lo, s5
.LBB332_18:
	s_or_b32 exec_lo, exec_lo, s0
	v_or_b32_e32 v3, s4, v0
	s_mov_b32 s0, exec_lo
	v_cmpx_gt_i32_e64 s14, v3
	s_cbranch_execz .LBB332_20
; %bb.19:
	v_mul_lo_u32 v3, s1, v3
	s_ashr_i32 s5, s4, 31
	s_lshl_b64 s[4:5], s[4:5], 3
	v_add_co_u32 v1, vcc_lo, v1, s4
	v_add_co_ci_u32_e64 v2, null, s5, v2, vcc_lo
	v_ashrrev_i32_e32 v4, 31, v3
	v_lshlrev_b64 v[3:4], 3, v[3:4]
	v_add_co_u32 v3, vcc_lo, s8, v3
	v_add_co_ci_u32_e64 v4, null, s9, v4, vcc_lo
	flat_load_dwordx2 v[1:2], v[1:2]
	flat_load_dwordx2 v[3:4], v[3:4]
	s_waitcnt vmcnt(0) lgkmcnt(0)
	v_mul_f32_e32 v5, v2, v4
	v_mul_f32_e32 v2, v2, v3
	v_fmac_f32_e32 v5, v1, v3
	v_fma_f32 v1, v1, v4, -v2
	v_add_f32_e32 v8, v8, v5
	v_add_f32_e32 v7, v7, v1
.LBB332_20:
	s_or_b32 exec_lo, exec_lo, s0
	v_and_b32_e32 v1, 31, v0
	v_cmp_gt_u32_e32 vcc_lo, 32, v0
	v_lshlrev_b32_e32 v5, 3, v1
	s_and_saveexec_b32 s0, vcc_lo
; %bb.21:
	v_mov_b32_e32 v2, 0
	v_mov_b32_e32 v3, v2
	ds_write_b64 v5, v[2:3]
; %bb.22:
	s_or_b32 exec_lo, exec_lo, s0
	v_mbcnt_lo_u32_b32 v2, -1, 0
	s_mov_b32 s1, exec_lo
	s_waitcnt lgkmcnt(0)
	s_waitcnt_vscnt null, 0x0
	s_barrier
	buffer_gl0_inv
	v_lshl_or_b32 v3, v2, 2, 64
	v_cmp_gt_u32_e64 s0, 24, v2
	ds_bpermute_b32 v6, v3, v8
	ds_bpermute_b32 v9, v3, v7
	v_cndmask_b32_e64 v4, 0, 8, s0
	v_cmp_gt_u32_e64 s0, 28, v2
	v_add_lshl_u32 v4, v4, v2, 2
	s_waitcnt lgkmcnt(1)
	v_add_f32_e32 v8, v8, v6
	s_waitcnt lgkmcnt(0)
	v_add_f32_e32 v7, v7, v9
	v_cndmask_b32_e64 v6, 0, 4, s0
	v_cmp_gt_u32_e64 s0, 30, v2
	ds_bpermute_b32 v9, v4, v8
	ds_bpermute_b32 v10, v4, v7
	v_add_lshl_u32 v6, v6, v2, 2
	s_waitcnt lgkmcnt(1)
	v_add_f32_e32 v8, v8, v9
	s_waitcnt lgkmcnt(0)
	v_add_f32_e32 v9, v7, v10
	v_cndmask_b32_e64 v7, 0, 2, s0
	v_cmp_ne_u32_e64 s0, 31, v2
	ds_bpermute_b32 v10, v6, v8
	ds_bpermute_b32 v11, v6, v9
	v_add_lshl_u32 v7, v7, v2, 2
	v_add_co_ci_u32_e64 v2, null, 0, v2, s0
	s_waitcnt lgkmcnt(1)
	v_add_f32_e32 v10, v8, v10
	s_waitcnt lgkmcnt(0)
	v_add_f32_e32 v9, v9, v11
	v_lshlrev_b32_e32 v8, 2, v2
	ds_bpermute_b32 v11, v7, v10
	ds_bpermute_b32 v12, v7, v9
	s_waitcnt lgkmcnt(1)
	v_add_f32_e32 v2, v10, v11
	s_waitcnt lgkmcnt(0)
	v_add_f32_e32 v10, v9, v12
	ds_bpermute_b32 v9, v8, v2
	ds_bpermute_b32 v11, v8, v10
	v_cmpx_eq_u32_e32 0, v1
	s_cbranch_execz .LBB332_24
; %bb.23:
	v_lshrrev_b32_e32 v1, 2, v0
	s_waitcnt lgkmcnt(0)
	v_add_f32_e32 v10, v10, v11
	v_add_f32_e32 v9, v2, v9
	v_and_b32_e32 v1, 0xf8, v1
	ds_write_b64 v1, v[9:10]
.LBB332_24:
	s_or_b32 exec_lo, exec_lo, s1
	v_mov_b32_e32 v2, 0
	v_mov_b32_e32 v1, 0
	s_waitcnt lgkmcnt(0)
	s_barrier
	buffer_gl0_inv
	s_and_saveexec_b32 s0, vcc_lo
; %bb.25:
	ds_read_b64 v[1:2], v5
; %bb.26:
	s_or_b32 exec_lo, exec_lo, s0
	s_and_saveexec_b32 s0, vcc_lo
	s_cbranch_execz .LBB332_28
; %bb.27:
	s_waitcnt lgkmcnt(0)
	ds_bpermute_b32 v5, v3, v1
	ds_bpermute_b32 v3, v3, v2
	s_waitcnt lgkmcnt(1)
	v_add_f32_e32 v1, v1, v5
	s_waitcnt lgkmcnt(0)
	v_add_f32_e32 v2, v2, v3
	ds_bpermute_b32 v3, v4, v1
	ds_bpermute_b32 v4, v4, v2
	s_waitcnt lgkmcnt(1)
	v_add_f32_e32 v1, v1, v3
	s_waitcnt lgkmcnt(0)
	v_add_f32_e32 v2, v2, v4
	;; [unrolled: 6-line block ×5, first 2 shown]
.LBB332_28:
	s_or_b32 exec_lo, exec_lo, s0
	s_mov_b32 s0, exec_lo
	v_cmpx_eq_u32_e32 0, v0
	s_cbranch_execz .LBB332_32
; %bb.29:
	s_waitcnt lgkmcnt(0)
	v_mul_f32_e32 v0, s17, v2
	v_mul_f32_e32 v3, s16, v2
	v_cmp_neq_f32_e64 s0, s2, 0
	v_cmp_neq_f32_e64 s1, s3, 0
	v_fma_f32 v2, v1, s16, -v0
	v_fmac_f32_e32 v3, s17, v1
	s_or_b32 s1, s0, s1
	s_mul_i32 s0, s13, s6
	s_andn2_b32 vcc_lo, exec_lo, s1
	s_ashr_i32 s1, s0, 31
	s_cbranch_vccnz .LBB332_31
; %bb.30:
	s_lshl_b64 s[4:5], s[0:1], 3
	s_add_u32 s4, s7, s4
	s_addc_u32 s5, s12, s5
	v_mov_b32_e32 v0, s4
	v_mov_b32_e32 v1, s5
	flat_load_dwordx2 v[0:1], v[0:1]
	s_waitcnt vmcnt(0) lgkmcnt(0)
	v_mul_f32_e32 v4, s3, v1
	v_mul_f32_e32 v1, s2, v1
	v_fma_f32 v4, s2, v0, -v4
	v_fmac_f32_e32 v1, s3, v0
	v_add_f32_e32 v2, v2, v4
	v_add_f32_e32 v3, v3, v1
.LBB332_31:
	s_lshl_b64 s[0:1], s[0:1], 3
	s_add_u32 s0, s7, s0
	s_addc_u32 s1, s12, s1
	v_mov_b32_e32 v0, s0
	v_mov_b32_e32 v1, s1
	flat_store_dwordx2 v[0:1], v[2:3]
.LBB332_32:
	s_endpgm
	.section	.rodata,"a",@progbits
	.p2align	6, 0x0
	.amdhsa_kernel _ZL32rocblas_gemvt_warp_reduce_kernelILb1ELi1024EiPK19rocblas_complex_numIfES3_KPS1_EviiT3_lPKT2_lT1_lS9_lSA_lS6_lPT4_lSA_li
		.amdhsa_group_segment_fixed_size 256
		.amdhsa_private_segment_fixed_size 0
		.amdhsa_kernarg_size 140
		.amdhsa_user_sgpr_count 6
		.amdhsa_user_sgpr_private_segment_buffer 1
		.amdhsa_user_sgpr_dispatch_ptr 0
		.amdhsa_user_sgpr_queue_ptr 0
		.amdhsa_user_sgpr_kernarg_segment_ptr 1
		.amdhsa_user_sgpr_dispatch_id 0
		.amdhsa_user_sgpr_flat_scratch_init 0
		.amdhsa_user_sgpr_private_segment_size 0
		.amdhsa_wavefront_size32 1
		.amdhsa_uses_dynamic_stack 0
		.amdhsa_system_sgpr_private_segment_wavefront_offset 0
		.amdhsa_system_sgpr_workgroup_id_x 1
		.amdhsa_system_sgpr_workgroup_id_y 0
		.amdhsa_system_sgpr_workgroup_id_z 1
		.amdhsa_system_sgpr_workgroup_info 0
		.amdhsa_system_vgpr_workitem_id 0
		.amdhsa_next_free_vgpr 14
		.amdhsa_next_free_sgpr 24
		.amdhsa_reserve_vcc 1
		.amdhsa_reserve_flat_scratch 0
		.amdhsa_float_round_mode_32 0
		.amdhsa_float_round_mode_16_64 0
		.amdhsa_float_denorm_mode_32 3
		.amdhsa_float_denorm_mode_16_64 3
		.amdhsa_dx10_clamp 1
		.amdhsa_ieee_mode 1
		.amdhsa_fp16_overflow 0
		.amdhsa_workgroup_processor_mode 1
		.amdhsa_memory_ordered 1
		.amdhsa_forward_progress 1
		.amdhsa_shared_vgpr_count 0
		.amdhsa_exception_fp_ieee_invalid_op 0
		.amdhsa_exception_fp_denorm_src 0
		.amdhsa_exception_fp_ieee_div_zero 0
		.amdhsa_exception_fp_ieee_overflow 0
		.amdhsa_exception_fp_ieee_underflow 0
		.amdhsa_exception_fp_ieee_inexact 0
		.amdhsa_exception_int_div_zero 0
	.end_amdhsa_kernel
	.section	.text._ZL32rocblas_gemvt_warp_reduce_kernelILb1ELi1024EiPK19rocblas_complex_numIfES3_KPS1_EviiT3_lPKT2_lT1_lS9_lSA_lS6_lPT4_lSA_li,"axG",@progbits,_ZL32rocblas_gemvt_warp_reduce_kernelILb1ELi1024EiPK19rocblas_complex_numIfES3_KPS1_EviiT3_lPKT2_lT1_lS9_lSA_lS6_lPT4_lSA_li,comdat
.Lfunc_end332:
	.size	_ZL32rocblas_gemvt_warp_reduce_kernelILb1ELi1024EiPK19rocblas_complex_numIfES3_KPS1_EviiT3_lPKT2_lT1_lS9_lSA_lS6_lPT4_lSA_li, .Lfunc_end332-_ZL32rocblas_gemvt_warp_reduce_kernelILb1ELi1024EiPK19rocblas_complex_numIfES3_KPS1_EviiT3_lPKT2_lT1_lS9_lSA_lS6_lPT4_lSA_li
                                        ; -- End function
	.set _ZL32rocblas_gemvt_warp_reduce_kernelILb1ELi1024EiPK19rocblas_complex_numIfES3_KPS1_EviiT3_lPKT2_lT1_lS9_lSA_lS6_lPT4_lSA_li.num_vgpr, 14
	.set _ZL32rocblas_gemvt_warp_reduce_kernelILb1ELi1024EiPK19rocblas_complex_numIfES3_KPS1_EviiT3_lPKT2_lT1_lS9_lSA_lS6_lPT4_lSA_li.num_agpr, 0
	.set _ZL32rocblas_gemvt_warp_reduce_kernelILb1ELi1024EiPK19rocblas_complex_numIfES3_KPS1_EviiT3_lPKT2_lT1_lS9_lSA_lS6_lPT4_lSA_li.numbered_sgpr, 24
	.set _ZL32rocblas_gemvt_warp_reduce_kernelILb1ELi1024EiPK19rocblas_complex_numIfES3_KPS1_EviiT3_lPKT2_lT1_lS9_lSA_lS6_lPT4_lSA_li.num_named_barrier, 0
	.set _ZL32rocblas_gemvt_warp_reduce_kernelILb1ELi1024EiPK19rocblas_complex_numIfES3_KPS1_EviiT3_lPKT2_lT1_lS9_lSA_lS6_lPT4_lSA_li.private_seg_size, 0
	.set _ZL32rocblas_gemvt_warp_reduce_kernelILb1ELi1024EiPK19rocblas_complex_numIfES3_KPS1_EviiT3_lPKT2_lT1_lS9_lSA_lS6_lPT4_lSA_li.uses_vcc, 1
	.set _ZL32rocblas_gemvt_warp_reduce_kernelILb1ELi1024EiPK19rocblas_complex_numIfES3_KPS1_EviiT3_lPKT2_lT1_lS9_lSA_lS6_lPT4_lSA_li.uses_flat_scratch, 0
	.set _ZL32rocblas_gemvt_warp_reduce_kernelILb1ELi1024EiPK19rocblas_complex_numIfES3_KPS1_EviiT3_lPKT2_lT1_lS9_lSA_lS6_lPT4_lSA_li.has_dyn_sized_stack, 0
	.set _ZL32rocblas_gemvt_warp_reduce_kernelILb1ELi1024EiPK19rocblas_complex_numIfES3_KPS1_EviiT3_lPKT2_lT1_lS9_lSA_lS6_lPT4_lSA_li.has_recursion, 0
	.set _ZL32rocblas_gemvt_warp_reduce_kernelILb1ELi1024EiPK19rocblas_complex_numIfES3_KPS1_EviiT3_lPKT2_lT1_lS9_lSA_lS6_lPT4_lSA_li.has_indirect_call, 0
	.section	.AMDGPU.csdata,"",@progbits
; Kernel info:
; codeLenInByte = 1704
; TotalNumSgprs: 26
; NumVgprs: 14
; ScratchSize: 0
; MemoryBound: 0
; FloatMode: 240
; IeeeMode: 1
; LDSByteSize: 256 bytes/workgroup (compile time only)
; SGPRBlocks: 0
; VGPRBlocks: 1
; NumSGPRsForWavesPerEU: 26
; NumVGPRsForWavesPerEU: 14
; Occupancy: 16
; WaveLimiterHint : 1
; COMPUTE_PGM_RSRC2:SCRATCH_EN: 0
; COMPUTE_PGM_RSRC2:USER_SGPR: 6
; COMPUTE_PGM_RSRC2:TRAP_HANDLER: 0
; COMPUTE_PGM_RSRC2:TGID_X_EN: 1
; COMPUTE_PGM_RSRC2:TGID_Y_EN: 0
; COMPUTE_PGM_RSRC2:TGID_Z_EN: 1
; COMPUTE_PGM_RSRC2:TIDIG_COMP_CNT: 0
	.section	.text._ZL32rocblas_gemvt_warp_reduce_kernelILb1ELi1024ElPK19rocblas_complex_numIfES3_KPS1_EviiT3_lPKT2_lT1_lS9_lSA_lS6_lPT4_lSA_li,"axG",@progbits,_ZL32rocblas_gemvt_warp_reduce_kernelILb1ELi1024ElPK19rocblas_complex_numIfES3_KPS1_EviiT3_lPKT2_lT1_lS9_lSA_lS6_lPT4_lSA_li,comdat
	.globl	_ZL32rocblas_gemvt_warp_reduce_kernelILb1ELi1024ElPK19rocblas_complex_numIfES3_KPS1_EviiT3_lPKT2_lT1_lS9_lSA_lS6_lPT4_lSA_li ; -- Begin function _ZL32rocblas_gemvt_warp_reduce_kernelILb1ELi1024ElPK19rocblas_complex_numIfES3_KPS1_EviiT3_lPKT2_lT1_lS9_lSA_lS6_lPT4_lSA_li
	.p2align	8
	.type	_ZL32rocblas_gemvt_warp_reduce_kernelILb1ELi1024ElPK19rocblas_complex_numIfES3_KPS1_EviiT3_lPKT2_lT1_lS9_lSA_lS6_lPT4_lSA_li,@function
_ZL32rocblas_gemvt_warp_reduce_kernelILb1ELi1024ElPK19rocblas_complex_numIfES3_KPS1_EviiT3_lPKT2_lT1_lS9_lSA_lS6_lPT4_lSA_li: ; @_ZL32rocblas_gemvt_warp_reduce_kernelILb1ELi1024ElPK19rocblas_complex_numIfES3_KPS1_EviiT3_lPKT2_lT1_lS9_lSA_lS6_lPT4_lSA_li
; %bb.0:
	s_clause 0x1
	s_load_dwordx8 s[16:23], s[4:5], 0x8
	s_load_dwordx8 s[8:15], s[4:5], 0x58
	s_mov_b32 s28, s7
	s_mov_b32 s29, 0
	s_waitcnt lgkmcnt(0)
	s_mul_i32 s1, s19, s7
	s_mul_hi_u32 s2, s18, s7
	s_mul_i32 s0, s18, s7
	s_add_i32 s1, s2, s1
	s_mul_hi_u32 s2, s10, s7
	s_lshl_b64 s[0:1], s[0:1], 3
	s_add_u32 s0, s16, s0
	s_addc_u32 s1, s17, s1
	s_load_dwordx2 s[16:17], s[0:1], 0x0
	s_mul_i32 s1, s11, s7
	s_mul_i32 s0, s10, s7
	s_add_i32 s1, s2, s1
	s_lshl_b64 s[0:1], s[0:1], 3
	s_add_u32 s0, s8, s0
	s_addc_u32 s1, s9, s1
	s_load_dwordx2 s[8:9], s[0:1], 0x0
	s_waitcnt lgkmcnt(0)
	v_cmp_neq_f32_e64 s0, s16, 0
	v_cmp_neq_f32_e64 s1, s17, 0
	s_or_b32 s0, s0, s1
	s_and_b32 vcc_lo, exec_lo, s0
	s_mov_b32 s0, -1
	s_cbranch_vccnz .LBB333_2
; %bb.1:
	v_cmp_neq_f32_e64 s0, s8, 1.0
	v_cmp_neq_f32_e64 s1, s9, 0
	s_or_b32 s0, s0, s1
.LBB333_2:
	s_andn2_b32 vcc_lo, exec_lo, s0
	s_cbranch_vccnz .LBB333_32
; %bb.3:
	s_clause 0x1
	s_load_dwordx2 s[24:25], s[4:5], 0x28
	s_load_dwordx2 s[10:11], s[4:5], 0x78
	s_or_b32 s0, s16, s17
	s_mov_b64 s[18:19], 0
	s_bitset0_b32 s0, 31
	s_mov_b64 s[26:27], 0
	s_cmp_lg_u32 s0, 0
	s_cselect_b32 s7, -1, 0
	s_cmp_eq_u32 s0, 0
	s_cselect_b32 s30, -1, 0
	s_and_b32 vcc_lo, exec_lo, s30
	s_cbranch_vccnz .LBB333_5
; %bb.4:
	s_lshl_b64 s[0:1], s[28:29], 3
	s_add_u32 s0, s20, s0
	s_addc_u32 s1, s21, s1
	s_lshl_b64 s[2:3], s[22:23], 3
	s_load_dwordx2 s[0:1], s[0:1], 0x0
	s_waitcnt lgkmcnt(0)
	s_add_u32 s26, s0, s2
	s_addc_u32 s27, s1, s3
.LBB333_5:
	s_clause 0x1
	s_load_dwordx4 s[0:3], s[4:5], 0x38
	s_load_dwordx2 s[20:21], s[4:5], 0x48
	s_andn2_b32 vcc_lo, exec_lo, s7
	s_cbranch_vccnz .LBB333_7
; %bb.6:
	s_lshl_b64 s[18:19], s[28:29], 3
	s_waitcnt lgkmcnt(0)
	s_add_u32 s0, s0, s18
	s_addc_u32 s1, s1, s19
	s_lshl_b64 s[2:3], s[2:3], 3
	s_load_dwordx2 s[0:1], s[0:1], 0x0
	s_waitcnt lgkmcnt(0)
	s_add_u32 s18, s0, s2
	s_addc_u32 s19, s1, s3
.LBB333_7:
	s_waitcnt lgkmcnt(0)
	s_lshl_b64 s[0:1], s[28:29], 3
	s_add_u32 s0, s12, s0
	s_addc_u32 s1, s13, s1
	s_lshl_b64 s[12:13], s[14:15], 3
	s_load_dwordx2 s[2:3], s[0:1], 0x0
	v_cmp_eq_u32_e64 s0, 0, v0
	s_waitcnt lgkmcnt(0)
	s_add_u32 s7, s2, s12
	s_addc_u32 s12, s3, s13
	s_andn2_b32 vcc_lo, exec_lo, s30
	s_mov_b32 s2, -1
	s_cbranch_vccnz .LBB333_13
; %bb.8:
	s_mov_b32 s2, 0
	s_and_saveexec_b32 s3, s0
	s_cbranch_execz .LBB333_12
; %bb.9:
	v_cmp_neq_f32_e64 s0, s8, 0
	v_cmp_neq_f32_e64 s1, s9, 0
	s_mul_hi_u32 s13, s10, s6
	v_mov_b32_e32 v1, 0
	v_mov_b32_e32 v2, 0
	s_or_b32 s0, s0, s1
	s_ashr_i32 s1, s6, 31
	s_andn2_b32 vcc_lo, exec_lo, s0
	s_mul_i32 s1, s10, s1
	s_mul_i32 s0, s10, s6
	s_add_i32 s1, s13, s1
	s_mul_i32 s13, s11, s6
	s_add_i32 s1, s1, s13
	s_cbranch_vccnz .LBB333_11
; %bb.10:
	s_lshl_b64 s[14:15], s[0:1], 3
	s_add_u32 s14, s7, s14
	s_addc_u32 s15, s12, s15
	v_mov_b32_e32 v1, s14
	v_mov_b32_e32 v2, s15
	flat_load_dwordx2 v[3:4], v[1:2]
	s_waitcnt vmcnt(0) lgkmcnt(0)
	v_mul_f32_e32 v1, s9, v4
	v_mul_f32_e32 v2, s8, v4
	v_fma_f32 v1, s8, v3, -v1
	v_fmac_f32_e32 v2, s9, v3
.LBB333_11:
	s_lshl_b64 s[0:1], s[0:1], 3
	s_add_u32 s0, s7, s0
	s_addc_u32 s1, s12, s1
	v_mov_b32_e32 v4, s1
	v_mov_b32_e32 v3, s0
	flat_store_dwordx2 v[3:4], v[1:2]
.LBB333_12:
	s_or_b32 exec_lo, exec_lo, s3
.LBB333_13:
	s_andn2_b32 vcc_lo, exec_lo, s2
	s_cbranch_vccnz .LBB333_32
; %bb.14:
	s_load_dword s3, s[4:5], 0x0
	s_ashr_i32 s1, s6, 31
	s_mul_hi_u32 s0, s24, s6
	s_mul_i32 s5, s24, s1
	s_mul_i32 s2, s25, s6
	s_add_i32 s0, s0, s5
	s_mul_i32 s4, s24, s6
	s_add_i32 s5, s0, s2
	v_mov_b32_e32 v7, 0
	s_lshl_b64 s[4:5], s[4:5], 3
	v_mov_b32_e32 v8, 0
	s_mov_b32 s14, 0
	s_waitcnt lgkmcnt(0)
	v_cmp_gt_i32_e32 vcc_lo, s3, v0
	s_ashr_i32 s13, s3, 31
	s_lshr_b32 s0, s13, 22
	s_mov_b32 s13, exec_lo
	v_cndmask_b32_e32 v1, 0, v0, vcc_lo
	s_add_i32 s0, s3, s0
	s_and_b32 s2, s0, 0xfffffc00
	v_lshlrev_b32_e32 v1, 3, v1
	v_add_co_u32 v1, s0, s26, v1
	v_add_co_ci_u32_e64 v2, null, s27, 0, s0
	v_add_co_u32 v1, s0, v1, s4
	v_add_co_ci_u32_e64 v2, null, s5, v2, s0
	v_cmpx_gt_i32_e64 s2, v0
	s_cbranch_execz .LBB333_18
; %bb.15:
	v_mad_u64_u32 v[3:4], null, s20, v0, 0
	v_mov_b32_e32 v7, 0
	v_mov_b32_e32 v9, v0
	;; [unrolled: 1-line block ×3, first 2 shown]
	s_lshl_b64 s[4:5], s[20:21], 13
	v_mad_u64_u32 v[4:5], null, s21, v0, v[4:5]
	v_lshlrev_b64 v[5:6], 3, v[3:4]
	v_mov_b32_e32 v4, v2
	v_mov_b32_e32 v3, v1
	v_add_co_u32 v5, vcc_lo, s18, v5
	v_add_co_ci_u32_e64 v6, null, s19, v6, vcc_lo
	.p2align	6
.LBB333_16:                             ; =>This Inner Loop Header: Depth=1
	flat_load_dwordx2 v[10:11], v[3:4]
	flat_load_dwordx2 v[12:13], v[5:6]
	v_add_nc_u32_e32 v9, 0x400, v9
	v_add_co_u32 v3, vcc_lo, 0x2000, v3
	v_add_co_ci_u32_e64 v4, null, 0, v4, vcc_lo
	v_add_co_u32 v5, vcc_lo, v5, s4
	v_cmp_le_i32_e64 s0, s2, v9
	v_add_co_ci_u32_e64 v6, null, s5, v6, vcc_lo
	s_or_b32 s14, s0, s14
	s_waitcnt vmcnt(0) lgkmcnt(0)
	v_mul_f32_e32 v14, v11, v13
	v_mul_f32_e32 v11, v11, v12
	v_fmac_f32_e32 v14, v10, v12
	v_fma_f32 v10, v10, v13, -v11
	v_add_f32_e32 v8, v8, v14
	v_add_f32_e32 v7, v7, v10
	s_andn2_b32 exec_lo, exec_lo, s14
	s_cbranch_execnz .LBB333_16
; %bb.17:
	s_or_b32 exec_lo, exec_lo, s14
.LBB333_18:
	s_or_b32 exec_lo, exec_lo, s13
	v_or_b32_e32 v3, s2, v0
	s_mov_b32 s0, exec_lo
	v_cmpx_gt_i32_e64 s3, v3
	s_cbranch_execz .LBB333_20
; %bb.19:
	v_ashrrev_i32_e32 v5, 31, v3
	v_mul_lo_u32 v6, s21, v3
	v_mad_u64_u32 v[3:4], null, s20, v3, 0
	s_ashr_i32 s3, s2, 31
	v_mul_lo_u32 v5, s20, v5
	s_lshl_b64 s[2:3], s[2:3], 3
	v_add_co_u32 v1, vcc_lo, v1, s2
	v_add_co_ci_u32_e64 v2, null, s3, v2, vcc_lo
	v_add3_u32 v4, v4, v5, v6
	v_lshlrev_b64 v[3:4], 3, v[3:4]
	v_add_co_u32 v3, vcc_lo, s18, v3
	v_add_co_ci_u32_e64 v4, null, s19, v4, vcc_lo
	flat_load_dwordx2 v[1:2], v[1:2]
	flat_load_dwordx2 v[3:4], v[3:4]
	s_waitcnt vmcnt(0) lgkmcnt(0)
	v_mul_f32_e32 v5, v2, v4
	v_mul_f32_e32 v2, v2, v3
	v_fmac_f32_e32 v5, v1, v3
	v_fma_f32 v1, v1, v4, -v2
	v_add_f32_e32 v8, v8, v5
	v_add_f32_e32 v7, v7, v1
.LBB333_20:
	s_or_b32 exec_lo, exec_lo, s0
	v_and_b32_e32 v1, 31, v0
	v_cmp_gt_u32_e32 vcc_lo, 32, v0
	v_lshlrev_b32_e32 v5, 3, v1
	s_and_saveexec_b32 s0, vcc_lo
; %bb.21:
	v_mov_b32_e32 v2, 0
	v_mov_b32_e32 v3, v2
	ds_write_b64 v5, v[2:3]
; %bb.22:
	s_or_b32 exec_lo, exec_lo, s0
	v_mbcnt_lo_u32_b32 v2, -1, 0
	s_mov_b32 s2, exec_lo
	s_waitcnt lgkmcnt(0)
	s_waitcnt_vscnt null, 0x0
	s_barrier
	buffer_gl0_inv
	v_lshl_or_b32 v3, v2, 2, 64
	v_cmp_gt_u32_e64 s0, 24, v2
	ds_bpermute_b32 v6, v3, v8
	ds_bpermute_b32 v9, v3, v7
	v_cndmask_b32_e64 v4, 0, 8, s0
	v_cmp_gt_u32_e64 s0, 28, v2
	v_add_lshl_u32 v4, v4, v2, 2
	s_waitcnt lgkmcnt(1)
	v_add_f32_e32 v8, v8, v6
	s_waitcnt lgkmcnt(0)
	v_add_f32_e32 v7, v7, v9
	v_cndmask_b32_e64 v6, 0, 4, s0
	v_cmp_gt_u32_e64 s0, 30, v2
	ds_bpermute_b32 v9, v4, v8
	ds_bpermute_b32 v10, v4, v7
	v_add_lshl_u32 v6, v6, v2, 2
	s_waitcnt lgkmcnt(1)
	v_add_f32_e32 v8, v8, v9
	s_waitcnt lgkmcnt(0)
	v_add_f32_e32 v9, v7, v10
	v_cndmask_b32_e64 v7, 0, 2, s0
	v_cmp_ne_u32_e64 s0, 31, v2
	ds_bpermute_b32 v10, v6, v8
	ds_bpermute_b32 v11, v6, v9
	v_add_lshl_u32 v7, v7, v2, 2
	v_add_co_ci_u32_e64 v2, null, 0, v2, s0
	s_waitcnt lgkmcnt(1)
	v_add_f32_e32 v10, v8, v10
	s_waitcnt lgkmcnt(0)
	v_add_f32_e32 v9, v9, v11
	v_lshlrev_b32_e32 v8, 2, v2
	ds_bpermute_b32 v11, v7, v10
	ds_bpermute_b32 v12, v7, v9
	s_waitcnt lgkmcnt(1)
	v_add_f32_e32 v2, v10, v11
	s_waitcnt lgkmcnt(0)
	v_add_f32_e32 v10, v9, v12
	ds_bpermute_b32 v9, v8, v2
	ds_bpermute_b32 v11, v8, v10
	v_cmpx_eq_u32_e32 0, v1
	s_cbranch_execz .LBB333_24
; %bb.23:
	v_lshrrev_b32_e32 v1, 2, v0
	s_waitcnt lgkmcnt(0)
	v_add_f32_e32 v10, v10, v11
	v_add_f32_e32 v9, v2, v9
	v_and_b32_e32 v1, 0xf8, v1
	ds_write_b64 v1, v[9:10]
.LBB333_24:
	s_or_b32 exec_lo, exec_lo, s2
	v_mov_b32_e32 v2, 0
	v_mov_b32_e32 v1, 0
	s_waitcnt lgkmcnt(0)
	s_barrier
	buffer_gl0_inv
	s_and_saveexec_b32 s0, vcc_lo
; %bb.25:
	ds_read_b64 v[1:2], v5
; %bb.26:
	s_or_b32 exec_lo, exec_lo, s0
	s_and_saveexec_b32 s0, vcc_lo
	s_cbranch_execz .LBB333_28
; %bb.27:
	s_waitcnt lgkmcnt(0)
	ds_bpermute_b32 v5, v3, v1
	ds_bpermute_b32 v3, v3, v2
	s_waitcnt lgkmcnt(1)
	v_add_f32_e32 v1, v1, v5
	s_waitcnt lgkmcnt(0)
	v_add_f32_e32 v2, v2, v3
	ds_bpermute_b32 v3, v4, v1
	ds_bpermute_b32 v4, v4, v2
	s_waitcnt lgkmcnt(1)
	v_add_f32_e32 v1, v1, v3
	s_waitcnt lgkmcnt(0)
	v_add_f32_e32 v2, v2, v4
	;; [unrolled: 6-line block ×5, first 2 shown]
.LBB333_28:
	s_or_b32 exec_lo, exec_lo, s0
	s_mov_b32 s0, exec_lo
	v_cmpx_eq_u32_e32 0, v0
	s_cbranch_execz .LBB333_32
; %bb.29:
	v_cmp_neq_f32_e64 s0, s8, 0
	v_cmp_neq_f32_e64 s2, s9, 0
	s_waitcnt lgkmcnt(0)
	v_mul_f32_e32 v0, s17, v2
	v_mul_f32_e32 v4, s16, v2
	s_mul_i32 s1, s10, s1
	s_or_b32 s0, s0, s2
	s_mul_hi_u32 s2, s10, s6
	v_fma_f32 v3, v1, s16, -v0
	v_fmac_f32_e32 v4, s17, v1
	s_add_i32 s1, s2, s1
	s_mul_i32 s2, s11, s6
	s_andn2_b32 vcc_lo, exec_lo, s0
	s_add_i32 s1, s1, s2
	s_mul_i32 s0, s10, s6
	s_cbranch_vccnz .LBB333_31
; %bb.30:
	s_lshl_b64 s[2:3], s[0:1], 3
	s_add_u32 s2, s7, s2
	s_addc_u32 s3, s12, s3
	v_mov_b32_e32 v0, s2
	v_mov_b32_e32 v1, s3
	flat_load_dwordx2 v[0:1], v[0:1]
	s_waitcnt vmcnt(0) lgkmcnt(0)
	v_mul_f32_e32 v2, s9, v1
	v_mul_f32_e32 v1, s8, v1
	v_fma_f32 v2, s8, v0, -v2
	v_fmac_f32_e32 v1, s9, v0
	v_add_f32_e32 v3, v3, v2
	v_add_f32_e32 v4, v4, v1
.LBB333_31:
	s_lshl_b64 s[0:1], s[0:1], 3
	s_add_u32 s0, s7, s0
	s_addc_u32 s1, s12, s1
	v_mov_b32_e32 v0, s0
	v_mov_b32_e32 v1, s1
	flat_store_dwordx2 v[0:1], v[3:4]
.LBB333_32:
	s_endpgm
	.section	.rodata,"a",@progbits
	.p2align	6, 0x0
	.amdhsa_kernel _ZL32rocblas_gemvt_warp_reduce_kernelILb1ELi1024ElPK19rocblas_complex_numIfES3_KPS1_EviiT3_lPKT2_lT1_lS9_lSA_lS6_lPT4_lSA_li
		.amdhsa_group_segment_fixed_size 256
		.amdhsa_private_segment_fixed_size 0
		.amdhsa_kernarg_size 140
		.amdhsa_user_sgpr_count 6
		.amdhsa_user_sgpr_private_segment_buffer 1
		.amdhsa_user_sgpr_dispatch_ptr 0
		.amdhsa_user_sgpr_queue_ptr 0
		.amdhsa_user_sgpr_kernarg_segment_ptr 1
		.amdhsa_user_sgpr_dispatch_id 0
		.amdhsa_user_sgpr_flat_scratch_init 0
		.amdhsa_user_sgpr_private_segment_size 0
		.amdhsa_wavefront_size32 1
		.amdhsa_uses_dynamic_stack 0
		.amdhsa_system_sgpr_private_segment_wavefront_offset 0
		.amdhsa_system_sgpr_workgroup_id_x 1
		.amdhsa_system_sgpr_workgroup_id_y 0
		.amdhsa_system_sgpr_workgroup_id_z 1
		.amdhsa_system_sgpr_workgroup_info 0
		.amdhsa_system_vgpr_workitem_id 0
		.amdhsa_next_free_vgpr 15
		.amdhsa_next_free_sgpr 31
		.amdhsa_reserve_vcc 1
		.amdhsa_reserve_flat_scratch 0
		.amdhsa_float_round_mode_32 0
		.amdhsa_float_round_mode_16_64 0
		.amdhsa_float_denorm_mode_32 3
		.amdhsa_float_denorm_mode_16_64 3
		.amdhsa_dx10_clamp 1
		.amdhsa_ieee_mode 1
		.amdhsa_fp16_overflow 0
		.amdhsa_workgroup_processor_mode 1
		.amdhsa_memory_ordered 1
		.amdhsa_forward_progress 1
		.amdhsa_shared_vgpr_count 0
		.amdhsa_exception_fp_ieee_invalid_op 0
		.amdhsa_exception_fp_denorm_src 0
		.amdhsa_exception_fp_ieee_div_zero 0
		.amdhsa_exception_fp_ieee_overflow 0
		.amdhsa_exception_fp_ieee_underflow 0
		.amdhsa_exception_fp_ieee_inexact 0
		.amdhsa_exception_int_div_zero 0
	.end_amdhsa_kernel
	.section	.text._ZL32rocblas_gemvt_warp_reduce_kernelILb1ELi1024ElPK19rocblas_complex_numIfES3_KPS1_EviiT3_lPKT2_lT1_lS9_lSA_lS6_lPT4_lSA_li,"axG",@progbits,_ZL32rocblas_gemvt_warp_reduce_kernelILb1ELi1024ElPK19rocblas_complex_numIfES3_KPS1_EviiT3_lPKT2_lT1_lS9_lSA_lS6_lPT4_lSA_li,comdat
.Lfunc_end333:
	.size	_ZL32rocblas_gemvt_warp_reduce_kernelILb1ELi1024ElPK19rocblas_complex_numIfES3_KPS1_EviiT3_lPKT2_lT1_lS9_lSA_lS6_lPT4_lSA_li, .Lfunc_end333-_ZL32rocblas_gemvt_warp_reduce_kernelILb1ELi1024ElPK19rocblas_complex_numIfES3_KPS1_EviiT3_lPKT2_lT1_lS9_lSA_lS6_lPT4_lSA_li
                                        ; -- End function
	.set _ZL32rocblas_gemvt_warp_reduce_kernelILb1ELi1024ElPK19rocblas_complex_numIfES3_KPS1_EviiT3_lPKT2_lT1_lS9_lSA_lS6_lPT4_lSA_li.num_vgpr, 15
	.set _ZL32rocblas_gemvt_warp_reduce_kernelILb1ELi1024ElPK19rocblas_complex_numIfES3_KPS1_EviiT3_lPKT2_lT1_lS9_lSA_lS6_lPT4_lSA_li.num_agpr, 0
	.set _ZL32rocblas_gemvt_warp_reduce_kernelILb1ELi1024ElPK19rocblas_complex_numIfES3_KPS1_EviiT3_lPKT2_lT1_lS9_lSA_lS6_lPT4_lSA_li.numbered_sgpr, 31
	.set _ZL32rocblas_gemvt_warp_reduce_kernelILb1ELi1024ElPK19rocblas_complex_numIfES3_KPS1_EviiT3_lPKT2_lT1_lS9_lSA_lS6_lPT4_lSA_li.num_named_barrier, 0
	.set _ZL32rocblas_gemvt_warp_reduce_kernelILb1ELi1024ElPK19rocblas_complex_numIfES3_KPS1_EviiT3_lPKT2_lT1_lS9_lSA_lS6_lPT4_lSA_li.private_seg_size, 0
	.set _ZL32rocblas_gemvt_warp_reduce_kernelILb1ELi1024ElPK19rocblas_complex_numIfES3_KPS1_EviiT3_lPKT2_lT1_lS9_lSA_lS6_lPT4_lSA_li.uses_vcc, 1
	.set _ZL32rocblas_gemvt_warp_reduce_kernelILb1ELi1024ElPK19rocblas_complex_numIfES3_KPS1_EviiT3_lPKT2_lT1_lS9_lSA_lS6_lPT4_lSA_li.uses_flat_scratch, 0
	.set _ZL32rocblas_gemvt_warp_reduce_kernelILb1ELi1024ElPK19rocblas_complex_numIfES3_KPS1_EviiT3_lPKT2_lT1_lS9_lSA_lS6_lPT4_lSA_li.has_dyn_sized_stack, 0
	.set _ZL32rocblas_gemvt_warp_reduce_kernelILb1ELi1024ElPK19rocblas_complex_numIfES3_KPS1_EviiT3_lPKT2_lT1_lS9_lSA_lS6_lPT4_lSA_li.has_recursion, 0
	.set _ZL32rocblas_gemvt_warp_reduce_kernelILb1ELi1024ElPK19rocblas_complex_numIfES3_KPS1_EviiT3_lPKT2_lT1_lS9_lSA_lS6_lPT4_lSA_li.has_indirect_call, 0
	.section	.AMDGPU.csdata,"",@progbits
; Kernel info:
; codeLenInByte = 1796
; TotalNumSgprs: 33
; NumVgprs: 15
; ScratchSize: 0
; MemoryBound: 0
; FloatMode: 240
; IeeeMode: 1
; LDSByteSize: 256 bytes/workgroup (compile time only)
; SGPRBlocks: 0
; VGPRBlocks: 1
; NumSGPRsForWavesPerEU: 33
; NumVGPRsForWavesPerEU: 15
; Occupancy: 16
; WaveLimiterHint : 1
; COMPUTE_PGM_RSRC2:SCRATCH_EN: 0
; COMPUTE_PGM_RSRC2:USER_SGPR: 6
; COMPUTE_PGM_RSRC2:TRAP_HANDLER: 0
; COMPUTE_PGM_RSRC2:TGID_X_EN: 1
; COMPUTE_PGM_RSRC2:TGID_Y_EN: 0
; COMPUTE_PGM_RSRC2:TGID_Z_EN: 1
; COMPUTE_PGM_RSRC2:TIDIG_COMP_CNT: 0
	.section	.text._ZL32rocblas_gemvt_warp_reduce_kernelILb1ELi1024EiPK19rocblas_complex_numIfES1_KPS1_EviiT3_lPKT2_lT1_lS9_lSA_lS6_lPT4_lSA_li,"axG",@progbits,_ZL32rocblas_gemvt_warp_reduce_kernelILb1ELi1024EiPK19rocblas_complex_numIfES1_KPS1_EviiT3_lPKT2_lT1_lS9_lSA_lS6_lPT4_lSA_li,comdat
	.globl	_ZL32rocblas_gemvt_warp_reduce_kernelILb1ELi1024EiPK19rocblas_complex_numIfES1_KPS1_EviiT3_lPKT2_lT1_lS9_lSA_lS6_lPT4_lSA_li ; -- Begin function _ZL32rocblas_gemvt_warp_reduce_kernelILb1ELi1024EiPK19rocblas_complex_numIfES1_KPS1_EviiT3_lPKT2_lT1_lS9_lSA_lS6_lPT4_lSA_li
	.p2align	8
	.type	_ZL32rocblas_gemvt_warp_reduce_kernelILb1ELi1024EiPK19rocblas_complex_numIfES1_KPS1_EviiT3_lPKT2_lT1_lS9_lSA_lS6_lPT4_lSA_li,@function
_ZL32rocblas_gemvt_warp_reduce_kernelILb1ELi1024EiPK19rocblas_complex_numIfES1_KPS1_EviiT3_lPKT2_lT1_lS9_lSA_lS6_lPT4_lSA_li: ; @_ZL32rocblas_gemvt_warp_reduce_kernelILb1ELi1024EiPK19rocblas_complex_numIfES1_KPS1_EviiT3_lPKT2_lT1_lS9_lSA_lS6_lPT4_lSA_li
; %bb.0:
	s_clause 0x1
	s_load_dwordx2 s[8:9], s[4:5], 0x8
	s_load_dwordx2 s[2:3], s[4:5], 0x58
	s_mov_b32 s0, s7
	s_waitcnt lgkmcnt(0)
	v_cmp_neq_f32_e64 s1, s8, 0
	v_cmp_neq_f32_e64 s7, s9, 0
	s_or_b32 s1, s1, s7
	s_and_b32 vcc_lo, exec_lo, s1
	s_mov_b32 s1, -1
	s_cbranch_vccnz .LBB334_2
; %bb.1:
	v_cmp_neq_f32_e64 s1, s2, 1.0
	v_cmp_neq_f32_e64 s7, s3, 0
	s_or_b32 s1, s1, s7
.LBB334_2:
	s_andn2_b32 vcc_lo, exec_lo, s1
	s_cbranch_vccnz .LBB334_34
; %bb.3:
	s_or_b32 s1, s8, s9
	s_bitset0_b32 s1, 31
	s_cmp_lg_u32 s1, 0
	s_cselect_b32 s7, -1, 0
	s_cmp_eq_u32 s1, 0
	s_mov_b32 s1, 0
	s_cselect_b32 s16, -1, 0
	s_and_b32 vcc_lo, exec_lo, s7
	s_cbranch_vccnz .LBB334_5
; %bb.4:
	s_mov_b32 s12, s1
	s_mov_b64 s[10:11], 0
	s_andn2_b32 vcc_lo, exec_lo, s12
	s_mov_b64 s[12:13], 0
	s_cbranch_vccz .LBB334_6
	s_branch .LBB334_7
.LBB334_5:
	s_mov_b64 s[10:11], 0
	s_mov_b64 s[12:13], 0
.LBB334_6:
	s_load_dwordx4 s[12:15], s[4:5], 0x18
	s_lshl_b64 s[18:19], s[0:1], 3
	s_waitcnt lgkmcnt(0)
	s_add_u32 s12, s12, s18
	s_addc_u32 s13, s13, s19
	s_lshl_b64 s[14:15], s[14:15], 3
	s_load_dwordx2 s[12:13], s[12:13], 0x0
	s_waitcnt lgkmcnt(0)
	s_add_u32 s12, s12, s14
	s_addc_u32 s13, s13, s15
.LBB334_7:
	s_andn2_b32 vcc_lo, exec_lo, s7
	s_cbranch_vccnz .LBB334_9
; %bb.8:
	s_load_dwordx4 s[20:23], s[4:5], 0x38
	s_lshl_b64 s[10:11], s[0:1], 3
	s_waitcnt lgkmcnt(0)
	s_add_u32 s10, s20, s10
	s_addc_u32 s11, s21, s11
	s_lshl_b64 s[14:15], s[22:23], 3
	s_load_dwordx2 s[10:11], s[10:11], 0x0
	s_waitcnt lgkmcnt(0)
	s_add_u32 s10, s10, s14
	s_addc_u32 s11, s11, s15
.LBB334_9:
	s_clause 0x1
	s_load_dwordx4 s[20:23], s[4:5], 0x68
	s_load_dword s15, s[4:5], 0x78
	s_lshl_b64 s[0:1], s[0:1], 3
	s_waitcnt lgkmcnt(0)
	s_add_u32 s0, s20, s0
	s_addc_u32 s1, s21, s1
	s_lshl_b64 s[20:21], s[22:23], 3
	s_load_dwordx2 s[18:19], s[0:1], 0x0
	v_cmp_eq_u32_e64 s0, 0, v0
	s_waitcnt lgkmcnt(0)
	s_add_u32 s7, s18, s20
	s_addc_u32 s14, s19, s21
	s_andn2_b32 vcc_lo, exec_lo, s16
	s_mov_b32 s16, -1
	s_cbranch_vccnz .LBB334_15
; %bb.10:
	s_mov_b32 s16, 0
	s_and_saveexec_b32 s17, s0
	s_cbranch_execz .LBB334_14
; %bb.11:
	v_cmp_neq_f32_e64 s0, s2, 0
	v_cmp_neq_f32_e64 s1, s3, 0
	v_mov_b32_e32 v1, 0
	v_mov_b32_e32 v2, 0
	s_or_b32 s1, s0, s1
	s_mul_i32 s0, s15, s6
	s_andn2_b32 vcc_lo, exec_lo, s1
	s_ashr_i32 s1, s0, 31
	s_cbranch_vccnz .LBB334_13
; %bb.12:
	s_lshl_b64 s[18:19], s[0:1], 3
	s_add_u32 s18, s7, s18
	s_addc_u32 s19, s14, s19
	v_mov_b32_e32 v1, s18
	v_mov_b32_e32 v2, s19
	flat_load_dwordx2 v[3:4], v[1:2]
	s_waitcnt vmcnt(0) lgkmcnt(0)
	v_mul_f32_e32 v1, s3, v4
	v_mul_f32_e32 v2, s2, v4
	v_fma_f32 v1, s2, v3, -v1
	v_fmac_f32_e32 v2, s3, v3
.LBB334_13:
	s_lshl_b64 s[0:1], s[0:1], 3
	s_add_u32 s0, s7, s0
	s_addc_u32 s1, s14, s1
	v_mov_b32_e32 v4, s1
	v_mov_b32_e32 v3, s0
	flat_store_dwordx2 v[3:4], v[1:2]
.LBB334_14:
	s_or_b32 exec_lo, exec_lo, s17
.LBB334_15:
	s_andn2_b32 vcc_lo, exec_lo, s16
	s_cbranch_vccnz .LBB334_34
; %bb.16:
	s_clause 0x2
	s_load_dword s16, s[4:5], 0x0
	s_load_dword s0, s[4:5], 0x28
	;; [unrolled: 1-line block ×3, first 2 shown]
	v_mov_b32_e32 v7, 0
	v_mov_b32_e32 v8, 0
	s_waitcnt lgkmcnt(0)
	v_cmp_gt_i32_e32 vcc_lo, s16, v0
	s_mul_i32 s4, s0, s6
	s_ashr_i32 s0, s16, 31
	s_ashr_i32 s5, s4, 31
	s_lshr_b32 s0, s0, 22
	v_cndmask_b32_e32 v1, 0, v0, vcc_lo
	s_add_i32 s0, s16, s0
	s_lshl_b64 s[18:19], s[4:5], 3
	s_and_b32 s4, s0, 0xfffffc00
	s_mov_b32 s5, 0
	v_lshlrev_b32_e32 v1, 3, v1
	v_add_co_u32 v1, s0, s12, v1
	v_add_co_ci_u32_e64 v2, null, s13, 0, s0
	v_add_co_u32 v1, s0, v1, s18
	v_add_co_ci_u32_e64 v2, null, s19, v2, s0
	s_mov_b32 s0, exec_lo
	v_cmpx_gt_i32_e64 s4, v0
	s_cbranch_execz .LBB334_20
; %bb.17:
	v_mul_lo_u32 v3, v0, s1
	v_mov_b32_e32 v6, v2
	v_mov_b32_e32 v7, 0
	;; [unrolled: 1-line block ×5, first 2 shown]
	s_lshl_b32 s12, s1, 10
	.p2align	6
.LBB334_18:                             ; =>This Inner Loop Header: Depth=1
	v_ashrrev_i32_e32 v4, 31, v3
	v_add_nc_u32_e32 v9, 0x400, v9
	v_lshlrev_b64 v[10:11], 3, v[3:4]
	v_add_nc_u32_e32 v3, s12, v3
	v_add_co_u32 v10, vcc_lo, s10, v10
	v_add_co_ci_u32_e64 v11, null, s11, v11, vcc_lo
	flat_load_dwordx2 v[12:13], v[5:6]
	flat_load_dwordx2 v[10:11], v[10:11]
	v_add_co_u32 v5, vcc_lo, 0x2000, v5
	v_add_co_ci_u32_e64 v6, null, 0, v6, vcc_lo
	v_cmp_le_i32_e32 vcc_lo, s4, v9
	s_or_b32 s5, vcc_lo, s5
	s_waitcnt vmcnt(0) lgkmcnt(0)
	v_mul_f32_e32 v4, v13, v11
	v_mul_f32_e32 v13, v13, v10
	v_fmac_f32_e32 v4, v12, v10
	v_fma_f32 v10, v12, v11, -v13
	v_add_f32_e32 v8, v8, v4
	v_add_f32_e32 v7, v7, v10
	s_andn2_b32 exec_lo, exec_lo, s5
	s_cbranch_execnz .LBB334_18
; %bb.19:
	s_or_b32 exec_lo, exec_lo, s5
.LBB334_20:
	s_or_b32 exec_lo, exec_lo, s0
	v_or_b32_e32 v3, s4, v0
	s_mov_b32 s0, exec_lo
	v_cmpx_gt_i32_e64 s16, v3
	s_cbranch_execz .LBB334_22
; %bb.21:
	v_mul_lo_u32 v3, s1, v3
	s_ashr_i32 s5, s4, 31
	s_lshl_b64 s[4:5], s[4:5], 3
	v_add_co_u32 v1, vcc_lo, v1, s4
	v_add_co_ci_u32_e64 v2, null, s5, v2, vcc_lo
	v_ashrrev_i32_e32 v4, 31, v3
	v_lshlrev_b64 v[3:4], 3, v[3:4]
	v_add_co_u32 v3, vcc_lo, s10, v3
	v_add_co_ci_u32_e64 v4, null, s11, v4, vcc_lo
	flat_load_dwordx2 v[1:2], v[1:2]
	flat_load_dwordx2 v[3:4], v[3:4]
	s_waitcnt vmcnt(0) lgkmcnt(0)
	v_mul_f32_e32 v5, v2, v4
	v_mul_f32_e32 v2, v2, v3
	v_fmac_f32_e32 v5, v1, v3
	v_fma_f32 v1, v1, v4, -v2
	v_add_f32_e32 v8, v8, v5
	v_add_f32_e32 v7, v7, v1
.LBB334_22:
	s_or_b32 exec_lo, exec_lo, s0
	v_and_b32_e32 v1, 31, v0
	v_cmp_gt_u32_e32 vcc_lo, 32, v0
	v_lshlrev_b32_e32 v5, 3, v1
	s_and_saveexec_b32 s0, vcc_lo
; %bb.23:
	v_mov_b32_e32 v2, 0
	v_mov_b32_e32 v3, v2
	ds_write_b64 v5, v[2:3]
; %bb.24:
	s_or_b32 exec_lo, exec_lo, s0
	v_mbcnt_lo_u32_b32 v2, -1, 0
	s_mov_b32 s1, exec_lo
	s_waitcnt lgkmcnt(0)
	s_waitcnt_vscnt null, 0x0
	s_barrier
	buffer_gl0_inv
	v_lshl_or_b32 v3, v2, 2, 64
	v_cmp_gt_u32_e64 s0, 24, v2
	ds_bpermute_b32 v6, v3, v8
	ds_bpermute_b32 v9, v3, v7
	v_cndmask_b32_e64 v4, 0, 8, s0
	v_cmp_gt_u32_e64 s0, 28, v2
	v_add_lshl_u32 v4, v4, v2, 2
	s_waitcnt lgkmcnt(1)
	v_add_f32_e32 v8, v8, v6
	s_waitcnt lgkmcnt(0)
	v_add_f32_e32 v7, v7, v9
	v_cndmask_b32_e64 v6, 0, 4, s0
	v_cmp_gt_u32_e64 s0, 30, v2
	ds_bpermute_b32 v9, v4, v8
	ds_bpermute_b32 v10, v4, v7
	v_add_lshl_u32 v6, v6, v2, 2
	s_waitcnt lgkmcnt(1)
	v_add_f32_e32 v8, v8, v9
	s_waitcnt lgkmcnt(0)
	v_add_f32_e32 v9, v7, v10
	v_cndmask_b32_e64 v7, 0, 2, s0
	v_cmp_ne_u32_e64 s0, 31, v2
	ds_bpermute_b32 v10, v6, v8
	ds_bpermute_b32 v11, v6, v9
	v_add_lshl_u32 v7, v7, v2, 2
	v_add_co_ci_u32_e64 v2, null, 0, v2, s0
	s_waitcnt lgkmcnt(1)
	v_add_f32_e32 v10, v8, v10
	s_waitcnt lgkmcnt(0)
	v_add_f32_e32 v9, v9, v11
	v_lshlrev_b32_e32 v8, 2, v2
	ds_bpermute_b32 v11, v7, v10
	ds_bpermute_b32 v12, v7, v9
	s_waitcnt lgkmcnt(1)
	v_add_f32_e32 v2, v10, v11
	s_waitcnt lgkmcnt(0)
	v_add_f32_e32 v10, v9, v12
	ds_bpermute_b32 v9, v8, v2
	ds_bpermute_b32 v11, v8, v10
	v_cmpx_eq_u32_e32 0, v1
	s_cbranch_execz .LBB334_26
; %bb.25:
	v_lshrrev_b32_e32 v1, 2, v0
	s_waitcnt lgkmcnt(0)
	v_add_f32_e32 v10, v10, v11
	v_add_f32_e32 v9, v2, v9
	v_and_b32_e32 v1, 0xf8, v1
	ds_write_b64 v1, v[9:10]
.LBB334_26:
	s_or_b32 exec_lo, exec_lo, s1
	v_mov_b32_e32 v2, 0
	v_mov_b32_e32 v1, 0
	s_waitcnt lgkmcnt(0)
	s_barrier
	buffer_gl0_inv
	s_and_saveexec_b32 s0, vcc_lo
; %bb.27:
	ds_read_b64 v[1:2], v5
; %bb.28:
	s_or_b32 exec_lo, exec_lo, s0
	s_and_saveexec_b32 s0, vcc_lo
	s_cbranch_execz .LBB334_30
; %bb.29:
	s_waitcnt lgkmcnt(0)
	ds_bpermute_b32 v5, v3, v1
	ds_bpermute_b32 v3, v3, v2
	s_waitcnt lgkmcnt(1)
	v_add_f32_e32 v1, v1, v5
	s_waitcnt lgkmcnt(0)
	v_add_f32_e32 v2, v2, v3
	ds_bpermute_b32 v3, v4, v1
	ds_bpermute_b32 v4, v4, v2
	s_waitcnt lgkmcnt(1)
	v_add_f32_e32 v1, v1, v3
	s_waitcnt lgkmcnt(0)
	v_add_f32_e32 v2, v2, v4
	ds_bpermute_b32 v3, v6, v1
	ds_bpermute_b32 v4, v6, v2
	s_waitcnt lgkmcnt(1)
	v_add_f32_e32 v1, v1, v3
	s_waitcnt lgkmcnt(0)
	v_add_f32_e32 v2, v2, v4
	ds_bpermute_b32 v3, v7, v1
	ds_bpermute_b32 v4, v7, v2
	s_waitcnt lgkmcnt(1)
	v_add_f32_e32 v1, v1, v3
	s_waitcnt lgkmcnt(0)
	v_add_f32_e32 v2, v2, v4
	ds_bpermute_b32 v3, v8, v1
	ds_bpermute_b32 v4, v8, v2
	s_waitcnt lgkmcnt(1)
	v_add_f32_e32 v1, v1, v3
	s_waitcnt lgkmcnt(0)
	v_add_f32_e32 v2, v2, v4
.LBB334_30:
	s_or_b32 exec_lo, exec_lo, s0
	s_mov_b32 s0, exec_lo
	v_cmpx_eq_u32_e32 0, v0
	s_cbranch_execz .LBB334_34
; %bb.31:
	s_waitcnt lgkmcnt(0)
	v_mul_f32_e32 v0, s9, v2
	v_mul_f32_e32 v3, s8, v2
	v_cmp_neq_f32_e64 s0, s2, 0
	v_cmp_neq_f32_e64 s1, s3, 0
	v_fma_f32 v2, v1, s8, -v0
	v_fmac_f32_e32 v3, s9, v1
	s_or_b32 s1, s0, s1
	s_mul_i32 s0, s15, s6
	s_andn2_b32 vcc_lo, exec_lo, s1
	s_ashr_i32 s1, s0, 31
	s_cbranch_vccnz .LBB334_33
; %bb.32:
	s_lshl_b64 s[4:5], s[0:1], 3
	s_add_u32 s4, s7, s4
	s_addc_u32 s5, s14, s5
	v_mov_b32_e32 v0, s4
	v_mov_b32_e32 v1, s5
	flat_load_dwordx2 v[0:1], v[0:1]
	s_waitcnt vmcnt(0) lgkmcnt(0)
	v_mul_f32_e32 v4, s3, v1
	v_mul_f32_e32 v1, s2, v1
	v_fma_f32 v4, s2, v0, -v4
	v_fmac_f32_e32 v1, s3, v0
	v_add_f32_e32 v2, v2, v4
	v_add_f32_e32 v3, v3, v1
.LBB334_33:
	s_lshl_b64 s[0:1], s[0:1], 3
	s_add_u32 s0, s7, s0
	s_addc_u32 s1, s14, s1
	v_mov_b32_e32 v0, s0
	v_mov_b32_e32 v1, s1
	flat_store_dwordx2 v[0:1], v[2:3]
.LBB334_34:
	s_endpgm
	.section	.rodata,"a",@progbits
	.p2align	6, 0x0
	.amdhsa_kernel _ZL32rocblas_gemvt_warp_reduce_kernelILb1ELi1024EiPK19rocblas_complex_numIfES1_KPS1_EviiT3_lPKT2_lT1_lS9_lSA_lS6_lPT4_lSA_li
		.amdhsa_group_segment_fixed_size 256
		.amdhsa_private_segment_fixed_size 0
		.amdhsa_kernarg_size 140
		.amdhsa_user_sgpr_count 6
		.amdhsa_user_sgpr_private_segment_buffer 1
		.amdhsa_user_sgpr_dispatch_ptr 0
		.amdhsa_user_sgpr_queue_ptr 0
		.amdhsa_user_sgpr_kernarg_segment_ptr 1
		.amdhsa_user_sgpr_dispatch_id 0
		.amdhsa_user_sgpr_flat_scratch_init 0
		.amdhsa_user_sgpr_private_segment_size 0
		.amdhsa_wavefront_size32 1
		.amdhsa_uses_dynamic_stack 0
		.amdhsa_system_sgpr_private_segment_wavefront_offset 0
		.amdhsa_system_sgpr_workgroup_id_x 1
		.amdhsa_system_sgpr_workgroup_id_y 0
		.amdhsa_system_sgpr_workgroup_id_z 1
		.amdhsa_system_sgpr_workgroup_info 0
		.amdhsa_system_vgpr_workitem_id 0
		.amdhsa_next_free_vgpr 14
		.amdhsa_next_free_sgpr 24
		.amdhsa_reserve_vcc 1
		.amdhsa_reserve_flat_scratch 0
		.amdhsa_float_round_mode_32 0
		.amdhsa_float_round_mode_16_64 0
		.amdhsa_float_denorm_mode_32 3
		.amdhsa_float_denorm_mode_16_64 3
		.amdhsa_dx10_clamp 1
		.amdhsa_ieee_mode 1
		.amdhsa_fp16_overflow 0
		.amdhsa_workgroup_processor_mode 1
		.amdhsa_memory_ordered 1
		.amdhsa_forward_progress 1
		.amdhsa_shared_vgpr_count 0
		.amdhsa_exception_fp_ieee_invalid_op 0
		.amdhsa_exception_fp_denorm_src 0
		.amdhsa_exception_fp_ieee_div_zero 0
		.amdhsa_exception_fp_ieee_overflow 0
		.amdhsa_exception_fp_ieee_underflow 0
		.amdhsa_exception_fp_ieee_inexact 0
		.amdhsa_exception_int_div_zero 0
	.end_amdhsa_kernel
	.section	.text._ZL32rocblas_gemvt_warp_reduce_kernelILb1ELi1024EiPK19rocblas_complex_numIfES1_KPS1_EviiT3_lPKT2_lT1_lS9_lSA_lS6_lPT4_lSA_li,"axG",@progbits,_ZL32rocblas_gemvt_warp_reduce_kernelILb1ELi1024EiPK19rocblas_complex_numIfES1_KPS1_EviiT3_lPKT2_lT1_lS9_lSA_lS6_lPT4_lSA_li,comdat
.Lfunc_end334:
	.size	_ZL32rocblas_gemvt_warp_reduce_kernelILb1ELi1024EiPK19rocblas_complex_numIfES1_KPS1_EviiT3_lPKT2_lT1_lS9_lSA_lS6_lPT4_lSA_li, .Lfunc_end334-_ZL32rocblas_gemvt_warp_reduce_kernelILb1ELi1024EiPK19rocblas_complex_numIfES1_KPS1_EviiT3_lPKT2_lT1_lS9_lSA_lS6_lPT4_lSA_li
                                        ; -- End function
	.set _ZL32rocblas_gemvt_warp_reduce_kernelILb1ELi1024EiPK19rocblas_complex_numIfES1_KPS1_EviiT3_lPKT2_lT1_lS9_lSA_lS6_lPT4_lSA_li.num_vgpr, 14
	.set _ZL32rocblas_gemvt_warp_reduce_kernelILb1ELi1024EiPK19rocblas_complex_numIfES1_KPS1_EviiT3_lPKT2_lT1_lS9_lSA_lS6_lPT4_lSA_li.num_agpr, 0
	.set _ZL32rocblas_gemvt_warp_reduce_kernelILb1ELi1024EiPK19rocblas_complex_numIfES1_KPS1_EviiT3_lPKT2_lT1_lS9_lSA_lS6_lPT4_lSA_li.numbered_sgpr, 24
	.set _ZL32rocblas_gemvt_warp_reduce_kernelILb1ELi1024EiPK19rocblas_complex_numIfES1_KPS1_EviiT3_lPKT2_lT1_lS9_lSA_lS6_lPT4_lSA_li.num_named_barrier, 0
	.set _ZL32rocblas_gemvt_warp_reduce_kernelILb1ELi1024EiPK19rocblas_complex_numIfES1_KPS1_EviiT3_lPKT2_lT1_lS9_lSA_lS6_lPT4_lSA_li.private_seg_size, 0
	.set _ZL32rocblas_gemvt_warp_reduce_kernelILb1ELi1024EiPK19rocblas_complex_numIfES1_KPS1_EviiT3_lPKT2_lT1_lS9_lSA_lS6_lPT4_lSA_li.uses_vcc, 1
	.set _ZL32rocblas_gemvt_warp_reduce_kernelILb1ELi1024EiPK19rocblas_complex_numIfES1_KPS1_EviiT3_lPKT2_lT1_lS9_lSA_lS6_lPT4_lSA_li.uses_flat_scratch, 0
	.set _ZL32rocblas_gemvt_warp_reduce_kernelILb1ELi1024EiPK19rocblas_complex_numIfES1_KPS1_EviiT3_lPKT2_lT1_lS9_lSA_lS6_lPT4_lSA_li.has_dyn_sized_stack, 0
	.set _ZL32rocblas_gemvt_warp_reduce_kernelILb1ELi1024EiPK19rocblas_complex_numIfES1_KPS1_EviiT3_lPKT2_lT1_lS9_lSA_lS6_lPT4_lSA_li.has_recursion, 0
	.set _ZL32rocblas_gemvt_warp_reduce_kernelILb1ELi1024EiPK19rocblas_complex_numIfES1_KPS1_EviiT3_lPKT2_lT1_lS9_lSA_lS6_lPT4_lSA_li.has_indirect_call, 0
	.section	.AMDGPU.csdata,"",@progbits
; Kernel info:
; codeLenInByte = 1704
; TotalNumSgprs: 26
; NumVgprs: 14
; ScratchSize: 0
; MemoryBound: 0
; FloatMode: 240
; IeeeMode: 1
; LDSByteSize: 256 bytes/workgroup (compile time only)
; SGPRBlocks: 0
; VGPRBlocks: 1
; NumSGPRsForWavesPerEU: 26
; NumVGPRsForWavesPerEU: 14
; Occupancy: 16
; WaveLimiterHint : 1
; COMPUTE_PGM_RSRC2:SCRATCH_EN: 0
; COMPUTE_PGM_RSRC2:USER_SGPR: 6
; COMPUTE_PGM_RSRC2:TRAP_HANDLER: 0
; COMPUTE_PGM_RSRC2:TGID_X_EN: 1
; COMPUTE_PGM_RSRC2:TGID_Y_EN: 0
; COMPUTE_PGM_RSRC2:TGID_Z_EN: 1
; COMPUTE_PGM_RSRC2:TIDIG_COMP_CNT: 0
	.section	.text._ZL32rocblas_gemvt_warp_reduce_kernelILb1ELi1024ElPK19rocblas_complex_numIfES1_KPS1_EviiT3_lPKT2_lT1_lS9_lSA_lS6_lPT4_lSA_li,"axG",@progbits,_ZL32rocblas_gemvt_warp_reduce_kernelILb1ELi1024ElPK19rocblas_complex_numIfES1_KPS1_EviiT3_lPKT2_lT1_lS9_lSA_lS6_lPT4_lSA_li,comdat
	.globl	_ZL32rocblas_gemvt_warp_reduce_kernelILb1ELi1024ElPK19rocblas_complex_numIfES1_KPS1_EviiT3_lPKT2_lT1_lS9_lSA_lS6_lPT4_lSA_li ; -- Begin function _ZL32rocblas_gemvt_warp_reduce_kernelILb1ELi1024ElPK19rocblas_complex_numIfES1_KPS1_EviiT3_lPKT2_lT1_lS9_lSA_lS6_lPT4_lSA_li
	.p2align	8
	.type	_ZL32rocblas_gemvt_warp_reduce_kernelILb1ELi1024ElPK19rocblas_complex_numIfES1_KPS1_EviiT3_lPKT2_lT1_lS9_lSA_lS6_lPT4_lSA_li,@function
_ZL32rocblas_gemvt_warp_reduce_kernelILb1ELi1024ElPK19rocblas_complex_numIfES1_KPS1_EviiT3_lPKT2_lT1_lS9_lSA_lS6_lPT4_lSA_li: ; @_ZL32rocblas_gemvt_warp_reduce_kernelILb1ELi1024ElPK19rocblas_complex_numIfES1_KPS1_EviiT3_lPKT2_lT1_lS9_lSA_lS6_lPT4_lSA_li
; %bb.0:
	s_clause 0x1
	s_load_dwordx2 s[10:11], s[4:5], 0x8
	s_load_dwordx2 s[8:9], s[4:5], 0x58
	s_mov_b32 s20, s7
	s_waitcnt lgkmcnt(0)
	v_cmp_neq_f32_e64 s0, s10, 0
	v_cmp_neq_f32_e64 s1, s11, 0
	s_or_b32 s0, s0, s1
	s_and_b32 vcc_lo, exec_lo, s0
	s_mov_b32 s0, -1
	s_cbranch_vccnz .LBB335_2
; %bb.1:
	v_cmp_neq_f32_e64 s0, s8, 1.0
	v_cmp_neq_f32_e64 s1, s9, 0
	s_or_b32 s0, s0, s1
.LBB335_2:
	s_andn2_b32 vcc_lo, exec_lo, s0
	s_cbranch_vccnz .LBB335_34
; %bb.3:
	s_clause 0x1
	s_load_dwordx4 s[0:3], s[4:5], 0x18
	s_load_dwordx2 s[16:17], s[4:5], 0x28
	s_or_b32 s7, s10, s11
	s_mov_b32 s21, 0
	s_and_b32 s12, s7, 0x7fffffff
	s_cmp_lg_u32 s12, 0
	s_cselect_b32 s7, -1, 0
	s_cmp_eq_u32 s12, 0
	s_cselect_b32 s22, -1, 0
	s_and_b32 vcc_lo, exec_lo, s7
	s_cbranch_vccnz .LBB335_5
; %bb.4:
	s_mov_b32 s14, s21
	s_mov_b64 s[12:13], 0
	s_andn2_b32 vcc_lo, exec_lo, s14
	s_mov_b64 s[18:19], 0
	s_cbranch_vccz .LBB335_6
	s_branch .LBB335_7
.LBB335_5:
	s_mov_b64 s[12:13], 0
	s_mov_b64 s[18:19], 0
.LBB335_6:
	s_lshl_b64 s[14:15], s[20:21], 3
	s_waitcnt lgkmcnt(0)
	s_add_u32 s0, s0, s14
	s_addc_u32 s1, s1, s15
	s_lshl_b64 s[2:3], s[2:3], 3
	s_load_dwordx2 s[0:1], s[0:1], 0x0
	s_waitcnt lgkmcnt(0)
	s_add_u32 s18, s0, s2
	s_addc_u32 s19, s1, s3
.LBB335_7:
	s_waitcnt lgkmcnt(0)
	s_clause 0x1
	s_load_dwordx4 s[0:3], s[4:5], 0x38
	s_load_dwordx2 s[14:15], s[4:5], 0x48
	s_andn2_b32 vcc_lo, exec_lo, s7
	s_cbranch_vccnz .LBB335_9
; %bb.8:
	s_lshl_b64 s[12:13], s[20:21], 3
	s_waitcnt lgkmcnt(0)
	s_add_u32 s0, s0, s12
	s_addc_u32 s1, s1, s13
	s_lshl_b64 s[2:3], s[2:3], 3
	s_load_dwordx2 s[0:1], s[0:1], 0x0
	s_waitcnt lgkmcnt(0)
	s_add_u32 s12, s0, s2
	s_addc_u32 s13, s1, s3
.LBB335_9:
	s_load_dwordx4 s[24:27], s[4:5], 0x68
	s_waitcnt lgkmcnt(0)
	s_load_dwordx2 s[2:3], s[4:5], 0x78
	s_lshl_b64 s[0:1], s[20:21], 3
	s_add_u32 s0, s24, s0
	s_addc_u32 s1, s25, s1
	s_lshl_b64 s[24:25], s[26:27], 3
	s_load_dwordx2 s[20:21], s[0:1], 0x0
	v_cmp_eq_u32_e64 s0, 0, v0
	s_waitcnt lgkmcnt(0)
	s_add_u32 s7, s20, s24
	s_addc_u32 s20, s21, s25
	s_andn2_b32 vcc_lo, exec_lo, s22
	s_mov_b32 s21, -1
	s_cbranch_vccnz .LBB335_15
; %bb.10:
	s_mov_b32 s21, 0
	s_and_saveexec_b32 s22, s0
	s_cbranch_execz .LBB335_14
; %bb.11:
	v_cmp_neq_f32_e64 s0, s8, 0
	v_cmp_neq_f32_e64 s1, s9, 0
	s_mul_hi_u32 s23, s2, s6
	v_mov_b32_e32 v1, 0
	v_mov_b32_e32 v2, 0
	s_or_b32 s0, s0, s1
	s_ashr_i32 s1, s6, 31
	s_andn2_b32 vcc_lo, exec_lo, s0
	s_mul_i32 s1, s2, s1
	s_mul_i32 s0, s2, s6
	s_add_i32 s1, s23, s1
	s_mul_i32 s23, s3, s6
	s_add_i32 s1, s1, s23
	s_cbranch_vccnz .LBB335_13
; %bb.12:
	s_lshl_b64 s[24:25], s[0:1], 3
	s_add_u32 s24, s7, s24
	s_addc_u32 s25, s20, s25
	v_mov_b32_e32 v1, s24
	v_mov_b32_e32 v2, s25
	flat_load_dwordx2 v[3:4], v[1:2]
	s_waitcnt vmcnt(0) lgkmcnt(0)
	v_mul_f32_e32 v1, s9, v4
	v_mul_f32_e32 v2, s8, v4
	v_fma_f32 v1, s8, v3, -v1
	v_fmac_f32_e32 v2, s9, v3
.LBB335_13:
	s_lshl_b64 s[0:1], s[0:1], 3
	s_add_u32 s0, s7, s0
	s_addc_u32 s1, s20, s1
	v_mov_b32_e32 v4, s1
	v_mov_b32_e32 v3, s0
	flat_store_dwordx2 v[3:4], v[1:2]
.LBB335_14:
	s_or_b32 exec_lo, exec_lo, s22
.LBB335_15:
	s_andn2_b32 vcc_lo, exec_lo, s21
	s_cbranch_vccnz .LBB335_34
; %bb.16:
	s_load_dword s5, s[4:5], 0x0
	s_ashr_i32 s1, s6, 31
	s_mul_hi_u32 s0, s16, s6
	s_mul_i32 s22, s16, s6
	s_mul_i32 s16, s16, s1
	;; [unrolled: 1-line block ×3, first 2 shown]
	s_add_i32 s0, s0, s16
	v_mov_b32_e32 v7, 0
	s_add_i32 s23, s0, s4
	v_mov_b32_e32 v8, 0
	s_waitcnt lgkmcnt(0)
	v_cmp_gt_i32_e32 vcc_lo, s5, v0
	s_ashr_i32 s16, s5, 31
	s_lshr_b32 s0, s16, 22
	s_lshl_b64 s[16:17], s[22:23], 3
	v_cndmask_b32_e32 v1, 0, v0, vcc_lo
	s_add_i32 s0, s5, s0
	s_and_b32 s4, s0, 0xfffffc00
	v_lshlrev_b32_e32 v1, 3, v1
	v_add_co_u32 v1, s0, s18, v1
	v_add_co_ci_u32_e64 v2, null, s19, 0, s0
	s_mov_b32 s19, 0
	v_add_co_u32 v1, s0, v1, s16
	v_add_co_ci_u32_e64 v2, null, s17, v2, s0
	s_mov_b32 s18, exec_lo
	v_cmpx_gt_i32_e64 s4, v0
	s_cbranch_execz .LBB335_20
; %bb.17:
	v_mad_u64_u32 v[3:4], null, s14, v0, 0
	v_mov_b32_e32 v7, 0
	v_mov_b32_e32 v9, v0
	;; [unrolled: 1-line block ×3, first 2 shown]
	s_lshl_b64 s[16:17], s[14:15], 13
	v_mad_u64_u32 v[4:5], null, s15, v0, v[4:5]
	v_lshlrev_b64 v[5:6], 3, v[3:4]
	v_mov_b32_e32 v4, v2
	v_mov_b32_e32 v3, v1
	v_add_co_u32 v5, vcc_lo, s12, v5
	v_add_co_ci_u32_e64 v6, null, s13, v6, vcc_lo
	.p2align	6
.LBB335_18:                             ; =>This Inner Loop Header: Depth=1
	flat_load_dwordx2 v[10:11], v[3:4]
	flat_load_dwordx2 v[12:13], v[5:6]
	v_add_nc_u32_e32 v9, 0x400, v9
	v_add_co_u32 v3, vcc_lo, 0x2000, v3
	v_add_co_ci_u32_e64 v4, null, 0, v4, vcc_lo
	v_add_co_u32 v5, vcc_lo, v5, s16
	v_cmp_le_i32_e64 s0, s4, v9
	v_add_co_ci_u32_e64 v6, null, s17, v6, vcc_lo
	s_or_b32 s19, s0, s19
	s_waitcnt vmcnt(0) lgkmcnt(0)
	v_mul_f32_e32 v14, v11, v13
	v_mul_f32_e32 v11, v11, v12
	v_fmac_f32_e32 v14, v10, v12
	v_fma_f32 v10, v10, v13, -v11
	v_add_f32_e32 v8, v8, v14
	v_add_f32_e32 v7, v7, v10
	s_andn2_b32 exec_lo, exec_lo, s19
	s_cbranch_execnz .LBB335_18
; %bb.19:
	s_or_b32 exec_lo, exec_lo, s19
.LBB335_20:
	s_or_b32 exec_lo, exec_lo, s18
	v_or_b32_e32 v3, s4, v0
	s_mov_b32 s0, exec_lo
	v_cmpx_gt_i32_e64 s5, v3
	s_cbranch_execz .LBB335_22
; %bb.21:
	v_ashrrev_i32_e32 v5, 31, v3
	v_mul_lo_u32 v6, s15, v3
	v_mad_u64_u32 v[3:4], null, s14, v3, 0
	s_ashr_i32 s5, s4, 31
	v_mul_lo_u32 v5, s14, v5
	s_lshl_b64 s[4:5], s[4:5], 3
	v_add_co_u32 v1, vcc_lo, v1, s4
	v_add_co_ci_u32_e64 v2, null, s5, v2, vcc_lo
	v_add3_u32 v4, v4, v5, v6
	v_lshlrev_b64 v[3:4], 3, v[3:4]
	v_add_co_u32 v3, vcc_lo, s12, v3
	v_add_co_ci_u32_e64 v4, null, s13, v4, vcc_lo
	flat_load_dwordx2 v[1:2], v[1:2]
	flat_load_dwordx2 v[3:4], v[3:4]
	s_waitcnt vmcnt(0) lgkmcnt(0)
	v_mul_f32_e32 v5, v2, v4
	v_mul_f32_e32 v2, v2, v3
	v_fmac_f32_e32 v5, v1, v3
	v_fma_f32 v1, v1, v4, -v2
	v_add_f32_e32 v8, v8, v5
	v_add_f32_e32 v7, v7, v1
.LBB335_22:
	s_or_b32 exec_lo, exec_lo, s0
	v_and_b32_e32 v1, 31, v0
	v_cmp_gt_u32_e32 vcc_lo, 32, v0
	v_lshlrev_b32_e32 v5, 3, v1
	s_and_saveexec_b32 s0, vcc_lo
; %bb.23:
	v_mov_b32_e32 v2, 0
	v_mov_b32_e32 v3, v2
	ds_write_b64 v5, v[2:3]
; %bb.24:
	s_or_b32 exec_lo, exec_lo, s0
	v_mbcnt_lo_u32_b32 v2, -1, 0
	s_mov_b32 s4, exec_lo
	s_waitcnt lgkmcnt(0)
	s_waitcnt_vscnt null, 0x0
	s_barrier
	buffer_gl0_inv
	v_lshl_or_b32 v3, v2, 2, 64
	v_cmp_gt_u32_e64 s0, 24, v2
	ds_bpermute_b32 v6, v3, v8
	ds_bpermute_b32 v9, v3, v7
	v_cndmask_b32_e64 v4, 0, 8, s0
	v_cmp_gt_u32_e64 s0, 28, v2
	v_add_lshl_u32 v4, v4, v2, 2
	s_waitcnt lgkmcnt(1)
	v_add_f32_e32 v8, v8, v6
	s_waitcnt lgkmcnt(0)
	v_add_f32_e32 v7, v7, v9
	v_cndmask_b32_e64 v6, 0, 4, s0
	v_cmp_gt_u32_e64 s0, 30, v2
	ds_bpermute_b32 v9, v4, v8
	ds_bpermute_b32 v10, v4, v7
	v_add_lshl_u32 v6, v6, v2, 2
	s_waitcnt lgkmcnt(1)
	v_add_f32_e32 v8, v8, v9
	s_waitcnt lgkmcnt(0)
	v_add_f32_e32 v9, v7, v10
	v_cndmask_b32_e64 v7, 0, 2, s0
	v_cmp_ne_u32_e64 s0, 31, v2
	ds_bpermute_b32 v10, v6, v8
	ds_bpermute_b32 v11, v6, v9
	v_add_lshl_u32 v7, v7, v2, 2
	v_add_co_ci_u32_e64 v2, null, 0, v2, s0
	s_waitcnt lgkmcnt(1)
	v_add_f32_e32 v10, v8, v10
	s_waitcnt lgkmcnt(0)
	v_add_f32_e32 v9, v9, v11
	v_lshlrev_b32_e32 v8, 2, v2
	ds_bpermute_b32 v11, v7, v10
	ds_bpermute_b32 v12, v7, v9
	s_waitcnt lgkmcnt(1)
	v_add_f32_e32 v2, v10, v11
	s_waitcnt lgkmcnt(0)
	v_add_f32_e32 v10, v9, v12
	ds_bpermute_b32 v9, v8, v2
	ds_bpermute_b32 v11, v8, v10
	v_cmpx_eq_u32_e32 0, v1
	s_cbranch_execz .LBB335_26
; %bb.25:
	v_lshrrev_b32_e32 v1, 2, v0
	s_waitcnt lgkmcnt(0)
	v_add_f32_e32 v10, v10, v11
	v_add_f32_e32 v9, v2, v9
	v_and_b32_e32 v1, 0xf8, v1
	ds_write_b64 v1, v[9:10]
.LBB335_26:
	s_or_b32 exec_lo, exec_lo, s4
	v_mov_b32_e32 v2, 0
	v_mov_b32_e32 v1, 0
	s_waitcnt lgkmcnt(0)
	s_barrier
	buffer_gl0_inv
	s_and_saveexec_b32 s0, vcc_lo
; %bb.27:
	ds_read_b64 v[1:2], v5
; %bb.28:
	s_or_b32 exec_lo, exec_lo, s0
	s_and_saveexec_b32 s0, vcc_lo
	s_cbranch_execz .LBB335_30
; %bb.29:
	s_waitcnt lgkmcnt(0)
	ds_bpermute_b32 v5, v3, v1
	ds_bpermute_b32 v3, v3, v2
	s_waitcnt lgkmcnt(1)
	v_add_f32_e32 v1, v1, v5
	s_waitcnt lgkmcnt(0)
	v_add_f32_e32 v2, v2, v3
	ds_bpermute_b32 v3, v4, v1
	ds_bpermute_b32 v4, v4, v2
	s_waitcnt lgkmcnt(1)
	v_add_f32_e32 v1, v1, v3
	s_waitcnt lgkmcnt(0)
	v_add_f32_e32 v2, v2, v4
	;; [unrolled: 6-line block ×5, first 2 shown]
.LBB335_30:
	s_or_b32 exec_lo, exec_lo, s0
	s_mov_b32 s0, exec_lo
	v_cmpx_eq_u32_e32 0, v0
	s_cbranch_execz .LBB335_34
; %bb.31:
	v_cmp_neq_f32_e64 s0, s8, 0
	v_cmp_neq_f32_e64 s4, s9, 0
	s_waitcnt lgkmcnt(0)
	v_mul_f32_e32 v0, s11, v2
	v_mul_f32_e32 v4, s10, v2
	s_mul_i32 s1, s2, s1
	s_mul_i32 s3, s3, s6
	s_or_b32 s0, s0, s4
	s_mul_hi_u32 s4, s2, s6
	v_fma_f32 v3, v1, s10, -v0
	v_fmac_f32_e32 v4, s11, v1
	s_add_i32 s1, s4, s1
	s_andn2_b32 vcc_lo, exec_lo, s0
	s_add_i32 s1, s1, s3
	s_mul_i32 s0, s2, s6
	s_cbranch_vccnz .LBB335_33
; %bb.32:
	s_lshl_b64 s[2:3], s[0:1], 3
	s_add_u32 s2, s7, s2
	s_addc_u32 s3, s20, s3
	v_mov_b32_e32 v0, s2
	v_mov_b32_e32 v1, s3
	flat_load_dwordx2 v[0:1], v[0:1]
	s_waitcnt vmcnt(0) lgkmcnt(0)
	v_mul_f32_e32 v2, s9, v1
	v_mul_f32_e32 v1, s8, v1
	v_fma_f32 v2, s8, v0, -v2
	v_fmac_f32_e32 v1, s9, v0
	v_add_f32_e32 v3, v3, v2
	v_add_f32_e32 v4, v4, v1
.LBB335_33:
	s_lshl_b64 s[0:1], s[0:1], 3
	s_add_u32 s0, s7, s0
	s_addc_u32 s1, s20, s1
	v_mov_b32_e32 v0, s0
	v_mov_b32_e32 v1, s1
	flat_store_dwordx2 v[0:1], v[3:4]
.LBB335_34:
	s_endpgm
	.section	.rodata,"a",@progbits
	.p2align	6, 0x0
	.amdhsa_kernel _ZL32rocblas_gemvt_warp_reduce_kernelILb1ELi1024ElPK19rocblas_complex_numIfES1_KPS1_EviiT3_lPKT2_lT1_lS9_lSA_lS6_lPT4_lSA_li
		.amdhsa_group_segment_fixed_size 256
		.amdhsa_private_segment_fixed_size 0
		.amdhsa_kernarg_size 140
		.amdhsa_user_sgpr_count 6
		.amdhsa_user_sgpr_private_segment_buffer 1
		.amdhsa_user_sgpr_dispatch_ptr 0
		.amdhsa_user_sgpr_queue_ptr 0
		.amdhsa_user_sgpr_kernarg_segment_ptr 1
		.amdhsa_user_sgpr_dispatch_id 0
		.amdhsa_user_sgpr_flat_scratch_init 0
		.amdhsa_user_sgpr_private_segment_size 0
		.amdhsa_wavefront_size32 1
		.amdhsa_uses_dynamic_stack 0
		.amdhsa_system_sgpr_private_segment_wavefront_offset 0
		.amdhsa_system_sgpr_workgroup_id_x 1
		.amdhsa_system_sgpr_workgroup_id_y 0
		.amdhsa_system_sgpr_workgroup_id_z 1
		.amdhsa_system_sgpr_workgroup_info 0
		.amdhsa_system_vgpr_workitem_id 0
		.amdhsa_next_free_vgpr 15
		.amdhsa_next_free_sgpr 28
		.amdhsa_reserve_vcc 1
		.amdhsa_reserve_flat_scratch 0
		.amdhsa_float_round_mode_32 0
		.amdhsa_float_round_mode_16_64 0
		.amdhsa_float_denorm_mode_32 3
		.amdhsa_float_denorm_mode_16_64 3
		.amdhsa_dx10_clamp 1
		.amdhsa_ieee_mode 1
		.amdhsa_fp16_overflow 0
		.amdhsa_workgroup_processor_mode 1
		.amdhsa_memory_ordered 1
		.amdhsa_forward_progress 1
		.amdhsa_shared_vgpr_count 0
		.amdhsa_exception_fp_ieee_invalid_op 0
		.amdhsa_exception_fp_denorm_src 0
		.amdhsa_exception_fp_ieee_div_zero 0
		.amdhsa_exception_fp_ieee_overflow 0
		.amdhsa_exception_fp_ieee_underflow 0
		.amdhsa_exception_fp_ieee_inexact 0
		.amdhsa_exception_int_div_zero 0
	.end_amdhsa_kernel
	.section	.text._ZL32rocblas_gemvt_warp_reduce_kernelILb1ELi1024ElPK19rocblas_complex_numIfES1_KPS1_EviiT3_lPKT2_lT1_lS9_lSA_lS6_lPT4_lSA_li,"axG",@progbits,_ZL32rocblas_gemvt_warp_reduce_kernelILb1ELi1024ElPK19rocblas_complex_numIfES1_KPS1_EviiT3_lPKT2_lT1_lS9_lSA_lS6_lPT4_lSA_li,comdat
.Lfunc_end335:
	.size	_ZL32rocblas_gemvt_warp_reduce_kernelILb1ELi1024ElPK19rocblas_complex_numIfES1_KPS1_EviiT3_lPKT2_lT1_lS9_lSA_lS6_lPT4_lSA_li, .Lfunc_end335-_ZL32rocblas_gemvt_warp_reduce_kernelILb1ELi1024ElPK19rocblas_complex_numIfES1_KPS1_EviiT3_lPKT2_lT1_lS9_lSA_lS6_lPT4_lSA_li
                                        ; -- End function
	.set _ZL32rocblas_gemvt_warp_reduce_kernelILb1ELi1024ElPK19rocblas_complex_numIfES1_KPS1_EviiT3_lPKT2_lT1_lS9_lSA_lS6_lPT4_lSA_li.num_vgpr, 15
	.set _ZL32rocblas_gemvt_warp_reduce_kernelILb1ELi1024ElPK19rocblas_complex_numIfES1_KPS1_EviiT3_lPKT2_lT1_lS9_lSA_lS6_lPT4_lSA_li.num_agpr, 0
	.set _ZL32rocblas_gemvt_warp_reduce_kernelILb1ELi1024ElPK19rocblas_complex_numIfES1_KPS1_EviiT3_lPKT2_lT1_lS9_lSA_lS6_lPT4_lSA_li.numbered_sgpr, 28
	.set _ZL32rocblas_gemvt_warp_reduce_kernelILb1ELi1024ElPK19rocblas_complex_numIfES1_KPS1_EviiT3_lPKT2_lT1_lS9_lSA_lS6_lPT4_lSA_li.num_named_barrier, 0
	.set _ZL32rocblas_gemvt_warp_reduce_kernelILb1ELi1024ElPK19rocblas_complex_numIfES1_KPS1_EviiT3_lPKT2_lT1_lS9_lSA_lS6_lPT4_lSA_li.private_seg_size, 0
	.set _ZL32rocblas_gemvt_warp_reduce_kernelILb1ELi1024ElPK19rocblas_complex_numIfES1_KPS1_EviiT3_lPKT2_lT1_lS9_lSA_lS6_lPT4_lSA_li.uses_vcc, 1
	.set _ZL32rocblas_gemvt_warp_reduce_kernelILb1ELi1024ElPK19rocblas_complex_numIfES1_KPS1_EviiT3_lPKT2_lT1_lS9_lSA_lS6_lPT4_lSA_li.uses_flat_scratch, 0
	.set _ZL32rocblas_gemvt_warp_reduce_kernelILb1ELi1024ElPK19rocblas_complex_numIfES1_KPS1_EviiT3_lPKT2_lT1_lS9_lSA_lS6_lPT4_lSA_li.has_dyn_sized_stack, 0
	.set _ZL32rocblas_gemvt_warp_reduce_kernelILb1ELi1024ElPK19rocblas_complex_numIfES1_KPS1_EviiT3_lPKT2_lT1_lS9_lSA_lS6_lPT4_lSA_li.has_recursion, 0
	.set _ZL32rocblas_gemvt_warp_reduce_kernelILb1ELi1024ElPK19rocblas_complex_numIfES1_KPS1_EviiT3_lPKT2_lT1_lS9_lSA_lS6_lPT4_lSA_li.has_indirect_call, 0
	.section	.AMDGPU.csdata,"",@progbits
; Kernel info:
; codeLenInByte = 1796
; TotalNumSgprs: 30
; NumVgprs: 15
; ScratchSize: 0
; MemoryBound: 0
; FloatMode: 240
; IeeeMode: 1
; LDSByteSize: 256 bytes/workgroup (compile time only)
; SGPRBlocks: 0
; VGPRBlocks: 1
; NumSGPRsForWavesPerEU: 30
; NumVGPRsForWavesPerEU: 15
; Occupancy: 16
; WaveLimiterHint : 1
; COMPUTE_PGM_RSRC2:SCRATCH_EN: 0
; COMPUTE_PGM_RSRC2:USER_SGPR: 6
; COMPUTE_PGM_RSRC2:TRAP_HANDLER: 0
; COMPUTE_PGM_RSRC2:TGID_X_EN: 1
; COMPUTE_PGM_RSRC2:TGID_Y_EN: 0
; COMPUTE_PGM_RSRC2:TGID_Z_EN: 1
; COMPUTE_PGM_RSRC2:TIDIG_COMP_CNT: 0
	.section	.text._ZL34rocblas_gemvn_sm_mn_batched_kernelILi32ELi24EPK19rocblas_complex_numIdES3_KPS1_EviiT2_lPKT1_lilS9_lilS6_lPT3_lili,"axG",@progbits,_ZL34rocblas_gemvn_sm_mn_batched_kernelILi32ELi24EPK19rocblas_complex_numIdES3_KPS1_EviiT2_lPKT1_lilS9_lilS6_lPT3_lili,comdat
	.globl	_ZL34rocblas_gemvn_sm_mn_batched_kernelILi32ELi24EPK19rocblas_complex_numIdES3_KPS1_EviiT2_lPKT1_lilS9_lilS6_lPT3_lili ; -- Begin function _ZL34rocblas_gemvn_sm_mn_batched_kernelILi32ELi24EPK19rocblas_complex_numIdES3_KPS1_EviiT2_lPKT1_lilS9_lilS6_lPT3_lili
	.p2align	8
	.type	_ZL34rocblas_gemvn_sm_mn_batched_kernelILi32ELi24EPK19rocblas_complex_numIdES3_KPS1_EviiT2_lPKT1_lilS9_lilS6_lPT3_lili,@function
_ZL34rocblas_gemvn_sm_mn_batched_kernelILi32ELi24EPK19rocblas_complex_numIdES3_KPS1_EviiT2_lPKT1_lilS9_lilS6_lPT3_lili: ; @_ZL34rocblas_gemvn_sm_mn_batched_kernelILi32ELi24EPK19rocblas_complex_numIdES3_KPS1_EviiT2_lPKT1_lilS9_lilS6_lPT3_lili
; %bb.0:
	s_endpgm
	.section	.rodata,"a",@progbits
	.p2align	6, 0x0
	.amdhsa_kernel _ZL34rocblas_gemvn_sm_mn_batched_kernelILi32ELi24EPK19rocblas_complex_numIdES3_KPS1_EviiT2_lPKT1_lilS9_lilS6_lPT3_lili
		.amdhsa_group_segment_fixed_size 0
		.amdhsa_private_segment_fixed_size 0
		.amdhsa_kernarg_size 140
		.amdhsa_user_sgpr_count 6
		.amdhsa_user_sgpr_private_segment_buffer 1
		.amdhsa_user_sgpr_dispatch_ptr 0
		.amdhsa_user_sgpr_queue_ptr 0
		.amdhsa_user_sgpr_kernarg_segment_ptr 1
		.amdhsa_user_sgpr_dispatch_id 0
		.amdhsa_user_sgpr_flat_scratch_init 0
		.amdhsa_user_sgpr_private_segment_size 0
		.amdhsa_wavefront_size32 1
		.amdhsa_uses_dynamic_stack 0
		.amdhsa_system_sgpr_private_segment_wavefront_offset 0
		.amdhsa_system_sgpr_workgroup_id_x 1
		.amdhsa_system_sgpr_workgroup_id_y 0
		.amdhsa_system_sgpr_workgroup_id_z 0
		.amdhsa_system_sgpr_workgroup_info 0
		.amdhsa_system_vgpr_workitem_id 0
		.amdhsa_next_free_vgpr 1
		.amdhsa_next_free_sgpr 1
		.amdhsa_reserve_vcc 0
		.amdhsa_reserve_flat_scratch 0
		.amdhsa_float_round_mode_32 0
		.amdhsa_float_round_mode_16_64 0
		.amdhsa_float_denorm_mode_32 3
		.amdhsa_float_denorm_mode_16_64 3
		.amdhsa_dx10_clamp 1
		.amdhsa_ieee_mode 1
		.amdhsa_fp16_overflow 0
		.amdhsa_workgroup_processor_mode 1
		.amdhsa_memory_ordered 1
		.amdhsa_forward_progress 1
		.amdhsa_shared_vgpr_count 0
		.amdhsa_exception_fp_ieee_invalid_op 0
		.amdhsa_exception_fp_denorm_src 0
		.amdhsa_exception_fp_ieee_div_zero 0
		.amdhsa_exception_fp_ieee_overflow 0
		.amdhsa_exception_fp_ieee_underflow 0
		.amdhsa_exception_fp_ieee_inexact 0
		.amdhsa_exception_int_div_zero 0
	.end_amdhsa_kernel
	.section	.text._ZL34rocblas_gemvn_sm_mn_batched_kernelILi32ELi24EPK19rocblas_complex_numIdES3_KPS1_EviiT2_lPKT1_lilS9_lilS6_lPT3_lili,"axG",@progbits,_ZL34rocblas_gemvn_sm_mn_batched_kernelILi32ELi24EPK19rocblas_complex_numIdES3_KPS1_EviiT2_lPKT1_lilS9_lilS6_lPT3_lili,comdat
.Lfunc_end336:
	.size	_ZL34rocblas_gemvn_sm_mn_batched_kernelILi32ELi24EPK19rocblas_complex_numIdES3_KPS1_EviiT2_lPKT1_lilS9_lilS6_lPT3_lili, .Lfunc_end336-_ZL34rocblas_gemvn_sm_mn_batched_kernelILi32ELi24EPK19rocblas_complex_numIdES3_KPS1_EviiT2_lPKT1_lilS9_lilS6_lPT3_lili
                                        ; -- End function
	.set _ZL34rocblas_gemvn_sm_mn_batched_kernelILi32ELi24EPK19rocblas_complex_numIdES3_KPS1_EviiT2_lPKT1_lilS9_lilS6_lPT3_lili.num_vgpr, 0
	.set _ZL34rocblas_gemvn_sm_mn_batched_kernelILi32ELi24EPK19rocblas_complex_numIdES3_KPS1_EviiT2_lPKT1_lilS9_lilS6_lPT3_lili.num_agpr, 0
	.set _ZL34rocblas_gemvn_sm_mn_batched_kernelILi32ELi24EPK19rocblas_complex_numIdES3_KPS1_EviiT2_lPKT1_lilS9_lilS6_lPT3_lili.numbered_sgpr, 0
	.set _ZL34rocblas_gemvn_sm_mn_batched_kernelILi32ELi24EPK19rocblas_complex_numIdES3_KPS1_EviiT2_lPKT1_lilS9_lilS6_lPT3_lili.num_named_barrier, 0
	.set _ZL34rocblas_gemvn_sm_mn_batched_kernelILi32ELi24EPK19rocblas_complex_numIdES3_KPS1_EviiT2_lPKT1_lilS9_lilS6_lPT3_lili.private_seg_size, 0
	.set _ZL34rocblas_gemvn_sm_mn_batched_kernelILi32ELi24EPK19rocblas_complex_numIdES3_KPS1_EviiT2_lPKT1_lilS9_lilS6_lPT3_lili.uses_vcc, 0
	.set _ZL34rocblas_gemvn_sm_mn_batched_kernelILi32ELi24EPK19rocblas_complex_numIdES3_KPS1_EviiT2_lPKT1_lilS9_lilS6_lPT3_lili.uses_flat_scratch, 0
	.set _ZL34rocblas_gemvn_sm_mn_batched_kernelILi32ELi24EPK19rocblas_complex_numIdES3_KPS1_EviiT2_lPKT1_lilS9_lilS6_lPT3_lili.has_dyn_sized_stack, 0
	.set _ZL34rocblas_gemvn_sm_mn_batched_kernelILi32ELi24EPK19rocblas_complex_numIdES3_KPS1_EviiT2_lPKT1_lilS9_lilS6_lPT3_lili.has_recursion, 0
	.set _ZL34rocblas_gemvn_sm_mn_batched_kernelILi32ELi24EPK19rocblas_complex_numIdES3_KPS1_EviiT2_lPKT1_lilS9_lilS6_lPT3_lili.has_indirect_call, 0
	.section	.AMDGPU.csdata,"",@progbits
; Kernel info:
; codeLenInByte = 4
; TotalNumSgprs: 0
; NumVgprs: 0
; ScratchSize: 0
; MemoryBound: 0
; FloatMode: 240
; IeeeMode: 1
; LDSByteSize: 0 bytes/workgroup (compile time only)
; SGPRBlocks: 0
; VGPRBlocks: 0
; NumSGPRsForWavesPerEU: 1
; NumVGPRsForWavesPerEU: 1
; Occupancy: 16
; WaveLimiterHint : 0
; COMPUTE_PGM_RSRC2:SCRATCH_EN: 0
; COMPUTE_PGM_RSRC2:USER_SGPR: 6
; COMPUTE_PGM_RSRC2:TRAP_HANDLER: 0
; COMPUTE_PGM_RSRC2:TGID_X_EN: 1
; COMPUTE_PGM_RSRC2:TGID_Y_EN: 0
; COMPUTE_PGM_RSRC2:TGID_Z_EN: 0
; COMPUTE_PGM_RSRC2:TIDIG_COMP_CNT: 0
	.section	.text._ZL34rocblas_gemvn_sm_mn_batched_kernelILi32ELi24EPK19rocblas_complex_numIdES1_KPS1_EviiT2_lPKT1_lilS9_lilS6_lPT3_lili,"axG",@progbits,_ZL34rocblas_gemvn_sm_mn_batched_kernelILi32ELi24EPK19rocblas_complex_numIdES1_KPS1_EviiT2_lPKT1_lilS9_lilS6_lPT3_lili,comdat
	.globl	_ZL34rocblas_gemvn_sm_mn_batched_kernelILi32ELi24EPK19rocblas_complex_numIdES1_KPS1_EviiT2_lPKT1_lilS9_lilS6_lPT3_lili ; -- Begin function _ZL34rocblas_gemvn_sm_mn_batched_kernelILi32ELi24EPK19rocblas_complex_numIdES1_KPS1_EviiT2_lPKT1_lilS9_lilS6_lPT3_lili
	.p2align	8
	.type	_ZL34rocblas_gemvn_sm_mn_batched_kernelILi32ELi24EPK19rocblas_complex_numIdES1_KPS1_EviiT2_lPKT1_lilS9_lilS6_lPT3_lili,@function
_ZL34rocblas_gemvn_sm_mn_batched_kernelILi32ELi24EPK19rocblas_complex_numIdES1_KPS1_EviiT2_lPKT1_lilS9_lilS6_lPT3_lili: ; @_ZL34rocblas_gemvn_sm_mn_batched_kernelILi32ELi24EPK19rocblas_complex_numIdES1_KPS1_EviiT2_lPKT1_lilS9_lilS6_lPT3_lili
; %bb.0:
	s_endpgm
	.section	.rodata,"a",@progbits
	.p2align	6, 0x0
	.amdhsa_kernel _ZL34rocblas_gemvn_sm_mn_batched_kernelILi32ELi24EPK19rocblas_complex_numIdES1_KPS1_EviiT2_lPKT1_lilS9_lilS6_lPT3_lili
		.amdhsa_group_segment_fixed_size 0
		.amdhsa_private_segment_fixed_size 0
		.amdhsa_kernarg_size 156
		.amdhsa_user_sgpr_count 6
		.amdhsa_user_sgpr_private_segment_buffer 1
		.amdhsa_user_sgpr_dispatch_ptr 0
		.amdhsa_user_sgpr_queue_ptr 0
		.amdhsa_user_sgpr_kernarg_segment_ptr 1
		.amdhsa_user_sgpr_dispatch_id 0
		.amdhsa_user_sgpr_flat_scratch_init 0
		.amdhsa_user_sgpr_private_segment_size 0
		.amdhsa_wavefront_size32 1
		.amdhsa_uses_dynamic_stack 0
		.amdhsa_system_sgpr_private_segment_wavefront_offset 0
		.amdhsa_system_sgpr_workgroup_id_x 1
		.amdhsa_system_sgpr_workgroup_id_y 0
		.amdhsa_system_sgpr_workgroup_id_z 0
		.amdhsa_system_sgpr_workgroup_info 0
		.amdhsa_system_vgpr_workitem_id 0
		.amdhsa_next_free_vgpr 1
		.amdhsa_next_free_sgpr 1
		.amdhsa_reserve_vcc 0
		.amdhsa_reserve_flat_scratch 0
		.amdhsa_float_round_mode_32 0
		.amdhsa_float_round_mode_16_64 0
		.amdhsa_float_denorm_mode_32 3
		.amdhsa_float_denorm_mode_16_64 3
		.amdhsa_dx10_clamp 1
		.amdhsa_ieee_mode 1
		.amdhsa_fp16_overflow 0
		.amdhsa_workgroup_processor_mode 1
		.amdhsa_memory_ordered 1
		.amdhsa_forward_progress 1
		.amdhsa_shared_vgpr_count 0
		.amdhsa_exception_fp_ieee_invalid_op 0
		.amdhsa_exception_fp_denorm_src 0
		.amdhsa_exception_fp_ieee_div_zero 0
		.amdhsa_exception_fp_ieee_overflow 0
		.amdhsa_exception_fp_ieee_underflow 0
		.amdhsa_exception_fp_ieee_inexact 0
		.amdhsa_exception_int_div_zero 0
	.end_amdhsa_kernel
	.section	.text._ZL34rocblas_gemvn_sm_mn_batched_kernelILi32ELi24EPK19rocblas_complex_numIdES1_KPS1_EviiT2_lPKT1_lilS9_lilS6_lPT3_lili,"axG",@progbits,_ZL34rocblas_gemvn_sm_mn_batched_kernelILi32ELi24EPK19rocblas_complex_numIdES1_KPS1_EviiT2_lPKT1_lilS9_lilS6_lPT3_lili,comdat
.Lfunc_end337:
	.size	_ZL34rocblas_gemvn_sm_mn_batched_kernelILi32ELi24EPK19rocblas_complex_numIdES1_KPS1_EviiT2_lPKT1_lilS9_lilS6_lPT3_lili, .Lfunc_end337-_ZL34rocblas_gemvn_sm_mn_batched_kernelILi32ELi24EPK19rocblas_complex_numIdES1_KPS1_EviiT2_lPKT1_lilS9_lilS6_lPT3_lili
                                        ; -- End function
	.set _ZL34rocblas_gemvn_sm_mn_batched_kernelILi32ELi24EPK19rocblas_complex_numIdES1_KPS1_EviiT2_lPKT1_lilS9_lilS6_lPT3_lili.num_vgpr, 0
	.set _ZL34rocblas_gemvn_sm_mn_batched_kernelILi32ELi24EPK19rocblas_complex_numIdES1_KPS1_EviiT2_lPKT1_lilS9_lilS6_lPT3_lili.num_agpr, 0
	.set _ZL34rocblas_gemvn_sm_mn_batched_kernelILi32ELi24EPK19rocblas_complex_numIdES1_KPS1_EviiT2_lPKT1_lilS9_lilS6_lPT3_lili.numbered_sgpr, 0
	.set _ZL34rocblas_gemvn_sm_mn_batched_kernelILi32ELi24EPK19rocblas_complex_numIdES1_KPS1_EviiT2_lPKT1_lilS9_lilS6_lPT3_lili.num_named_barrier, 0
	.set _ZL34rocblas_gemvn_sm_mn_batched_kernelILi32ELi24EPK19rocblas_complex_numIdES1_KPS1_EviiT2_lPKT1_lilS9_lilS6_lPT3_lili.private_seg_size, 0
	.set _ZL34rocblas_gemvn_sm_mn_batched_kernelILi32ELi24EPK19rocblas_complex_numIdES1_KPS1_EviiT2_lPKT1_lilS9_lilS6_lPT3_lili.uses_vcc, 0
	.set _ZL34rocblas_gemvn_sm_mn_batched_kernelILi32ELi24EPK19rocblas_complex_numIdES1_KPS1_EviiT2_lPKT1_lilS9_lilS6_lPT3_lili.uses_flat_scratch, 0
	.set _ZL34rocblas_gemvn_sm_mn_batched_kernelILi32ELi24EPK19rocblas_complex_numIdES1_KPS1_EviiT2_lPKT1_lilS9_lilS6_lPT3_lili.has_dyn_sized_stack, 0
	.set _ZL34rocblas_gemvn_sm_mn_batched_kernelILi32ELi24EPK19rocblas_complex_numIdES1_KPS1_EviiT2_lPKT1_lilS9_lilS6_lPT3_lili.has_recursion, 0
	.set _ZL34rocblas_gemvn_sm_mn_batched_kernelILi32ELi24EPK19rocblas_complex_numIdES1_KPS1_EviiT2_lPKT1_lilS9_lilS6_lPT3_lili.has_indirect_call, 0
	.section	.AMDGPU.csdata,"",@progbits
; Kernel info:
; codeLenInByte = 4
; TotalNumSgprs: 0
; NumVgprs: 0
; ScratchSize: 0
; MemoryBound: 0
; FloatMode: 240
; IeeeMode: 1
; LDSByteSize: 0 bytes/workgroup (compile time only)
; SGPRBlocks: 0
; VGPRBlocks: 0
; NumSGPRsForWavesPerEU: 1
; NumVGPRsForWavesPerEU: 1
; Occupancy: 16
; WaveLimiterHint : 0
; COMPUTE_PGM_RSRC2:SCRATCH_EN: 0
; COMPUTE_PGM_RSRC2:USER_SGPR: 6
; COMPUTE_PGM_RSRC2:TRAP_HANDLER: 0
; COMPUTE_PGM_RSRC2:TGID_X_EN: 1
; COMPUTE_PGM_RSRC2:TGID_Y_EN: 0
; COMPUTE_PGM_RSRC2:TGID_Z_EN: 0
; COMPUTE_PGM_RSRC2:TIDIG_COMP_CNT: 0
	.section	.text._ZL20rocblas_gemvn_kernelILi64ELi4EiPK19rocblas_complex_numIdES3_KPS1_EviiT3_lPKT2_lT1_lS9_lSA_lS6_lPT4_lSA_li,"axG",@progbits,_ZL20rocblas_gemvn_kernelILi64ELi4EiPK19rocblas_complex_numIdES3_KPS1_EviiT3_lPKT2_lT1_lS9_lSA_lS6_lPT4_lSA_li,comdat
	.globl	_ZL20rocblas_gemvn_kernelILi64ELi4EiPK19rocblas_complex_numIdES3_KPS1_EviiT3_lPKT2_lT1_lS9_lSA_lS6_lPT4_lSA_li ; -- Begin function _ZL20rocblas_gemvn_kernelILi64ELi4EiPK19rocblas_complex_numIdES3_KPS1_EviiT3_lPKT2_lT1_lS9_lSA_lS6_lPT4_lSA_li
	.p2align	8
	.type	_ZL20rocblas_gemvn_kernelILi64ELi4EiPK19rocblas_complex_numIdES3_KPS1_EviiT3_lPKT2_lT1_lS9_lSA_lS6_lPT4_lSA_li,@function
_ZL20rocblas_gemvn_kernelILi64ELi4EiPK19rocblas_complex_numIdES3_KPS1_EviiT3_lPKT2_lT1_lS9_lSA_lS6_lPT4_lSA_li: ; @_ZL20rocblas_gemvn_kernelILi64ELi4EiPK19rocblas_complex_numIdES3_KPS1_EviiT3_lPKT2_lT1_lS9_lSA_lS6_lPT4_lSA_li
; %bb.0:
	s_load_dwordx2 s[2:3], s[4:5], 0x9c
	s_mov_b32 s0, s7
	s_waitcnt lgkmcnt(0)
	s_lshr_b32 s1, s2, 16
	s_and_b32 s7, s2, 0xffff
	s_and_b32 s2, s3, 0xffff
	s_mul_i32 s1, s1, s7
	s_mul_i32 s1, s1, s2
	s_cmpk_lg_i32 s1, 0x100
	s_cbranch_scc1 .LBB338_4
; %bb.1:
	s_clause 0x1
	s_load_dwordx8 s[16:23], s[4:5], 0x8
	s_load_dwordx8 s[8:15], s[4:5], 0x58
	s_mov_b64 s[24:25], 0
	s_waitcnt lgkmcnt(0)
	s_mul_i32 s1, s19, s0
	s_mul_hi_u32 s3, s18, s0
	s_mul_i32 s2, s18, s0
	s_add_i32 s3, s3, s1
	s_mul_i32 s1, s11, s0
	s_lshl_b64 s[2:3], s[2:3], 4
	s_add_u32 s2, s16, s2
	s_addc_u32 s3, s17, s3
	s_load_dwordx4 s[16:19], s[2:3], 0x0
	s_mul_hi_u32 s2, s10, s0
	s_add_i32 s3, s2, s1
	s_mul_i32 s2, s10, s0
	s_mov_b32 s1, 0
	s_lshl_b64 s[2:3], s[2:3], 4
	s_add_u32 s2, s8, s2
	s_addc_u32 s3, s9, s3
	s_load_dwordx4 s[8:11], s[2:3], 0x0
	s_mov_b32 s3, s1
	s_waitcnt lgkmcnt(0)
	v_cmp_neq_f64_e64 s26, s[16:17], 0
	v_cmp_neq_f64_e64 s27, s[18:19], 0
	s_or_b32 s2, s26, s27
	s_mov_b32 s26, -1
	s_and_b32 vcc_lo, exec_lo, s2
	s_cbranch_vccz .LBB338_5
; %bb.2:
	s_andn2_b32 vcc_lo, exec_lo, s26
	s_cbranch_vccz .LBB338_6
.LBB338_3:
	s_andn2_b32 vcc_lo, exec_lo, s3
	s_cbranch_vccz .LBB338_7
.LBB338_4:
	s_endpgm
.LBB338_5:
	v_cmp_neq_f64_e64 s3, s[8:9], 1.0
	v_cmp_neq_f64_e64 s26, s[10:11], 0
	s_or_b32 s3, s3, s26
	s_cbranch_execnz .LBB338_3
.LBB338_6:
	s_lshl_b64 s[24:25], s[0:1], 3
	s_add_u32 s20, s20, s24
	s_addc_u32 s21, s21, s25
	s_lshl_b64 s[22:23], s[22:23], 4
	s_load_dwordx2 s[20:21], s[20:21], 0x0
	s_waitcnt lgkmcnt(0)
	s_add_u32 s24, s20, s22
	s_addc_u32 s25, s21, s23
.LBB338_7:
	v_cndmask_b32_e64 v2, 0, 1, s2
	s_xor_b32 s22, s2, -1
	s_mov_b64 s[20:21], 0
	v_cmp_ne_u32_e32 vcc_lo, 1, v2
	s_cbranch_vccnz .LBB338_9
; %bb.8:
	s_load_dwordx4 s[28:31], s[4:5], 0x38
	s_lshl_b64 s[2:3], s[0:1], 3
	s_waitcnt lgkmcnt(0)
	s_add_u32 s2, s28, s2
	s_addc_u32 s3, s29, s3
	s_lshl_b64 s[20:21], s[30:31], 4
	s_load_dwordx2 s[2:3], s[2:3], 0x0
	s_waitcnt lgkmcnt(0)
	s_add_u32 s20, s2, s20
	s_addc_u32 s21, s3, s21
.LBB338_9:
	s_lshl_b64 s[0:1], s[0:1], 3
	v_mad_u32_u24 v10, v1, s7, v0
	s_add_u32 s0, s12, s0
	s_addc_u32 s1, s13, s1
	s_lshl_b64 s[14:15], s[14:15], 4
	s_load_dwordx2 s[26:27], s[0:1], 0x0
	s_clause 0x1
	s_load_dwordx2 s[2:3], s[4:5], 0x0
	s_load_dword s12, s[4:5], 0x78
	v_cmp_gt_u32_e64 s0, 64, v10
	s_waitcnt lgkmcnt(0)
	s_add_u32 s1, s26, s14
	s_addc_u32 s7, s27, s15
	s_andn2_b32 vcc_lo, exec_lo, s22
	s_cbranch_vccnz .LBB338_16
; %bb.10:
	s_mov_b32 s14, 0
	s_mov_b32 s13, 0
                                        ; implicit-def: $vgpr2_vgpr3
                                        ; implicit-def: $vgpr8_vgpr9
	s_and_saveexec_b32 s15, s0
	s_cbranch_execz .LBB338_17
; %bb.11:
	v_lshl_or_b32 v0, s6, 6, v10
	v_mov_b32_e32 v1, 0
	s_ashr_i32 s23, s2, 31
	s_mov_b32 s22, s2
                                        ; implicit-def: $vgpr8_vgpr9
	v_cmp_gt_i64_e32 vcc_lo, s[22:23], v[0:1]
                                        ; implicit-def: $vgpr2_vgpr3
	s_and_saveexec_b32 s0, vcc_lo
	s_cbranch_execz .LBB338_15
; %bb.12:
	v_cmp_neq_f64_e64 s13, s[8:9], 0
	v_cmp_neq_f64_e64 s22, s[10:11], 0
	v_mad_u64_u32 v[8:9], null, v0, s12, 0
	s_ashr_i32 s23, s12, 31
	v_mov_b32_e32 v1, v9
	v_mad_u64_u32 v[4:5], null, v0, s23, v[1:2]
	v_mov_b32_e32 v2, 0
	v_mov_b32_e32 v0, 0
	;; [unrolled: 1-line block ×5, first 2 shown]
	s_or_b32 s13, s13, s22
	s_andn2_b32 vcc_lo, exec_lo, s13
	s_cbranch_vccnz .LBB338_14
; %bb.13:
	v_lshlrev_b64 v[0:1], 4, v[8:9]
	v_add_co_u32 v0, vcc_lo, s1, v0
	v_add_co_ci_u32_e64 v1, null, s7, v1, vcc_lo
	flat_load_dwordx4 v[2:5], v[0:1]
	s_waitcnt vmcnt(0) lgkmcnt(0)
	v_mul_f64 v[0:1], s[10:11], v[4:5]
	v_mul_f64 v[4:5], s[8:9], v[4:5]
	v_fma_f64 v[0:1], s[8:9], v[2:3], -v[0:1]
	v_fma_f64 v[2:3], s[10:11], v[2:3], v[4:5]
.LBB338_14:
	s_mov_b32 s13, exec_lo
.LBB338_15:
	s_or_b32 exec_lo, exec_lo, s0
	s_and_b32 s13, s13, exec_lo
	s_or_b32 exec_lo, exec_lo, s15
	s_and_b32 vcc_lo, exec_lo, s14
	s_cbranch_vccnz .LBB338_18
	s_branch .LBB338_37
.LBB338_16:
	s_mov_b32 s13, 0
                                        ; implicit-def: $vgpr2_vgpr3
                                        ; implicit-def: $vgpr8_vgpr9
	s_cbranch_execnz .LBB338_18
	s_branch .LBB338_37
.LBB338_17:
	s_or_b32 exec_lo, exec_lo, s15
	s_and_b32 vcc_lo, exec_lo, s14
	s_cbranch_vccz .LBB338_37
.LBB338_18:
	s_clause 0x1
	s_load_dword s14, s[4:5], 0x28
	s_load_dword s5, s[4:5], 0x48
	v_and_b32_e32 v5, 63, v10
	s_ashr_i32 s0, s3, 31
	s_lshl_b32 s4, s6, 6
	s_lshr_b32 s0, s0, 30
	v_mov_b32_e32 v2, 0
	v_mov_b32_e32 v0, 0
	v_lshrrev_b32_e32 v8, 6, v10
	v_or_b32_e32 v9, s4, v5
	v_mov_b32_e32 v3, 0
	v_mov_b32_e32 v1, 0
	s_add_i32 s0, s3, s0
	s_mov_b32 s15, exec_lo
	s_and_b32 s6, s0, -4
	v_cmpx_gt_i32_e64 s6, v8
	s_cbranch_execz .LBB338_24
; %bb.19:
	s_waitcnt lgkmcnt(0)
	v_mul_lo_u32 v0, s14, v8
	v_mov_b32_e32 v2, 0
	v_mov_b32_e32 v3, 0
	v_mul_lo_u32 v4, s5, v8
	s_lshl_b32 s22, s5, 2
	s_lshl_b32 s26, s14, 2
	s_mov_b32 s23, 0
	v_cmp_gt_i32_e32 vcc_lo, s2, v9
	v_add3_u32 v6, v0, s4, v5
	v_mov_b32_e32 v0, v2
	v_mov_b32_e32 v1, v3
	s_inst_prefetch 0x1
	s_branch .LBB338_21
	.p2align	6
.LBB338_20:                             ;   in Loop: Header=BB338_21 Depth=1
	s_or_b32 exec_lo, exec_lo, s27
	v_add_nc_u32_e32 v8, 4, v8
	v_add_nc_u32_e32 v4, s22, v4
	;; [unrolled: 1-line block ×3, first 2 shown]
	v_cmp_le_i32_e64 s0, s6, v8
	s_or_b32 s23, s0, s23
	s_andn2_b32 exec_lo, exec_lo, s23
	s_cbranch_execz .LBB338_23
.LBB338_21:                             ; =>This Inner Loop Header: Depth=1
	s_and_saveexec_b32 s27, vcc_lo
	s_cbranch_execz .LBB338_20
; %bb.22:                               ;   in Loop: Header=BB338_21 Depth=1
	v_ashrrev_i32_e32 v5, 31, v4
	v_ashrrev_i32_e32 v7, 31, v6
	v_lshlrev_b64 v[11:12], 4, v[4:5]
	v_lshlrev_b64 v[13:14], 4, v[6:7]
	v_add_co_u32 v11, s0, s20, v11
	v_add_co_ci_u32_e64 v12, null, s21, v12, s0
	v_add_co_u32 v15, s0, s24, v13
	v_add_co_ci_u32_e64 v16, null, s25, v14, s0
	flat_load_dwordx4 v[11:14], v[11:12]
	flat_load_dwordx4 v[15:18], v[15:16]
	s_waitcnt vmcnt(0) lgkmcnt(0)
	v_mul_f64 v[19:20], v[13:14], v[17:18]
	v_mul_f64 v[17:18], v[11:12], v[17:18]
	v_fma_f64 v[11:12], v[11:12], v[15:16], -v[19:20]
	v_fma_f64 v[13:14], v[13:14], v[15:16], v[17:18]
	v_add_f64 v[0:1], v[0:1], v[11:12]
	v_add_f64 v[2:3], v[2:3], v[13:14]
	s_branch .LBB338_20
.LBB338_23:
	s_inst_prefetch 0x2
	s_or_b32 exec_lo, exec_lo, s23
.LBB338_24:
	s_or_b32 exec_lo, exec_lo, s15
	s_sub_i32 s0, s3, s6
	s_cmp_lt_i32 s0, 1
	s_cbranch_scc1 .LBB338_30
; %bb.25:
	v_mov_b32_e32 v4, 0
	v_mov_b32_e32 v6, 0
	;; [unrolled: 1-line block ×4, first 2 shown]
	v_cmp_gt_i32_e32 vcc_lo, s3, v8
	s_and_saveexec_b32 s3, vcc_lo
	s_cbranch_execz .LBB338_27
; %bb.26:
	s_waitcnt lgkmcnt(0)
	v_mul_lo_u32 v4, v8, s5
	v_ashrrev_i32_e32 v5, 31, v4
	v_lshlrev_b64 v[4:5], 4, v[4:5]
	v_add_co_u32 v4, s0, s20, v4
	v_add_co_ci_u32_e64 v5, null, s21, v5, s0
	flat_load_dwordx4 v[4:7], v[4:5]
.LBB338_27:
	s_or_b32 exec_lo, exec_lo, s3
	s_mov_b32 s3, exec_lo
	v_cmpx_gt_i32_e64 s2, v9
	s_cbranch_execz .LBB338_29
; %bb.28:
	s_waitcnt lgkmcnt(0)
	v_mul_lo_u32 v8, v8, s14
	v_cndmask_b32_e32 v8, 0, v8, vcc_lo
	v_add_nc_u32_e32 v8, v8, v9
	v_ashrrev_i32_e32 v9, 31, v8
	v_lshlrev_b64 v[8:9], 4, v[8:9]
	v_add_co_u32 v8, vcc_lo, s24, v8
	v_add_co_ci_u32_e64 v9, null, s25, v9, vcc_lo
	flat_load_dwordx4 v[11:14], v[8:9]
	s_waitcnt vmcnt(0) lgkmcnt(0)
	v_mul_f64 v[8:9], v[6:7], v[13:14]
	v_mul_f64 v[13:14], v[4:5], v[13:14]
	v_fma_f64 v[4:5], v[4:5], v[11:12], -v[8:9]
	v_fma_f64 v[6:7], v[6:7], v[11:12], v[13:14]
	v_add_f64 v[0:1], v[0:1], v[4:5]
	v_add_f64 v[2:3], v[2:3], v[6:7]
.LBB338_29:
	s_or_b32 exec_lo, exec_lo, s3
.LBB338_30:
	v_lshlrev_b32_e32 v11, 4, v10
	s_mov_b32 s0, exec_lo
                                        ; implicit-def: $vgpr8_vgpr9
	ds_write_b128 v11, v[0:3]
	s_waitcnt vmcnt(0) lgkmcnt(0)
	s_barrier
	buffer_gl0_inv
                                        ; implicit-def: $vgpr2_vgpr3
	v_cmpx_gt_u32_e32 64, v10
	s_cbranch_execz .LBB338_36
; %bb.31:
	ds_read_b128 v[0:3], v11
	ds_read_b128 v[4:7], v11 offset:1024
	v_or_b32_e32 v10, s4, v10
	s_mov_b32 s3, s13
	v_cmp_gt_i32_e32 vcc_lo, s2, v10
	s_waitcnt lgkmcnt(0)
	v_add_f64 v[8:9], v[0:1], v[4:5]
	v_add_f64 v[12:13], v[2:3], v[6:7]
	ds_read_b128 v[0:3], v11 offset:2048
	ds_read_b128 v[4:7], v11 offset:3072
	s_waitcnt lgkmcnt(1)
	v_add_f64 v[0:1], v[8:9], v[0:1]
	v_add_f64 v[2:3], v[12:13], v[2:3]
                                        ; implicit-def: $vgpr8_vgpr9
	s_waitcnt lgkmcnt(0)
	v_add_f64 v[4:5], v[0:1], v[4:5]
	v_add_f64 v[6:7], v[2:3], v[6:7]
                                        ; implicit-def: $vgpr2_vgpr3
	ds_write_b128 v11, v[4:7]
	s_and_saveexec_b32 s2, vcc_lo
	s_cbranch_execz .LBB338_35
; %bb.32:
	v_mul_f64 v[0:1], s[18:19], v[6:7]
	v_mul_f64 v[2:3], s[16:17], v[6:7]
	v_cmp_neq_f64_e64 s3, s[8:9], 0
	v_cmp_neq_f64_e64 s4, s[10:11], 0
	v_mul_lo_u32 v8, v10, s12
	v_ashrrev_i32_e32 v9, 31, v8
	v_fma_f64 v[0:1], s[16:17], v[4:5], -v[0:1]
	v_fma_f64 v[2:3], s[18:19], v[4:5], v[2:3]
	s_or_b32 s3, s3, s4
	s_andn2_b32 vcc_lo, exec_lo, s3
	s_cbranch_vccnz .LBB338_34
; %bb.33:
	v_lshlrev_b64 v[4:5], 4, v[8:9]
	v_add_co_u32 v4, vcc_lo, s1, v4
	v_add_co_ci_u32_e64 v5, null, s7, v5, vcc_lo
	flat_load_dwordx4 v[4:7], v[4:5]
	s_waitcnt vmcnt(0) lgkmcnt(0)
	v_mul_f64 v[10:11], s[10:11], v[6:7]
	v_mul_f64 v[6:7], s[8:9], v[6:7]
	v_fma_f64 v[10:11], s[8:9], v[4:5], -v[10:11]
	v_fma_f64 v[4:5], s[10:11], v[4:5], v[6:7]
	v_add_f64 v[0:1], v[0:1], v[10:11]
	v_add_f64 v[2:3], v[2:3], v[4:5]
.LBB338_34:
	s_or_b32 s3, s13, exec_lo
.LBB338_35:
	s_or_b32 exec_lo, exec_lo, s2
	s_andn2_b32 s2, s13, exec_lo
	s_and_b32 s3, s3, exec_lo
	s_or_b32 s13, s2, s3
.LBB338_36:
	s_or_b32 exec_lo, exec_lo, s0
.LBB338_37:
	s_and_saveexec_b32 s0, s13
	s_cbranch_execz .LBB338_4
; %bb.38:
	v_lshlrev_b64 v[4:5], 4, v[8:9]
	v_add_co_u32 v4, vcc_lo, s1, v4
	v_add_co_ci_u32_e64 v5, null, s7, v5, vcc_lo
	flat_store_dwordx4 v[4:5], v[0:3]
	s_endpgm
	.section	.rodata,"a",@progbits
	.p2align	6, 0x0
	.amdhsa_kernel _ZL20rocblas_gemvn_kernelILi64ELi4EiPK19rocblas_complex_numIdES3_KPS1_EviiT3_lPKT2_lT1_lS9_lSA_lS6_lPT4_lSA_li
		.amdhsa_group_segment_fixed_size 4096
		.amdhsa_private_segment_fixed_size 0
		.amdhsa_kernarg_size 400
		.amdhsa_user_sgpr_count 6
		.amdhsa_user_sgpr_private_segment_buffer 1
		.amdhsa_user_sgpr_dispatch_ptr 0
		.amdhsa_user_sgpr_queue_ptr 0
		.amdhsa_user_sgpr_kernarg_segment_ptr 1
		.amdhsa_user_sgpr_dispatch_id 0
		.amdhsa_user_sgpr_flat_scratch_init 0
		.amdhsa_user_sgpr_private_segment_size 0
		.amdhsa_wavefront_size32 1
		.amdhsa_uses_dynamic_stack 0
		.amdhsa_system_sgpr_private_segment_wavefront_offset 0
		.amdhsa_system_sgpr_workgroup_id_x 1
		.amdhsa_system_sgpr_workgroup_id_y 0
		.amdhsa_system_sgpr_workgroup_id_z 1
		.amdhsa_system_sgpr_workgroup_info 0
		.amdhsa_system_vgpr_workitem_id 1
		.amdhsa_next_free_vgpr 21
		.amdhsa_next_free_sgpr 32
		.amdhsa_reserve_vcc 1
		.amdhsa_reserve_flat_scratch 0
		.amdhsa_float_round_mode_32 0
		.amdhsa_float_round_mode_16_64 0
		.amdhsa_float_denorm_mode_32 3
		.amdhsa_float_denorm_mode_16_64 3
		.amdhsa_dx10_clamp 1
		.amdhsa_ieee_mode 1
		.amdhsa_fp16_overflow 0
		.amdhsa_workgroup_processor_mode 1
		.amdhsa_memory_ordered 1
		.amdhsa_forward_progress 1
		.amdhsa_shared_vgpr_count 0
		.amdhsa_exception_fp_ieee_invalid_op 0
		.amdhsa_exception_fp_denorm_src 0
		.amdhsa_exception_fp_ieee_div_zero 0
		.amdhsa_exception_fp_ieee_overflow 0
		.amdhsa_exception_fp_ieee_underflow 0
		.amdhsa_exception_fp_ieee_inexact 0
		.amdhsa_exception_int_div_zero 0
	.end_amdhsa_kernel
	.section	.text._ZL20rocblas_gemvn_kernelILi64ELi4EiPK19rocblas_complex_numIdES3_KPS1_EviiT3_lPKT2_lT1_lS9_lSA_lS6_lPT4_lSA_li,"axG",@progbits,_ZL20rocblas_gemvn_kernelILi64ELi4EiPK19rocblas_complex_numIdES3_KPS1_EviiT3_lPKT2_lT1_lS9_lSA_lS6_lPT4_lSA_li,comdat
.Lfunc_end338:
	.size	_ZL20rocblas_gemvn_kernelILi64ELi4EiPK19rocblas_complex_numIdES3_KPS1_EviiT3_lPKT2_lT1_lS9_lSA_lS6_lPT4_lSA_li, .Lfunc_end338-_ZL20rocblas_gemvn_kernelILi64ELi4EiPK19rocblas_complex_numIdES3_KPS1_EviiT3_lPKT2_lT1_lS9_lSA_lS6_lPT4_lSA_li
                                        ; -- End function
	.set _ZL20rocblas_gemvn_kernelILi64ELi4EiPK19rocblas_complex_numIdES3_KPS1_EviiT3_lPKT2_lT1_lS9_lSA_lS6_lPT4_lSA_li.num_vgpr, 21
	.set _ZL20rocblas_gemvn_kernelILi64ELi4EiPK19rocblas_complex_numIdES3_KPS1_EviiT3_lPKT2_lT1_lS9_lSA_lS6_lPT4_lSA_li.num_agpr, 0
	.set _ZL20rocblas_gemvn_kernelILi64ELi4EiPK19rocblas_complex_numIdES3_KPS1_EviiT3_lPKT2_lT1_lS9_lSA_lS6_lPT4_lSA_li.numbered_sgpr, 32
	.set _ZL20rocblas_gemvn_kernelILi64ELi4EiPK19rocblas_complex_numIdES3_KPS1_EviiT3_lPKT2_lT1_lS9_lSA_lS6_lPT4_lSA_li.num_named_barrier, 0
	.set _ZL20rocblas_gemvn_kernelILi64ELi4EiPK19rocblas_complex_numIdES3_KPS1_EviiT3_lPKT2_lT1_lS9_lSA_lS6_lPT4_lSA_li.private_seg_size, 0
	.set _ZL20rocblas_gemvn_kernelILi64ELi4EiPK19rocblas_complex_numIdES3_KPS1_EviiT3_lPKT2_lT1_lS9_lSA_lS6_lPT4_lSA_li.uses_vcc, 1
	.set _ZL20rocblas_gemvn_kernelILi64ELi4EiPK19rocblas_complex_numIdES3_KPS1_EviiT3_lPKT2_lT1_lS9_lSA_lS6_lPT4_lSA_li.uses_flat_scratch, 0
	.set _ZL20rocblas_gemvn_kernelILi64ELi4EiPK19rocblas_complex_numIdES3_KPS1_EviiT3_lPKT2_lT1_lS9_lSA_lS6_lPT4_lSA_li.has_dyn_sized_stack, 0
	.set _ZL20rocblas_gemvn_kernelILi64ELi4EiPK19rocblas_complex_numIdES3_KPS1_EviiT3_lPKT2_lT1_lS9_lSA_lS6_lPT4_lSA_li.has_recursion, 0
	.set _ZL20rocblas_gemvn_kernelILi64ELi4EiPK19rocblas_complex_numIdES3_KPS1_EviiT3_lPKT2_lT1_lS9_lSA_lS6_lPT4_lSA_li.has_indirect_call, 0
	.section	.AMDGPU.csdata,"",@progbits
; Kernel info:
; codeLenInByte = 1620
; TotalNumSgprs: 34
; NumVgprs: 21
; ScratchSize: 0
; MemoryBound: 1
; FloatMode: 240
; IeeeMode: 1
; LDSByteSize: 4096 bytes/workgroup (compile time only)
; SGPRBlocks: 0
; VGPRBlocks: 2
; NumSGPRsForWavesPerEU: 34
; NumVGPRsForWavesPerEU: 21
; Occupancy: 16
; WaveLimiterHint : 1
; COMPUTE_PGM_RSRC2:SCRATCH_EN: 0
; COMPUTE_PGM_RSRC2:USER_SGPR: 6
; COMPUTE_PGM_RSRC2:TRAP_HANDLER: 0
; COMPUTE_PGM_RSRC2:TGID_X_EN: 1
; COMPUTE_PGM_RSRC2:TGID_Y_EN: 0
; COMPUTE_PGM_RSRC2:TGID_Z_EN: 1
; COMPUTE_PGM_RSRC2:TIDIG_COMP_CNT: 1
	.section	.text._ZL20rocblas_gemvn_kernelILi64ELi4ElPK19rocblas_complex_numIdES3_KPS1_EviiT3_lPKT2_lT1_lS9_lSA_lS6_lPT4_lSA_li,"axG",@progbits,_ZL20rocblas_gemvn_kernelILi64ELi4ElPK19rocblas_complex_numIdES3_KPS1_EviiT3_lPKT2_lT1_lS9_lSA_lS6_lPT4_lSA_li,comdat
	.globl	_ZL20rocblas_gemvn_kernelILi64ELi4ElPK19rocblas_complex_numIdES3_KPS1_EviiT3_lPKT2_lT1_lS9_lSA_lS6_lPT4_lSA_li ; -- Begin function _ZL20rocblas_gemvn_kernelILi64ELi4ElPK19rocblas_complex_numIdES3_KPS1_EviiT3_lPKT2_lT1_lS9_lSA_lS6_lPT4_lSA_li
	.p2align	8
	.type	_ZL20rocblas_gemvn_kernelILi64ELi4ElPK19rocblas_complex_numIdES3_KPS1_EviiT3_lPKT2_lT1_lS9_lSA_lS6_lPT4_lSA_li,@function
_ZL20rocblas_gemvn_kernelILi64ELi4ElPK19rocblas_complex_numIdES3_KPS1_EviiT3_lPKT2_lT1_lS9_lSA_lS6_lPT4_lSA_li: ; @_ZL20rocblas_gemvn_kernelILi64ELi4ElPK19rocblas_complex_numIdES3_KPS1_EviiT3_lPKT2_lT1_lS9_lSA_lS6_lPT4_lSA_li
; %bb.0:
	s_load_dwordx2 s[0:1], s[4:5], 0x9c
	s_mov_b32 s30, s7
	s_waitcnt lgkmcnt(0)
	s_lshr_b32 s2, s0, 16
	s_and_b32 s7, s0, 0xffff
	s_and_b32 s0, s1, 0xffff
	s_mul_i32 s1, s2, s7
	s_mul_i32 s1, s1, s0
	s_cmpk_lg_i32 s1, 0x100
	s_cbranch_scc1 .LBB339_4
; %bb.1:
	s_clause 0x1
	s_load_dwordx8 s[16:23], s[4:5], 0x8
	s_load_dwordx8 s[8:15], s[4:5], 0x58
	s_mov_b32 s31, 0
	s_mov_b64 s[26:27], 0
	s_waitcnt lgkmcnt(0)
	s_mul_i32 s1, s19, s30
	s_mul_hi_u32 s2, s18, s30
	s_mul_i32 s0, s18, s30
	s_add_i32 s1, s2, s1
	s_lshl_b64 s[0:1], s[0:1], 4
	s_add_u32 s0, s16, s0
	s_addc_u32 s1, s17, s1
	s_load_dwordx4 s[16:19], s[0:1], 0x0
	s_mul_i32 s0, s11, s30
	s_mul_hi_u32 s1, s10, s30
	s_add_i32 s1, s1, s0
	s_mul_i32 s0, s10, s30
	s_lshl_b64 s[0:1], s[0:1], 4
	s_add_u32 s0, s8, s0
	s_addc_u32 s1, s9, s1
	s_load_dwordx2 s[24:25], s[4:5], 0x28
	s_load_dwordx4 s[8:11], s[0:1], 0x0
	s_mov_b32 s1, -1
	s_mov_b32 s0, s31
	s_waitcnt lgkmcnt(0)
	v_cmp_neq_f64_e64 s2, s[16:17], 0
	v_cmp_neq_f64_e64 s3, s[18:19], 0
	s_or_b32 s28, s2, s3
	s_and_b32 vcc_lo, exec_lo, s28
	s_cbranch_vccz .LBB339_5
; %bb.2:
	s_andn2_b32 vcc_lo, exec_lo, s1
	s_cbranch_vccz .LBB339_6
.LBB339_3:
	s_andn2_b32 vcc_lo, exec_lo, s0
	s_cbranch_vccz .LBB339_7
.LBB339_4:
	s_endpgm
.LBB339_5:
	v_cmp_neq_f64_e64 s0, s[8:9], 1.0
	v_cmp_neq_f64_e64 s1, s[10:11], 0
	s_or_b32 s0, s0, s1
	s_cbranch_execnz .LBB339_3
.LBB339_6:
	s_lshl_b64 s[0:1], s[30:31], 3
	s_add_u32 s0, s20, s0
	s_addc_u32 s1, s21, s1
	s_lshl_b64 s[2:3], s[22:23], 4
	s_load_dwordx2 s[0:1], s[0:1], 0x0
	s_waitcnt lgkmcnt(0)
	s_add_u32 s26, s0, s2
	s_addc_u32 s27, s1, s3
.LBB339_7:
	s_clause 0x2
	s_load_dwordx2 s[20:21], s[4:5], 0x78
	s_load_dwordx4 s[0:3], s[4:5], 0x38
	s_load_dwordx2 s[22:23], s[4:5], 0x48
	v_cndmask_b32_e64 v2, 0, 1, s28
	s_xor_b32 s33, s28, -1
	s_mov_b64 s[28:29], 0
	v_cmp_ne_u32_e32 vcc_lo, 1, v2
	s_cbranch_vccnz .LBB339_9
; %bb.8:
	s_lshl_b64 s[28:29], s[30:31], 3
	s_waitcnt lgkmcnt(0)
	s_add_u32 s0, s0, s28
	s_addc_u32 s1, s1, s29
	s_lshl_b64 s[2:3], s[2:3], 4
	s_load_dwordx2 s[0:1], s[0:1], 0x0
	s_waitcnt lgkmcnt(0)
	s_add_u32 s28, s0, s2
	s_addc_u32 s29, s1, s3
.LBB339_9:
	s_waitcnt lgkmcnt(0)
	s_lshl_b64 s[0:1], s[30:31], 3
	v_mad_u32_u24 v10, v1, s7, v0
	s_add_u32 s0, s12, s0
	s_addc_u32 s1, s13, s1
	s_load_dwordx2 s[12:13], s[0:1], 0x0
	s_load_dwordx2 s[2:3], s[4:5], 0x0
	s_lshl_b64 s[4:5], s[14:15], 4
	v_cmp_gt_u32_e64 s0, 64, v10
	s_waitcnt lgkmcnt(0)
	s_add_u32 s12, s12, s4
	s_addc_u32 s13, s13, s5
	s_andn2_b32 vcc_lo, exec_lo, s33
	s_cbranch_vccnz .LBB339_16
; %bb.10:
	s_mov_b32 s1, 0
	s_mov_b32 s14, 0
                                        ; implicit-def: $vgpr2_vgpr3
                                        ; implicit-def: $vgpr8_vgpr9
	s_and_saveexec_b32 s4, s0
	s_cbranch_execz .LBB339_17
; %bb.11:
	v_lshl_or_b32 v0, s6, 6, v10
	v_mov_b32_e32 v1, 0
	s_ashr_i32 s15, s2, 31
	s_mov_b32 s14, s2
	s_mov_b32 s5, 0
                                        ; implicit-def: $vgpr8_vgpr9
	v_cmp_gt_i64_e32 vcc_lo, s[14:15], v[0:1]
                                        ; implicit-def: $vgpr2_vgpr3
	s_and_saveexec_b32 s0, vcc_lo
	s_cbranch_execz .LBB339_15
; %bb.12:
	v_cmp_neq_f64_e64 s5, s[8:9], 0
	v_cmp_neq_f64_e64 s7, s[10:11], 0
	v_mad_u64_u32 v[8:9], null, s20, v0, 0
	v_mov_b32_e32 v1, v9
	v_mad_u64_u32 v[4:5], null, s21, v0, v[1:2]
	v_mov_b32_e32 v2, 0
	v_mov_b32_e32 v0, 0
	;; [unrolled: 1-line block ×5, first 2 shown]
	s_or_b32 s5, s5, s7
	s_andn2_b32 vcc_lo, exec_lo, s5
	s_cbranch_vccnz .LBB339_14
; %bb.13:
	v_lshlrev_b64 v[0:1], 4, v[8:9]
	v_add_co_u32 v0, vcc_lo, s12, v0
	v_add_co_ci_u32_e64 v1, null, s13, v1, vcc_lo
	flat_load_dwordx4 v[2:5], v[0:1]
	s_waitcnt vmcnt(0) lgkmcnt(0)
	v_mul_f64 v[0:1], s[10:11], v[4:5]
	v_mul_f64 v[4:5], s[8:9], v[4:5]
	v_fma_f64 v[0:1], s[8:9], v[2:3], -v[0:1]
	v_fma_f64 v[2:3], s[10:11], v[2:3], v[4:5]
.LBB339_14:
	s_mov_b32 s5, exec_lo
.LBB339_15:
	s_or_b32 exec_lo, exec_lo, s0
	s_and_b32 s14, s5, exec_lo
	s_or_b32 exec_lo, exec_lo, s4
	s_and_b32 vcc_lo, exec_lo, s1
	s_cbranch_vccnz .LBB339_18
	s_branch .LBB339_37
.LBB339_16:
	s_mov_b32 s14, 0
                                        ; implicit-def: $vgpr2_vgpr3
                                        ; implicit-def: $vgpr8_vgpr9
	s_cbranch_execnz .LBB339_18
	s_branch .LBB339_37
.LBB339_17:
	s_or_b32 exec_lo, exec_lo, s4
	s_and_b32 vcc_lo, exec_lo, s1
	s_cbranch_vccz .LBB339_37
.LBB339_18:
	v_and_b32_e32 v4, 63, v10
	s_ashr_i32 s0, s3, 31
	s_lshl_b32 s15, s6, 6
	s_lshr_b32 s0, s0, 30
	v_mov_b32_e32 v2, 0
	v_mov_b32_e32 v0, 0
	v_lshrrev_b32_e32 v9, 6, v10
	v_or_b32_e32 v8, s15, v4
	v_mov_b32_e32 v3, 0
	v_mov_b32_e32 v1, 0
	s_add_i32 s0, s3, s0
	s_mov_b32 s31, exec_lo
	s_and_b32 s30, s0, -4
	v_cmpx_gt_i32_e64 s30, v9
	s_cbranch_execz .LBB339_24
; %bb.19:
	v_lshrrev_b32_e32 v11, 6, v10
	v_add_nc_u32_e32 v3, s15, v4
	s_lshl_b64 s[4:5], s[22:23], 6
	s_lshl_b64 s[6:7], s[24:25], 6
	s_mov_b32 s33, 0
	v_mad_u64_u32 v[5:6], null, s22, v11, 0
	v_mad_u64_u32 v[0:1], null, s24, v11, 0
	v_ashrrev_i32_e32 v4, 31, v3
	v_cmp_gt_i32_e32 vcc_lo, s2, v8
	v_mov_b32_e32 v2, v6
	v_mad_u64_u32 v[6:7], null, s25, v11, v[1:2]
	v_mad_u64_u32 v[11:12], null, s23, v11, v[2:3]
	v_lshlrev_b64 v[12:13], 4, v[3:4]
	v_mov_b32_e32 v2, 0
	v_mov_b32_e32 v3, 0
	;; [unrolled: 1-line block ×4, first 2 shown]
	v_lshlrev_b64 v[0:1], 4, v[0:1]
	v_lshlrev_b64 v[4:5], 4, v[5:6]
	v_add_co_u32 v0, s0, v0, v12
	v_add_co_ci_u32_e64 v1, null, v1, v13, s0
	v_add_co_u32 v4, s0, s28, v4
	v_add_co_ci_u32_e64 v5, null, s29, v5, s0
	;; [unrolled: 2-line block ×3, first 2 shown]
	v_mov_b32_e32 v0, v2
	v_mov_b32_e32 v1, v3
	s_inst_prefetch 0x1
	s_branch .LBB339_21
	.p2align	6
.LBB339_20:                             ;   in Loop: Header=BB339_21 Depth=1
	s_or_b32 exec_lo, exec_lo, s0
	v_add_nc_u32_e32 v9, 4, v9
	v_add_co_u32 v4, s0, v4, s4
	v_add_co_ci_u32_e64 v5, null, s5, v5, s0
	v_cmp_le_i32_e64 s0, s30, v9
	v_add_co_u32 v6, s1, v6, s6
	v_add_co_ci_u32_e64 v7, null, s7, v7, s1
	s_or_b32 s33, s0, s33
	s_andn2_b32 exec_lo, exec_lo, s33
	s_cbranch_execz .LBB339_23
.LBB339_21:                             ; =>This Inner Loop Header: Depth=1
	s_and_saveexec_b32 s0, vcc_lo
	s_cbranch_execz .LBB339_20
; %bb.22:                               ;   in Loop: Header=BB339_21 Depth=1
	flat_load_dwordx4 v[11:14], v[4:5]
	flat_load_dwordx4 v[15:18], v[6:7]
	s_waitcnt vmcnt(0) lgkmcnt(0)
	v_mul_f64 v[19:20], v[13:14], v[17:18]
	v_mul_f64 v[17:18], v[11:12], v[17:18]
	v_fma_f64 v[11:12], v[11:12], v[15:16], -v[19:20]
	v_fma_f64 v[13:14], v[13:14], v[15:16], v[17:18]
	v_add_f64 v[0:1], v[0:1], v[11:12]
	v_add_f64 v[2:3], v[2:3], v[13:14]
	s_branch .LBB339_20
.LBB339_23:
	s_inst_prefetch 0x2
	s_or_b32 exec_lo, exec_lo, s33
.LBB339_24:
	s_or_b32 exec_lo, exec_lo, s31
	s_sub_i32 s0, s3, s30
	s_cmp_lt_i32 s0, 1
	s_cbranch_scc1 .LBB339_30
; %bb.25:
	v_mov_b32_e32 v4, 0
	v_mov_b32_e32 v6, 0
	;; [unrolled: 1-line block ×4, first 2 shown]
	v_cmp_gt_i32_e32 vcc_lo, s3, v9
	s_and_saveexec_b32 s1, vcc_lo
	s_cbranch_execz .LBB339_27
; %bb.26:
	v_mad_u64_u32 v[4:5], null, s22, v9, 0
	v_mad_u64_u32 v[5:6], null, s23, v9, v[5:6]
	v_lshlrev_b64 v[4:5], 4, v[4:5]
	v_add_co_u32 v4, s0, s28, v4
	v_add_co_ci_u32_e64 v5, null, s29, v5, s0
	flat_load_dwordx4 v[4:7], v[4:5]
.LBB339_27:
	s_or_b32 exec_lo, exec_lo, s1
	s_mov_b32 s1, exec_lo
	v_cmpx_gt_i32_e64 s2, v8
	s_cbranch_execz .LBB339_29
; %bb.28:
	v_mad_u64_u32 v[11:12], null, s24, v9, 0
	v_mad_u64_u32 v[12:13], null, s25, v9, v[12:13]
	v_cndmask_b32_e32 v11, 0, v11, vcc_lo
	v_ashrrev_i32_e32 v9, 31, v8
	v_lshlrev_b64 v[8:9], 4, v[8:9]
	v_cndmask_b32_e32 v12, 0, v12, vcc_lo
	v_lshlrev_b64 v[11:12], 4, v[11:12]
	v_add_co_u32 v11, vcc_lo, s26, v11
	v_add_co_ci_u32_e64 v12, null, s27, v12, vcc_lo
	v_add_co_u32 v8, vcc_lo, v11, v8
	v_add_co_ci_u32_e64 v9, null, v12, v9, vcc_lo
	flat_load_dwordx4 v[11:14], v[8:9]
	s_waitcnt vmcnt(0) lgkmcnt(0)
	v_mul_f64 v[8:9], v[6:7], v[13:14]
	v_mul_f64 v[13:14], v[4:5], v[13:14]
	v_fma_f64 v[4:5], v[4:5], v[11:12], -v[8:9]
	v_fma_f64 v[6:7], v[6:7], v[11:12], v[13:14]
	v_add_f64 v[0:1], v[0:1], v[4:5]
	v_add_f64 v[2:3], v[2:3], v[6:7]
.LBB339_29:
	s_or_b32 exec_lo, exec_lo, s1
.LBB339_30:
	v_lshlrev_b32_e32 v11, 4, v10
	s_mov_b32 s0, exec_lo
                                        ; implicit-def: $vgpr8_vgpr9
	ds_write_b128 v11, v[0:3]
	s_waitcnt vmcnt(0) lgkmcnt(0)
	s_barrier
	buffer_gl0_inv
                                        ; implicit-def: $vgpr2_vgpr3
	v_cmpx_gt_u32_e32 64, v10
	s_cbranch_execz .LBB339_36
; %bb.31:
	ds_read_b128 v[0:3], v11
	ds_read_b128 v[4:7], v11 offset:1024
	v_or_b32_e32 v10, s15, v10
	v_cmp_gt_i32_e32 vcc_lo, s2, v10
	s_mov_b32 s2, s14
	s_waitcnt lgkmcnt(0)
	v_add_f64 v[8:9], v[0:1], v[4:5]
	v_add_f64 v[12:13], v[2:3], v[6:7]
	ds_read_b128 v[0:3], v11 offset:2048
	ds_read_b128 v[4:7], v11 offset:3072
	s_waitcnt lgkmcnt(1)
	v_add_f64 v[0:1], v[8:9], v[0:1]
	v_add_f64 v[2:3], v[12:13], v[2:3]
                                        ; implicit-def: $vgpr8_vgpr9
	s_waitcnt lgkmcnt(0)
	v_add_f64 v[4:5], v[0:1], v[4:5]
	v_add_f64 v[6:7], v[2:3], v[6:7]
                                        ; implicit-def: $vgpr2_vgpr3
	ds_write_b128 v11, v[4:7]
	s_and_saveexec_b32 s1, vcc_lo
	s_cbranch_execz .LBB339_35
; %bb.32:
	v_mul_f64 v[0:1], s[18:19], v[6:7]
	v_mul_f64 v[2:3], s[16:17], v[6:7]
	v_cmp_neq_f64_e64 s2, s[8:9], 0
	v_cmp_neq_f64_e64 s3, s[10:11], 0
	v_mad_u64_u32 v[8:9], null, s20, v10, 0
	v_fma_f64 v[0:1], s[16:17], v[4:5], -v[0:1]
	v_fma_f64 v[2:3], s[18:19], v[4:5], v[2:3]
	v_ashrrev_i32_e32 v4, 31, v10
	v_mul_lo_u32 v5, s21, v10
	s_or_b32 s2, s2, s3
	s_andn2_b32 vcc_lo, exec_lo, s2
	v_mul_lo_u32 v4, s20, v4
	v_add3_u32 v9, v9, v4, v5
	s_cbranch_vccnz .LBB339_34
; %bb.33:
	v_lshlrev_b64 v[4:5], 4, v[8:9]
	v_add_co_u32 v4, vcc_lo, s12, v4
	v_add_co_ci_u32_e64 v5, null, s13, v5, vcc_lo
	flat_load_dwordx4 v[4:7], v[4:5]
	s_waitcnt vmcnt(0) lgkmcnt(0)
	v_mul_f64 v[10:11], s[10:11], v[6:7]
	v_mul_f64 v[6:7], s[8:9], v[6:7]
	v_fma_f64 v[10:11], s[8:9], v[4:5], -v[10:11]
	v_fma_f64 v[4:5], s[10:11], v[4:5], v[6:7]
	v_add_f64 v[0:1], v[0:1], v[10:11]
	v_add_f64 v[2:3], v[2:3], v[4:5]
.LBB339_34:
	s_or_b32 s2, s14, exec_lo
.LBB339_35:
	s_or_b32 exec_lo, exec_lo, s1
	s_andn2_b32 s1, s14, exec_lo
	s_and_b32 s2, s2, exec_lo
	s_or_b32 s14, s1, s2
.LBB339_36:
	s_or_b32 exec_lo, exec_lo, s0
.LBB339_37:
	s_and_saveexec_b32 s0, s14
	s_cbranch_execz .LBB339_4
; %bb.38:
	v_lshlrev_b64 v[4:5], 4, v[8:9]
	v_add_co_u32 v4, vcc_lo, s12, v4
	v_add_co_ci_u32_e64 v5, null, s13, v5, vcc_lo
	flat_store_dwordx4 v[4:5], v[0:3]
	s_endpgm
	.section	.rodata,"a",@progbits
	.p2align	6, 0x0
	.amdhsa_kernel _ZL20rocblas_gemvn_kernelILi64ELi4ElPK19rocblas_complex_numIdES3_KPS1_EviiT3_lPKT2_lT1_lS9_lSA_lS6_lPT4_lSA_li
		.amdhsa_group_segment_fixed_size 4096
		.amdhsa_private_segment_fixed_size 0
		.amdhsa_kernarg_size 400
		.amdhsa_user_sgpr_count 6
		.amdhsa_user_sgpr_private_segment_buffer 1
		.amdhsa_user_sgpr_dispatch_ptr 0
		.amdhsa_user_sgpr_queue_ptr 0
		.amdhsa_user_sgpr_kernarg_segment_ptr 1
		.amdhsa_user_sgpr_dispatch_id 0
		.amdhsa_user_sgpr_flat_scratch_init 0
		.amdhsa_user_sgpr_private_segment_size 0
		.amdhsa_wavefront_size32 1
		.amdhsa_uses_dynamic_stack 0
		.amdhsa_system_sgpr_private_segment_wavefront_offset 0
		.amdhsa_system_sgpr_workgroup_id_x 1
		.amdhsa_system_sgpr_workgroup_id_y 0
		.amdhsa_system_sgpr_workgroup_id_z 1
		.amdhsa_system_sgpr_workgroup_info 0
		.amdhsa_system_vgpr_workitem_id 1
		.amdhsa_next_free_vgpr 21
		.amdhsa_next_free_sgpr 34
		.amdhsa_reserve_vcc 1
		.amdhsa_reserve_flat_scratch 0
		.amdhsa_float_round_mode_32 0
		.amdhsa_float_round_mode_16_64 0
		.amdhsa_float_denorm_mode_32 3
		.amdhsa_float_denorm_mode_16_64 3
		.amdhsa_dx10_clamp 1
		.amdhsa_ieee_mode 1
		.amdhsa_fp16_overflow 0
		.amdhsa_workgroup_processor_mode 1
		.amdhsa_memory_ordered 1
		.amdhsa_forward_progress 1
		.amdhsa_shared_vgpr_count 0
		.amdhsa_exception_fp_ieee_invalid_op 0
		.amdhsa_exception_fp_denorm_src 0
		.amdhsa_exception_fp_ieee_div_zero 0
		.amdhsa_exception_fp_ieee_overflow 0
		.amdhsa_exception_fp_ieee_underflow 0
		.amdhsa_exception_fp_ieee_inexact 0
		.amdhsa_exception_int_div_zero 0
	.end_amdhsa_kernel
	.section	.text._ZL20rocblas_gemvn_kernelILi64ELi4ElPK19rocblas_complex_numIdES3_KPS1_EviiT3_lPKT2_lT1_lS9_lSA_lS6_lPT4_lSA_li,"axG",@progbits,_ZL20rocblas_gemvn_kernelILi64ELi4ElPK19rocblas_complex_numIdES3_KPS1_EviiT3_lPKT2_lT1_lS9_lSA_lS6_lPT4_lSA_li,comdat
.Lfunc_end339:
	.size	_ZL20rocblas_gemvn_kernelILi64ELi4ElPK19rocblas_complex_numIdES3_KPS1_EviiT3_lPKT2_lT1_lS9_lSA_lS6_lPT4_lSA_li, .Lfunc_end339-_ZL20rocblas_gemvn_kernelILi64ELi4ElPK19rocblas_complex_numIdES3_KPS1_EviiT3_lPKT2_lT1_lS9_lSA_lS6_lPT4_lSA_li
                                        ; -- End function
	.set _ZL20rocblas_gemvn_kernelILi64ELi4ElPK19rocblas_complex_numIdES3_KPS1_EviiT3_lPKT2_lT1_lS9_lSA_lS6_lPT4_lSA_li.num_vgpr, 21
	.set _ZL20rocblas_gemvn_kernelILi64ELi4ElPK19rocblas_complex_numIdES3_KPS1_EviiT3_lPKT2_lT1_lS9_lSA_lS6_lPT4_lSA_li.num_agpr, 0
	.set _ZL20rocblas_gemvn_kernelILi64ELi4ElPK19rocblas_complex_numIdES3_KPS1_EviiT3_lPKT2_lT1_lS9_lSA_lS6_lPT4_lSA_li.numbered_sgpr, 34
	.set _ZL20rocblas_gemvn_kernelILi64ELi4ElPK19rocblas_complex_numIdES3_KPS1_EviiT3_lPKT2_lT1_lS9_lSA_lS6_lPT4_lSA_li.num_named_barrier, 0
	.set _ZL20rocblas_gemvn_kernelILi64ELi4ElPK19rocblas_complex_numIdES3_KPS1_EviiT3_lPKT2_lT1_lS9_lSA_lS6_lPT4_lSA_li.private_seg_size, 0
	.set _ZL20rocblas_gemvn_kernelILi64ELi4ElPK19rocblas_complex_numIdES3_KPS1_EviiT3_lPKT2_lT1_lS9_lSA_lS6_lPT4_lSA_li.uses_vcc, 1
	.set _ZL20rocblas_gemvn_kernelILi64ELi4ElPK19rocblas_complex_numIdES3_KPS1_EviiT3_lPKT2_lT1_lS9_lSA_lS6_lPT4_lSA_li.uses_flat_scratch, 0
	.set _ZL20rocblas_gemvn_kernelILi64ELi4ElPK19rocblas_complex_numIdES3_KPS1_EviiT3_lPKT2_lT1_lS9_lSA_lS6_lPT4_lSA_li.has_dyn_sized_stack, 0
	.set _ZL20rocblas_gemvn_kernelILi64ELi4ElPK19rocblas_complex_numIdES3_KPS1_EviiT3_lPKT2_lT1_lS9_lSA_lS6_lPT4_lSA_li.has_recursion, 0
	.set _ZL20rocblas_gemvn_kernelILi64ELi4ElPK19rocblas_complex_numIdES3_KPS1_EviiT3_lPKT2_lT1_lS9_lSA_lS6_lPT4_lSA_li.has_indirect_call, 0
	.section	.AMDGPU.csdata,"",@progbits
; Kernel info:
; codeLenInByte = 1768
; TotalNumSgprs: 36
; NumVgprs: 21
; ScratchSize: 0
; MemoryBound: 1
; FloatMode: 240
; IeeeMode: 1
; LDSByteSize: 4096 bytes/workgroup (compile time only)
; SGPRBlocks: 0
; VGPRBlocks: 2
; NumSGPRsForWavesPerEU: 36
; NumVGPRsForWavesPerEU: 21
; Occupancy: 16
; WaveLimiterHint : 1
; COMPUTE_PGM_RSRC2:SCRATCH_EN: 0
; COMPUTE_PGM_RSRC2:USER_SGPR: 6
; COMPUTE_PGM_RSRC2:TRAP_HANDLER: 0
; COMPUTE_PGM_RSRC2:TGID_X_EN: 1
; COMPUTE_PGM_RSRC2:TGID_Y_EN: 0
; COMPUTE_PGM_RSRC2:TGID_Z_EN: 1
; COMPUTE_PGM_RSRC2:TIDIG_COMP_CNT: 1
	.section	.text._ZL20rocblas_gemvn_kernelILi64ELi4EiPK19rocblas_complex_numIdES1_KPS1_EviiT3_lPKT2_lT1_lS9_lSA_lS6_lPT4_lSA_li,"axG",@progbits,_ZL20rocblas_gemvn_kernelILi64ELi4EiPK19rocblas_complex_numIdES1_KPS1_EviiT3_lPKT2_lT1_lS9_lSA_lS6_lPT4_lSA_li,comdat
	.globl	_ZL20rocblas_gemvn_kernelILi64ELi4EiPK19rocblas_complex_numIdES1_KPS1_EviiT3_lPKT2_lT1_lS9_lSA_lS6_lPT4_lSA_li ; -- Begin function _ZL20rocblas_gemvn_kernelILi64ELi4EiPK19rocblas_complex_numIdES1_KPS1_EviiT3_lPKT2_lT1_lS9_lSA_lS6_lPT4_lSA_li
	.p2align	8
	.type	_ZL20rocblas_gemvn_kernelILi64ELi4EiPK19rocblas_complex_numIdES1_KPS1_EviiT3_lPKT2_lT1_lS9_lSA_lS6_lPT4_lSA_li,@function
_ZL20rocblas_gemvn_kernelILi64ELi4EiPK19rocblas_complex_numIdES1_KPS1_EviiT3_lPKT2_lT1_lS9_lSA_lS6_lPT4_lSA_li: ; @_ZL20rocblas_gemvn_kernelILi64ELi4EiPK19rocblas_complex_numIdES1_KPS1_EviiT3_lPKT2_lT1_lS9_lSA_lS6_lPT4_lSA_li
; %bb.0:
	s_load_dwordx2 s[0:1], s[4:5], 0xac
	s_mov_b32 s16, s7
	s_waitcnt lgkmcnt(0)
	s_lshr_b32 s2, s0, 16
	s_and_b32 s7, s0, 0xffff
	s_and_b32 s0, s1, 0xffff
	s_mul_i32 s1, s2, s7
	s_mul_i32 s1, s1, s0
	s_cmpk_lg_i32 s1, 0x100
	s_cbranch_scc1 .LBB340_39
; %bb.1:
	s_clause 0x1
	s_load_dwordx4 s[12:15], s[4:5], 0x8
	s_load_dwordx4 s[8:11], s[4:5], 0x60
	s_mov_b32 s17, 0
	s_mov_b64 s[2:3], 0
	s_mov_b32 s19, -1
	s_mov_b32 s20, s17
	s_waitcnt lgkmcnt(0)
	v_cmp_neq_f64_e64 s0, s[12:13], 0
	v_cmp_neq_f64_e64 s1, s[14:15], 0
	s_or_b32 s18, s0, s1
	s_mov_b64 s[0:1], s[16:17]
	s_and_b32 vcc_lo, exec_lo, s18
	s_cbranch_vccnz .LBB340_4
; %bb.2:
	v_cmp_eq_f64_e64 s0, s[8:9], 1.0
	v_cmp_eq_f64_e64 s1, s[10:11], 0
	s_mov_b32 s19, 0
	s_mov_b32 s20, 0
	s_and_b32 s0, s0, s1
	s_andn2_b32 vcc_lo, exec_lo, s0
                                        ; implicit-def: $sgpr0_sgpr1
	s_cbranch_vccz .LBB340_4
; %bb.3:
	s_mov_b32 s1, 0
	s_mov_b32 s0, s16
	s_mov_b32 s20, -1
.LBB340_4:
	s_and_b32 vcc_lo, exec_lo, s19
	s_cbranch_vccz .LBB340_6
; %bb.5:
	s_load_dwordx4 s[20:23], s[4:5], 0x20
	s_lshl_b64 s[2:3], s[16:17], 3
	s_waitcnt lgkmcnt(0)
	s_add_u32 s2, s20, s2
	s_addc_u32 s3, s21, s3
	s_lshl_b64 s[16:17], s[22:23], 4
	s_load_dwordx2 s[2:3], s[2:3], 0x0
	s_mov_b32 s20, -1
	s_waitcnt lgkmcnt(0)
	s_add_u32 s2, s2, s16
	s_addc_u32 s3, s3, s17
.LBB340_6:
	s_andn2_b32 vcc_lo, exec_lo, s20
	s_cbranch_vccnz .LBB340_39
; %bb.7:
	v_cndmask_b32_e64 v2, 0, 1, s18
	s_xor_b32 s21, s18, -1
	s_mov_b64 s[18:19], 0
	v_cmp_ne_u32_e32 vcc_lo, 1, v2
	s_cbranch_vccnz .LBB340_9
; %bb.8:
	s_load_dwordx4 s[16:19], s[4:5], 0x40
	s_lshl_b64 s[22:23], s[0:1], 3
	s_waitcnt lgkmcnt(0)
	s_add_u32 s16, s16, s22
	s_addc_u32 s17, s17, s23
	s_lshl_b64 s[18:19], s[18:19], 4
	s_load_dwordx2 s[16:17], s[16:17], 0x0
	s_waitcnt lgkmcnt(0)
	s_add_u32 s18, s16, s18
	s_addc_u32 s19, s17, s19
.LBB340_9:
	s_load_dwordx4 s[24:27], s[4:5], 0x78
	s_lshl_b64 s[0:1], s[0:1], 3
	v_mad_u32_u24 v10, v1, s7, v0
	s_waitcnt lgkmcnt(0)
	s_add_u32 s0, s24, s0
	s_addc_u32 s1, s25, s1
	s_lshl_b64 s[24:25], s[26:27], 4
	s_load_dwordx2 s[22:23], s[0:1], 0x0
	s_clause 0x1
	s_load_dwordx2 s[16:17], s[4:5], 0x0
	s_load_dword s20, s[4:5], 0x88
	v_cmp_gt_u32_e64 s0, 64, v10
	s_waitcnt lgkmcnt(0)
	s_add_u32 s1, s22, s24
	s_addc_u32 s7, s23, s25
	s_andn2_b32 vcc_lo, exec_lo, s21
	s_cbranch_vccnz .LBB340_16
; %bb.10:
	s_mov_b32 s22, 0
	s_mov_b32 s21, 0
                                        ; implicit-def: $vgpr2_vgpr3
                                        ; implicit-def: $vgpr8_vgpr9
	s_and_saveexec_b32 s23, s0
	s_cbranch_execz .LBB340_17
; %bb.11:
	v_lshl_or_b32 v0, s6, 6, v10
	v_mov_b32_e32 v1, 0
	s_ashr_i32 s25, s16, 31
	s_mov_b32 s24, s16
                                        ; implicit-def: $vgpr8_vgpr9
	v_cmp_gt_i64_e32 vcc_lo, s[24:25], v[0:1]
                                        ; implicit-def: $vgpr2_vgpr3
	s_and_saveexec_b32 s0, vcc_lo
	s_cbranch_execz .LBB340_15
; %bb.12:
	v_cmp_neq_f64_e64 s21, s[8:9], 0
	v_cmp_neq_f64_e64 s24, s[10:11], 0
	v_mad_u64_u32 v[8:9], null, v0, s20, 0
	s_ashr_i32 s25, s20, 31
	v_mov_b32_e32 v1, v9
	v_mad_u64_u32 v[4:5], null, v0, s25, v[1:2]
	v_mov_b32_e32 v2, 0
	v_mov_b32_e32 v0, 0
	;; [unrolled: 1-line block ×5, first 2 shown]
	s_or_b32 s21, s21, s24
	s_andn2_b32 vcc_lo, exec_lo, s21
	s_cbranch_vccnz .LBB340_14
; %bb.13:
	v_lshlrev_b64 v[0:1], 4, v[8:9]
	v_add_co_u32 v0, vcc_lo, s1, v0
	v_add_co_ci_u32_e64 v1, null, s7, v1, vcc_lo
	flat_load_dwordx4 v[2:5], v[0:1]
	s_waitcnt vmcnt(0) lgkmcnt(0)
	v_mul_f64 v[0:1], s[10:11], v[4:5]
	v_mul_f64 v[4:5], s[8:9], v[4:5]
	v_fma_f64 v[0:1], s[8:9], v[2:3], -v[0:1]
	v_fma_f64 v[2:3], s[10:11], v[2:3], v[4:5]
.LBB340_14:
	s_mov_b32 s21, exec_lo
.LBB340_15:
	s_or_b32 exec_lo, exec_lo, s0
	s_and_b32 s21, s21, exec_lo
	s_or_b32 exec_lo, exec_lo, s23
	s_and_b32 vcc_lo, exec_lo, s22
	s_cbranch_vccnz .LBB340_18
	s_branch .LBB340_37
.LBB340_16:
	s_mov_b32 s21, 0
                                        ; implicit-def: $vgpr2_vgpr3
                                        ; implicit-def: $vgpr8_vgpr9
	s_cbranch_execnz .LBB340_18
	s_branch .LBB340_37
.LBB340_17:
	s_or_b32 exec_lo, exec_lo, s23
	s_and_b32 vcc_lo, exec_lo, s22
	s_cbranch_vccz .LBB340_37
.LBB340_18:
	s_clause 0x1
	s_load_dword s22, s[4:5], 0x30
	s_load_dword s5, s[4:5], 0x50
	v_and_b32_e32 v5, 63, v10
	s_ashr_i32 s0, s17, 31
	s_lshl_b32 s4, s6, 6
	s_lshr_b32 s0, s0, 30
	v_mov_b32_e32 v2, 0
	v_mov_b32_e32 v0, 0
	v_lshrrev_b32_e32 v8, 6, v10
	v_or_b32_e32 v9, s4, v5
	v_mov_b32_e32 v3, 0
	v_mov_b32_e32 v1, 0
	s_add_i32 s0, s17, s0
	s_mov_b32 s23, exec_lo
	s_and_b32 s6, s0, -4
	v_cmpx_gt_i32_e64 s6, v8
	s_cbranch_execz .LBB340_24
; %bb.19:
	s_waitcnt lgkmcnt(0)
	v_mul_lo_u32 v0, s22, v8
	v_mov_b32_e32 v2, 0
	v_mov_b32_e32 v3, 0
	v_mul_lo_u32 v4, s5, v8
	s_lshl_b32 s24, s5, 2
	s_lshl_b32 s26, s22, 2
	s_mov_b32 s25, 0
	v_cmp_gt_i32_e32 vcc_lo, s16, v9
	v_add3_u32 v6, v0, s4, v5
	v_mov_b32_e32 v0, v2
	v_mov_b32_e32 v1, v3
	s_inst_prefetch 0x1
	s_branch .LBB340_21
	.p2align	6
.LBB340_20:                             ;   in Loop: Header=BB340_21 Depth=1
	s_or_b32 exec_lo, exec_lo, s27
	v_add_nc_u32_e32 v8, 4, v8
	v_add_nc_u32_e32 v4, s24, v4
	;; [unrolled: 1-line block ×3, first 2 shown]
	v_cmp_le_i32_e64 s0, s6, v8
	s_or_b32 s25, s0, s25
	s_andn2_b32 exec_lo, exec_lo, s25
	s_cbranch_execz .LBB340_23
.LBB340_21:                             ; =>This Inner Loop Header: Depth=1
	s_and_saveexec_b32 s27, vcc_lo
	s_cbranch_execz .LBB340_20
; %bb.22:                               ;   in Loop: Header=BB340_21 Depth=1
	v_ashrrev_i32_e32 v5, 31, v4
	v_ashrrev_i32_e32 v7, 31, v6
	v_lshlrev_b64 v[11:12], 4, v[4:5]
	v_lshlrev_b64 v[13:14], 4, v[6:7]
	v_add_co_u32 v11, s0, s18, v11
	v_add_co_ci_u32_e64 v12, null, s19, v12, s0
	v_add_co_u32 v15, s0, s2, v13
	v_add_co_ci_u32_e64 v16, null, s3, v14, s0
	flat_load_dwordx4 v[11:14], v[11:12]
	flat_load_dwordx4 v[15:18], v[15:16]
	s_waitcnt vmcnt(0) lgkmcnt(0)
	v_mul_f64 v[19:20], v[13:14], v[17:18]
	v_mul_f64 v[17:18], v[11:12], v[17:18]
	v_fma_f64 v[11:12], v[11:12], v[15:16], -v[19:20]
	v_fma_f64 v[13:14], v[13:14], v[15:16], v[17:18]
	v_add_f64 v[0:1], v[0:1], v[11:12]
	v_add_f64 v[2:3], v[2:3], v[13:14]
	s_branch .LBB340_20
.LBB340_23:
	s_inst_prefetch 0x2
	s_or_b32 exec_lo, exec_lo, s25
.LBB340_24:
	s_or_b32 exec_lo, exec_lo, s23
	s_sub_i32 s0, s17, s6
	s_cmp_lt_i32 s0, 1
	s_cbranch_scc1 .LBB340_30
; %bb.25:
	v_mov_b32_e32 v4, 0
	v_mov_b32_e32 v6, 0
	;; [unrolled: 1-line block ×4, first 2 shown]
	v_cmp_gt_i32_e32 vcc_lo, s17, v8
	s_and_saveexec_b32 s6, vcc_lo
	s_cbranch_execz .LBB340_27
; %bb.26:
	s_waitcnt lgkmcnt(0)
	v_mul_lo_u32 v4, v8, s5
	v_ashrrev_i32_e32 v5, 31, v4
	v_lshlrev_b64 v[4:5], 4, v[4:5]
	v_add_co_u32 v4, s0, s18, v4
	v_add_co_ci_u32_e64 v5, null, s19, v5, s0
	flat_load_dwordx4 v[4:7], v[4:5]
.LBB340_27:
	s_or_b32 exec_lo, exec_lo, s6
	s_waitcnt lgkmcnt(0)
	s_mov_b32 s5, exec_lo
	v_cmpx_gt_i32_e64 s16, v9
	s_cbranch_execz .LBB340_29
; %bb.28:
	v_mul_lo_u32 v8, v8, s22
	v_cndmask_b32_e32 v8, 0, v8, vcc_lo
	v_add_nc_u32_e32 v8, v8, v9
	v_ashrrev_i32_e32 v9, 31, v8
	v_lshlrev_b64 v[8:9], 4, v[8:9]
	v_add_co_u32 v8, vcc_lo, s2, v8
	v_add_co_ci_u32_e64 v9, null, s3, v9, vcc_lo
	flat_load_dwordx4 v[11:14], v[8:9]
	s_waitcnt vmcnt(0) lgkmcnt(0)
	v_mul_f64 v[8:9], v[6:7], v[13:14]
	v_mul_f64 v[13:14], v[4:5], v[13:14]
	v_fma_f64 v[4:5], v[4:5], v[11:12], -v[8:9]
	v_fma_f64 v[6:7], v[6:7], v[11:12], v[13:14]
	v_add_f64 v[0:1], v[0:1], v[4:5]
	v_add_f64 v[2:3], v[2:3], v[6:7]
.LBB340_29:
	s_or_b32 exec_lo, exec_lo, s5
.LBB340_30:
	v_lshlrev_b32_e32 v11, 4, v10
	s_mov_b32 s0, exec_lo
                                        ; implicit-def: $vgpr8_vgpr9
	ds_write_b128 v11, v[0:3]
	s_waitcnt vmcnt(0) lgkmcnt(0)
	s_barrier
	buffer_gl0_inv
                                        ; implicit-def: $vgpr2_vgpr3
	v_cmpx_gt_u32_e32 64, v10
	s_cbranch_execz .LBB340_36
; %bb.31:
	ds_read_b128 v[0:3], v11
	ds_read_b128 v[4:7], v11 offset:1024
	v_or_b32_e32 v10, s4, v10
	s_mov_b32 s3, s21
	s_mov_b32 s2, exec_lo
	s_waitcnt lgkmcnt(0)
	v_add_f64 v[8:9], v[0:1], v[4:5]
	v_add_f64 v[12:13], v[2:3], v[6:7]
	ds_read_b128 v[0:3], v11 offset:2048
	ds_read_b128 v[4:7], v11 offset:3072
	s_waitcnt lgkmcnt(1)
	v_add_f64 v[0:1], v[8:9], v[0:1]
	v_add_f64 v[2:3], v[12:13], v[2:3]
                                        ; implicit-def: $vgpr8_vgpr9
	s_waitcnt lgkmcnt(0)
	v_add_f64 v[4:5], v[0:1], v[4:5]
	v_add_f64 v[6:7], v[2:3], v[6:7]
                                        ; implicit-def: $vgpr2_vgpr3
	ds_write_b128 v11, v[4:7]
	v_cmpx_gt_i32_e64 s16, v10
	s_cbranch_execz .LBB340_35
; %bb.32:
	v_mul_f64 v[0:1], s[14:15], v[6:7]
	v_mul_f64 v[2:3], s[12:13], v[6:7]
	v_cmp_neq_f64_e64 s3, s[8:9], 0
	v_cmp_neq_f64_e64 s4, s[10:11], 0
	v_mul_lo_u32 v8, v10, s20
	v_ashrrev_i32_e32 v9, 31, v8
	v_fma_f64 v[0:1], s[12:13], v[4:5], -v[0:1]
	v_fma_f64 v[2:3], s[14:15], v[4:5], v[2:3]
	s_or_b32 s3, s3, s4
	s_andn2_b32 vcc_lo, exec_lo, s3
	s_cbranch_vccnz .LBB340_34
; %bb.33:
	v_lshlrev_b64 v[4:5], 4, v[8:9]
	v_add_co_u32 v4, vcc_lo, s1, v4
	v_add_co_ci_u32_e64 v5, null, s7, v5, vcc_lo
	flat_load_dwordx4 v[4:7], v[4:5]
	s_waitcnt vmcnt(0) lgkmcnt(0)
	v_mul_f64 v[10:11], s[10:11], v[6:7]
	v_mul_f64 v[6:7], s[8:9], v[6:7]
	v_fma_f64 v[10:11], s[8:9], v[4:5], -v[10:11]
	v_fma_f64 v[4:5], s[10:11], v[4:5], v[6:7]
	v_add_f64 v[0:1], v[0:1], v[10:11]
	v_add_f64 v[2:3], v[2:3], v[4:5]
.LBB340_34:
	s_or_b32 s3, s21, exec_lo
.LBB340_35:
	s_or_b32 exec_lo, exec_lo, s2
	s_andn2_b32 s2, s21, exec_lo
	s_and_b32 s3, s3, exec_lo
	s_or_b32 s21, s2, s3
.LBB340_36:
	s_or_b32 exec_lo, exec_lo, s0
.LBB340_37:
	s_and_saveexec_b32 s0, s21
	s_cbranch_execz .LBB340_39
; %bb.38:
	v_lshlrev_b64 v[4:5], 4, v[8:9]
	v_add_co_u32 v4, vcc_lo, s1, v4
	v_add_co_ci_u32_e64 v5, null, s7, v5, vcc_lo
	flat_store_dwordx4 v[4:5], v[0:3]
.LBB340_39:
	s_endpgm
	.section	.rodata,"a",@progbits
	.p2align	6, 0x0
	.amdhsa_kernel _ZL20rocblas_gemvn_kernelILi64ELi4EiPK19rocblas_complex_numIdES1_KPS1_EviiT3_lPKT2_lT1_lS9_lSA_lS6_lPT4_lSA_li
		.amdhsa_group_segment_fixed_size 4096
		.amdhsa_private_segment_fixed_size 0
		.amdhsa_kernarg_size 416
		.amdhsa_user_sgpr_count 6
		.amdhsa_user_sgpr_private_segment_buffer 1
		.amdhsa_user_sgpr_dispatch_ptr 0
		.amdhsa_user_sgpr_queue_ptr 0
		.amdhsa_user_sgpr_kernarg_segment_ptr 1
		.amdhsa_user_sgpr_dispatch_id 0
		.amdhsa_user_sgpr_flat_scratch_init 0
		.amdhsa_user_sgpr_private_segment_size 0
		.amdhsa_wavefront_size32 1
		.amdhsa_uses_dynamic_stack 0
		.amdhsa_system_sgpr_private_segment_wavefront_offset 0
		.amdhsa_system_sgpr_workgroup_id_x 1
		.amdhsa_system_sgpr_workgroup_id_y 0
		.amdhsa_system_sgpr_workgroup_id_z 1
		.amdhsa_system_sgpr_workgroup_info 0
		.amdhsa_system_vgpr_workitem_id 1
		.amdhsa_next_free_vgpr 21
		.amdhsa_next_free_sgpr 28
		.amdhsa_reserve_vcc 1
		.amdhsa_reserve_flat_scratch 0
		.amdhsa_float_round_mode_32 0
		.amdhsa_float_round_mode_16_64 0
		.amdhsa_float_denorm_mode_32 3
		.amdhsa_float_denorm_mode_16_64 3
		.amdhsa_dx10_clamp 1
		.amdhsa_ieee_mode 1
		.amdhsa_fp16_overflow 0
		.amdhsa_workgroup_processor_mode 1
		.amdhsa_memory_ordered 1
		.amdhsa_forward_progress 1
		.amdhsa_shared_vgpr_count 0
		.amdhsa_exception_fp_ieee_invalid_op 0
		.amdhsa_exception_fp_denorm_src 0
		.amdhsa_exception_fp_ieee_div_zero 0
		.amdhsa_exception_fp_ieee_overflow 0
		.amdhsa_exception_fp_ieee_underflow 0
		.amdhsa_exception_fp_ieee_inexact 0
		.amdhsa_exception_int_div_zero 0
	.end_amdhsa_kernel
	.section	.text._ZL20rocblas_gemvn_kernelILi64ELi4EiPK19rocblas_complex_numIdES1_KPS1_EviiT3_lPKT2_lT1_lS9_lSA_lS6_lPT4_lSA_li,"axG",@progbits,_ZL20rocblas_gemvn_kernelILi64ELi4EiPK19rocblas_complex_numIdES1_KPS1_EviiT3_lPKT2_lT1_lS9_lSA_lS6_lPT4_lSA_li,comdat
.Lfunc_end340:
	.size	_ZL20rocblas_gemvn_kernelILi64ELi4EiPK19rocblas_complex_numIdES1_KPS1_EviiT3_lPKT2_lT1_lS9_lSA_lS6_lPT4_lSA_li, .Lfunc_end340-_ZL20rocblas_gemvn_kernelILi64ELi4EiPK19rocblas_complex_numIdES1_KPS1_EviiT3_lPKT2_lT1_lS9_lSA_lS6_lPT4_lSA_li
                                        ; -- End function
	.set _ZL20rocblas_gemvn_kernelILi64ELi4EiPK19rocblas_complex_numIdES1_KPS1_EviiT3_lPKT2_lT1_lS9_lSA_lS6_lPT4_lSA_li.num_vgpr, 21
	.set _ZL20rocblas_gemvn_kernelILi64ELi4EiPK19rocblas_complex_numIdES1_KPS1_EviiT3_lPKT2_lT1_lS9_lSA_lS6_lPT4_lSA_li.num_agpr, 0
	.set _ZL20rocblas_gemvn_kernelILi64ELi4EiPK19rocblas_complex_numIdES1_KPS1_EviiT3_lPKT2_lT1_lS9_lSA_lS6_lPT4_lSA_li.numbered_sgpr, 28
	.set _ZL20rocblas_gemvn_kernelILi64ELi4EiPK19rocblas_complex_numIdES1_KPS1_EviiT3_lPKT2_lT1_lS9_lSA_lS6_lPT4_lSA_li.num_named_barrier, 0
	.set _ZL20rocblas_gemvn_kernelILi64ELi4EiPK19rocblas_complex_numIdES1_KPS1_EviiT3_lPKT2_lT1_lS9_lSA_lS6_lPT4_lSA_li.private_seg_size, 0
	.set _ZL20rocblas_gemvn_kernelILi64ELi4EiPK19rocblas_complex_numIdES1_KPS1_EviiT3_lPKT2_lT1_lS9_lSA_lS6_lPT4_lSA_li.uses_vcc, 1
	.set _ZL20rocblas_gemvn_kernelILi64ELi4EiPK19rocblas_complex_numIdES1_KPS1_EviiT3_lPKT2_lT1_lS9_lSA_lS6_lPT4_lSA_li.uses_flat_scratch, 0
	.set _ZL20rocblas_gemvn_kernelILi64ELi4EiPK19rocblas_complex_numIdES1_KPS1_EviiT3_lPKT2_lT1_lS9_lSA_lS6_lPT4_lSA_li.has_dyn_sized_stack, 0
	.set _ZL20rocblas_gemvn_kernelILi64ELi4EiPK19rocblas_complex_numIdES1_KPS1_EviiT3_lPKT2_lT1_lS9_lSA_lS6_lPT4_lSA_li.has_recursion, 0
	.set _ZL20rocblas_gemvn_kernelILi64ELi4EiPK19rocblas_complex_numIdES1_KPS1_EviiT3_lPKT2_lT1_lS9_lSA_lS6_lPT4_lSA_li.has_indirect_call, 0
	.section	.AMDGPU.csdata,"",@progbits
; Kernel info:
; codeLenInByte = 1624
; TotalNumSgprs: 30
; NumVgprs: 21
; ScratchSize: 0
; MemoryBound: 1
; FloatMode: 240
; IeeeMode: 1
; LDSByteSize: 4096 bytes/workgroup (compile time only)
; SGPRBlocks: 0
; VGPRBlocks: 2
; NumSGPRsForWavesPerEU: 30
; NumVGPRsForWavesPerEU: 21
; Occupancy: 16
; WaveLimiterHint : 1
; COMPUTE_PGM_RSRC2:SCRATCH_EN: 0
; COMPUTE_PGM_RSRC2:USER_SGPR: 6
; COMPUTE_PGM_RSRC2:TRAP_HANDLER: 0
; COMPUTE_PGM_RSRC2:TGID_X_EN: 1
; COMPUTE_PGM_RSRC2:TGID_Y_EN: 0
; COMPUTE_PGM_RSRC2:TGID_Z_EN: 1
; COMPUTE_PGM_RSRC2:TIDIG_COMP_CNT: 1
	.section	.text._ZL20rocblas_gemvn_kernelILi64ELi4ElPK19rocblas_complex_numIdES1_KPS1_EviiT3_lPKT2_lT1_lS9_lSA_lS6_lPT4_lSA_li,"axG",@progbits,_ZL20rocblas_gemvn_kernelILi64ELi4ElPK19rocblas_complex_numIdES1_KPS1_EviiT3_lPKT2_lT1_lS9_lSA_lS6_lPT4_lSA_li,comdat
	.globl	_ZL20rocblas_gemvn_kernelILi64ELi4ElPK19rocblas_complex_numIdES1_KPS1_EviiT3_lPKT2_lT1_lS9_lSA_lS6_lPT4_lSA_li ; -- Begin function _ZL20rocblas_gemvn_kernelILi64ELi4ElPK19rocblas_complex_numIdES1_KPS1_EviiT3_lPKT2_lT1_lS9_lSA_lS6_lPT4_lSA_li
	.p2align	8
	.type	_ZL20rocblas_gemvn_kernelILi64ELi4ElPK19rocblas_complex_numIdES1_KPS1_EviiT3_lPKT2_lT1_lS9_lSA_lS6_lPT4_lSA_li,@function
_ZL20rocblas_gemvn_kernelILi64ELi4ElPK19rocblas_complex_numIdES1_KPS1_EviiT3_lPKT2_lT1_lS9_lSA_lS6_lPT4_lSA_li: ; @_ZL20rocblas_gemvn_kernelILi64ELi4ElPK19rocblas_complex_numIdES1_KPS1_EviiT3_lPKT2_lT1_lS9_lSA_lS6_lPT4_lSA_li
; %bb.0:
	s_load_dwordx2 s[0:1], s[4:5], 0xac
	s_mov_b32 s20, s7
	s_waitcnt lgkmcnt(0)
	s_lshr_b32 s2, s0, 16
	s_and_b32 s7, s0, 0xffff
	s_and_b32 s0, s1, 0xffff
	s_mul_i32 s1, s2, s7
	s_mul_i32 s1, s1, s0
	s_cmpk_lg_i32 s1, 0x100
	s_cbranch_scc1 .LBB341_39
; %bb.1:
	s_clause 0x3
	s_load_dwordx4 s[12:15], s[4:5], 0x8
	s_load_dwordx4 s[0:3], s[4:5], 0x20
	s_load_dwordx2 s[16:17], s[4:5], 0x30
	s_load_dwordx4 s[8:11], s[4:5], 0x60
	s_mov_b64 s[18:19], 0
	s_mov_b32 s22, -1
	s_waitcnt lgkmcnt(0)
	v_cmp_neq_f64_e64 s21, s[12:13], 0
	v_cmp_neq_f64_e64 s23, s[14:15], 0
	s_or_b32 s24, s21, s23
	s_mov_b32 s21, 0
	s_and_b32 vcc_lo, exec_lo, s24
	s_mov_b64 s[26:27], s[20:21]
	s_mov_b32 s23, s21
	s_cbranch_vccnz .LBB341_4
; %bb.2:
	v_cmp_eq_f64_e64 s22, s[8:9], 1.0
	v_cmp_eq_f64_e64 s23, s[10:11], 0
                                        ; implicit-def: $sgpr26_sgpr27
	s_and_b32 s23, s22, s23
	s_mov_b32 s22, 0
	s_andn2_b32 vcc_lo, exec_lo, s23
	s_mov_b32 s23, 0
	s_cbranch_vccz .LBB341_4
; %bb.3:
	s_mov_b32 s27, 0
	s_mov_b32 s26, s20
	s_mov_b32 s23, -1
.LBB341_4:
	s_and_b32 vcc_lo, exec_lo, s22
	s_cbranch_vccz .LBB341_6
; %bb.5:
	s_lshl_b64 s[18:19], s[20:21], 3
	s_mov_b32 s23, -1
	s_add_u32 s0, s0, s18
	s_addc_u32 s1, s1, s19
	s_lshl_b64 s[2:3], s[2:3], 4
	s_load_dwordx2 s[0:1], s[0:1], 0x0
	s_waitcnt lgkmcnt(0)
	s_add_u32 s18, s0, s2
	s_addc_u32 s19, s1, s3
.LBB341_6:
	s_andn2_b32 vcc_lo, exec_lo, s23
	s_cbranch_vccnz .LBB341_39
; %bb.7:
	s_clause 0x1
	s_load_dwordx4 s[0:3], s[4:5], 0x40
	s_load_dwordx2 s[22:23], s[4:5], 0x50
	v_cndmask_b32_e64 v2, 0, 1, s24
	s_xor_b32 s28, s24, -1
	s_mov_b64 s[24:25], 0
	v_cmp_ne_u32_e32 vcc_lo, 1, v2
	s_cbranch_vccnz .LBB341_9
; %bb.8:
	s_lshl_b64 s[20:21], s[26:27], 3
	s_waitcnt lgkmcnt(0)
	s_add_u32 s0, s0, s20
	s_addc_u32 s1, s1, s21
	s_lshl_b64 s[2:3], s[2:3], 4
	s_load_dwordx2 s[0:1], s[0:1], 0x0
	s_waitcnt lgkmcnt(0)
	s_add_u32 s24, s0, s2
	s_addc_u32 s25, s1, s3
.LBB341_9:
	s_load_dwordx4 s[36:39], s[4:5], 0x78
	s_waitcnt lgkmcnt(0)
	s_lshl_b64 s[0:1], s[26:27], 3
	v_mad_u32_u24 v10, v1, s7, v0
	s_add_u32 s0, s36, s0
	s_addc_u32 s1, s37, s1
	s_load_dwordx2 s[26:27], s[0:1], 0x0
	s_clause 0x1
	s_load_dwordx2 s[20:21], s[4:5], 0x0
	s_load_dwordx2 s[2:3], s[4:5], 0x88
	s_lshl_b64 s[4:5], s[38:39], 4
	v_cmp_gt_u32_e64 s0, 64, v10
	s_waitcnt lgkmcnt(0)
	s_add_u32 s26, s26, s4
	s_addc_u32 s27, s27, s5
	s_andn2_b32 vcc_lo, exec_lo, s28
	s_cbranch_vccnz .LBB341_16
; %bb.10:
	s_mov_b32 s1, 0
	s_mov_b32 s28, 0
                                        ; implicit-def: $vgpr2_vgpr3
                                        ; implicit-def: $vgpr8_vgpr9
	s_and_saveexec_b32 s4, s0
	s_cbranch_execz .LBB341_17
; %bb.11:
	v_lshl_or_b32 v0, s6, 6, v10
	v_mov_b32_e32 v1, 0
	s_ashr_i32 s29, s20, 31
	s_mov_b32 s28, s20
	s_mov_b32 s5, 0
                                        ; implicit-def: $vgpr8_vgpr9
	v_cmp_gt_i64_e32 vcc_lo, s[28:29], v[0:1]
                                        ; implicit-def: $vgpr2_vgpr3
	s_and_saveexec_b32 s0, vcc_lo
	s_cbranch_execz .LBB341_15
; %bb.12:
	v_cmp_neq_f64_e64 s5, s[8:9], 0
	v_cmp_neq_f64_e64 s7, s[10:11], 0
	v_mad_u64_u32 v[8:9], null, s2, v0, 0
	v_mov_b32_e32 v1, v9
	v_mad_u64_u32 v[4:5], null, s3, v0, v[1:2]
	v_mov_b32_e32 v2, 0
	v_mov_b32_e32 v0, 0
	;; [unrolled: 1-line block ×5, first 2 shown]
	s_or_b32 s5, s5, s7
	s_andn2_b32 vcc_lo, exec_lo, s5
	s_cbranch_vccnz .LBB341_14
; %bb.13:
	v_lshlrev_b64 v[0:1], 4, v[8:9]
	v_add_co_u32 v0, vcc_lo, s26, v0
	v_add_co_ci_u32_e64 v1, null, s27, v1, vcc_lo
	flat_load_dwordx4 v[2:5], v[0:1]
	s_waitcnt vmcnt(0) lgkmcnt(0)
	v_mul_f64 v[0:1], s[10:11], v[4:5]
	v_mul_f64 v[4:5], s[8:9], v[4:5]
	v_fma_f64 v[0:1], s[8:9], v[2:3], -v[0:1]
	v_fma_f64 v[2:3], s[10:11], v[2:3], v[4:5]
.LBB341_14:
	s_mov_b32 s5, exec_lo
.LBB341_15:
	s_or_b32 exec_lo, exec_lo, s0
	s_and_b32 s28, s5, exec_lo
	s_or_b32 exec_lo, exec_lo, s4
	s_and_b32 vcc_lo, exec_lo, s1
	s_cbranch_vccnz .LBB341_18
	s_branch .LBB341_37
.LBB341_16:
	s_mov_b32 s28, 0
                                        ; implicit-def: $vgpr2_vgpr3
                                        ; implicit-def: $vgpr8_vgpr9
	s_cbranch_execnz .LBB341_18
	s_branch .LBB341_37
.LBB341_17:
	s_or_b32 exec_lo, exec_lo, s4
	s_and_b32 vcc_lo, exec_lo, s1
	s_cbranch_vccz .LBB341_37
.LBB341_18:
	v_and_b32_e32 v4, 63, v10
	s_ashr_i32 s0, s21, 31
	s_lshl_b32 s29, s6, 6
	s_lshr_b32 s0, s0, 30
	v_mov_b32_e32 v2, 0
	v_mov_b32_e32 v0, 0
	v_lshrrev_b32_e32 v9, 6, v10
	v_or_b32_e32 v8, s29, v4
	v_mov_b32_e32 v3, 0
	v_mov_b32_e32 v1, 0
	s_add_i32 s0, s21, s0
	s_mov_b32 s31, exec_lo
	s_and_b32 s30, s0, -4
	v_cmpx_gt_i32_e64 s30, v9
	s_cbranch_execz .LBB341_24
; %bb.19:
	v_lshrrev_b32_e32 v11, 6, v10
	v_add_nc_u32_e32 v3, s29, v4
	s_lshl_b64 s[4:5], s[22:23], 6
	s_lshl_b64 s[6:7], s[16:17], 6
	s_mov_b32 s33, 0
	v_mad_u64_u32 v[5:6], null, s22, v11, 0
	v_mad_u64_u32 v[0:1], null, s16, v11, 0
	v_ashrrev_i32_e32 v4, 31, v3
	v_cmp_gt_i32_e32 vcc_lo, s20, v8
	v_mov_b32_e32 v2, v6
	v_mad_u64_u32 v[6:7], null, s17, v11, v[1:2]
	v_mad_u64_u32 v[11:12], null, s23, v11, v[2:3]
	v_lshlrev_b64 v[12:13], 4, v[3:4]
	v_mov_b32_e32 v2, 0
	v_mov_b32_e32 v3, 0
	;; [unrolled: 1-line block ×4, first 2 shown]
	v_lshlrev_b64 v[0:1], 4, v[0:1]
	v_lshlrev_b64 v[4:5], 4, v[5:6]
	v_add_co_u32 v0, s0, v0, v12
	v_add_co_ci_u32_e64 v1, null, v1, v13, s0
	v_add_co_u32 v4, s0, s24, v4
	v_add_co_ci_u32_e64 v5, null, s25, v5, s0
	;; [unrolled: 2-line block ×3, first 2 shown]
	v_mov_b32_e32 v0, v2
	v_mov_b32_e32 v1, v3
	s_inst_prefetch 0x1
	s_branch .LBB341_21
	.p2align	6
.LBB341_20:                             ;   in Loop: Header=BB341_21 Depth=1
	s_or_b32 exec_lo, exec_lo, s0
	v_add_nc_u32_e32 v9, 4, v9
	v_add_co_u32 v4, s0, v4, s4
	v_add_co_ci_u32_e64 v5, null, s5, v5, s0
	v_cmp_le_i32_e64 s0, s30, v9
	v_add_co_u32 v6, s1, v6, s6
	v_add_co_ci_u32_e64 v7, null, s7, v7, s1
	s_or_b32 s33, s0, s33
	s_andn2_b32 exec_lo, exec_lo, s33
	s_cbranch_execz .LBB341_23
.LBB341_21:                             ; =>This Inner Loop Header: Depth=1
	s_and_saveexec_b32 s0, vcc_lo
	s_cbranch_execz .LBB341_20
; %bb.22:                               ;   in Loop: Header=BB341_21 Depth=1
	flat_load_dwordx4 v[11:14], v[4:5]
	flat_load_dwordx4 v[15:18], v[6:7]
	s_waitcnt vmcnt(0) lgkmcnt(0)
	v_mul_f64 v[19:20], v[13:14], v[17:18]
	v_mul_f64 v[17:18], v[11:12], v[17:18]
	v_fma_f64 v[11:12], v[11:12], v[15:16], -v[19:20]
	v_fma_f64 v[13:14], v[13:14], v[15:16], v[17:18]
	v_add_f64 v[0:1], v[0:1], v[11:12]
	v_add_f64 v[2:3], v[2:3], v[13:14]
	s_branch .LBB341_20
.LBB341_23:
	s_inst_prefetch 0x2
	s_or_b32 exec_lo, exec_lo, s33
.LBB341_24:
	s_or_b32 exec_lo, exec_lo, s31
	s_sub_i32 s0, s21, s30
	s_cmp_lt_i32 s0, 1
	s_cbranch_scc1 .LBB341_30
; %bb.25:
	v_mov_b32_e32 v4, 0
	v_mov_b32_e32 v6, 0
	;; [unrolled: 1-line block ×4, first 2 shown]
	v_cmp_gt_i32_e32 vcc_lo, s21, v9
	s_and_saveexec_b32 s1, vcc_lo
	s_cbranch_execz .LBB341_27
; %bb.26:
	v_mad_u64_u32 v[4:5], null, s22, v9, 0
	v_mad_u64_u32 v[5:6], null, s23, v9, v[5:6]
	v_lshlrev_b64 v[4:5], 4, v[4:5]
	v_add_co_u32 v4, s0, s24, v4
	v_add_co_ci_u32_e64 v5, null, s25, v5, s0
	flat_load_dwordx4 v[4:7], v[4:5]
.LBB341_27:
	s_or_b32 exec_lo, exec_lo, s1
	s_mov_b32 s1, exec_lo
	v_cmpx_gt_i32_e64 s20, v8
	s_cbranch_execz .LBB341_29
; %bb.28:
	v_mad_u64_u32 v[11:12], null, s16, v9, 0
	v_mad_u64_u32 v[12:13], null, s17, v9, v[12:13]
	v_cndmask_b32_e32 v11, 0, v11, vcc_lo
	v_ashrrev_i32_e32 v9, 31, v8
	v_lshlrev_b64 v[8:9], 4, v[8:9]
	v_cndmask_b32_e32 v12, 0, v12, vcc_lo
	v_lshlrev_b64 v[11:12], 4, v[11:12]
	v_add_co_u32 v11, vcc_lo, s18, v11
	v_add_co_ci_u32_e64 v12, null, s19, v12, vcc_lo
	v_add_co_u32 v8, vcc_lo, v11, v8
	v_add_co_ci_u32_e64 v9, null, v12, v9, vcc_lo
	flat_load_dwordx4 v[11:14], v[8:9]
	s_waitcnt vmcnt(0) lgkmcnt(0)
	v_mul_f64 v[8:9], v[6:7], v[13:14]
	v_mul_f64 v[13:14], v[4:5], v[13:14]
	v_fma_f64 v[4:5], v[4:5], v[11:12], -v[8:9]
	v_fma_f64 v[6:7], v[6:7], v[11:12], v[13:14]
	v_add_f64 v[0:1], v[0:1], v[4:5]
	v_add_f64 v[2:3], v[2:3], v[6:7]
.LBB341_29:
	s_or_b32 exec_lo, exec_lo, s1
.LBB341_30:
	v_lshlrev_b32_e32 v11, 4, v10
	s_mov_b32 s0, exec_lo
                                        ; implicit-def: $vgpr8_vgpr9
	ds_write_b128 v11, v[0:3]
	s_waitcnt vmcnt(0) lgkmcnt(0)
	s_barrier
	buffer_gl0_inv
                                        ; implicit-def: $vgpr2_vgpr3
	v_cmpx_gt_u32_e32 64, v10
	s_cbranch_execz .LBB341_36
; %bb.31:
	ds_read_b128 v[0:3], v11
	ds_read_b128 v[4:7], v11 offset:1024
	v_or_b32_e32 v10, s29, v10
	s_mov_b32 s4, s28
	s_mov_b32 s1, exec_lo
	s_waitcnt lgkmcnt(0)
	v_add_f64 v[8:9], v[0:1], v[4:5]
	v_add_f64 v[12:13], v[2:3], v[6:7]
	ds_read_b128 v[0:3], v11 offset:2048
	ds_read_b128 v[4:7], v11 offset:3072
	s_waitcnt lgkmcnt(1)
	v_add_f64 v[0:1], v[8:9], v[0:1]
	v_add_f64 v[2:3], v[12:13], v[2:3]
                                        ; implicit-def: $vgpr8_vgpr9
	s_waitcnt lgkmcnt(0)
	v_add_f64 v[4:5], v[0:1], v[4:5]
	v_add_f64 v[6:7], v[2:3], v[6:7]
                                        ; implicit-def: $vgpr2_vgpr3
	ds_write_b128 v11, v[4:7]
	v_cmpx_gt_i32_e64 s20, v10
	s_cbranch_execz .LBB341_35
; %bb.32:
	v_mul_f64 v[0:1], s[14:15], v[6:7]
	v_mul_f64 v[2:3], s[12:13], v[6:7]
	v_cmp_neq_f64_e64 s4, s[8:9], 0
	v_cmp_neq_f64_e64 s5, s[10:11], 0
	v_mad_u64_u32 v[8:9], null, s2, v10, 0
	v_fma_f64 v[0:1], s[12:13], v[4:5], -v[0:1]
	v_fma_f64 v[2:3], s[14:15], v[4:5], v[2:3]
	v_ashrrev_i32_e32 v4, 31, v10
	v_mul_lo_u32 v5, s3, v10
	v_mul_lo_u32 v4, s2, v4
	s_or_b32 s2, s4, s5
	s_andn2_b32 vcc_lo, exec_lo, s2
	v_add3_u32 v9, v9, v4, v5
	s_cbranch_vccnz .LBB341_34
; %bb.33:
	v_lshlrev_b64 v[4:5], 4, v[8:9]
	v_add_co_u32 v4, vcc_lo, s26, v4
	v_add_co_ci_u32_e64 v5, null, s27, v5, vcc_lo
	flat_load_dwordx4 v[4:7], v[4:5]
	s_waitcnt vmcnt(0) lgkmcnt(0)
	v_mul_f64 v[10:11], s[10:11], v[6:7]
	v_mul_f64 v[6:7], s[8:9], v[6:7]
	v_fma_f64 v[10:11], s[8:9], v[4:5], -v[10:11]
	v_fma_f64 v[4:5], s[10:11], v[4:5], v[6:7]
	v_add_f64 v[0:1], v[0:1], v[10:11]
	v_add_f64 v[2:3], v[2:3], v[4:5]
.LBB341_34:
	s_or_b32 s4, s28, exec_lo
.LBB341_35:
	s_or_b32 exec_lo, exec_lo, s1
	s_andn2_b32 s1, s28, exec_lo
	s_and_b32 s2, s4, exec_lo
	s_or_b32 s28, s1, s2
.LBB341_36:
	s_or_b32 exec_lo, exec_lo, s0
.LBB341_37:
	s_and_saveexec_b32 s0, s28
	s_cbranch_execz .LBB341_39
; %bb.38:
	v_lshlrev_b64 v[4:5], 4, v[8:9]
	v_add_co_u32 v4, vcc_lo, s26, v4
	v_add_co_ci_u32_e64 v5, null, s27, v5, vcc_lo
	flat_store_dwordx4 v[4:5], v[0:3]
.LBB341_39:
	s_endpgm
	.section	.rodata,"a",@progbits
	.p2align	6, 0x0
	.amdhsa_kernel _ZL20rocblas_gemvn_kernelILi64ELi4ElPK19rocblas_complex_numIdES1_KPS1_EviiT3_lPKT2_lT1_lS9_lSA_lS6_lPT4_lSA_li
		.amdhsa_group_segment_fixed_size 4096
		.amdhsa_private_segment_fixed_size 0
		.amdhsa_kernarg_size 416
		.amdhsa_user_sgpr_count 6
		.amdhsa_user_sgpr_private_segment_buffer 1
		.amdhsa_user_sgpr_dispatch_ptr 0
		.amdhsa_user_sgpr_queue_ptr 0
		.amdhsa_user_sgpr_kernarg_segment_ptr 1
		.amdhsa_user_sgpr_dispatch_id 0
		.amdhsa_user_sgpr_flat_scratch_init 0
		.amdhsa_user_sgpr_private_segment_size 0
		.amdhsa_wavefront_size32 1
		.amdhsa_uses_dynamic_stack 0
		.amdhsa_system_sgpr_private_segment_wavefront_offset 0
		.amdhsa_system_sgpr_workgroup_id_x 1
		.amdhsa_system_sgpr_workgroup_id_y 0
		.amdhsa_system_sgpr_workgroup_id_z 1
		.amdhsa_system_sgpr_workgroup_info 0
		.amdhsa_system_vgpr_workitem_id 1
		.amdhsa_next_free_vgpr 21
		.amdhsa_next_free_sgpr 40
		.amdhsa_reserve_vcc 1
		.amdhsa_reserve_flat_scratch 0
		.amdhsa_float_round_mode_32 0
		.amdhsa_float_round_mode_16_64 0
		.amdhsa_float_denorm_mode_32 3
		.amdhsa_float_denorm_mode_16_64 3
		.amdhsa_dx10_clamp 1
		.amdhsa_ieee_mode 1
		.amdhsa_fp16_overflow 0
		.amdhsa_workgroup_processor_mode 1
		.amdhsa_memory_ordered 1
		.amdhsa_forward_progress 1
		.amdhsa_shared_vgpr_count 0
		.amdhsa_exception_fp_ieee_invalid_op 0
		.amdhsa_exception_fp_denorm_src 0
		.amdhsa_exception_fp_ieee_div_zero 0
		.amdhsa_exception_fp_ieee_overflow 0
		.amdhsa_exception_fp_ieee_underflow 0
		.amdhsa_exception_fp_ieee_inexact 0
		.amdhsa_exception_int_div_zero 0
	.end_amdhsa_kernel
	.section	.text._ZL20rocblas_gemvn_kernelILi64ELi4ElPK19rocblas_complex_numIdES1_KPS1_EviiT3_lPKT2_lT1_lS9_lSA_lS6_lPT4_lSA_li,"axG",@progbits,_ZL20rocblas_gemvn_kernelILi64ELi4ElPK19rocblas_complex_numIdES1_KPS1_EviiT3_lPKT2_lT1_lS9_lSA_lS6_lPT4_lSA_li,comdat
.Lfunc_end341:
	.size	_ZL20rocblas_gemvn_kernelILi64ELi4ElPK19rocblas_complex_numIdES1_KPS1_EviiT3_lPKT2_lT1_lS9_lSA_lS6_lPT4_lSA_li, .Lfunc_end341-_ZL20rocblas_gemvn_kernelILi64ELi4ElPK19rocblas_complex_numIdES1_KPS1_EviiT3_lPKT2_lT1_lS9_lSA_lS6_lPT4_lSA_li
                                        ; -- End function
	.set _ZL20rocblas_gemvn_kernelILi64ELi4ElPK19rocblas_complex_numIdES1_KPS1_EviiT3_lPKT2_lT1_lS9_lSA_lS6_lPT4_lSA_li.num_vgpr, 21
	.set _ZL20rocblas_gemvn_kernelILi64ELi4ElPK19rocblas_complex_numIdES1_KPS1_EviiT3_lPKT2_lT1_lS9_lSA_lS6_lPT4_lSA_li.num_agpr, 0
	.set _ZL20rocblas_gemvn_kernelILi64ELi4ElPK19rocblas_complex_numIdES1_KPS1_EviiT3_lPKT2_lT1_lS9_lSA_lS6_lPT4_lSA_li.numbered_sgpr, 40
	.set _ZL20rocblas_gemvn_kernelILi64ELi4ElPK19rocblas_complex_numIdES1_KPS1_EviiT3_lPKT2_lT1_lS9_lSA_lS6_lPT4_lSA_li.num_named_barrier, 0
	.set _ZL20rocblas_gemvn_kernelILi64ELi4ElPK19rocblas_complex_numIdES1_KPS1_EviiT3_lPKT2_lT1_lS9_lSA_lS6_lPT4_lSA_li.private_seg_size, 0
	.set _ZL20rocblas_gemvn_kernelILi64ELi4ElPK19rocblas_complex_numIdES1_KPS1_EviiT3_lPKT2_lT1_lS9_lSA_lS6_lPT4_lSA_li.uses_vcc, 1
	.set _ZL20rocblas_gemvn_kernelILi64ELi4ElPK19rocblas_complex_numIdES1_KPS1_EviiT3_lPKT2_lT1_lS9_lSA_lS6_lPT4_lSA_li.uses_flat_scratch, 0
	.set _ZL20rocblas_gemvn_kernelILi64ELi4ElPK19rocblas_complex_numIdES1_KPS1_EviiT3_lPKT2_lT1_lS9_lSA_lS6_lPT4_lSA_li.has_dyn_sized_stack, 0
	.set _ZL20rocblas_gemvn_kernelILi64ELi4ElPK19rocblas_complex_numIdES1_KPS1_EviiT3_lPKT2_lT1_lS9_lSA_lS6_lPT4_lSA_li.has_recursion, 0
	.set _ZL20rocblas_gemvn_kernelILi64ELi4ElPK19rocblas_complex_numIdES1_KPS1_EviiT3_lPKT2_lT1_lS9_lSA_lS6_lPT4_lSA_li.has_indirect_call, 0
	.section	.AMDGPU.csdata,"",@progbits
; Kernel info:
; codeLenInByte = 1708
; TotalNumSgprs: 42
; NumVgprs: 21
; ScratchSize: 0
; MemoryBound: 1
; FloatMode: 240
; IeeeMode: 1
; LDSByteSize: 4096 bytes/workgroup (compile time only)
; SGPRBlocks: 0
; VGPRBlocks: 2
; NumSGPRsForWavesPerEU: 42
; NumVGPRsForWavesPerEU: 21
; Occupancy: 16
; WaveLimiterHint : 1
; COMPUTE_PGM_RSRC2:SCRATCH_EN: 0
; COMPUTE_PGM_RSRC2:USER_SGPR: 6
; COMPUTE_PGM_RSRC2:TRAP_HANDLER: 0
; COMPUTE_PGM_RSRC2:TGID_X_EN: 1
; COMPUTE_PGM_RSRC2:TGID_Y_EN: 0
; COMPUTE_PGM_RSRC2:TGID_Z_EN: 1
; COMPUTE_PGM_RSRC2:TIDIG_COMP_CNT: 1
	.section	.text._ZL20rocblas_gemvn_kernelILi32ELi16EiPK19rocblas_complex_numIdES3_KPS1_EviiT3_lPKT2_lT1_lS9_lSA_lS6_lPT4_lSA_li,"axG",@progbits,_ZL20rocblas_gemvn_kernelILi32ELi16EiPK19rocblas_complex_numIdES3_KPS1_EviiT3_lPKT2_lT1_lS9_lSA_lS6_lPT4_lSA_li,comdat
	.globl	_ZL20rocblas_gemvn_kernelILi32ELi16EiPK19rocblas_complex_numIdES3_KPS1_EviiT3_lPKT2_lT1_lS9_lSA_lS6_lPT4_lSA_li ; -- Begin function _ZL20rocblas_gemvn_kernelILi32ELi16EiPK19rocblas_complex_numIdES3_KPS1_EviiT3_lPKT2_lT1_lS9_lSA_lS6_lPT4_lSA_li
	.p2align	8
	.type	_ZL20rocblas_gemvn_kernelILi32ELi16EiPK19rocblas_complex_numIdES3_KPS1_EviiT3_lPKT2_lT1_lS9_lSA_lS6_lPT4_lSA_li,@function
_ZL20rocblas_gemvn_kernelILi32ELi16EiPK19rocblas_complex_numIdES3_KPS1_EviiT3_lPKT2_lT1_lS9_lSA_lS6_lPT4_lSA_li: ; @_ZL20rocblas_gemvn_kernelILi32ELi16EiPK19rocblas_complex_numIdES3_KPS1_EviiT3_lPKT2_lT1_lS9_lSA_lS6_lPT4_lSA_li
; %bb.0:
	s_load_dwordx2 s[2:3], s[4:5], 0x9c
	s_mov_b32 s0, s7
	s_waitcnt lgkmcnt(0)
	s_lshr_b32 s1, s2, 16
	s_and_b32 s7, s2, 0xffff
	s_and_b32 s2, s3, 0xffff
	s_mul_i32 s1, s1, s7
	s_mul_i32 s1, s1, s2
	s_cmpk_lg_i32 s1, 0x200
	s_cbranch_scc1 .LBB342_4
; %bb.1:
	s_clause 0x1
	s_load_dwordx8 s[16:23], s[4:5], 0x8
	s_load_dwordx8 s[8:15], s[4:5], 0x58
	s_mov_b64 s[24:25], 0
	s_waitcnt lgkmcnt(0)
	s_mul_i32 s1, s19, s0
	s_mul_hi_u32 s3, s18, s0
	s_mul_i32 s2, s18, s0
	s_add_i32 s3, s3, s1
	s_mul_i32 s1, s11, s0
	s_lshl_b64 s[2:3], s[2:3], 4
	s_add_u32 s2, s16, s2
	s_addc_u32 s3, s17, s3
	s_load_dwordx4 s[16:19], s[2:3], 0x0
	s_mul_hi_u32 s2, s10, s0
	s_add_i32 s3, s2, s1
	s_mul_i32 s2, s10, s0
	s_mov_b32 s1, 0
	s_lshl_b64 s[2:3], s[2:3], 4
	s_add_u32 s2, s8, s2
	s_addc_u32 s3, s9, s3
	s_load_dwordx4 s[8:11], s[2:3], 0x0
	s_mov_b32 s3, s1
	s_waitcnt lgkmcnt(0)
	v_cmp_neq_f64_e64 s26, s[16:17], 0
	v_cmp_neq_f64_e64 s27, s[18:19], 0
	s_or_b32 s2, s26, s27
	s_mov_b32 s26, -1
	s_and_b32 vcc_lo, exec_lo, s2
	s_cbranch_vccz .LBB342_5
; %bb.2:
	s_andn2_b32 vcc_lo, exec_lo, s26
	s_cbranch_vccz .LBB342_6
.LBB342_3:
	s_andn2_b32 vcc_lo, exec_lo, s3
	s_cbranch_vccz .LBB342_7
.LBB342_4:
	s_endpgm
.LBB342_5:
	v_cmp_neq_f64_e64 s3, s[8:9], 1.0
	v_cmp_neq_f64_e64 s26, s[10:11], 0
	s_or_b32 s3, s3, s26
	s_cbranch_execnz .LBB342_3
.LBB342_6:
	s_lshl_b64 s[24:25], s[0:1], 3
	s_add_u32 s20, s20, s24
	s_addc_u32 s21, s21, s25
	s_lshl_b64 s[22:23], s[22:23], 4
	s_load_dwordx2 s[20:21], s[20:21], 0x0
	s_waitcnt lgkmcnt(0)
	s_add_u32 s24, s20, s22
	s_addc_u32 s25, s21, s23
.LBB342_7:
	v_cndmask_b32_e64 v2, 0, 1, s2
	s_xor_b32 s22, s2, -1
	s_mov_b64 s[20:21], 0
	v_cmp_ne_u32_e32 vcc_lo, 1, v2
	s_cbranch_vccnz .LBB342_9
; %bb.8:
	s_load_dwordx4 s[28:31], s[4:5], 0x38
	s_lshl_b64 s[2:3], s[0:1], 3
	s_waitcnt lgkmcnt(0)
	s_add_u32 s2, s28, s2
	s_addc_u32 s3, s29, s3
	s_lshl_b64 s[20:21], s[30:31], 4
	s_load_dwordx2 s[2:3], s[2:3], 0x0
	s_waitcnt lgkmcnt(0)
	s_add_u32 s20, s2, s20
	s_addc_u32 s21, s3, s21
.LBB342_9:
	s_lshl_b64 s[0:1], s[0:1], 3
	v_mad_u32_u24 v10, v1, s7, v0
	s_add_u32 s0, s12, s0
	s_addc_u32 s1, s13, s1
	s_lshl_b64 s[14:15], s[14:15], 4
	s_load_dwordx2 s[26:27], s[0:1], 0x0
	s_clause 0x1
	s_load_dwordx2 s[2:3], s[4:5], 0x0
	s_load_dword s12, s[4:5], 0x78
	v_cmp_gt_u32_e64 s0, 32, v10
	s_waitcnt lgkmcnt(0)
	s_add_u32 s1, s26, s14
	s_addc_u32 s7, s27, s15
	s_andn2_b32 vcc_lo, exec_lo, s22
	s_cbranch_vccnz .LBB342_16
; %bb.10:
	s_mov_b32 s14, 0
	s_mov_b32 s13, 0
                                        ; implicit-def: $vgpr2_vgpr3
                                        ; implicit-def: $vgpr8_vgpr9
	s_and_saveexec_b32 s15, s0
	s_cbranch_execz .LBB342_17
; %bb.11:
	v_lshl_or_b32 v0, s6, 5, v10
	v_mov_b32_e32 v1, 0
	s_ashr_i32 s23, s2, 31
	s_mov_b32 s22, s2
                                        ; implicit-def: $vgpr8_vgpr9
	v_cmp_gt_i64_e32 vcc_lo, s[22:23], v[0:1]
                                        ; implicit-def: $vgpr2_vgpr3
	s_and_saveexec_b32 s0, vcc_lo
	s_cbranch_execz .LBB342_15
; %bb.12:
	v_cmp_neq_f64_e64 s13, s[8:9], 0
	v_cmp_neq_f64_e64 s22, s[10:11], 0
	v_mad_u64_u32 v[8:9], null, v0, s12, 0
	s_ashr_i32 s23, s12, 31
	v_mov_b32_e32 v1, v9
	v_mad_u64_u32 v[4:5], null, v0, s23, v[1:2]
	v_mov_b32_e32 v2, 0
	v_mov_b32_e32 v0, 0
	;; [unrolled: 1-line block ×5, first 2 shown]
	s_or_b32 s13, s13, s22
	s_andn2_b32 vcc_lo, exec_lo, s13
	s_cbranch_vccnz .LBB342_14
; %bb.13:
	v_lshlrev_b64 v[0:1], 4, v[8:9]
	v_add_co_u32 v0, vcc_lo, s1, v0
	v_add_co_ci_u32_e64 v1, null, s7, v1, vcc_lo
	flat_load_dwordx4 v[2:5], v[0:1]
	s_waitcnt vmcnt(0) lgkmcnt(0)
	v_mul_f64 v[0:1], s[10:11], v[4:5]
	v_mul_f64 v[4:5], s[8:9], v[4:5]
	v_fma_f64 v[0:1], s[8:9], v[2:3], -v[0:1]
	v_fma_f64 v[2:3], s[10:11], v[2:3], v[4:5]
.LBB342_14:
	s_mov_b32 s13, exec_lo
.LBB342_15:
	s_or_b32 exec_lo, exec_lo, s0
	s_and_b32 s13, s13, exec_lo
	s_or_b32 exec_lo, exec_lo, s15
	s_and_b32 vcc_lo, exec_lo, s14
	s_cbranch_vccnz .LBB342_18
	s_branch .LBB342_37
.LBB342_16:
	s_mov_b32 s13, 0
                                        ; implicit-def: $vgpr2_vgpr3
                                        ; implicit-def: $vgpr8_vgpr9
	s_cbranch_execnz .LBB342_18
	s_branch .LBB342_37
.LBB342_17:
	s_or_b32 exec_lo, exec_lo, s15
	s_and_b32 vcc_lo, exec_lo, s14
	s_cbranch_vccz .LBB342_37
.LBB342_18:
	s_clause 0x1
	s_load_dword s14, s[4:5], 0x28
	s_load_dword s5, s[4:5], 0x48
	v_and_b32_e32 v5, 31, v10
	s_ashr_i32 s0, s3, 31
	s_lshl_b32 s4, s6, 5
	s_lshr_b32 s0, s0, 28
	v_mov_b32_e32 v2, 0
	v_mov_b32_e32 v0, 0
	v_lshrrev_b32_e32 v8, 5, v10
	v_or_b32_e32 v9, s4, v5
	v_mov_b32_e32 v3, 0
	v_mov_b32_e32 v1, 0
	s_add_i32 s0, s3, s0
	s_mov_b32 s15, exec_lo
	s_and_b32 s6, s0, -16
	v_cmpx_gt_i32_e64 s6, v8
	s_cbranch_execz .LBB342_24
; %bb.19:
	s_waitcnt lgkmcnt(0)
	v_mul_lo_u32 v0, s14, v8
	v_mov_b32_e32 v2, 0
	v_mov_b32_e32 v3, 0
	v_mul_lo_u32 v4, s5, v8
	s_lshl_b32 s22, s5, 4
	s_lshl_b32 s26, s14, 4
	s_mov_b32 s23, 0
	v_cmp_gt_i32_e32 vcc_lo, s2, v9
	v_add3_u32 v6, v0, s4, v5
	v_mov_b32_e32 v0, v2
	v_mov_b32_e32 v1, v3
	s_inst_prefetch 0x1
	s_branch .LBB342_21
	.p2align	6
.LBB342_20:                             ;   in Loop: Header=BB342_21 Depth=1
	s_or_b32 exec_lo, exec_lo, s27
	v_add_nc_u32_e32 v8, 16, v8
	v_add_nc_u32_e32 v4, s22, v4
	;; [unrolled: 1-line block ×3, first 2 shown]
	v_cmp_le_i32_e64 s0, s6, v8
	s_or_b32 s23, s0, s23
	s_andn2_b32 exec_lo, exec_lo, s23
	s_cbranch_execz .LBB342_23
.LBB342_21:                             ; =>This Inner Loop Header: Depth=1
	s_and_saveexec_b32 s27, vcc_lo
	s_cbranch_execz .LBB342_20
; %bb.22:                               ;   in Loop: Header=BB342_21 Depth=1
	v_ashrrev_i32_e32 v5, 31, v4
	v_ashrrev_i32_e32 v7, 31, v6
	v_lshlrev_b64 v[11:12], 4, v[4:5]
	v_lshlrev_b64 v[13:14], 4, v[6:7]
	v_add_co_u32 v11, s0, s20, v11
	v_add_co_ci_u32_e64 v12, null, s21, v12, s0
	v_add_co_u32 v15, s0, s24, v13
	v_add_co_ci_u32_e64 v16, null, s25, v14, s0
	flat_load_dwordx4 v[11:14], v[11:12]
	flat_load_dwordx4 v[15:18], v[15:16]
	s_waitcnt vmcnt(0) lgkmcnt(0)
	v_mul_f64 v[19:20], v[13:14], v[17:18]
	v_mul_f64 v[17:18], v[11:12], v[17:18]
	v_fma_f64 v[11:12], v[11:12], v[15:16], -v[19:20]
	v_fma_f64 v[13:14], v[13:14], v[15:16], v[17:18]
	v_add_f64 v[0:1], v[0:1], v[11:12]
	v_add_f64 v[2:3], v[2:3], v[13:14]
	s_branch .LBB342_20
.LBB342_23:
	s_inst_prefetch 0x2
	s_or_b32 exec_lo, exec_lo, s23
.LBB342_24:
	s_or_b32 exec_lo, exec_lo, s15
	s_sub_i32 s0, s3, s6
	s_cmp_lt_i32 s0, 1
	s_cbranch_scc1 .LBB342_30
; %bb.25:
	v_mov_b32_e32 v4, 0
	v_mov_b32_e32 v6, 0
	;; [unrolled: 1-line block ×4, first 2 shown]
	v_cmp_gt_i32_e32 vcc_lo, s3, v8
	s_and_saveexec_b32 s3, vcc_lo
	s_cbranch_execz .LBB342_27
; %bb.26:
	s_waitcnt lgkmcnt(0)
	v_mul_lo_u32 v4, v8, s5
	v_ashrrev_i32_e32 v5, 31, v4
	v_lshlrev_b64 v[4:5], 4, v[4:5]
	v_add_co_u32 v4, s0, s20, v4
	v_add_co_ci_u32_e64 v5, null, s21, v5, s0
	flat_load_dwordx4 v[4:7], v[4:5]
.LBB342_27:
	s_or_b32 exec_lo, exec_lo, s3
	s_mov_b32 s3, exec_lo
	v_cmpx_gt_i32_e64 s2, v9
	s_cbranch_execz .LBB342_29
; %bb.28:
	s_waitcnt lgkmcnt(0)
	v_mul_lo_u32 v8, v8, s14
	v_cndmask_b32_e32 v8, 0, v8, vcc_lo
	v_add_nc_u32_e32 v8, v8, v9
	v_ashrrev_i32_e32 v9, 31, v8
	v_lshlrev_b64 v[8:9], 4, v[8:9]
	v_add_co_u32 v8, vcc_lo, s24, v8
	v_add_co_ci_u32_e64 v9, null, s25, v9, vcc_lo
	flat_load_dwordx4 v[11:14], v[8:9]
	s_waitcnt vmcnt(0) lgkmcnt(0)
	v_mul_f64 v[8:9], v[6:7], v[13:14]
	v_mul_f64 v[13:14], v[4:5], v[13:14]
	v_fma_f64 v[4:5], v[4:5], v[11:12], -v[8:9]
	v_fma_f64 v[6:7], v[6:7], v[11:12], v[13:14]
	v_add_f64 v[0:1], v[0:1], v[4:5]
	v_add_f64 v[2:3], v[2:3], v[6:7]
.LBB342_29:
	s_or_b32 exec_lo, exec_lo, s3
.LBB342_30:
	v_lshlrev_b32_e32 v11, 4, v10
	s_mov_b32 s0, exec_lo
                                        ; implicit-def: $vgpr8_vgpr9
	ds_write_b128 v11, v[0:3]
	s_waitcnt vmcnt(0) lgkmcnt(0)
	s_barrier
	buffer_gl0_inv
                                        ; implicit-def: $vgpr2_vgpr3
	v_cmpx_gt_u32_e32 32, v10
	s_cbranch_execz .LBB342_36
; %bb.31:
	ds_read_b128 v[0:3], v11
	ds_read_b128 v[4:7], v11 offset:512
	v_or_b32_e32 v10, s4, v10
	s_mov_b32 s3, s13
	v_cmp_gt_i32_e32 vcc_lo, s2, v10
	s_waitcnt lgkmcnt(0)
	v_add_f64 v[8:9], v[0:1], v[4:5]
	v_add_f64 v[12:13], v[2:3], v[6:7]
	ds_read_b128 v[0:3], v11 offset:1024
	ds_read_b128 v[4:7], v11 offset:1536
	s_waitcnt lgkmcnt(1)
	v_add_f64 v[0:1], v[8:9], v[0:1]
	v_add_f64 v[2:3], v[12:13], v[2:3]
	s_waitcnt lgkmcnt(0)
	v_add_f64 v[8:9], v[0:1], v[4:5]
	v_add_f64 v[12:13], v[2:3], v[6:7]
	ds_read_b128 v[0:3], v11 offset:2048
	ds_read_b128 v[4:7], v11 offset:2560
	s_waitcnt lgkmcnt(1)
	v_add_f64 v[0:1], v[8:9], v[0:1]
	v_add_f64 v[2:3], v[12:13], v[2:3]
	;; [unrolled: 8-line block ×7, first 2 shown]
                                        ; implicit-def: $vgpr8_vgpr9
	s_waitcnt lgkmcnt(0)
	v_add_f64 v[4:5], v[0:1], v[4:5]
	v_add_f64 v[6:7], v[2:3], v[6:7]
                                        ; implicit-def: $vgpr2_vgpr3
	ds_write_b128 v11, v[4:7]
	s_and_saveexec_b32 s2, vcc_lo
	s_cbranch_execz .LBB342_35
; %bb.32:
	v_mul_f64 v[0:1], s[18:19], v[6:7]
	v_mul_f64 v[2:3], s[16:17], v[6:7]
	v_cmp_neq_f64_e64 s3, s[8:9], 0
	v_cmp_neq_f64_e64 s4, s[10:11], 0
	v_mul_lo_u32 v8, v10, s12
	v_ashrrev_i32_e32 v9, 31, v8
	v_fma_f64 v[0:1], s[16:17], v[4:5], -v[0:1]
	v_fma_f64 v[2:3], s[18:19], v[4:5], v[2:3]
	s_or_b32 s3, s3, s4
	s_andn2_b32 vcc_lo, exec_lo, s3
	s_cbranch_vccnz .LBB342_34
; %bb.33:
	v_lshlrev_b64 v[4:5], 4, v[8:9]
	v_add_co_u32 v4, vcc_lo, s1, v4
	v_add_co_ci_u32_e64 v5, null, s7, v5, vcc_lo
	flat_load_dwordx4 v[4:7], v[4:5]
	s_waitcnt vmcnt(0) lgkmcnt(0)
	v_mul_f64 v[10:11], s[10:11], v[6:7]
	v_mul_f64 v[6:7], s[8:9], v[6:7]
	v_fma_f64 v[10:11], s[8:9], v[4:5], -v[10:11]
	v_fma_f64 v[4:5], s[10:11], v[4:5], v[6:7]
	v_add_f64 v[0:1], v[0:1], v[10:11]
	v_add_f64 v[2:3], v[2:3], v[4:5]
.LBB342_34:
	s_or_b32 s3, s13, exec_lo
.LBB342_35:
	s_or_b32 exec_lo, exec_lo, s2
	s_andn2_b32 s2, s13, exec_lo
	s_and_b32 s3, s3, exec_lo
	s_or_b32 s13, s2, s3
.LBB342_36:
	s_or_b32 exec_lo, exec_lo, s0
.LBB342_37:
	s_and_saveexec_b32 s0, s13
	s_cbranch_execz .LBB342_4
; %bb.38:
	v_lshlrev_b64 v[4:5], 4, v[8:9]
	v_add_co_u32 v4, vcc_lo, s1, v4
	v_add_co_ci_u32_e64 v5, null, s7, v5, vcc_lo
	flat_store_dwordx4 v[4:5], v[0:3]
	s_endpgm
	.section	.rodata,"a",@progbits
	.p2align	6, 0x0
	.amdhsa_kernel _ZL20rocblas_gemvn_kernelILi32ELi16EiPK19rocblas_complex_numIdES3_KPS1_EviiT3_lPKT2_lT1_lS9_lSA_lS6_lPT4_lSA_li
		.amdhsa_group_segment_fixed_size 8192
		.amdhsa_private_segment_fixed_size 0
		.amdhsa_kernarg_size 400
		.amdhsa_user_sgpr_count 6
		.amdhsa_user_sgpr_private_segment_buffer 1
		.amdhsa_user_sgpr_dispatch_ptr 0
		.amdhsa_user_sgpr_queue_ptr 0
		.amdhsa_user_sgpr_kernarg_segment_ptr 1
		.amdhsa_user_sgpr_dispatch_id 0
		.amdhsa_user_sgpr_flat_scratch_init 0
		.amdhsa_user_sgpr_private_segment_size 0
		.amdhsa_wavefront_size32 1
		.amdhsa_uses_dynamic_stack 0
		.amdhsa_system_sgpr_private_segment_wavefront_offset 0
		.amdhsa_system_sgpr_workgroup_id_x 1
		.amdhsa_system_sgpr_workgroup_id_y 0
		.amdhsa_system_sgpr_workgroup_id_z 1
		.amdhsa_system_sgpr_workgroup_info 0
		.amdhsa_system_vgpr_workitem_id 1
		.amdhsa_next_free_vgpr 21
		.amdhsa_next_free_sgpr 32
		.amdhsa_reserve_vcc 1
		.amdhsa_reserve_flat_scratch 0
		.amdhsa_float_round_mode_32 0
		.amdhsa_float_round_mode_16_64 0
		.amdhsa_float_denorm_mode_32 3
		.amdhsa_float_denorm_mode_16_64 3
		.amdhsa_dx10_clamp 1
		.amdhsa_ieee_mode 1
		.amdhsa_fp16_overflow 0
		.amdhsa_workgroup_processor_mode 1
		.amdhsa_memory_ordered 1
		.amdhsa_forward_progress 1
		.amdhsa_shared_vgpr_count 0
		.amdhsa_exception_fp_ieee_invalid_op 0
		.amdhsa_exception_fp_denorm_src 0
		.amdhsa_exception_fp_ieee_div_zero 0
		.amdhsa_exception_fp_ieee_overflow 0
		.amdhsa_exception_fp_ieee_underflow 0
		.amdhsa_exception_fp_ieee_inexact 0
		.amdhsa_exception_int_div_zero 0
	.end_amdhsa_kernel
	.section	.text._ZL20rocblas_gemvn_kernelILi32ELi16EiPK19rocblas_complex_numIdES3_KPS1_EviiT3_lPKT2_lT1_lS9_lSA_lS6_lPT4_lSA_li,"axG",@progbits,_ZL20rocblas_gemvn_kernelILi32ELi16EiPK19rocblas_complex_numIdES3_KPS1_EviiT3_lPKT2_lT1_lS9_lSA_lS6_lPT4_lSA_li,comdat
.Lfunc_end342:
	.size	_ZL20rocblas_gemvn_kernelILi32ELi16EiPK19rocblas_complex_numIdES3_KPS1_EviiT3_lPKT2_lT1_lS9_lSA_lS6_lPT4_lSA_li, .Lfunc_end342-_ZL20rocblas_gemvn_kernelILi32ELi16EiPK19rocblas_complex_numIdES3_KPS1_EviiT3_lPKT2_lT1_lS9_lSA_lS6_lPT4_lSA_li
                                        ; -- End function
	.set _ZL20rocblas_gemvn_kernelILi32ELi16EiPK19rocblas_complex_numIdES3_KPS1_EviiT3_lPKT2_lT1_lS9_lSA_lS6_lPT4_lSA_li.num_vgpr, 21
	.set _ZL20rocblas_gemvn_kernelILi32ELi16EiPK19rocblas_complex_numIdES3_KPS1_EviiT3_lPKT2_lT1_lS9_lSA_lS6_lPT4_lSA_li.num_agpr, 0
	.set _ZL20rocblas_gemvn_kernelILi32ELi16EiPK19rocblas_complex_numIdES3_KPS1_EviiT3_lPKT2_lT1_lS9_lSA_lS6_lPT4_lSA_li.numbered_sgpr, 32
	.set _ZL20rocblas_gemvn_kernelILi32ELi16EiPK19rocblas_complex_numIdES3_KPS1_EviiT3_lPKT2_lT1_lS9_lSA_lS6_lPT4_lSA_li.num_named_barrier, 0
	.set _ZL20rocblas_gemvn_kernelILi32ELi16EiPK19rocblas_complex_numIdES3_KPS1_EviiT3_lPKT2_lT1_lS9_lSA_lS6_lPT4_lSA_li.private_seg_size, 0
	.set _ZL20rocblas_gemvn_kernelILi32ELi16EiPK19rocblas_complex_numIdES3_KPS1_EviiT3_lPKT2_lT1_lS9_lSA_lS6_lPT4_lSA_li.uses_vcc, 1
	.set _ZL20rocblas_gemvn_kernelILi32ELi16EiPK19rocblas_complex_numIdES3_KPS1_EviiT3_lPKT2_lT1_lS9_lSA_lS6_lPT4_lSA_li.uses_flat_scratch, 0
	.set _ZL20rocblas_gemvn_kernelILi32ELi16EiPK19rocblas_complex_numIdES3_KPS1_EviiT3_lPKT2_lT1_lS9_lSA_lS6_lPT4_lSA_li.has_dyn_sized_stack, 0
	.set _ZL20rocblas_gemvn_kernelILi32ELi16EiPK19rocblas_complex_numIdES3_KPS1_EviiT3_lPKT2_lT1_lS9_lSA_lS6_lPT4_lSA_li.has_recursion, 0
	.set _ZL20rocblas_gemvn_kernelILi32ELi16EiPK19rocblas_complex_numIdES3_KPS1_EviiT3_lPKT2_lT1_lS9_lSA_lS6_lPT4_lSA_li.has_indirect_call, 0
	.section	.AMDGPU.csdata,"",@progbits
; Kernel info:
; codeLenInByte = 1956
; TotalNumSgprs: 34
; NumVgprs: 21
; ScratchSize: 0
; MemoryBound: 1
; FloatMode: 240
; IeeeMode: 1
; LDSByteSize: 8192 bytes/workgroup (compile time only)
; SGPRBlocks: 0
; VGPRBlocks: 2
; NumSGPRsForWavesPerEU: 34
; NumVGPRsForWavesPerEU: 21
; Occupancy: 16
; WaveLimiterHint : 1
; COMPUTE_PGM_RSRC2:SCRATCH_EN: 0
; COMPUTE_PGM_RSRC2:USER_SGPR: 6
; COMPUTE_PGM_RSRC2:TRAP_HANDLER: 0
; COMPUTE_PGM_RSRC2:TGID_X_EN: 1
; COMPUTE_PGM_RSRC2:TGID_Y_EN: 0
; COMPUTE_PGM_RSRC2:TGID_Z_EN: 1
; COMPUTE_PGM_RSRC2:TIDIG_COMP_CNT: 1
	.section	.text._ZL20rocblas_gemvn_kernelILi32ELi16ElPK19rocblas_complex_numIdES3_KPS1_EviiT3_lPKT2_lT1_lS9_lSA_lS6_lPT4_lSA_li,"axG",@progbits,_ZL20rocblas_gemvn_kernelILi32ELi16ElPK19rocblas_complex_numIdES3_KPS1_EviiT3_lPKT2_lT1_lS9_lSA_lS6_lPT4_lSA_li,comdat
	.globl	_ZL20rocblas_gemvn_kernelILi32ELi16ElPK19rocblas_complex_numIdES3_KPS1_EviiT3_lPKT2_lT1_lS9_lSA_lS6_lPT4_lSA_li ; -- Begin function _ZL20rocblas_gemvn_kernelILi32ELi16ElPK19rocblas_complex_numIdES3_KPS1_EviiT3_lPKT2_lT1_lS9_lSA_lS6_lPT4_lSA_li
	.p2align	8
	.type	_ZL20rocblas_gemvn_kernelILi32ELi16ElPK19rocblas_complex_numIdES3_KPS1_EviiT3_lPKT2_lT1_lS9_lSA_lS6_lPT4_lSA_li,@function
_ZL20rocblas_gemvn_kernelILi32ELi16ElPK19rocblas_complex_numIdES3_KPS1_EviiT3_lPKT2_lT1_lS9_lSA_lS6_lPT4_lSA_li: ; @_ZL20rocblas_gemvn_kernelILi32ELi16ElPK19rocblas_complex_numIdES3_KPS1_EviiT3_lPKT2_lT1_lS9_lSA_lS6_lPT4_lSA_li
; %bb.0:
	s_load_dwordx2 s[0:1], s[4:5], 0x9c
	s_mov_b32 s30, s7
	s_waitcnt lgkmcnt(0)
	s_lshr_b32 s2, s0, 16
	s_and_b32 s7, s0, 0xffff
	s_and_b32 s0, s1, 0xffff
	s_mul_i32 s1, s2, s7
	s_mul_i32 s1, s1, s0
	s_cmpk_lg_i32 s1, 0x200
	s_cbranch_scc1 .LBB343_4
; %bb.1:
	s_clause 0x1
	s_load_dwordx8 s[16:23], s[4:5], 0x8
	s_load_dwordx8 s[8:15], s[4:5], 0x58
	s_mov_b32 s31, 0
	s_mov_b64 s[26:27], 0
	s_waitcnt lgkmcnt(0)
	s_mul_i32 s1, s19, s30
	s_mul_hi_u32 s2, s18, s30
	s_mul_i32 s0, s18, s30
	s_add_i32 s1, s2, s1
	s_lshl_b64 s[0:1], s[0:1], 4
	s_add_u32 s0, s16, s0
	s_addc_u32 s1, s17, s1
	s_load_dwordx4 s[16:19], s[0:1], 0x0
	s_mul_i32 s0, s11, s30
	s_mul_hi_u32 s1, s10, s30
	s_add_i32 s1, s1, s0
	s_mul_i32 s0, s10, s30
	s_lshl_b64 s[0:1], s[0:1], 4
	s_add_u32 s0, s8, s0
	s_addc_u32 s1, s9, s1
	s_load_dwordx2 s[24:25], s[4:5], 0x28
	s_load_dwordx4 s[8:11], s[0:1], 0x0
	s_mov_b32 s1, -1
	s_mov_b32 s0, s31
	s_waitcnt lgkmcnt(0)
	v_cmp_neq_f64_e64 s2, s[16:17], 0
	v_cmp_neq_f64_e64 s3, s[18:19], 0
	s_or_b32 s28, s2, s3
	s_and_b32 vcc_lo, exec_lo, s28
	s_cbranch_vccz .LBB343_5
; %bb.2:
	s_andn2_b32 vcc_lo, exec_lo, s1
	s_cbranch_vccz .LBB343_6
.LBB343_3:
	s_andn2_b32 vcc_lo, exec_lo, s0
	s_cbranch_vccz .LBB343_7
.LBB343_4:
	s_endpgm
.LBB343_5:
	v_cmp_neq_f64_e64 s0, s[8:9], 1.0
	v_cmp_neq_f64_e64 s1, s[10:11], 0
	s_or_b32 s0, s0, s1
	s_cbranch_execnz .LBB343_3
.LBB343_6:
	s_lshl_b64 s[0:1], s[30:31], 3
	s_add_u32 s0, s20, s0
	s_addc_u32 s1, s21, s1
	s_lshl_b64 s[2:3], s[22:23], 4
	s_load_dwordx2 s[0:1], s[0:1], 0x0
	s_waitcnt lgkmcnt(0)
	s_add_u32 s26, s0, s2
	s_addc_u32 s27, s1, s3
.LBB343_7:
	s_clause 0x2
	s_load_dwordx2 s[20:21], s[4:5], 0x78
	s_load_dwordx4 s[0:3], s[4:5], 0x38
	s_load_dwordx2 s[22:23], s[4:5], 0x48
	v_cndmask_b32_e64 v2, 0, 1, s28
	s_xor_b32 s33, s28, -1
	s_mov_b64 s[28:29], 0
	v_cmp_ne_u32_e32 vcc_lo, 1, v2
	s_cbranch_vccnz .LBB343_9
; %bb.8:
	s_lshl_b64 s[28:29], s[30:31], 3
	s_waitcnt lgkmcnt(0)
	s_add_u32 s0, s0, s28
	s_addc_u32 s1, s1, s29
	s_lshl_b64 s[2:3], s[2:3], 4
	s_load_dwordx2 s[0:1], s[0:1], 0x0
	s_waitcnt lgkmcnt(0)
	s_add_u32 s28, s0, s2
	s_addc_u32 s29, s1, s3
.LBB343_9:
	s_waitcnt lgkmcnt(0)
	s_lshl_b64 s[0:1], s[30:31], 3
	v_mad_u32_u24 v10, v1, s7, v0
	s_add_u32 s0, s12, s0
	s_addc_u32 s1, s13, s1
	s_load_dwordx2 s[12:13], s[0:1], 0x0
	s_load_dwordx2 s[2:3], s[4:5], 0x0
	s_lshl_b64 s[4:5], s[14:15], 4
	v_cmp_gt_u32_e64 s0, 32, v10
	s_waitcnt lgkmcnt(0)
	s_add_u32 s12, s12, s4
	s_addc_u32 s13, s13, s5
	s_andn2_b32 vcc_lo, exec_lo, s33
	s_cbranch_vccnz .LBB343_16
; %bb.10:
	s_mov_b32 s1, 0
	s_mov_b32 s14, 0
                                        ; implicit-def: $vgpr2_vgpr3
                                        ; implicit-def: $vgpr8_vgpr9
	s_and_saveexec_b32 s4, s0
	s_cbranch_execz .LBB343_17
; %bb.11:
	v_lshl_or_b32 v0, s6, 5, v10
	v_mov_b32_e32 v1, 0
	s_ashr_i32 s15, s2, 31
	s_mov_b32 s14, s2
	s_mov_b32 s5, 0
                                        ; implicit-def: $vgpr8_vgpr9
	v_cmp_gt_i64_e32 vcc_lo, s[14:15], v[0:1]
                                        ; implicit-def: $vgpr2_vgpr3
	s_and_saveexec_b32 s0, vcc_lo
	s_cbranch_execz .LBB343_15
; %bb.12:
	v_cmp_neq_f64_e64 s5, s[8:9], 0
	v_cmp_neq_f64_e64 s7, s[10:11], 0
	v_mad_u64_u32 v[8:9], null, s20, v0, 0
	v_mov_b32_e32 v1, v9
	v_mad_u64_u32 v[4:5], null, s21, v0, v[1:2]
	v_mov_b32_e32 v2, 0
	v_mov_b32_e32 v0, 0
	;; [unrolled: 1-line block ×5, first 2 shown]
	s_or_b32 s5, s5, s7
	s_andn2_b32 vcc_lo, exec_lo, s5
	s_cbranch_vccnz .LBB343_14
; %bb.13:
	v_lshlrev_b64 v[0:1], 4, v[8:9]
	v_add_co_u32 v0, vcc_lo, s12, v0
	v_add_co_ci_u32_e64 v1, null, s13, v1, vcc_lo
	flat_load_dwordx4 v[2:5], v[0:1]
	s_waitcnt vmcnt(0) lgkmcnt(0)
	v_mul_f64 v[0:1], s[10:11], v[4:5]
	v_mul_f64 v[4:5], s[8:9], v[4:5]
	v_fma_f64 v[0:1], s[8:9], v[2:3], -v[0:1]
	v_fma_f64 v[2:3], s[10:11], v[2:3], v[4:5]
.LBB343_14:
	s_mov_b32 s5, exec_lo
.LBB343_15:
	s_or_b32 exec_lo, exec_lo, s0
	s_and_b32 s14, s5, exec_lo
	s_or_b32 exec_lo, exec_lo, s4
	s_and_b32 vcc_lo, exec_lo, s1
	s_cbranch_vccnz .LBB343_18
	s_branch .LBB343_37
.LBB343_16:
	s_mov_b32 s14, 0
                                        ; implicit-def: $vgpr2_vgpr3
                                        ; implicit-def: $vgpr8_vgpr9
	s_cbranch_execnz .LBB343_18
	s_branch .LBB343_37
.LBB343_17:
	s_or_b32 exec_lo, exec_lo, s4
	s_and_b32 vcc_lo, exec_lo, s1
	s_cbranch_vccz .LBB343_37
.LBB343_18:
	v_and_b32_e32 v4, 31, v10
	s_ashr_i32 s0, s3, 31
	s_lshl_b32 s15, s6, 5
	s_lshr_b32 s0, s0, 28
	v_mov_b32_e32 v2, 0
	v_mov_b32_e32 v0, 0
	v_lshrrev_b32_e32 v9, 5, v10
	v_or_b32_e32 v8, s15, v4
	v_mov_b32_e32 v3, 0
	v_mov_b32_e32 v1, 0
	s_add_i32 s0, s3, s0
	s_mov_b32 s31, exec_lo
	s_and_b32 s30, s0, -16
	v_cmpx_gt_i32_e64 s30, v9
	s_cbranch_execz .LBB343_24
; %bb.19:
	v_lshrrev_b32_e32 v11, 5, v10
	v_add_nc_u32_e32 v3, s15, v4
	s_lshl_b64 s[4:5], s[22:23], 8
	s_lshl_b64 s[6:7], s[24:25], 8
	s_mov_b32 s33, 0
	v_mad_u64_u32 v[5:6], null, s22, v11, 0
	v_mad_u64_u32 v[0:1], null, s24, v11, 0
	v_ashrrev_i32_e32 v4, 31, v3
	v_cmp_gt_i32_e32 vcc_lo, s2, v8
	v_mov_b32_e32 v2, v6
	v_mad_u64_u32 v[6:7], null, s25, v11, v[1:2]
	v_mad_u64_u32 v[11:12], null, s23, v11, v[2:3]
	v_lshlrev_b64 v[12:13], 4, v[3:4]
	v_mov_b32_e32 v2, 0
	v_mov_b32_e32 v3, 0
	;; [unrolled: 1-line block ×4, first 2 shown]
	v_lshlrev_b64 v[0:1], 4, v[0:1]
	v_lshlrev_b64 v[4:5], 4, v[5:6]
	v_add_co_u32 v0, s0, v0, v12
	v_add_co_ci_u32_e64 v1, null, v1, v13, s0
	v_add_co_u32 v4, s0, s28, v4
	v_add_co_ci_u32_e64 v5, null, s29, v5, s0
	;; [unrolled: 2-line block ×3, first 2 shown]
	v_mov_b32_e32 v0, v2
	v_mov_b32_e32 v1, v3
	s_inst_prefetch 0x1
	s_branch .LBB343_21
	.p2align	6
.LBB343_20:                             ;   in Loop: Header=BB343_21 Depth=1
	s_or_b32 exec_lo, exec_lo, s0
	v_add_nc_u32_e32 v9, 16, v9
	v_add_co_u32 v4, s0, v4, s4
	v_add_co_ci_u32_e64 v5, null, s5, v5, s0
	v_cmp_le_i32_e64 s0, s30, v9
	v_add_co_u32 v6, s1, v6, s6
	v_add_co_ci_u32_e64 v7, null, s7, v7, s1
	s_or_b32 s33, s0, s33
	s_andn2_b32 exec_lo, exec_lo, s33
	s_cbranch_execz .LBB343_23
.LBB343_21:                             ; =>This Inner Loop Header: Depth=1
	s_and_saveexec_b32 s0, vcc_lo
	s_cbranch_execz .LBB343_20
; %bb.22:                               ;   in Loop: Header=BB343_21 Depth=1
	flat_load_dwordx4 v[11:14], v[4:5]
	flat_load_dwordx4 v[15:18], v[6:7]
	s_waitcnt vmcnt(0) lgkmcnt(0)
	v_mul_f64 v[19:20], v[13:14], v[17:18]
	v_mul_f64 v[17:18], v[11:12], v[17:18]
	v_fma_f64 v[11:12], v[11:12], v[15:16], -v[19:20]
	v_fma_f64 v[13:14], v[13:14], v[15:16], v[17:18]
	v_add_f64 v[0:1], v[0:1], v[11:12]
	v_add_f64 v[2:3], v[2:3], v[13:14]
	s_branch .LBB343_20
.LBB343_23:
	s_inst_prefetch 0x2
	s_or_b32 exec_lo, exec_lo, s33
.LBB343_24:
	s_or_b32 exec_lo, exec_lo, s31
	s_sub_i32 s0, s3, s30
	s_cmp_lt_i32 s0, 1
	s_cbranch_scc1 .LBB343_30
; %bb.25:
	v_mov_b32_e32 v4, 0
	v_mov_b32_e32 v6, 0
	;; [unrolled: 1-line block ×4, first 2 shown]
	v_cmp_gt_i32_e32 vcc_lo, s3, v9
	s_and_saveexec_b32 s1, vcc_lo
	s_cbranch_execz .LBB343_27
; %bb.26:
	v_mad_u64_u32 v[4:5], null, s22, v9, 0
	v_mad_u64_u32 v[5:6], null, s23, v9, v[5:6]
	v_lshlrev_b64 v[4:5], 4, v[4:5]
	v_add_co_u32 v4, s0, s28, v4
	v_add_co_ci_u32_e64 v5, null, s29, v5, s0
	flat_load_dwordx4 v[4:7], v[4:5]
.LBB343_27:
	s_or_b32 exec_lo, exec_lo, s1
	s_mov_b32 s1, exec_lo
	v_cmpx_gt_i32_e64 s2, v8
	s_cbranch_execz .LBB343_29
; %bb.28:
	v_mad_u64_u32 v[11:12], null, s24, v9, 0
	v_mad_u64_u32 v[12:13], null, s25, v9, v[12:13]
	v_cndmask_b32_e32 v11, 0, v11, vcc_lo
	v_ashrrev_i32_e32 v9, 31, v8
	v_lshlrev_b64 v[8:9], 4, v[8:9]
	v_cndmask_b32_e32 v12, 0, v12, vcc_lo
	v_lshlrev_b64 v[11:12], 4, v[11:12]
	v_add_co_u32 v11, vcc_lo, s26, v11
	v_add_co_ci_u32_e64 v12, null, s27, v12, vcc_lo
	v_add_co_u32 v8, vcc_lo, v11, v8
	v_add_co_ci_u32_e64 v9, null, v12, v9, vcc_lo
	flat_load_dwordx4 v[11:14], v[8:9]
	s_waitcnt vmcnt(0) lgkmcnt(0)
	v_mul_f64 v[8:9], v[6:7], v[13:14]
	v_mul_f64 v[13:14], v[4:5], v[13:14]
	v_fma_f64 v[4:5], v[4:5], v[11:12], -v[8:9]
	v_fma_f64 v[6:7], v[6:7], v[11:12], v[13:14]
	v_add_f64 v[0:1], v[0:1], v[4:5]
	v_add_f64 v[2:3], v[2:3], v[6:7]
.LBB343_29:
	s_or_b32 exec_lo, exec_lo, s1
.LBB343_30:
	v_lshlrev_b32_e32 v11, 4, v10
	s_mov_b32 s0, exec_lo
                                        ; implicit-def: $vgpr8_vgpr9
	ds_write_b128 v11, v[0:3]
	s_waitcnt vmcnt(0) lgkmcnt(0)
	s_barrier
	buffer_gl0_inv
                                        ; implicit-def: $vgpr2_vgpr3
	v_cmpx_gt_u32_e32 32, v10
	s_cbranch_execz .LBB343_36
; %bb.31:
	ds_read_b128 v[0:3], v11
	ds_read_b128 v[4:7], v11 offset:512
	v_or_b32_e32 v10, s15, v10
	v_cmp_gt_i32_e32 vcc_lo, s2, v10
	s_mov_b32 s2, s14
	s_waitcnt lgkmcnt(0)
	v_add_f64 v[8:9], v[0:1], v[4:5]
	v_add_f64 v[12:13], v[2:3], v[6:7]
	ds_read_b128 v[0:3], v11 offset:1024
	ds_read_b128 v[4:7], v11 offset:1536
	s_waitcnt lgkmcnt(1)
	v_add_f64 v[0:1], v[8:9], v[0:1]
	v_add_f64 v[2:3], v[12:13], v[2:3]
	s_waitcnt lgkmcnt(0)
	v_add_f64 v[8:9], v[0:1], v[4:5]
	v_add_f64 v[12:13], v[2:3], v[6:7]
	ds_read_b128 v[0:3], v11 offset:2048
	ds_read_b128 v[4:7], v11 offset:2560
	s_waitcnt lgkmcnt(1)
	v_add_f64 v[0:1], v[8:9], v[0:1]
	v_add_f64 v[2:3], v[12:13], v[2:3]
	;; [unrolled: 8-line block ×7, first 2 shown]
                                        ; implicit-def: $vgpr8_vgpr9
	s_waitcnt lgkmcnt(0)
	v_add_f64 v[4:5], v[0:1], v[4:5]
	v_add_f64 v[6:7], v[2:3], v[6:7]
                                        ; implicit-def: $vgpr2_vgpr3
	ds_write_b128 v11, v[4:7]
	s_and_saveexec_b32 s1, vcc_lo
	s_cbranch_execz .LBB343_35
; %bb.32:
	v_mul_f64 v[0:1], s[18:19], v[6:7]
	v_mul_f64 v[2:3], s[16:17], v[6:7]
	v_cmp_neq_f64_e64 s2, s[8:9], 0
	v_cmp_neq_f64_e64 s3, s[10:11], 0
	v_mad_u64_u32 v[8:9], null, s20, v10, 0
	v_fma_f64 v[0:1], s[16:17], v[4:5], -v[0:1]
	v_fma_f64 v[2:3], s[18:19], v[4:5], v[2:3]
	v_ashrrev_i32_e32 v4, 31, v10
	v_mul_lo_u32 v5, s21, v10
	s_or_b32 s2, s2, s3
	s_andn2_b32 vcc_lo, exec_lo, s2
	v_mul_lo_u32 v4, s20, v4
	v_add3_u32 v9, v9, v4, v5
	s_cbranch_vccnz .LBB343_34
; %bb.33:
	v_lshlrev_b64 v[4:5], 4, v[8:9]
	v_add_co_u32 v4, vcc_lo, s12, v4
	v_add_co_ci_u32_e64 v5, null, s13, v5, vcc_lo
	flat_load_dwordx4 v[4:7], v[4:5]
	s_waitcnt vmcnt(0) lgkmcnt(0)
	v_mul_f64 v[10:11], s[10:11], v[6:7]
	v_mul_f64 v[6:7], s[8:9], v[6:7]
	v_fma_f64 v[10:11], s[8:9], v[4:5], -v[10:11]
	v_fma_f64 v[4:5], s[10:11], v[4:5], v[6:7]
	v_add_f64 v[0:1], v[0:1], v[10:11]
	v_add_f64 v[2:3], v[2:3], v[4:5]
.LBB343_34:
	s_or_b32 s2, s14, exec_lo
.LBB343_35:
	s_or_b32 exec_lo, exec_lo, s1
	s_andn2_b32 s1, s14, exec_lo
	s_and_b32 s2, s2, exec_lo
	s_or_b32 s14, s1, s2
.LBB343_36:
	s_or_b32 exec_lo, exec_lo, s0
.LBB343_37:
	s_and_saveexec_b32 s0, s14
	s_cbranch_execz .LBB343_4
; %bb.38:
	v_lshlrev_b64 v[4:5], 4, v[8:9]
	v_add_co_u32 v4, vcc_lo, s12, v4
	v_add_co_ci_u32_e64 v5, null, s13, v5, vcc_lo
	flat_store_dwordx4 v[4:5], v[0:3]
	s_endpgm
	.section	.rodata,"a",@progbits
	.p2align	6, 0x0
	.amdhsa_kernel _ZL20rocblas_gemvn_kernelILi32ELi16ElPK19rocblas_complex_numIdES3_KPS1_EviiT3_lPKT2_lT1_lS9_lSA_lS6_lPT4_lSA_li
		.amdhsa_group_segment_fixed_size 8192
		.amdhsa_private_segment_fixed_size 0
		.amdhsa_kernarg_size 400
		.amdhsa_user_sgpr_count 6
		.amdhsa_user_sgpr_private_segment_buffer 1
		.amdhsa_user_sgpr_dispatch_ptr 0
		.amdhsa_user_sgpr_queue_ptr 0
		.amdhsa_user_sgpr_kernarg_segment_ptr 1
		.amdhsa_user_sgpr_dispatch_id 0
		.amdhsa_user_sgpr_flat_scratch_init 0
		.amdhsa_user_sgpr_private_segment_size 0
		.amdhsa_wavefront_size32 1
		.amdhsa_uses_dynamic_stack 0
		.amdhsa_system_sgpr_private_segment_wavefront_offset 0
		.amdhsa_system_sgpr_workgroup_id_x 1
		.amdhsa_system_sgpr_workgroup_id_y 0
		.amdhsa_system_sgpr_workgroup_id_z 1
		.amdhsa_system_sgpr_workgroup_info 0
		.amdhsa_system_vgpr_workitem_id 1
		.amdhsa_next_free_vgpr 21
		.amdhsa_next_free_sgpr 34
		.amdhsa_reserve_vcc 1
		.amdhsa_reserve_flat_scratch 0
		.amdhsa_float_round_mode_32 0
		.amdhsa_float_round_mode_16_64 0
		.amdhsa_float_denorm_mode_32 3
		.amdhsa_float_denorm_mode_16_64 3
		.amdhsa_dx10_clamp 1
		.amdhsa_ieee_mode 1
		.amdhsa_fp16_overflow 0
		.amdhsa_workgroup_processor_mode 1
		.amdhsa_memory_ordered 1
		.amdhsa_forward_progress 1
		.amdhsa_shared_vgpr_count 0
		.amdhsa_exception_fp_ieee_invalid_op 0
		.amdhsa_exception_fp_denorm_src 0
		.amdhsa_exception_fp_ieee_div_zero 0
		.amdhsa_exception_fp_ieee_overflow 0
		.amdhsa_exception_fp_ieee_underflow 0
		.amdhsa_exception_fp_ieee_inexact 0
		.amdhsa_exception_int_div_zero 0
	.end_amdhsa_kernel
	.section	.text._ZL20rocblas_gemvn_kernelILi32ELi16ElPK19rocblas_complex_numIdES3_KPS1_EviiT3_lPKT2_lT1_lS9_lSA_lS6_lPT4_lSA_li,"axG",@progbits,_ZL20rocblas_gemvn_kernelILi32ELi16ElPK19rocblas_complex_numIdES3_KPS1_EviiT3_lPKT2_lT1_lS9_lSA_lS6_lPT4_lSA_li,comdat
.Lfunc_end343:
	.size	_ZL20rocblas_gemvn_kernelILi32ELi16ElPK19rocblas_complex_numIdES3_KPS1_EviiT3_lPKT2_lT1_lS9_lSA_lS6_lPT4_lSA_li, .Lfunc_end343-_ZL20rocblas_gemvn_kernelILi32ELi16ElPK19rocblas_complex_numIdES3_KPS1_EviiT3_lPKT2_lT1_lS9_lSA_lS6_lPT4_lSA_li
                                        ; -- End function
	.set _ZL20rocblas_gemvn_kernelILi32ELi16ElPK19rocblas_complex_numIdES3_KPS1_EviiT3_lPKT2_lT1_lS9_lSA_lS6_lPT4_lSA_li.num_vgpr, 21
	.set _ZL20rocblas_gemvn_kernelILi32ELi16ElPK19rocblas_complex_numIdES3_KPS1_EviiT3_lPKT2_lT1_lS9_lSA_lS6_lPT4_lSA_li.num_agpr, 0
	.set _ZL20rocblas_gemvn_kernelILi32ELi16ElPK19rocblas_complex_numIdES3_KPS1_EviiT3_lPKT2_lT1_lS9_lSA_lS6_lPT4_lSA_li.numbered_sgpr, 34
	.set _ZL20rocblas_gemvn_kernelILi32ELi16ElPK19rocblas_complex_numIdES3_KPS1_EviiT3_lPKT2_lT1_lS9_lSA_lS6_lPT4_lSA_li.num_named_barrier, 0
	.set _ZL20rocblas_gemvn_kernelILi32ELi16ElPK19rocblas_complex_numIdES3_KPS1_EviiT3_lPKT2_lT1_lS9_lSA_lS6_lPT4_lSA_li.private_seg_size, 0
	.set _ZL20rocblas_gemvn_kernelILi32ELi16ElPK19rocblas_complex_numIdES3_KPS1_EviiT3_lPKT2_lT1_lS9_lSA_lS6_lPT4_lSA_li.uses_vcc, 1
	.set _ZL20rocblas_gemvn_kernelILi32ELi16ElPK19rocblas_complex_numIdES3_KPS1_EviiT3_lPKT2_lT1_lS9_lSA_lS6_lPT4_lSA_li.uses_flat_scratch, 0
	.set _ZL20rocblas_gemvn_kernelILi32ELi16ElPK19rocblas_complex_numIdES3_KPS1_EviiT3_lPKT2_lT1_lS9_lSA_lS6_lPT4_lSA_li.has_dyn_sized_stack, 0
	.set _ZL20rocblas_gemvn_kernelILi32ELi16ElPK19rocblas_complex_numIdES3_KPS1_EviiT3_lPKT2_lT1_lS9_lSA_lS6_lPT4_lSA_li.has_recursion, 0
	.set _ZL20rocblas_gemvn_kernelILi32ELi16ElPK19rocblas_complex_numIdES3_KPS1_EviiT3_lPKT2_lT1_lS9_lSA_lS6_lPT4_lSA_li.has_indirect_call, 0
	.section	.AMDGPU.csdata,"",@progbits
; Kernel info:
; codeLenInByte = 2104
; TotalNumSgprs: 36
; NumVgprs: 21
; ScratchSize: 0
; MemoryBound: 1
; FloatMode: 240
; IeeeMode: 1
; LDSByteSize: 8192 bytes/workgroup (compile time only)
; SGPRBlocks: 0
; VGPRBlocks: 2
; NumSGPRsForWavesPerEU: 36
; NumVGPRsForWavesPerEU: 21
; Occupancy: 16
; WaveLimiterHint : 1
; COMPUTE_PGM_RSRC2:SCRATCH_EN: 0
; COMPUTE_PGM_RSRC2:USER_SGPR: 6
; COMPUTE_PGM_RSRC2:TRAP_HANDLER: 0
; COMPUTE_PGM_RSRC2:TGID_X_EN: 1
; COMPUTE_PGM_RSRC2:TGID_Y_EN: 0
; COMPUTE_PGM_RSRC2:TGID_Z_EN: 1
; COMPUTE_PGM_RSRC2:TIDIG_COMP_CNT: 1
	.section	.text._ZL20rocblas_gemvn_kernelILi32ELi16EiPK19rocblas_complex_numIdES1_KPS1_EviiT3_lPKT2_lT1_lS9_lSA_lS6_lPT4_lSA_li,"axG",@progbits,_ZL20rocblas_gemvn_kernelILi32ELi16EiPK19rocblas_complex_numIdES1_KPS1_EviiT3_lPKT2_lT1_lS9_lSA_lS6_lPT4_lSA_li,comdat
	.globl	_ZL20rocblas_gemvn_kernelILi32ELi16EiPK19rocblas_complex_numIdES1_KPS1_EviiT3_lPKT2_lT1_lS9_lSA_lS6_lPT4_lSA_li ; -- Begin function _ZL20rocblas_gemvn_kernelILi32ELi16EiPK19rocblas_complex_numIdES1_KPS1_EviiT3_lPKT2_lT1_lS9_lSA_lS6_lPT4_lSA_li
	.p2align	8
	.type	_ZL20rocblas_gemvn_kernelILi32ELi16EiPK19rocblas_complex_numIdES1_KPS1_EviiT3_lPKT2_lT1_lS9_lSA_lS6_lPT4_lSA_li,@function
_ZL20rocblas_gemvn_kernelILi32ELi16EiPK19rocblas_complex_numIdES1_KPS1_EviiT3_lPKT2_lT1_lS9_lSA_lS6_lPT4_lSA_li: ; @_ZL20rocblas_gemvn_kernelILi32ELi16EiPK19rocblas_complex_numIdES1_KPS1_EviiT3_lPKT2_lT1_lS9_lSA_lS6_lPT4_lSA_li
; %bb.0:
	s_load_dwordx2 s[0:1], s[4:5], 0xac
	s_mov_b32 s2, s7
	s_waitcnt lgkmcnt(0)
	s_lshr_b32 s3, s0, 16
	s_and_b32 s7, s0, 0xffff
	s_and_b32 s0, s1, 0xffff
	s_mul_i32 s1, s3, s7
	s_mul_i32 s1, s1, s0
	s_cmpk_lg_i32 s1, 0x200
	s_cbranch_scc1 .LBB344_39
; %bb.1:
	s_clause 0x1
	s_load_dwordx4 s[12:15], s[4:5], 0x8
	s_load_dwordx4 s[8:11], s[4:5], 0x60
	s_mov_b32 s3, 0
	s_mov_b64 s[16:17], 0
	s_mov_b32 s19, -1
	s_mov_b32 s20, s3
	s_waitcnt lgkmcnt(0)
	v_cmp_neq_f64_e64 s0, s[12:13], 0
	v_cmp_neq_f64_e64 s1, s[14:15], 0
	s_or_b32 s18, s0, s1
	s_mov_b64 s[0:1], s[2:3]
	s_and_b32 vcc_lo, exec_lo, s18
	s_cbranch_vccnz .LBB344_4
; %bb.2:
	v_cmp_eq_f64_e64 s0, s[8:9], 1.0
	v_cmp_eq_f64_e64 s1, s[10:11], 0
	s_mov_b32 s19, 0
	s_mov_b32 s20, 0
	s_and_b32 s0, s0, s1
	s_andn2_b32 vcc_lo, exec_lo, s0
                                        ; implicit-def: $sgpr0_sgpr1
	s_cbranch_vccz .LBB344_4
; %bb.3:
	s_mov_b32 s1, 0
	s_mov_b32 s0, s2
	s_mov_b32 s20, -1
.LBB344_4:
	s_and_b32 vcc_lo, exec_lo, s19
	s_cbranch_vccz .LBB344_6
; %bb.5:
	s_load_dwordx4 s[20:23], s[4:5], 0x20
	s_lshl_b64 s[2:3], s[2:3], 3
	s_waitcnt lgkmcnt(0)
	s_add_u32 s2, s20, s2
	s_addc_u32 s3, s21, s3
	s_lshl_b64 s[16:17], s[22:23], 4
	s_load_dwordx2 s[2:3], s[2:3], 0x0
	s_mov_b32 s20, -1
	s_waitcnt lgkmcnt(0)
	s_add_u32 s16, s2, s16
	s_addc_u32 s17, s3, s17
.LBB344_6:
	s_andn2_b32 vcc_lo, exec_lo, s20
	s_cbranch_vccnz .LBB344_39
; %bb.7:
	v_cndmask_b32_e64 v2, 0, 1, s18
	s_xor_b32 s21, s18, -1
	s_mov_b64 s[18:19], 0
	v_cmp_ne_u32_e32 vcc_lo, 1, v2
	s_cbranch_vccnz .LBB344_9
; %bb.8:
	s_load_dwordx4 s[24:27], s[4:5], 0x40
	s_lshl_b64 s[2:3], s[0:1], 3
	s_waitcnt lgkmcnt(0)
	s_add_u32 s2, s24, s2
	s_addc_u32 s3, s25, s3
	s_lshl_b64 s[18:19], s[26:27], 4
	s_load_dwordx2 s[2:3], s[2:3], 0x0
	s_waitcnt lgkmcnt(0)
	s_add_u32 s18, s2, s18
	s_addc_u32 s19, s3, s19
.LBB344_9:
	s_load_dwordx4 s[24:27], s[4:5], 0x78
	s_lshl_b64 s[0:1], s[0:1], 3
	v_mad_u32_u24 v10, v1, s7, v0
	s_waitcnt lgkmcnt(0)
	s_add_u32 s0, s24, s0
	s_addc_u32 s1, s25, s1
	s_lshl_b64 s[24:25], s[26:27], 4
	s_load_dwordx2 s[22:23], s[0:1], 0x0
	s_clause 0x1
	s_load_dwordx2 s[2:3], s[4:5], 0x0
	s_load_dword s20, s[4:5], 0x88
	v_cmp_gt_u32_e64 s0, 32, v10
	s_waitcnt lgkmcnt(0)
	s_add_u32 s1, s22, s24
	s_addc_u32 s7, s23, s25
	s_andn2_b32 vcc_lo, exec_lo, s21
	s_cbranch_vccnz .LBB344_16
; %bb.10:
	s_mov_b32 s22, 0
	s_mov_b32 s21, 0
                                        ; implicit-def: $vgpr2_vgpr3
                                        ; implicit-def: $vgpr8_vgpr9
	s_and_saveexec_b32 s23, s0
	s_cbranch_execz .LBB344_17
; %bb.11:
	v_lshl_or_b32 v0, s6, 5, v10
	v_mov_b32_e32 v1, 0
	s_ashr_i32 s25, s2, 31
	s_mov_b32 s24, s2
                                        ; implicit-def: $vgpr8_vgpr9
	v_cmp_gt_i64_e32 vcc_lo, s[24:25], v[0:1]
                                        ; implicit-def: $vgpr2_vgpr3
	s_and_saveexec_b32 s0, vcc_lo
	s_cbranch_execz .LBB344_15
; %bb.12:
	v_cmp_neq_f64_e64 s21, s[8:9], 0
	v_cmp_neq_f64_e64 s24, s[10:11], 0
	v_mad_u64_u32 v[8:9], null, v0, s20, 0
	s_ashr_i32 s25, s20, 31
	v_mov_b32_e32 v1, v9
	v_mad_u64_u32 v[4:5], null, v0, s25, v[1:2]
	v_mov_b32_e32 v2, 0
	v_mov_b32_e32 v0, 0
	;; [unrolled: 1-line block ×5, first 2 shown]
	s_or_b32 s21, s21, s24
	s_andn2_b32 vcc_lo, exec_lo, s21
	s_cbranch_vccnz .LBB344_14
; %bb.13:
	v_lshlrev_b64 v[0:1], 4, v[8:9]
	v_add_co_u32 v0, vcc_lo, s1, v0
	v_add_co_ci_u32_e64 v1, null, s7, v1, vcc_lo
	flat_load_dwordx4 v[2:5], v[0:1]
	s_waitcnt vmcnt(0) lgkmcnt(0)
	v_mul_f64 v[0:1], s[10:11], v[4:5]
	v_mul_f64 v[4:5], s[8:9], v[4:5]
	v_fma_f64 v[0:1], s[8:9], v[2:3], -v[0:1]
	v_fma_f64 v[2:3], s[10:11], v[2:3], v[4:5]
.LBB344_14:
	s_mov_b32 s21, exec_lo
.LBB344_15:
	s_or_b32 exec_lo, exec_lo, s0
	s_and_b32 s21, s21, exec_lo
	s_or_b32 exec_lo, exec_lo, s23
	s_and_b32 vcc_lo, exec_lo, s22
	s_cbranch_vccnz .LBB344_18
	s_branch .LBB344_37
.LBB344_16:
	s_mov_b32 s21, 0
                                        ; implicit-def: $vgpr2_vgpr3
                                        ; implicit-def: $vgpr8_vgpr9
	s_cbranch_execnz .LBB344_18
	s_branch .LBB344_37
.LBB344_17:
	s_or_b32 exec_lo, exec_lo, s23
	s_and_b32 vcc_lo, exec_lo, s22
	s_cbranch_vccz .LBB344_37
.LBB344_18:
	s_clause 0x1
	s_load_dword s22, s[4:5], 0x30
	s_load_dword s5, s[4:5], 0x50
	v_and_b32_e32 v5, 31, v10
	s_ashr_i32 s0, s3, 31
	s_lshl_b32 s4, s6, 5
	s_lshr_b32 s0, s0, 28
	v_mov_b32_e32 v2, 0
	v_mov_b32_e32 v0, 0
	v_lshrrev_b32_e32 v8, 5, v10
	v_or_b32_e32 v9, s4, v5
	v_mov_b32_e32 v3, 0
	v_mov_b32_e32 v1, 0
	s_add_i32 s0, s3, s0
	s_mov_b32 s23, exec_lo
	s_and_b32 s6, s0, -16
	v_cmpx_gt_i32_e64 s6, v8
	s_cbranch_execz .LBB344_24
; %bb.19:
	s_waitcnt lgkmcnt(0)
	v_mul_lo_u32 v0, s22, v8
	v_mov_b32_e32 v2, 0
	v_mov_b32_e32 v3, 0
	v_mul_lo_u32 v4, s5, v8
	s_lshl_b32 s24, s5, 4
	s_lshl_b32 s26, s22, 4
	s_mov_b32 s25, 0
	v_cmp_gt_i32_e32 vcc_lo, s2, v9
	v_add3_u32 v6, v0, s4, v5
	v_mov_b32_e32 v0, v2
	v_mov_b32_e32 v1, v3
	s_inst_prefetch 0x1
	s_branch .LBB344_21
	.p2align	6
.LBB344_20:                             ;   in Loop: Header=BB344_21 Depth=1
	s_or_b32 exec_lo, exec_lo, s27
	v_add_nc_u32_e32 v8, 16, v8
	v_add_nc_u32_e32 v4, s24, v4
	;; [unrolled: 1-line block ×3, first 2 shown]
	v_cmp_le_i32_e64 s0, s6, v8
	s_or_b32 s25, s0, s25
	s_andn2_b32 exec_lo, exec_lo, s25
	s_cbranch_execz .LBB344_23
.LBB344_21:                             ; =>This Inner Loop Header: Depth=1
	s_and_saveexec_b32 s27, vcc_lo
	s_cbranch_execz .LBB344_20
; %bb.22:                               ;   in Loop: Header=BB344_21 Depth=1
	v_ashrrev_i32_e32 v5, 31, v4
	v_ashrrev_i32_e32 v7, 31, v6
	v_lshlrev_b64 v[11:12], 4, v[4:5]
	v_lshlrev_b64 v[13:14], 4, v[6:7]
	v_add_co_u32 v11, s0, s18, v11
	v_add_co_ci_u32_e64 v12, null, s19, v12, s0
	v_add_co_u32 v15, s0, s16, v13
	v_add_co_ci_u32_e64 v16, null, s17, v14, s0
	flat_load_dwordx4 v[11:14], v[11:12]
	flat_load_dwordx4 v[15:18], v[15:16]
	s_waitcnt vmcnt(0) lgkmcnt(0)
	v_mul_f64 v[19:20], v[13:14], v[17:18]
	v_mul_f64 v[17:18], v[11:12], v[17:18]
	v_fma_f64 v[11:12], v[11:12], v[15:16], -v[19:20]
	v_fma_f64 v[13:14], v[13:14], v[15:16], v[17:18]
	v_add_f64 v[0:1], v[0:1], v[11:12]
	v_add_f64 v[2:3], v[2:3], v[13:14]
	s_branch .LBB344_20
.LBB344_23:
	s_inst_prefetch 0x2
	s_or_b32 exec_lo, exec_lo, s25
.LBB344_24:
	s_or_b32 exec_lo, exec_lo, s23
	s_sub_i32 s0, s3, s6
	s_cmp_lt_i32 s0, 1
	s_cbranch_scc1 .LBB344_30
; %bb.25:
	v_mov_b32_e32 v4, 0
	v_mov_b32_e32 v6, 0
	;; [unrolled: 1-line block ×4, first 2 shown]
	v_cmp_gt_i32_e32 vcc_lo, s3, v8
	s_and_saveexec_b32 s3, vcc_lo
	s_cbranch_execz .LBB344_27
; %bb.26:
	s_waitcnt lgkmcnt(0)
	v_mul_lo_u32 v4, v8, s5
	v_ashrrev_i32_e32 v5, 31, v4
	v_lshlrev_b64 v[4:5], 4, v[4:5]
	v_add_co_u32 v4, s0, s18, v4
	v_add_co_ci_u32_e64 v5, null, s19, v5, s0
	flat_load_dwordx4 v[4:7], v[4:5]
.LBB344_27:
	s_or_b32 exec_lo, exec_lo, s3
	s_mov_b32 s3, exec_lo
	v_cmpx_gt_i32_e64 s2, v9
	s_cbranch_execz .LBB344_29
; %bb.28:
	s_waitcnt lgkmcnt(0)
	v_mul_lo_u32 v8, v8, s22
	v_cndmask_b32_e32 v8, 0, v8, vcc_lo
	v_add_nc_u32_e32 v8, v8, v9
	v_ashrrev_i32_e32 v9, 31, v8
	v_lshlrev_b64 v[8:9], 4, v[8:9]
	v_add_co_u32 v8, vcc_lo, s16, v8
	v_add_co_ci_u32_e64 v9, null, s17, v9, vcc_lo
	flat_load_dwordx4 v[11:14], v[8:9]
	s_waitcnt vmcnt(0) lgkmcnt(0)
	v_mul_f64 v[8:9], v[6:7], v[13:14]
	v_mul_f64 v[13:14], v[4:5], v[13:14]
	v_fma_f64 v[4:5], v[4:5], v[11:12], -v[8:9]
	v_fma_f64 v[6:7], v[6:7], v[11:12], v[13:14]
	v_add_f64 v[0:1], v[0:1], v[4:5]
	v_add_f64 v[2:3], v[2:3], v[6:7]
.LBB344_29:
	s_or_b32 exec_lo, exec_lo, s3
.LBB344_30:
	v_lshlrev_b32_e32 v11, 4, v10
	s_mov_b32 s0, exec_lo
                                        ; implicit-def: $vgpr8_vgpr9
	ds_write_b128 v11, v[0:3]
	s_waitcnt vmcnt(0) lgkmcnt(0)
	s_barrier
	buffer_gl0_inv
                                        ; implicit-def: $vgpr2_vgpr3
	v_cmpx_gt_u32_e32 32, v10
	s_cbranch_execz .LBB344_36
; %bb.31:
	ds_read_b128 v[0:3], v11
	ds_read_b128 v[4:7], v11 offset:512
	v_or_b32_e32 v10, s4, v10
	s_mov_b32 s3, s21
	v_cmp_gt_i32_e32 vcc_lo, s2, v10
	s_waitcnt lgkmcnt(0)
	v_add_f64 v[8:9], v[0:1], v[4:5]
	v_add_f64 v[12:13], v[2:3], v[6:7]
	ds_read_b128 v[0:3], v11 offset:1024
	ds_read_b128 v[4:7], v11 offset:1536
	s_waitcnt lgkmcnt(1)
	v_add_f64 v[0:1], v[8:9], v[0:1]
	v_add_f64 v[2:3], v[12:13], v[2:3]
	s_waitcnt lgkmcnt(0)
	v_add_f64 v[8:9], v[0:1], v[4:5]
	v_add_f64 v[12:13], v[2:3], v[6:7]
	ds_read_b128 v[0:3], v11 offset:2048
	ds_read_b128 v[4:7], v11 offset:2560
	s_waitcnt lgkmcnt(1)
	v_add_f64 v[0:1], v[8:9], v[0:1]
	v_add_f64 v[2:3], v[12:13], v[2:3]
	s_waitcnt lgkmcnt(0)
	v_add_f64 v[8:9], v[0:1], v[4:5]
	v_add_f64 v[12:13], v[2:3], v[6:7]
	ds_read_b128 v[0:3], v11 offset:3072
	ds_read_b128 v[4:7], v11 offset:3584
	s_waitcnt lgkmcnt(1)
	v_add_f64 v[0:1], v[8:9], v[0:1]
	v_add_f64 v[2:3], v[12:13], v[2:3]
	s_waitcnt lgkmcnt(0)
	v_add_f64 v[8:9], v[0:1], v[4:5]
	v_add_f64 v[12:13], v[2:3], v[6:7]
	ds_read_b128 v[0:3], v11 offset:4096
	ds_read_b128 v[4:7], v11 offset:4608
	s_waitcnt lgkmcnt(1)
	v_add_f64 v[0:1], v[8:9], v[0:1]
	v_add_f64 v[2:3], v[12:13], v[2:3]
	s_waitcnt lgkmcnt(0)
	v_add_f64 v[8:9], v[0:1], v[4:5]
	v_add_f64 v[12:13], v[2:3], v[6:7]
	ds_read_b128 v[0:3], v11 offset:5120
	ds_read_b128 v[4:7], v11 offset:5632
	s_waitcnt lgkmcnt(1)
	v_add_f64 v[0:1], v[8:9], v[0:1]
	v_add_f64 v[2:3], v[12:13], v[2:3]
	s_waitcnt lgkmcnt(0)
	v_add_f64 v[8:9], v[0:1], v[4:5]
	v_add_f64 v[12:13], v[2:3], v[6:7]
	ds_read_b128 v[0:3], v11 offset:6144
	ds_read_b128 v[4:7], v11 offset:6656
	s_waitcnt lgkmcnt(1)
	v_add_f64 v[0:1], v[8:9], v[0:1]
	v_add_f64 v[2:3], v[12:13], v[2:3]
	s_waitcnt lgkmcnt(0)
	v_add_f64 v[8:9], v[0:1], v[4:5]
	v_add_f64 v[12:13], v[2:3], v[6:7]
	ds_read_b128 v[0:3], v11 offset:7168
	ds_read_b128 v[4:7], v11 offset:7680
	s_waitcnt lgkmcnt(1)
	v_add_f64 v[0:1], v[8:9], v[0:1]
	v_add_f64 v[2:3], v[12:13], v[2:3]
                                        ; implicit-def: $vgpr8_vgpr9
	s_waitcnt lgkmcnt(0)
	v_add_f64 v[4:5], v[0:1], v[4:5]
	v_add_f64 v[6:7], v[2:3], v[6:7]
                                        ; implicit-def: $vgpr2_vgpr3
	ds_write_b128 v11, v[4:7]
	s_and_saveexec_b32 s2, vcc_lo
	s_cbranch_execz .LBB344_35
; %bb.32:
	v_mul_f64 v[0:1], s[14:15], v[6:7]
	v_mul_f64 v[2:3], s[12:13], v[6:7]
	v_cmp_neq_f64_e64 s3, s[8:9], 0
	v_cmp_neq_f64_e64 s4, s[10:11], 0
	v_mul_lo_u32 v8, v10, s20
	v_ashrrev_i32_e32 v9, 31, v8
	v_fma_f64 v[0:1], s[12:13], v[4:5], -v[0:1]
	v_fma_f64 v[2:3], s[14:15], v[4:5], v[2:3]
	s_or_b32 s3, s3, s4
	s_andn2_b32 vcc_lo, exec_lo, s3
	s_cbranch_vccnz .LBB344_34
; %bb.33:
	v_lshlrev_b64 v[4:5], 4, v[8:9]
	v_add_co_u32 v4, vcc_lo, s1, v4
	v_add_co_ci_u32_e64 v5, null, s7, v5, vcc_lo
	flat_load_dwordx4 v[4:7], v[4:5]
	s_waitcnt vmcnt(0) lgkmcnt(0)
	v_mul_f64 v[10:11], s[10:11], v[6:7]
	v_mul_f64 v[6:7], s[8:9], v[6:7]
	v_fma_f64 v[10:11], s[8:9], v[4:5], -v[10:11]
	v_fma_f64 v[4:5], s[10:11], v[4:5], v[6:7]
	v_add_f64 v[0:1], v[0:1], v[10:11]
	v_add_f64 v[2:3], v[2:3], v[4:5]
.LBB344_34:
	s_or_b32 s3, s21, exec_lo
.LBB344_35:
	s_or_b32 exec_lo, exec_lo, s2
	s_andn2_b32 s2, s21, exec_lo
	s_and_b32 s3, s3, exec_lo
	s_or_b32 s21, s2, s3
.LBB344_36:
	s_or_b32 exec_lo, exec_lo, s0
.LBB344_37:
	s_and_saveexec_b32 s0, s21
	s_cbranch_execz .LBB344_39
; %bb.38:
	v_lshlrev_b64 v[4:5], 4, v[8:9]
	v_add_co_u32 v4, vcc_lo, s1, v4
	v_add_co_ci_u32_e64 v5, null, s7, v5, vcc_lo
	flat_store_dwordx4 v[4:5], v[0:3]
.LBB344_39:
	s_endpgm
	.section	.rodata,"a",@progbits
	.p2align	6, 0x0
	.amdhsa_kernel _ZL20rocblas_gemvn_kernelILi32ELi16EiPK19rocblas_complex_numIdES1_KPS1_EviiT3_lPKT2_lT1_lS9_lSA_lS6_lPT4_lSA_li
		.amdhsa_group_segment_fixed_size 8192
		.amdhsa_private_segment_fixed_size 0
		.amdhsa_kernarg_size 416
		.amdhsa_user_sgpr_count 6
		.amdhsa_user_sgpr_private_segment_buffer 1
		.amdhsa_user_sgpr_dispatch_ptr 0
		.amdhsa_user_sgpr_queue_ptr 0
		.amdhsa_user_sgpr_kernarg_segment_ptr 1
		.amdhsa_user_sgpr_dispatch_id 0
		.amdhsa_user_sgpr_flat_scratch_init 0
		.amdhsa_user_sgpr_private_segment_size 0
		.amdhsa_wavefront_size32 1
		.amdhsa_uses_dynamic_stack 0
		.amdhsa_system_sgpr_private_segment_wavefront_offset 0
		.amdhsa_system_sgpr_workgroup_id_x 1
		.amdhsa_system_sgpr_workgroup_id_y 0
		.amdhsa_system_sgpr_workgroup_id_z 1
		.amdhsa_system_sgpr_workgroup_info 0
		.amdhsa_system_vgpr_workitem_id 1
		.amdhsa_next_free_vgpr 21
		.amdhsa_next_free_sgpr 28
		.amdhsa_reserve_vcc 1
		.amdhsa_reserve_flat_scratch 0
		.amdhsa_float_round_mode_32 0
		.amdhsa_float_round_mode_16_64 0
		.amdhsa_float_denorm_mode_32 3
		.amdhsa_float_denorm_mode_16_64 3
		.amdhsa_dx10_clamp 1
		.amdhsa_ieee_mode 1
		.amdhsa_fp16_overflow 0
		.amdhsa_workgroup_processor_mode 1
		.amdhsa_memory_ordered 1
		.amdhsa_forward_progress 1
		.amdhsa_shared_vgpr_count 0
		.amdhsa_exception_fp_ieee_invalid_op 0
		.amdhsa_exception_fp_denorm_src 0
		.amdhsa_exception_fp_ieee_div_zero 0
		.amdhsa_exception_fp_ieee_overflow 0
		.amdhsa_exception_fp_ieee_underflow 0
		.amdhsa_exception_fp_ieee_inexact 0
		.amdhsa_exception_int_div_zero 0
	.end_amdhsa_kernel
	.section	.text._ZL20rocblas_gemvn_kernelILi32ELi16EiPK19rocblas_complex_numIdES1_KPS1_EviiT3_lPKT2_lT1_lS9_lSA_lS6_lPT4_lSA_li,"axG",@progbits,_ZL20rocblas_gemvn_kernelILi32ELi16EiPK19rocblas_complex_numIdES1_KPS1_EviiT3_lPKT2_lT1_lS9_lSA_lS6_lPT4_lSA_li,comdat
.Lfunc_end344:
	.size	_ZL20rocblas_gemvn_kernelILi32ELi16EiPK19rocblas_complex_numIdES1_KPS1_EviiT3_lPKT2_lT1_lS9_lSA_lS6_lPT4_lSA_li, .Lfunc_end344-_ZL20rocblas_gemvn_kernelILi32ELi16EiPK19rocblas_complex_numIdES1_KPS1_EviiT3_lPKT2_lT1_lS9_lSA_lS6_lPT4_lSA_li
                                        ; -- End function
	.set _ZL20rocblas_gemvn_kernelILi32ELi16EiPK19rocblas_complex_numIdES1_KPS1_EviiT3_lPKT2_lT1_lS9_lSA_lS6_lPT4_lSA_li.num_vgpr, 21
	.set _ZL20rocblas_gemvn_kernelILi32ELi16EiPK19rocblas_complex_numIdES1_KPS1_EviiT3_lPKT2_lT1_lS9_lSA_lS6_lPT4_lSA_li.num_agpr, 0
	.set _ZL20rocblas_gemvn_kernelILi32ELi16EiPK19rocblas_complex_numIdES1_KPS1_EviiT3_lPKT2_lT1_lS9_lSA_lS6_lPT4_lSA_li.numbered_sgpr, 28
	.set _ZL20rocblas_gemvn_kernelILi32ELi16EiPK19rocblas_complex_numIdES1_KPS1_EviiT3_lPKT2_lT1_lS9_lSA_lS6_lPT4_lSA_li.num_named_barrier, 0
	.set _ZL20rocblas_gemvn_kernelILi32ELi16EiPK19rocblas_complex_numIdES1_KPS1_EviiT3_lPKT2_lT1_lS9_lSA_lS6_lPT4_lSA_li.private_seg_size, 0
	.set _ZL20rocblas_gemvn_kernelILi32ELi16EiPK19rocblas_complex_numIdES1_KPS1_EviiT3_lPKT2_lT1_lS9_lSA_lS6_lPT4_lSA_li.uses_vcc, 1
	.set _ZL20rocblas_gemvn_kernelILi32ELi16EiPK19rocblas_complex_numIdES1_KPS1_EviiT3_lPKT2_lT1_lS9_lSA_lS6_lPT4_lSA_li.uses_flat_scratch, 0
	.set _ZL20rocblas_gemvn_kernelILi32ELi16EiPK19rocblas_complex_numIdES1_KPS1_EviiT3_lPKT2_lT1_lS9_lSA_lS6_lPT4_lSA_li.has_dyn_sized_stack, 0
	.set _ZL20rocblas_gemvn_kernelILi32ELi16EiPK19rocblas_complex_numIdES1_KPS1_EviiT3_lPKT2_lT1_lS9_lSA_lS6_lPT4_lSA_li.has_recursion, 0
	.set _ZL20rocblas_gemvn_kernelILi32ELi16EiPK19rocblas_complex_numIdES1_KPS1_EviiT3_lPKT2_lT1_lS9_lSA_lS6_lPT4_lSA_li.has_indirect_call, 0
	.section	.AMDGPU.csdata,"",@progbits
; Kernel info:
; codeLenInByte = 1956
; TotalNumSgprs: 30
; NumVgprs: 21
; ScratchSize: 0
; MemoryBound: 1
; FloatMode: 240
; IeeeMode: 1
; LDSByteSize: 8192 bytes/workgroup (compile time only)
; SGPRBlocks: 0
; VGPRBlocks: 2
; NumSGPRsForWavesPerEU: 30
; NumVGPRsForWavesPerEU: 21
; Occupancy: 16
; WaveLimiterHint : 1
; COMPUTE_PGM_RSRC2:SCRATCH_EN: 0
; COMPUTE_PGM_RSRC2:USER_SGPR: 6
; COMPUTE_PGM_RSRC2:TRAP_HANDLER: 0
; COMPUTE_PGM_RSRC2:TGID_X_EN: 1
; COMPUTE_PGM_RSRC2:TGID_Y_EN: 0
; COMPUTE_PGM_RSRC2:TGID_Z_EN: 1
; COMPUTE_PGM_RSRC2:TIDIG_COMP_CNT: 1
	.section	.text._ZL20rocblas_gemvn_kernelILi32ELi16ElPK19rocblas_complex_numIdES1_KPS1_EviiT3_lPKT2_lT1_lS9_lSA_lS6_lPT4_lSA_li,"axG",@progbits,_ZL20rocblas_gemvn_kernelILi32ELi16ElPK19rocblas_complex_numIdES1_KPS1_EviiT3_lPKT2_lT1_lS9_lSA_lS6_lPT4_lSA_li,comdat
	.globl	_ZL20rocblas_gemvn_kernelILi32ELi16ElPK19rocblas_complex_numIdES1_KPS1_EviiT3_lPKT2_lT1_lS9_lSA_lS6_lPT4_lSA_li ; -- Begin function _ZL20rocblas_gemvn_kernelILi32ELi16ElPK19rocblas_complex_numIdES1_KPS1_EviiT3_lPKT2_lT1_lS9_lSA_lS6_lPT4_lSA_li
	.p2align	8
	.type	_ZL20rocblas_gemvn_kernelILi32ELi16ElPK19rocblas_complex_numIdES1_KPS1_EviiT3_lPKT2_lT1_lS9_lSA_lS6_lPT4_lSA_li,@function
_ZL20rocblas_gemvn_kernelILi32ELi16ElPK19rocblas_complex_numIdES1_KPS1_EviiT3_lPKT2_lT1_lS9_lSA_lS6_lPT4_lSA_li: ; @_ZL20rocblas_gemvn_kernelILi32ELi16ElPK19rocblas_complex_numIdES1_KPS1_EviiT3_lPKT2_lT1_lS9_lSA_lS6_lPT4_lSA_li
; %bb.0:
	s_load_dwordx2 s[0:1], s[4:5], 0xac
	s_mov_b32 s16, s7
	s_waitcnt lgkmcnt(0)
	s_lshr_b32 s2, s0, 16
	s_and_b32 s7, s0, 0xffff
	s_and_b32 s0, s1, 0xffff
	s_mul_i32 s1, s2, s7
	s_mul_i32 s1, s1, s0
	s_cmpk_lg_i32 s1, 0x200
	s_cbranch_scc1 .LBB345_39
; %bb.1:
	s_clause 0x3
	s_load_dwordx4 s[12:15], s[4:5], 0x8
	s_load_dwordx4 s[0:3], s[4:5], 0x20
	s_load_dwordx2 s[18:19], s[4:5], 0x30
	s_load_dwordx4 s[8:11], s[4:5], 0x60
	s_mov_b64 s[20:21], 0
	s_mov_b32 s22, -1
	s_waitcnt lgkmcnt(0)
	v_cmp_neq_f64_e64 s17, s[12:13], 0
	v_cmp_neq_f64_e64 s23, s[14:15], 0
	s_or_b32 s24, s17, s23
	s_mov_b32 s17, 0
	s_and_b32 vcc_lo, exec_lo, s24
	s_mov_b64 s[26:27], s[16:17]
	s_mov_b32 s23, s17
	s_cbranch_vccnz .LBB345_4
; %bb.2:
	v_cmp_eq_f64_e64 s22, s[8:9], 1.0
	v_cmp_eq_f64_e64 s23, s[10:11], 0
                                        ; implicit-def: $sgpr26_sgpr27
	s_and_b32 s23, s22, s23
	s_mov_b32 s22, 0
	s_andn2_b32 vcc_lo, exec_lo, s23
	s_mov_b32 s23, 0
	s_cbranch_vccz .LBB345_4
; %bb.3:
	s_mov_b32 s27, 0
	s_mov_b32 s26, s16
	s_mov_b32 s23, -1
.LBB345_4:
	s_and_b32 vcc_lo, exec_lo, s22
	s_cbranch_vccz .LBB345_6
; %bb.5:
	s_lshl_b64 s[16:17], s[16:17], 3
	s_mov_b32 s23, -1
	s_add_u32 s0, s0, s16
	s_addc_u32 s1, s1, s17
	s_lshl_b64 s[2:3], s[2:3], 4
	s_load_dwordx2 s[0:1], s[0:1], 0x0
	s_waitcnt lgkmcnt(0)
	s_add_u32 s20, s0, s2
	s_addc_u32 s21, s1, s3
.LBB345_6:
	s_andn2_b32 vcc_lo, exec_lo, s23
	s_cbranch_vccnz .LBB345_39
; %bb.7:
	s_clause 0x1
	s_load_dwordx4 s[0:3], s[4:5], 0x40
	s_load_dwordx2 s[22:23], s[4:5], 0x50
	v_cndmask_b32_e64 v2, 0, 1, s24
	s_xor_b32 s28, s24, -1
	s_mov_b64 s[24:25], 0
	v_cmp_ne_u32_e32 vcc_lo, 1, v2
	s_cbranch_vccnz .LBB345_9
; %bb.8:
	s_lshl_b64 s[16:17], s[26:27], 3
	s_waitcnt lgkmcnt(0)
	s_add_u32 s0, s0, s16
	s_addc_u32 s1, s1, s17
	s_lshl_b64 s[2:3], s[2:3], 4
	s_load_dwordx2 s[0:1], s[0:1], 0x0
	s_waitcnt lgkmcnt(0)
	s_add_u32 s24, s0, s2
	s_addc_u32 s25, s1, s3
.LBB345_9:
	s_load_dwordx4 s[36:39], s[4:5], 0x78
	s_waitcnt lgkmcnt(0)
	s_lshl_b64 s[0:1], s[26:27], 3
	v_mad_u32_u24 v10, v1, s7, v0
	s_add_u32 s0, s36, s0
	s_addc_u32 s1, s37, s1
	s_load_dwordx2 s[26:27], s[0:1], 0x0
	s_clause 0x1
	s_load_dwordx2 s[16:17], s[4:5], 0x0
	s_load_dwordx2 s[2:3], s[4:5], 0x88
	s_lshl_b64 s[4:5], s[38:39], 4
	v_cmp_gt_u32_e64 s0, 32, v10
	s_waitcnt lgkmcnt(0)
	s_add_u32 s26, s26, s4
	s_addc_u32 s27, s27, s5
	s_andn2_b32 vcc_lo, exec_lo, s28
	s_cbranch_vccnz .LBB345_16
; %bb.10:
	s_mov_b32 s1, 0
	s_mov_b32 s28, 0
                                        ; implicit-def: $vgpr2_vgpr3
                                        ; implicit-def: $vgpr8_vgpr9
	s_and_saveexec_b32 s4, s0
	s_cbranch_execz .LBB345_17
; %bb.11:
	v_lshl_or_b32 v0, s6, 5, v10
	v_mov_b32_e32 v1, 0
	s_ashr_i32 s29, s16, 31
	s_mov_b32 s28, s16
	s_mov_b32 s5, 0
                                        ; implicit-def: $vgpr8_vgpr9
	v_cmp_gt_i64_e32 vcc_lo, s[28:29], v[0:1]
                                        ; implicit-def: $vgpr2_vgpr3
	s_and_saveexec_b32 s0, vcc_lo
	s_cbranch_execz .LBB345_15
; %bb.12:
	v_cmp_neq_f64_e64 s5, s[8:9], 0
	v_cmp_neq_f64_e64 s7, s[10:11], 0
	v_mad_u64_u32 v[8:9], null, s2, v0, 0
	v_mov_b32_e32 v1, v9
	v_mad_u64_u32 v[4:5], null, s3, v0, v[1:2]
	v_mov_b32_e32 v2, 0
	v_mov_b32_e32 v0, 0
	;; [unrolled: 1-line block ×5, first 2 shown]
	s_or_b32 s5, s5, s7
	s_andn2_b32 vcc_lo, exec_lo, s5
	s_cbranch_vccnz .LBB345_14
; %bb.13:
	v_lshlrev_b64 v[0:1], 4, v[8:9]
	v_add_co_u32 v0, vcc_lo, s26, v0
	v_add_co_ci_u32_e64 v1, null, s27, v1, vcc_lo
	flat_load_dwordx4 v[2:5], v[0:1]
	s_waitcnt vmcnt(0) lgkmcnt(0)
	v_mul_f64 v[0:1], s[10:11], v[4:5]
	v_mul_f64 v[4:5], s[8:9], v[4:5]
	v_fma_f64 v[0:1], s[8:9], v[2:3], -v[0:1]
	v_fma_f64 v[2:3], s[10:11], v[2:3], v[4:5]
.LBB345_14:
	s_mov_b32 s5, exec_lo
.LBB345_15:
	s_or_b32 exec_lo, exec_lo, s0
	s_and_b32 s28, s5, exec_lo
	s_or_b32 exec_lo, exec_lo, s4
	s_and_b32 vcc_lo, exec_lo, s1
	s_cbranch_vccnz .LBB345_18
	s_branch .LBB345_37
.LBB345_16:
	s_mov_b32 s28, 0
                                        ; implicit-def: $vgpr2_vgpr3
                                        ; implicit-def: $vgpr8_vgpr9
	s_cbranch_execnz .LBB345_18
	s_branch .LBB345_37
.LBB345_17:
	s_or_b32 exec_lo, exec_lo, s4
	s_and_b32 vcc_lo, exec_lo, s1
	s_cbranch_vccz .LBB345_37
.LBB345_18:
	v_and_b32_e32 v4, 31, v10
	s_ashr_i32 s0, s17, 31
	s_lshl_b32 s29, s6, 5
	s_lshr_b32 s0, s0, 28
	v_mov_b32_e32 v2, 0
	v_mov_b32_e32 v0, 0
	v_lshrrev_b32_e32 v9, 5, v10
	v_or_b32_e32 v8, s29, v4
	v_mov_b32_e32 v3, 0
	v_mov_b32_e32 v1, 0
	s_add_i32 s0, s17, s0
	s_mov_b32 s31, exec_lo
	s_and_b32 s30, s0, -16
	v_cmpx_gt_i32_e64 s30, v9
	s_cbranch_execz .LBB345_24
; %bb.19:
	v_lshrrev_b32_e32 v11, 5, v10
	v_add_nc_u32_e32 v3, s29, v4
	s_lshl_b64 s[4:5], s[22:23], 8
	s_lshl_b64 s[6:7], s[18:19], 8
	s_mov_b32 s33, 0
	v_mad_u64_u32 v[5:6], null, s22, v11, 0
	v_mad_u64_u32 v[0:1], null, s18, v11, 0
	v_ashrrev_i32_e32 v4, 31, v3
	v_cmp_gt_i32_e32 vcc_lo, s16, v8
	v_mov_b32_e32 v2, v6
	v_mad_u64_u32 v[6:7], null, s19, v11, v[1:2]
	v_mad_u64_u32 v[11:12], null, s23, v11, v[2:3]
	v_lshlrev_b64 v[12:13], 4, v[3:4]
	v_mov_b32_e32 v2, 0
	v_mov_b32_e32 v3, 0
	;; [unrolled: 1-line block ×4, first 2 shown]
	v_lshlrev_b64 v[0:1], 4, v[0:1]
	v_lshlrev_b64 v[4:5], 4, v[5:6]
	v_add_co_u32 v0, s0, v0, v12
	v_add_co_ci_u32_e64 v1, null, v1, v13, s0
	v_add_co_u32 v4, s0, s24, v4
	v_add_co_ci_u32_e64 v5, null, s25, v5, s0
	;; [unrolled: 2-line block ×3, first 2 shown]
	v_mov_b32_e32 v0, v2
	v_mov_b32_e32 v1, v3
	s_inst_prefetch 0x1
	s_branch .LBB345_21
	.p2align	6
.LBB345_20:                             ;   in Loop: Header=BB345_21 Depth=1
	s_or_b32 exec_lo, exec_lo, s0
	v_add_nc_u32_e32 v9, 16, v9
	v_add_co_u32 v4, s0, v4, s4
	v_add_co_ci_u32_e64 v5, null, s5, v5, s0
	v_cmp_le_i32_e64 s0, s30, v9
	v_add_co_u32 v6, s1, v6, s6
	v_add_co_ci_u32_e64 v7, null, s7, v7, s1
	s_or_b32 s33, s0, s33
	s_andn2_b32 exec_lo, exec_lo, s33
	s_cbranch_execz .LBB345_23
.LBB345_21:                             ; =>This Inner Loop Header: Depth=1
	s_and_saveexec_b32 s0, vcc_lo
	s_cbranch_execz .LBB345_20
; %bb.22:                               ;   in Loop: Header=BB345_21 Depth=1
	flat_load_dwordx4 v[11:14], v[4:5]
	flat_load_dwordx4 v[15:18], v[6:7]
	s_waitcnt vmcnt(0) lgkmcnt(0)
	v_mul_f64 v[19:20], v[13:14], v[17:18]
	v_mul_f64 v[17:18], v[11:12], v[17:18]
	v_fma_f64 v[11:12], v[11:12], v[15:16], -v[19:20]
	v_fma_f64 v[13:14], v[13:14], v[15:16], v[17:18]
	v_add_f64 v[0:1], v[0:1], v[11:12]
	v_add_f64 v[2:3], v[2:3], v[13:14]
	s_branch .LBB345_20
.LBB345_23:
	s_inst_prefetch 0x2
	s_or_b32 exec_lo, exec_lo, s33
.LBB345_24:
	s_or_b32 exec_lo, exec_lo, s31
	s_sub_i32 s0, s17, s30
	s_cmp_lt_i32 s0, 1
	s_cbranch_scc1 .LBB345_30
; %bb.25:
	v_mov_b32_e32 v4, 0
	v_mov_b32_e32 v6, 0
	;; [unrolled: 1-line block ×4, first 2 shown]
	v_cmp_gt_i32_e32 vcc_lo, s17, v9
	s_and_saveexec_b32 s1, vcc_lo
	s_cbranch_execz .LBB345_27
; %bb.26:
	v_mad_u64_u32 v[4:5], null, s22, v9, 0
	v_mad_u64_u32 v[5:6], null, s23, v9, v[5:6]
	v_lshlrev_b64 v[4:5], 4, v[4:5]
	v_add_co_u32 v4, s0, s24, v4
	v_add_co_ci_u32_e64 v5, null, s25, v5, s0
	flat_load_dwordx4 v[4:7], v[4:5]
.LBB345_27:
	s_or_b32 exec_lo, exec_lo, s1
	s_mov_b32 s1, exec_lo
	v_cmpx_gt_i32_e64 s16, v8
	s_cbranch_execz .LBB345_29
; %bb.28:
	v_mad_u64_u32 v[11:12], null, s18, v9, 0
	v_mad_u64_u32 v[12:13], null, s19, v9, v[12:13]
	v_cndmask_b32_e32 v11, 0, v11, vcc_lo
	v_ashrrev_i32_e32 v9, 31, v8
	v_lshlrev_b64 v[8:9], 4, v[8:9]
	v_cndmask_b32_e32 v12, 0, v12, vcc_lo
	v_lshlrev_b64 v[11:12], 4, v[11:12]
	v_add_co_u32 v11, vcc_lo, s20, v11
	v_add_co_ci_u32_e64 v12, null, s21, v12, vcc_lo
	v_add_co_u32 v8, vcc_lo, v11, v8
	v_add_co_ci_u32_e64 v9, null, v12, v9, vcc_lo
	flat_load_dwordx4 v[11:14], v[8:9]
	s_waitcnt vmcnt(0) lgkmcnt(0)
	v_mul_f64 v[8:9], v[6:7], v[13:14]
	v_mul_f64 v[13:14], v[4:5], v[13:14]
	v_fma_f64 v[4:5], v[4:5], v[11:12], -v[8:9]
	v_fma_f64 v[6:7], v[6:7], v[11:12], v[13:14]
	v_add_f64 v[0:1], v[0:1], v[4:5]
	v_add_f64 v[2:3], v[2:3], v[6:7]
.LBB345_29:
	s_or_b32 exec_lo, exec_lo, s1
.LBB345_30:
	v_lshlrev_b32_e32 v11, 4, v10
	s_mov_b32 s0, exec_lo
                                        ; implicit-def: $vgpr8_vgpr9
	ds_write_b128 v11, v[0:3]
	s_waitcnt vmcnt(0) lgkmcnt(0)
	s_barrier
	buffer_gl0_inv
                                        ; implicit-def: $vgpr2_vgpr3
	v_cmpx_gt_u32_e32 32, v10
	s_cbranch_execz .LBB345_36
; %bb.31:
	ds_read_b128 v[0:3], v11
	ds_read_b128 v[4:7], v11 offset:512
	v_or_b32_e32 v10, s29, v10
	s_mov_b32 s4, s28
	s_mov_b32 s1, exec_lo
	s_waitcnt lgkmcnt(0)
	v_add_f64 v[8:9], v[0:1], v[4:5]
	v_add_f64 v[12:13], v[2:3], v[6:7]
	ds_read_b128 v[0:3], v11 offset:1024
	ds_read_b128 v[4:7], v11 offset:1536
	s_waitcnt lgkmcnt(1)
	v_add_f64 v[0:1], v[8:9], v[0:1]
	v_add_f64 v[2:3], v[12:13], v[2:3]
	s_waitcnt lgkmcnt(0)
	v_add_f64 v[8:9], v[0:1], v[4:5]
	v_add_f64 v[12:13], v[2:3], v[6:7]
	ds_read_b128 v[0:3], v11 offset:2048
	ds_read_b128 v[4:7], v11 offset:2560
	s_waitcnt lgkmcnt(1)
	v_add_f64 v[0:1], v[8:9], v[0:1]
	v_add_f64 v[2:3], v[12:13], v[2:3]
	;; [unrolled: 8-line block ×7, first 2 shown]
                                        ; implicit-def: $vgpr8_vgpr9
	s_waitcnt lgkmcnt(0)
	v_add_f64 v[4:5], v[0:1], v[4:5]
	v_add_f64 v[6:7], v[2:3], v[6:7]
                                        ; implicit-def: $vgpr2_vgpr3
	ds_write_b128 v11, v[4:7]
	v_cmpx_gt_i32_e64 s16, v10
	s_cbranch_execz .LBB345_35
; %bb.32:
	v_mul_f64 v[0:1], s[14:15], v[6:7]
	v_mul_f64 v[2:3], s[12:13], v[6:7]
	v_cmp_neq_f64_e64 s4, s[8:9], 0
	v_cmp_neq_f64_e64 s5, s[10:11], 0
	v_mad_u64_u32 v[8:9], null, s2, v10, 0
	v_fma_f64 v[0:1], s[12:13], v[4:5], -v[0:1]
	v_fma_f64 v[2:3], s[14:15], v[4:5], v[2:3]
	v_ashrrev_i32_e32 v4, 31, v10
	v_mul_lo_u32 v5, s3, v10
	v_mul_lo_u32 v4, s2, v4
	s_or_b32 s2, s4, s5
	s_andn2_b32 vcc_lo, exec_lo, s2
	v_add3_u32 v9, v9, v4, v5
	s_cbranch_vccnz .LBB345_34
; %bb.33:
	v_lshlrev_b64 v[4:5], 4, v[8:9]
	v_add_co_u32 v4, vcc_lo, s26, v4
	v_add_co_ci_u32_e64 v5, null, s27, v5, vcc_lo
	flat_load_dwordx4 v[4:7], v[4:5]
	s_waitcnt vmcnt(0) lgkmcnt(0)
	v_mul_f64 v[10:11], s[10:11], v[6:7]
	v_mul_f64 v[6:7], s[8:9], v[6:7]
	v_fma_f64 v[10:11], s[8:9], v[4:5], -v[10:11]
	v_fma_f64 v[4:5], s[10:11], v[4:5], v[6:7]
	v_add_f64 v[0:1], v[0:1], v[10:11]
	v_add_f64 v[2:3], v[2:3], v[4:5]
.LBB345_34:
	s_or_b32 s4, s28, exec_lo
.LBB345_35:
	s_or_b32 exec_lo, exec_lo, s1
	s_andn2_b32 s1, s28, exec_lo
	s_and_b32 s2, s4, exec_lo
	s_or_b32 s28, s1, s2
.LBB345_36:
	s_or_b32 exec_lo, exec_lo, s0
.LBB345_37:
	s_and_saveexec_b32 s0, s28
	s_cbranch_execz .LBB345_39
; %bb.38:
	v_lshlrev_b64 v[4:5], 4, v[8:9]
	v_add_co_u32 v4, vcc_lo, s26, v4
	v_add_co_ci_u32_e64 v5, null, s27, v5, vcc_lo
	flat_store_dwordx4 v[4:5], v[0:3]
.LBB345_39:
	s_endpgm
	.section	.rodata,"a",@progbits
	.p2align	6, 0x0
	.amdhsa_kernel _ZL20rocblas_gemvn_kernelILi32ELi16ElPK19rocblas_complex_numIdES1_KPS1_EviiT3_lPKT2_lT1_lS9_lSA_lS6_lPT4_lSA_li
		.amdhsa_group_segment_fixed_size 8192
		.amdhsa_private_segment_fixed_size 0
		.amdhsa_kernarg_size 416
		.amdhsa_user_sgpr_count 6
		.amdhsa_user_sgpr_private_segment_buffer 1
		.amdhsa_user_sgpr_dispatch_ptr 0
		.amdhsa_user_sgpr_queue_ptr 0
		.amdhsa_user_sgpr_kernarg_segment_ptr 1
		.amdhsa_user_sgpr_dispatch_id 0
		.amdhsa_user_sgpr_flat_scratch_init 0
		.amdhsa_user_sgpr_private_segment_size 0
		.amdhsa_wavefront_size32 1
		.amdhsa_uses_dynamic_stack 0
		.amdhsa_system_sgpr_private_segment_wavefront_offset 0
		.amdhsa_system_sgpr_workgroup_id_x 1
		.amdhsa_system_sgpr_workgroup_id_y 0
		.amdhsa_system_sgpr_workgroup_id_z 1
		.amdhsa_system_sgpr_workgroup_info 0
		.amdhsa_system_vgpr_workitem_id 1
		.amdhsa_next_free_vgpr 21
		.amdhsa_next_free_sgpr 40
		.amdhsa_reserve_vcc 1
		.amdhsa_reserve_flat_scratch 0
		.amdhsa_float_round_mode_32 0
		.amdhsa_float_round_mode_16_64 0
		.amdhsa_float_denorm_mode_32 3
		.amdhsa_float_denorm_mode_16_64 3
		.amdhsa_dx10_clamp 1
		.amdhsa_ieee_mode 1
		.amdhsa_fp16_overflow 0
		.amdhsa_workgroup_processor_mode 1
		.amdhsa_memory_ordered 1
		.amdhsa_forward_progress 1
		.amdhsa_shared_vgpr_count 0
		.amdhsa_exception_fp_ieee_invalid_op 0
		.amdhsa_exception_fp_denorm_src 0
		.amdhsa_exception_fp_ieee_div_zero 0
		.amdhsa_exception_fp_ieee_overflow 0
		.amdhsa_exception_fp_ieee_underflow 0
		.amdhsa_exception_fp_ieee_inexact 0
		.amdhsa_exception_int_div_zero 0
	.end_amdhsa_kernel
	.section	.text._ZL20rocblas_gemvn_kernelILi32ELi16ElPK19rocblas_complex_numIdES1_KPS1_EviiT3_lPKT2_lT1_lS9_lSA_lS6_lPT4_lSA_li,"axG",@progbits,_ZL20rocblas_gemvn_kernelILi32ELi16ElPK19rocblas_complex_numIdES1_KPS1_EviiT3_lPKT2_lT1_lS9_lSA_lS6_lPT4_lSA_li,comdat
.Lfunc_end345:
	.size	_ZL20rocblas_gemvn_kernelILi32ELi16ElPK19rocblas_complex_numIdES1_KPS1_EviiT3_lPKT2_lT1_lS9_lSA_lS6_lPT4_lSA_li, .Lfunc_end345-_ZL20rocblas_gemvn_kernelILi32ELi16ElPK19rocblas_complex_numIdES1_KPS1_EviiT3_lPKT2_lT1_lS9_lSA_lS6_lPT4_lSA_li
                                        ; -- End function
	.set _ZL20rocblas_gemvn_kernelILi32ELi16ElPK19rocblas_complex_numIdES1_KPS1_EviiT3_lPKT2_lT1_lS9_lSA_lS6_lPT4_lSA_li.num_vgpr, 21
	.set _ZL20rocblas_gemvn_kernelILi32ELi16ElPK19rocblas_complex_numIdES1_KPS1_EviiT3_lPKT2_lT1_lS9_lSA_lS6_lPT4_lSA_li.num_agpr, 0
	.set _ZL20rocblas_gemvn_kernelILi32ELi16ElPK19rocblas_complex_numIdES1_KPS1_EviiT3_lPKT2_lT1_lS9_lSA_lS6_lPT4_lSA_li.numbered_sgpr, 40
	.set _ZL20rocblas_gemvn_kernelILi32ELi16ElPK19rocblas_complex_numIdES1_KPS1_EviiT3_lPKT2_lT1_lS9_lSA_lS6_lPT4_lSA_li.num_named_barrier, 0
	.set _ZL20rocblas_gemvn_kernelILi32ELi16ElPK19rocblas_complex_numIdES1_KPS1_EviiT3_lPKT2_lT1_lS9_lSA_lS6_lPT4_lSA_li.private_seg_size, 0
	.set _ZL20rocblas_gemvn_kernelILi32ELi16ElPK19rocblas_complex_numIdES1_KPS1_EviiT3_lPKT2_lT1_lS9_lSA_lS6_lPT4_lSA_li.uses_vcc, 1
	.set _ZL20rocblas_gemvn_kernelILi32ELi16ElPK19rocblas_complex_numIdES1_KPS1_EviiT3_lPKT2_lT1_lS9_lSA_lS6_lPT4_lSA_li.uses_flat_scratch, 0
	.set _ZL20rocblas_gemvn_kernelILi32ELi16ElPK19rocblas_complex_numIdES1_KPS1_EviiT3_lPKT2_lT1_lS9_lSA_lS6_lPT4_lSA_li.has_dyn_sized_stack, 0
	.set _ZL20rocblas_gemvn_kernelILi32ELi16ElPK19rocblas_complex_numIdES1_KPS1_EviiT3_lPKT2_lT1_lS9_lSA_lS6_lPT4_lSA_li.has_recursion, 0
	.set _ZL20rocblas_gemvn_kernelILi32ELi16ElPK19rocblas_complex_numIdES1_KPS1_EviiT3_lPKT2_lT1_lS9_lSA_lS6_lPT4_lSA_li.has_indirect_call, 0
	.section	.AMDGPU.csdata,"",@progbits
; Kernel info:
; codeLenInByte = 2044
; TotalNumSgprs: 42
; NumVgprs: 21
; ScratchSize: 0
; MemoryBound: 1
; FloatMode: 240
; IeeeMode: 1
; LDSByteSize: 8192 bytes/workgroup (compile time only)
; SGPRBlocks: 0
; VGPRBlocks: 2
; NumSGPRsForWavesPerEU: 42
; NumVGPRsForWavesPerEU: 21
; Occupancy: 16
; WaveLimiterHint : 1
; COMPUTE_PGM_RSRC2:SCRATCH_EN: 0
; COMPUTE_PGM_RSRC2:USER_SGPR: 6
; COMPUTE_PGM_RSRC2:TRAP_HANDLER: 0
; COMPUTE_PGM_RSRC2:TGID_X_EN: 1
; COMPUTE_PGM_RSRC2:TGID_Y_EN: 0
; COMPUTE_PGM_RSRC2:TGID_Z_EN: 1
; COMPUTE_PGM_RSRC2:TIDIG_COMP_CNT: 1
	.section	.text._ZL20rocblas_gemvn_kernelILi64ELi16EiPK19rocblas_complex_numIdES3_KPS1_EviiT3_lPKT2_lT1_lS9_lSA_lS6_lPT4_lSA_li,"axG",@progbits,_ZL20rocblas_gemvn_kernelILi64ELi16EiPK19rocblas_complex_numIdES3_KPS1_EviiT3_lPKT2_lT1_lS9_lSA_lS6_lPT4_lSA_li,comdat
	.globl	_ZL20rocblas_gemvn_kernelILi64ELi16EiPK19rocblas_complex_numIdES3_KPS1_EviiT3_lPKT2_lT1_lS9_lSA_lS6_lPT4_lSA_li ; -- Begin function _ZL20rocblas_gemvn_kernelILi64ELi16EiPK19rocblas_complex_numIdES3_KPS1_EviiT3_lPKT2_lT1_lS9_lSA_lS6_lPT4_lSA_li
	.p2align	8
	.type	_ZL20rocblas_gemvn_kernelILi64ELi16EiPK19rocblas_complex_numIdES3_KPS1_EviiT3_lPKT2_lT1_lS9_lSA_lS6_lPT4_lSA_li,@function
_ZL20rocblas_gemvn_kernelILi64ELi16EiPK19rocblas_complex_numIdES3_KPS1_EviiT3_lPKT2_lT1_lS9_lSA_lS6_lPT4_lSA_li: ; @_ZL20rocblas_gemvn_kernelILi64ELi16EiPK19rocblas_complex_numIdES3_KPS1_EviiT3_lPKT2_lT1_lS9_lSA_lS6_lPT4_lSA_li
; %bb.0:
	s_load_dwordx2 s[2:3], s[4:5], 0x9c
	s_mov_b32 s0, s7
	s_waitcnt lgkmcnt(0)
	s_lshr_b32 s1, s2, 16
	s_and_b32 s7, s2, 0xffff
	s_and_b32 s2, s3, 0xffff
	s_mul_i32 s1, s1, s7
	s_mul_i32 s1, s1, s2
	s_cmpk_lg_i32 s1, 0x400
	s_cbranch_scc1 .LBB346_4
; %bb.1:
	s_clause 0x1
	s_load_dwordx8 s[16:23], s[4:5], 0x8
	s_load_dwordx8 s[8:15], s[4:5], 0x58
	s_mov_b64 s[24:25], 0
	s_waitcnt lgkmcnt(0)
	s_mul_i32 s1, s19, s0
	s_mul_hi_u32 s3, s18, s0
	s_mul_i32 s2, s18, s0
	s_add_i32 s3, s3, s1
	s_mul_i32 s1, s11, s0
	s_lshl_b64 s[2:3], s[2:3], 4
	s_add_u32 s2, s16, s2
	s_addc_u32 s3, s17, s3
	s_load_dwordx4 s[16:19], s[2:3], 0x0
	s_mul_hi_u32 s2, s10, s0
	s_add_i32 s3, s2, s1
	s_mul_i32 s2, s10, s0
	s_mov_b32 s1, 0
	s_lshl_b64 s[2:3], s[2:3], 4
	s_add_u32 s2, s8, s2
	s_addc_u32 s3, s9, s3
	s_load_dwordx4 s[8:11], s[2:3], 0x0
	s_mov_b32 s3, s1
	s_waitcnt lgkmcnt(0)
	v_cmp_neq_f64_e64 s26, s[16:17], 0
	v_cmp_neq_f64_e64 s27, s[18:19], 0
	s_or_b32 s2, s26, s27
	s_mov_b32 s26, -1
	s_and_b32 vcc_lo, exec_lo, s2
	s_cbranch_vccz .LBB346_5
; %bb.2:
	s_andn2_b32 vcc_lo, exec_lo, s26
	s_cbranch_vccz .LBB346_6
.LBB346_3:
	s_andn2_b32 vcc_lo, exec_lo, s3
	s_cbranch_vccz .LBB346_7
.LBB346_4:
	s_endpgm
.LBB346_5:
	v_cmp_neq_f64_e64 s3, s[8:9], 1.0
	v_cmp_neq_f64_e64 s26, s[10:11], 0
	s_or_b32 s3, s3, s26
	s_cbranch_execnz .LBB346_3
.LBB346_6:
	s_lshl_b64 s[24:25], s[0:1], 3
	s_add_u32 s20, s20, s24
	s_addc_u32 s21, s21, s25
	s_lshl_b64 s[22:23], s[22:23], 4
	s_load_dwordx2 s[20:21], s[20:21], 0x0
	s_waitcnt lgkmcnt(0)
	s_add_u32 s24, s20, s22
	s_addc_u32 s25, s21, s23
.LBB346_7:
	v_cndmask_b32_e64 v2, 0, 1, s2
	s_xor_b32 s22, s2, -1
	s_mov_b64 s[20:21], 0
	v_cmp_ne_u32_e32 vcc_lo, 1, v2
	s_cbranch_vccnz .LBB346_9
; %bb.8:
	s_load_dwordx4 s[28:31], s[4:5], 0x38
	s_lshl_b64 s[2:3], s[0:1], 3
	s_waitcnt lgkmcnt(0)
	s_add_u32 s2, s28, s2
	s_addc_u32 s3, s29, s3
	s_lshl_b64 s[20:21], s[30:31], 4
	s_load_dwordx2 s[2:3], s[2:3], 0x0
	s_waitcnt lgkmcnt(0)
	s_add_u32 s20, s2, s20
	s_addc_u32 s21, s3, s21
.LBB346_9:
	s_lshl_b64 s[0:1], s[0:1], 3
	v_mad_u32_u24 v10, v1, s7, v0
	s_add_u32 s0, s12, s0
	s_addc_u32 s1, s13, s1
	s_lshl_b64 s[14:15], s[14:15], 4
	s_load_dwordx2 s[26:27], s[0:1], 0x0
	s_clause 0x1
	s_load_dwordx2 s[2:3], s[4:5], 0x0
	s_load_dword s12, s[4:5], 0x78
	v_cmp_gt_u32_e64 s0, 64, v10
	s_waitcnt lgkmcnt(0)
	s_add_u32 s1, s26, s14
	s_addc_u32 s7, s27, s15
	s_andn2_b32 vcc_lo, exec_lo, s22
	s_cbranch_vccnz .LBB346_16
; %bb.10:
	s_mov_b32 s14, 0
	s_mov_b32 s13, 0
                                        ; implicit-def: $vgpr2_vgpr3
                                        ; implicit-def: $vgpr8_vgpr9
	s_and_saveexec_b32 s15, s0
	s_cbranch_execz .LBB346_17
; %bb.11:
	v_lshl_or_b32 v0, s6, 6, v10
	v_mov_b32_e32 v1, 0
	s_ashr_i32 s23, s2, 31
	s_mov_b32 s22, s2
                                        ; implicit-def: $vgpr8_vgpr9
	v_cmp_gt_i64_e32 vcc_lo, s[22:23], v[0:1]
                                        ; implicit-def: $vgpr2_vgpr3
	s_and_saveexec_b32 s0, vcc_lo
	s_cbranch_execz .LBB346_15
; %bb.12:
	v_cmp_neq_f64_e64 s13, s[8:9], 0
	v_cmp_neq_f64_e64 s22, s[10:11], 0
	v_mad_u64_u32 v[8:9], null, v0, s12, 0
	s_ashr_i32 s23, s12, 31
	v_mov_b32_e32 v1, v9
	v_mad_u64_u32 v[4:5], null, v0, s23, v[1:2]
	v_mov_b32_e32 v2, 0
	v_mov_b32_e32 v0, 0
	;; [unrolled: 1-line block ×5, first 2 shown]
	s_or_b32 s13, s13, s22
	s_andn2_b32 vcc_lo, exec_lo, s13
	s_cbranch_vccnz .LBB346_14
; %bb.13:
	v_lshlrev_b64 v[0:1], 4, v[8:9]
	v_add_co_u32 v0, vcc_lo, s1, v0
	v_add_co_ci_u32_e64 v1, null, s7, v1, vcc_lo
	flat_load_dwordx4 v[2:5], v[0:1]
	s_waitcnt vmcnt(0) lgkmcnt(0)
	v_mul_f64 v[0:1], s[10:11], v[4:5]
	v_mul_f64 v[4:5], s[8:9], v[4:5]
	v_fma_f64 v[0:1], s[8:9], v[2:3], -v[0:1]
	v_fma_f64 v[2:3], s[10:11], v[2:3], v[4:5]
.LBB346_14:
	s_mov_b32 s13, exec_lo
.LBB346_15:
	s_or_b32 exec_lo, exec_lo, s0
	s_and_b32 s13, s13, exec_lo
	s_or_b32 exec_lo, exec_lo, s15
	s_and_b32 vcc_lo, exec_lo, s14
	s_cbranch_vccnz .LBB346_18
	s_branch .LBB346_37
.LBB346_16:
	s_mov_b32 s13, 0
                                        ; implicit-def: $vgpr2_vgpr3
                                        ; implicit-def: $vgpr8_vgpr9
	s_cbranch_execnz .LBB346_18
	s_branch .LBB346_37
.LBB346_17:
	s_or_b32 exec_lo, exec_lo, s15
	s_and_b32 vcc_lo, exec_lo, s14
	s_cbranch_vccz .LBB346_37
.LBB346_18:
	s_clause 0x1
	s_load_dword s14, s[4:5], 0x28
	s_load_dword s5, s[4:5], 0x48
	v_and_b32_e32 v5, 63, v10
	s_ashr_i32 s0, s3, 31
	s_lshl_b32 s4, s6, 6
	s_lshr_b32 s0, s0, 28
	v_mov_b32_e32 v2, 0
	v_mov_b32_e32 v0, 0
	v_lshrrev_b32_e32 v8, 6, v10
	v_or_b32_e32 v9, s4, v5
	v_mov_b32_e32 v3, 0
	v_mov_b32_e32 v1, 0
	s_add_i32 s0, s3, s0
	s_mov_b32 s15, exec_lo
	s_and_b32 s6, s0, -16
	v_cmpx_gt_i32_e64 s6, v8
	s_cbranch_execz .LBB346_24
; %bb.19:
	s_waitcnt lgkmcnt(0)
	v_mul_lo_u32 v0, s14, v8
	v_mov_b32_e32 v2, 0
	v_mov_b32_e32 v3, 0
	v_mul_lo_u32 v4, s5, v8
	s_lshl_b32 s22, s5, 4
	s_lshl_b32 s26, s14, 4
	s_mov_b32 s23, 0
	v_cmp_gt_i32_e32 vcc_lo, s2, v9
	v_add3_u32 v6, v0, s4, v5
	v_mov_b32_e32 v0, v2
	v_mov_b32_e32 v1, v3
	s_inst_prefetch 0x1
	s_branch .LBB346_21
	.p2align	6
.LBB346_20:                             ;   in Loop: Header=BB346_21 Depth=1
	s_or_b32 exec_lo, exec_lo, s27
	v_add_nc_u32_e32 v8, 16, v8
	v_add_nc_u32_e32 v4, s22, v4
	;; [unrolled: 1-line block ×3, first 2 shown]
	v_cmp_le_i32_e64 s0, s6, v8
	s_or_b32 s23, s0, s23
	s_andn2_b32 exec_lo, exec_lo, s23
	s_cbranch_execz .LBB346_23
.LBB346_21:                             ; =>This Inner Loop Header: Depth=1
	s_and_saveexec_b32 s27, vcc_lo
	s_cbranch_execz .LBB346_20
; %bb.22:                               ;   in Loop: Header=BB346_21 Depth=1
	v_ashrrev_i32_e32 v5, 31, v4
	v_ashrrev_i32_e32 v7, 31, v6
	v_lshlrev_b64 v[11:12], 4, v[4:5]
	v_lshlrev_b64 v[13:14], 4, v[6:7]
	v_add_co_u32 v11, s0, s20, v11
	v_add_co_ci_u32_e64 v12, null, s21, v12, s0
	v_add_co_u32 v15, s0, s24, v13
	v_add_co_ci_u32_e64 v16, null, s25, v14, s0
	flat_load_dwordx4 v[11:14], v[11:12]
	flat_load_dwordx4 v[15:18], v[15:16]
	s_waitcnt vmcnt(0) lgkmcnt(0)
	v_mul_f64 v[19:20], v[13:14], v[17:18]
	v_mul_f64 v[17:18], v[11:12], v[17:18]
	v_fma_f64 v[11:12], v[11:12], v[15:16], -v[19:20]
	v_fma_f64 v[13:14], v[13:14], v[15:16], v[17:18]
	v_add_f64 v[0:1], v[0:1], v[11:12]
	v_add_f64 v[2:3], v[2:3], v[13:14]
	s_branch .LBB346_20
.LBB346_23:
	s_inst_prefetch 0x2
	s_or_b32 exec_lo, exec_lo, s23
.LBB346_24:
	s_or_b32 exec_lo, exec_lo, s15
	s_sub_i32 s0, s3, s6
	s_cmp_lt_i32 s0, 1
	s_cbranch_scc1 .LBB346_30
; %bb.25:
	v_mov_b32_e32 v4, 0
	v_mov_b32_e32 v6, 0
	;; [unrolled: 1-line block ×4, first 2 shown]
	v_cmp_gt_i32_e32 vcc_lo, s3, v8
	s_and_saveexec_b32 s3, vcc_lo
	s_cbranch_execz .LBB346_27
; %bb.26:
	s_waitcnt lgkmcnt(0)
	v_mul_lo_u32 v4, v8, s5
	v_ashrrev_i32_e32 v5, 31, v4
	v_lshlrev_b64 v[4:5], 4, v[4:5]
	v_add_co_u32 v4, s0, s20, v4
	v_add_co_ci_u32_e64 v5, null, s21, v5, s0
	flat_load_dwordx4 v[4:7], v[4:5]
.LBB346_27:
	s_or_b32 exec_lo, exec_lo, s3
	s_mov_b32 s3, exec_lo
	v_cmpx_gt_i32_e64 s2, v9
	s_cbranch_execz .LBB346_29
; %bb.28:
	s_waitcnt lgkmcnt(0)
	v_mul_lo_u32 v8, v8, s14
	v_cndmask_b32_e32 v8, 0, v8, vcc_lo
	v_add_nc_u32_e32 v8, v8, v9
	v_ashrrev_i32_e32 v9, 31, v8
	v_lshlrev_b64 v[8:9], 4, v[8:9]
	v_add_co_u32 v8, vcc_lo, s24, v8
	v_add_co_ci_u32_e64 v9, null, s25, v9, vcc_lo
	flat_load_dwordx4 v[11:14], v[8:9]
	s_waitcnt vmcnt(0) lgkmcnt(0)
	v_mul_f64 v[8:9], v[6:7], v[13:14]
	v_mul_f64 v[13:14], v[4:5], v[13:14]
	v_fma_f64 v[4:5], v[4:5], v[11:12], -v[8:9]
	v_fma_f64 v[6:7], v[6:7], v[11:12], v[13:14]
	v_add_f64 v[0:1], v[0:1], v[4:5]
	v_add_f64 v[2:3], v[2:3], v[6:7]
.LBB346_29:
	s_or_b32 exec_lo, exec_lo, s3
.LBB346_30:
	v_lshlrev_b32_e32 v11, 4, v10
	s_mov_b32 s0, exec_lo
                                        ; implicit-def: $vgpr8_vgpr9
	ds_write_b128 v11, v[0:3]
	s_waitcnt vmcnt(0) lgkmcnt(0)
	s_barrier
	buffer_gl0_inv
                                        ; implicit-def: $vgpr2_vgpr3
	v_cmpx_gt_u32_e32 64, v10
	s_cbranch_execz .LBB346_36
; %bb.31:
	ds_read_b128 v[0:3], v11
	ds_read_b128 v[4:7], v11 offset:1024
	v_or_b32_e32 v10, s4, v10
	s_mov_b32 s3, s13
	v_cmp_gt_i32_e32 vcc_lo, s2, v10
	s_waitcnt lgkmcnt(0)
	v_add_f64 v[8:9], v[0:1], v[4:5]
	v_add_f64 v[12:13], v[2:3], v[6:7]
	ds_read_b128 v[0:3], v11 offset:2048
	ds_read_b128 v[4:7], v11 offset:3072
	s_waitcnt lgkmcnt(1)
	v_add_f64 v[0:1], v[8:9], v[0:1]
	v_add_f64 v[2:3], v[12:13], v[2:3]
	s_waitcnt lgkmcnt(0)
	v_add_f64 v[8:9], v[0:1], v[4:5]
	v_add_f64 v[12:13], v[2:3], v[6:7]
	ds_read_b128 v[0:3], v11 offset:4096
	ds_read_b128 v[4:7], v11 offset:5120
	s_waitcnt lgkmcnt(1)
	v_add_f64 v[0:1], v[8:9], v[0:1]
	v_add_f64 v[2:3], v[12:13], v[2:3]
	;; [unrolled: 8-line block ×7, first 2 shown]
                                        ; implicit-def: $vgpr8_vgpr9
	s_waitcnt lgkmcnt(0)
	v_add_f64 v[4:5], v[0:1], v[4:5]
	v_add_f64 v[6:7], v[2:3], v[6:7]
                                        ; implicit-def: $vgpr2_vgpr3
	ds_write_b128 v11, v[4:7]
	s_and_saveexec_b32 s2, vcc_lo
	s_cbranch_execz .LBB346_35
; %bb.32:
	v_mul_f64 v[0:1], s[18:19], v[6:7]
	v_mul_f64 v[2:3], s[16:17], v[6:7]
	v_cmp_neq_f64_e64 s3, s[8:9], 0
	v_cmp_neq_f64_e64 s4, s[10:11], 0
	v_mul_lo_u32 v8, v10, s12
	v_ashrrev_i32_e32 v9, 31, v8
	v_fma_f64 v[0:1], s[16:17], v[4:5], -v[0:1]
	v_fma_f64 v[2:3], s[18:19], v[4:5], v[2:3]
	s_or_b32 s3, s3, s4
	s_andn2_b32 vcc_lo, exec_lo, s3
	s_cbranch_vccnz .LBB346_34
; %bb.33:
	v_lshlrev_b64 v[4:5], 4, v[8:9]
	v_add_co_u32 v4, vcc_lo, s1, v4
	v_add_co_ci_u32_e64 v5, null, s7, v5, vcc_lo
	flat_load_dwordx4 v[4:7], v[4:5]
	s_waitcnt vmcnt(0) lgkmcnt(0)
	v_mul_f64 v[10:11], s[10:11], v[6:7]
	v_mul_f64 v[6:7], s[8:9], v[6:7]
	v_fma_f64 v[10:11], s[8:9], v[4:5], -v[10:11]
	v_fma_f64 v[4:5], s[10:11], v[4:5], v[6:7]
	v_add_f64 v[0:1], v[0:1], v[10:11]
	v_add_f64 v[2:3], v[2:3], v[4:5]
.LBB346_34:
	s_or_b32 s3, s13, exec_lo
.LBB346_35:
	s_or_b32 exec_lo, exec_lo, s2
	s_andn2_b32 s2, s13, exec_lo
	s_and_b32 s3, s3, exec_lo
	s_or_b32 s13, s2, s3
.LBB346_36:
	s_or_b32 exec_lo, exec_lo, s0
.LBB346_37:
	s_and_saveexec_b32 s0, s13
	s_cbranch_execz .LBB346_4
; %bb.38:
	v_lshlrev_b64 v[4:5], 4, v[8:9]
	v_add_co_u32 v4, vcc_lo, s1, v4
	v_add_co_ci_u32_e64 v5, null, s7, v5, vcc_lo
	flat_store_dwordx4 v[4:5], v[0:3]
	s_endpgm
	.section	.rodata,"a",@progbits
	.p2align	6, 0x0
	.amdhsa_kernel _ZL20rocblas_gemvn_kernelILi64ELi16EiPK19rocblas_complex_numIdES3_KPS1_EviiT3_lPKT2_lT1_lS9_lSA_lS6_lPT4_lSA_li
		.amdhsa_group_segment_fixed_size 16384
		.amdhsa_private_segment_fixed_size 0
		.amdhsa_kernarg_size 400
		.amdhsa_user_sgpr_count 6
		.amdhsa_user_sgpr_private_segment_buffer 1
		.amdhsa_user_sgpr_dispatch_ptr 0
		.amdhsa_user_sgpr_queue_ptr 0
		.amdhsa_user_sgpr_kernarg_segment_ptr 1
		.amdhsa_user_sgpr_dispatch_id 0
		.amdhsa_user_sgpr_flat_scratch_init 0
		.amdhsa_user_sgpr_private_segment_size 0
		.amdhsa_wavefront_size32 1
		.amdhsa_uses_dynamic_stack 0
		.amdhsa_system_sgpr_private_segment_wavefront_offset 0
		.amdhsa_system_sgpr_workgroup_id_x 1
		.amdhsa_system_sgpr_workgroup_id_y 0
		.amdhsa_system_sgpr_workgroup_id_z 1
		.amdhsa_system_sgpr_workgroup_info 0
		.amdhsa_system_vgpr_workitem_id 1
		.amdhsa_next_free_vgpr 21
		.amdhsa_next_free_sgpr 32
		.amdhsa_reserve_vcc 1
		.amdhsa_reserve_flat_scratch 0
		.amdhsa_float_round_mode_32 0
		.amdhsa_float_round_mode_16_64 0
		.amdhsa_float_denorm_mode_32 3
		.amdhsa_float_denorm_mode_16_64 3
		.amdhsa_dx10_clamp 1
		.amdhsa_ieee_mode 1
		.amdhsa_fp16_overflow 0
		.amdhsa_workgroup_processor_mode 1
		.amdhsa_memory_ordered 1
		.amdhsa_forward_progress 1
		.amdhsa_shared_vgpr_count 0
		.amdhsa_exception_fp_ieee_invalid_op 0
		.amdhsa_exception_fp_denorm_src 0
		.amdhsa_exception_fp_ieee_div_zero 0
		.amdhsa_exception_fp_ieee_overflow 0
		.amdhsa_exception_fp_ieee_underflow 0
		.amdhsa_exception_fp_ieee_inexact 0
		.amdhsa_exception_int_div_zero 0
	.end_amdhsa_kernel
	.section	.text._ZL20rocblas_gemvn_kernelILi64ELi16EiPK19rocblas_complex_numIdES3_KPS1_EviiT3_lPKT2_lT1_lS9_lSA_lS6_lPT4_lSA_li,"axG",@progbits,_ZL20rocblas_gemvn_kernelILi64ELi16EiPK19rocblas_complex_numIdES3_KPS1_EviiT3_lPKT2_lT1_lS9_lSA_lS6_lPT4_lSA_li,comdat
.Lfunc_end346:
	.size	_ZL20rocblas_gemvn_kernelILi64ELi16EiPK19rocblas_complex_numIdES3_KPS1_EviiT3_lPKT2_lT1_lS9_lSA_lS6_lPT4_lSA_li, .Lfunc_end346-_ZL20rocblas_gemvn_kernelILi64ELi16EiPK19rocblas_complex_numIdES3_KPS1_EviiT3_lPKT2_lT1_lS9_lSA_lS6_lPT4_lSA_li
                                        ; -- End function
	.set _ZL20rocblas_gemvn_kernelILi64ELi16EiPK19rocblas_complex_numIdES3_KPS1_EviiT3_lPKT2_lT1_lS9_lSA_lS6_lPT4_lSA_li.num_vgpr, 21
	.set _ZL20rocblas_gemvn_kernelILi64ELi16EiPK19rocblas_complex_numIdES3_KPS1_EviiT3_lPKT2_lT1_lS9_lSA_lS6_lPT4_lSA_li.num_agpr, 0
	.set _ZL20rocblas_gemvn_kernelILi64ELi16EiPK19rocblas_complex_numIdES3_KPS1_EviiT3_lPKT2_lT1_lS9_lSA_lS6_lPT4_lSA_li.numbered_sgpr, 32
	.set _ZL20rocblas_gemvn_kernelILi64ELi16EiPK19rocblas_complex_numIdES3_KPS1_EviiT3_lPKT2_lT1_lS9_lSA_lS6_lPT4_lSA_li.num_named_barrier, 0
	.set _ZL20rocblas_gemvn_kernelILi64ELi16EiPK19rocblas_complex_numIdES3_KPS1_EviiT3_lPKT2_lT1_lS9_lSA_lS6_lPT4_lSA_li.private_seg_size, 0
	.set _ZL20rocblas_gemvn_kernelILi64ELi16EiPK19rocblas_complex_numIdES3_KPS1_EviiT3_lPKT2_lT1_lS9_lSA_lS6_lPT4_lSA_li.uses_vcc, 1
	.set _ZL20rocblas_gemvn_kernelILi64ELi16EiPK19rocblas_complex_numIdES3_KPS1_EviiT3_lPKT2_lT1_lS9_lSA_lS6_lPT4_lSA_li.uses_flat_scratch, 0
	.set _ZL20rocblas_gemvn_kernelILi64ELi16EiPK19rocblas_complex_numIdES3_KPS1_EviiT3_lPKT2_lT1_lS9_lSA_lS6_lPT4_lSA_li.has_dyn_sized_stack, 0
	.set _ZL20rocblas_gemvn_kernelILi64ELi16EiPK19rocblas_complex_numIdES3_KPS1_EviiT3_lPKT2_lT1_lS9_lSA_lS6_lPT4_lSA_li.has_recursion, 0
	.set _ZL20rocblas_gemvn_kernelILi64ELi16EiPK19rocblas_complex_numIdES3_KPS1_EviiT3_lPKT2_lT1_lS9_lSA_lS6_lPT4_lSA_li.has_indirect_call, 0
	.section	.AMDGPU.csdata,"",@progbits
; Kernel info:
; codeLenInByte = 1956
; TotalNumSgprs: 34
; NumVgprs: 21
; ScratchSize: 0
; MemoryBound: 1
; FloatMode: 240
; IeeeMode: 1
; LDSByteSize: 16384 bytes/workgroup (compile time only)
; SGPRBlocks: 0
; VGPRBlocks: 2
; NumSGPRsForWavesPerEU: 34
; NumVGPRsForWavesPerEU: 21
; Occupancy: 16
; WaveLimiterHint : 1
; COMPUTE_PGM_RSRC2:SCRATCH_EN: 0
; COMPUTE_PGM_RSRC2:USER_SGPR: 6
; COMPUTE_PGM_RSRC2:TRAP_HANDLER: 0
; COMPUTE_PGM_RSRC2:TGID_X_EN: 1
; COMPUTE_PGM_RSRC2:TGID_Y_EN: 0
; COMPUTE_PGM_RSRC2:TGID_Z_EN: 1
; COMPUTE_PGM_RSRC2:TIDIG_COMP_CNT: 1
	.section	.text._ZL20rocblas_gemvn_kernelILi64ELi16ElPK19rocblas_complex_numIdES3_KPS1_EviiT3_lPKT2_lT1_lS9_lSA_lS6_lPT4_lSA_li,"axG",@progbits,_ZL20rocblas_gemvn_kernelILi64ELi16ElPK19rocblas_complex_numIdES3_KPS1_EviiT3_lPKT2_lT1_lS9_lSA_lS6_lPT4_lSA_li,comdat
	.globl	_ZL20rocblas_gemvn_kernelILi64ELi16ElPK19rocblas_complex_numIdES3_KPS1_EviiT3_lPKT2_lT1_lS9_lSA_lS6_lPT4_lSA_li ; -- Begin function _ZL20rocblas_gemvn_kernelILi64ELi16ElPK19rocblas_complex_numIdES3_KPS1_EviiT3_lPKT2_lT1_lS9_lSA_lS6_lPT4_lSA_li
	.p2align	8
	.type	_ZL20rocblas_gemvn_kernelILi64ELi16ElPK19rocblas_complex_numIdES3_KPS1_EviiT3_lPKT2_lT1_lS9_lSA_lS6_lPT4_lSA_li,@function
_ZL20rocblas_gemvn_kernelILi64ELi16ElPK19rocblas_complex_numIdES3_KPS1_EviiT3_lPKT2_lT1_lS9_lSA_lS6_lPT4_lSA_li: ; @_ZL20rocblas_gemvn_kernelILi64ELi16ElPK19rocblas_complex_numIdES3_KPS1_EviiT3_lPKT2_lT1_lS9_lSA_lS6_lPT4_lSA_li
; %bb.0:
	s_load_dwordx2 s[0:1], s[4:5], 0x9c
	s_mov_b32 s30, s7
	s_waitcnt lgkmcnt(0)
	s_lshr_b32 s2, s0, 16
	s_and_b32 s7, s0, 0xffff
	s_and_b32 s0, s1, 0xffff
	s_mul_i32 s1, s2, s7
	s_mul_i32 s1, s1, s0
	s_cmpk_lg_i32 s1, 0x400
	s_cbranch_scc1 .LBB347_4
; %bb.1:
	s_clause 0x1
	s_load_dwordx8 s[16:23], s[4:5], 0x8
	s_load_dwordx8 s[8:15], s[4:5], 0x58
	s_mov_b32 s31, 0
	s_mov_b64 s[26:27], 0
	s_waitcnt lgkmcnt(0)
	s_mul_i32 s1, s19, s30
	s_mul_hi_u32 s2, s18, s30
	s_mul_i32 s0, s18, s30
	s_add_i32 s1, s2, s1
	s_lshl_b64 s[0:1], s[0:1], 4
	s_add_u32 s0, s16, s0
	s_addc_u32 s1, s17, s1
	s_load_dwordx4 s[16:19], s[0:1], 0x0
	s_mul_i32 s0, s11, s30
	s_mul_hi_u32 s1, s10, s30
	s_add_i32 s1, s1, s0
	s_mul_i32 s0, s10, s30
	s_lshl_b64 s[0:1], s[0:1], 4
	s_add_u32 s0, s8, s0
	s_addc_u32 s1, s9, s1
	s_load_dwordx2 s[24:25], s[4:5], 0x28
	s_load_dwordx4 s[8:11], s[0:1], 0x0
	s_mov_b32 s1, -1
	s_mov_b32 s0, s31
	s_waitcnt lgkmcnt(0)
	v_cmp_neq_f64_e64 s2, s[16:17], 0
	v_cmp_neq_f64_e64 s3, s[18:19], 0
	s_or_b32 s28, s2, s3
	s_and_b32 vcc_lo, exec_lo, s28
	s_cbranch_vccz .LBB347_5
; %bb.2:
	s_andn2_b32 vcc_lo, exec_lo, s1
	s_cbranch_vccz .LBB347_6
.LBB347_3:
	s_andn2_b32 vcc_lo, exec_lo, s0
	s_cbranch_vccz .LBB347_7
.LBB347_4:
	s_endpgm
.LBB347_5:
	v_cmp_neq_f64_e64 s0, s[8:9], 1.0
	v_cmp_neq_f64_e64 s1, s[10:11], 0
	s_or_b32 s0, s0, s1
	s_cbranch_execnz .LBB347_3
.LBB347_6:
	s_lshl_b64 s[0:1], s[30:31], 3
	s_add_u32 s0, s20, s0
	s_addc_u32 s1, s21, s1
	s_lshl_b64 s[2:3], s[22:23], 4
	s_load_dwordx2 s[0:1], s[0:1], 0x0
	s_waitcnt lgkmcnt(0)
	s_add_u32 s26, s0, s2
	s_addc_u32 s27, s1, s3
.LBB347_7:
	s_clause 0x2
	s_load_dwordx2 s[20:21], s[4:5], 0x78
	s_load_dwordx4 s[0:3], s[4:5], 0x38
	s_load_dwordx2 s[22:23], s[4:5], 0x48
	v_cndmask_b32_e64 v2, 0, 1, s28
	s_xor_b32 s33, s28, -1
	s_mov_b64 s[28:29], 0
	v_cmp_ne_u32_e32 vcc_lo, 1, v2
	s_cbranch_vccnz .LBB347_9
; %bb.8:
	s_lshl_b64 s[28:29], s[30:31], 3
	s_waitcnt lgkmcnt(0)
	s_add_u32 s0, s0, s28
	s_addc_u32 s1, s1, s29
	s_lshl_b64 s[2:3], s[2:3], 4
	s_load_dwordx2 s[0:1], s[0:1], 0x0
	s_waitcnt lgkmcnt(0)
	s_add_u32 s28, s0, s2
	s_addc_u32 s29, s1, s3
.LBB347_9:
	s_waitcnt lgkmcnt(0)
	s_lshl_b64 s[0:1], s[30:31], 3
	v_mad_u32_u24 v10, v1, s7, v0
	s_add_u32 s0, s12, s0
	s_addc_u32 s1, s13, s1
	s_load_dwordx2 s[12:13], s[0:1], 0x0
	s_load_dwordx2 s[2:3], s[4:5], 0x0
	s_lshl_b64 s[4:5], s[14:15], 4
	v_cmp_gt_u32_e64 s0, 64, v10
	s_waitcnt lgkmcnt(0)
	s_add_u32 s12, s12, s4
	s_addc_u32 s13, s13, s5
	s_andn2_b32 vcc_lo, exec_lo, s33
	s_cbranch_vccnz .LBB347_16
; %bb.10:
	s_mov_b32 s1, 0
	s_mov_b32 s14, 0
                                        ; implicit-def: $vgpr2_vgpr3
                                        ; implicit-def: $vgpr8_vgpr9
	s_and_saveexec_b32 s4, s0
	s_cbranch_execz .LBB347_17
; %bb.11:
	v_lshl_or_b32 v0, s6, 6, v10
	v_mov_b32_e32 v1, 0
	s_ashr_i32 s15, s2, 31
	s_mov_b32 s14, s2
	s_mov_b32 s5, 0
                                        ; implicit-def: $vgpr8_vgpr9
	v_cmp_gt_i64_e32 vcc_lo, s[14:15], v[0:1]
                                        ; implicit-def: $vgpr2_vgpr3
	s_and_saveexec_b32 s0, vcc_lo
	s_cbranch_execz .LBB347_15
; %bb.12:
	v_cmp_neq_f64_e64 s5, s[8:9], 0
	v_cmp_neq_f64_e64 s7, s[10:11], 0
	v_mad_u64_u32 v[8:9], null, s20, v0, 0
	v_mov_b32_e32 v1, v9
	v_mad_u64_u32 v[4:5], null, s21, v0, v[1:2]
	v_mov_b32_e32 v2, 0
	v_mov_b32_e32 v0, 0
	;; [unrolled: 1-line block ×5, first 2 shown]
	s_or_b32 s5, s5, s7
	s_andn2_b32 vcc_lo, exec_lo, s5
	s_cbranch_vccnz .LBB347_14
; %bb.13:
	v_lshlrev_b64 v[0:1], 4, v[8:9]
	v_add_co_u32 v0, vcc_lo, s12, v0
	v_add_co_ci_u32_e64 v1, null, s13, v1, vcc_lo
	flat_load_dwordx4 v[2:5], v[0:1]
	s_waitcnt vmcnt(0) lgkmcnt(0)
	v_mul_f64 v[0:1], s[10:11], v[4:5]
	v_mul_f64 v[4:5], s[8:9], v[4:5]
	v_fma_f64 v[0:1], s[8:9], v[2:3], -v[0:1]
	v_fma_f64 v[2:3], s[10:11], v[2:3], v[4:5]
.LBB347_14:
	s_mov_b32 s5, exec_lo
.LBB347_15:
	s_or_b32 exec_lo, exec_lo, s0
	s_and_b32 s14, s5, exec_lo
	s_or_b32 exec_lo, exec_lo, s4
	s_and_b32 vcc_lo, exec_lo, s1
	s_cbranch_vccnz .LBB347_18
	s_branch .LBB347_37
.LBB347_16:
	s_mov_b32 s14, 0
                                        ; implicit-def: $vgpr2_vgpr3
                                        ; implicit-def: $vgpr8_vgpr9
	s_cbranch_execnz .LBB347_18
	s_branch .LBB347_37
.LBB347_17:
	s_or_b32 exec_lo, exec_lo, s4
	s_and_b32 vcc_lo, exec_lo, s1
	s_cbranch_vccz .LBB347_37
.LBB347_18:
	v_and_b32_e32 v4, 63, v10
	s_ashr_i32 s0, s3, 31
	s_lshl_b32 s15, s6, 6
	s_lshr_b32 s0, s0, 28
	v_mov_b32_e32 v2, 0
	v_mov_b32_e32 v0, 0
	v_lshrrev_b32_e32 v9, 6, v10
	v_or_b32_e32 v8, s15, v4
	v_mov_b32_e32 v3, 0
	v_mov_b32_e32 v1, 0
	s_add_i32 s0, s3, s0
	s_mov_b32 s31, exec_lo
	s_and_b32 s30, s0, -16
	v_cmpx_gt_i32_e64 s30, v9
	s_cbranch_execz .LBB347_24
; %bb.19:
	v_lshrrev_b32_e32 v11, 6, v10
	v_add_nc_u32_e32 v3, s15, v4
	s_lshl_b64 s[4:5], s[22:23], 8
	s_lshl_b64 s[6:7], s[24:25], 8
	s_mov_b32 s33, 0
	v_mad_u64_u32 v[5:6], null, s22, v11, 0
	v_mad_u64_u32 v[0:1], null, s24, v11, 0
	v_ashrrev_i32_e32 v4, 31, v3
	v_cmp_gt_i32_e32 vcc_lo, s2, v8
	v_mov_b32_e32 v2, v6
	v_mad_u64_u32 v[6:7], null, s25, v11, v[1:2]
	v_mad_u64_u32 v[11:12], null, s23, v11, v[2:3]
	v_lshlrev_b64 v[12:13], 4, v[3:4]
	v_mov_b32_e32 v2, 0
	v_mov_b32_e32 v3, 0
	;; [unrolled: 1-line block ×4, first 2 shown]
	v_lshlrev_b64 v[0:1], 4, v[0:1]
	v_lshlrev_b64 v[4:5], 4, v[5:6]
	v_add_co_u32 v0, s0, v0, v12
	v_add_co_ci_u32_e64 v1, null, v1, v13, s0
	v_add_co_u32 v4, s0, s28, v4
	v_add_co_ci_u32_e64 v5, null, s29, v5, s0
	;; [unrolled: 2-line block ×3, first 2 shown]
	v_mov_b32_e32 v0, v2
	v_mov_b32_e32 v1, v3
	s_inst_prefetch 0x1
	s_branch .LBB347_21
	.p2align	6
.LBB347_20:                             ;   in Loop: Header=BB347_21 Depth=1
	s_or_b32 exec_lo, exec_lo, s0
	v_add_nc_u32_e32 v9, 16, v9
	v_add_co_u32 v4, s0, v4, s4
	v_add_co_ci_u32_e64 v5, null, s5, v5, s0
	v_cmp_le_i32_e64 s0, s30, v9
	v_add_co_u32 v6, s1, v6, s6
	v_add_co_ci_u32_e64 v7, null, s7, v7, s1
	s_or_b32 s33, s0, s33
	s_andn2_b32 exec_lo, exec_lo, s33
	s_cbranch_execz .LBB347_23
.LBB347_21:                             ; =>This Inner Loop Header: Depth=1
	s_and_saveexec_b32 s0, vcc_lo
	s_cbranch_execz .LBB347_20
; %bb.22:                               ;   in Loop: Header=BB347_21 Depth=1
	flat_load_dwordx4 v[11:14], v[4:5]
	flat_load_dwordx4 v[15:18], v[6:7]
	s_waitcnt vmcnt(0) lgkmcnt(0)
	v_mul_f64 v[19:20], v[13:14], v[17:18]
	v_mul_f64 v[17:18], v[11:12], v[17:18]
	v_fma_f64 v[11:12], v[11:12], v[15:16], -v[19:20]
	v_fma_f64 v[13:14], v[13:14], v[15:16], v[17:18]
	v_add_f64 v[0:1], v[0:1], v[11:12]
	v_add_f64 v[2:3], v[2:3], v[13:14]
	s_branch .LBB347_20
.LBB347_23:
	s_inst_prefetch 0x2
	s_or_b32 exec_lo, exec_lo, s33
.LBB347_24:
	s_or_b32 exec_lo, exec_lo, s31
	s_sub_i32 s0, s3, s30
	s_cmp_lt_i32 s0, 1
	s_cbranch_scc1 .LBB347_30
; %bb.25:
	v_mov_b32_e32 v4, 0
	v_mov_b32_e32 v6, 0
	;; [unrolled: 1-line block ×4, first 2 shown]
	v_cmp_gt_i32_e32 vcc_lo, s3, v9
	s_and_saveexec_b32 s1, vcc_lo
	s_cbranch_execz .LBB347_27
; %bb.26:
	v_mad_u64_u32 v[4:5], null, s22, v9, 0
	v_mad_u64_u32 v[5:6], null, s23, v9, v[5:6]
	v_lshlrev_b64 v[4:5], 4, v[4:5]
	v_add_co_u32 v4, s0, s28, v4
	v_add_co_ci_u32_e64 v5, null, s29, v5, s0
	flat_load_dwordx4 v[4:7], v[4:5]
.LBB347_27:
	s_or_b32 exec_lo, exec_lo, s1
	s_mov_b32 s1, exec_lo
	v_cmpx_gt_i32_e64 s2, v8
	s_cbranch_execz .LBB347_29
; %bb.28:
	v_mad_u64_u32 v[11:12], null, s24, v9, 0
	v_mad_u64_u32 v[12:13], null, s25, v9, v[12:13]
	v_cndmask_b32_e32 v11, 0, v11, vcc_lo
	v_ashrrev_i32_e32 v9, 31, v8
	v_lshlrev_b64 v[8:9], 4, v[8:9]
	v_cndmask_b32_e32 v12, 0, v12, vcc_lo
	v_lshlrev_b64 v[11:12], 4, v[11:12]
	v_add_co_u32 v11, vcc_lo, s26, v11
	v_add_co_ci_u32_e64 v12, null, s27, v12, vcc_lo
	v_add_co_u32 v8, vcc_lo, v11, v8
	v_add_co_ci_u32_e64 v9, null, v12, v9, vcc_lo
	flat_load_dwordx4 v[11:14], v[8:9]
	s_waitcnt vmcnt(0) lgkmcnt(0)
	v_mul_f64 v[8:9], v[6:7], v[13:14]
	v_mul_f64 v[13:14], v[4:5], v[13:14]
	v_fma_f64 v[4:5], v[4:5], v[11:12], -v[8:9]
	v_fma_f64 v[6:7], v[6:7], v[11:12], v[13:14]
	v_add_f64 v[0:1], v[0:1], v[4:5]
	v_add_f64 v[2:3], v[2:3], v[6:7]
.LBB347_29:
	s_or_b32 exec_lo, exec_lo, s1
.LBB347_30:
	v_lshlrev_b32_e32 v11, 4, v10
	s_mov_b32 s0, exec_lo
                                        ; implicit-def: $vgpr8_vgpr9
	ds_write_b128 v11, v[0:3]
	s_waitcnt vmcnt(0) lgkmcnt(0)
	s_barrier
	buffer_gl0_inv
                                        ; implicit-def: $vgpr2_vgpr3
	v_cmpx_gt_u32_e32 64, v10
	s_cbranch_execz .LBB347_36
; %bb.31:
	ds_read_b128 v[0:3], v11
	ds_read_b128 v[4:7], v11 offset:1024
	v_or_b32_e32 v10, s15, v10
	v_cmp_gt_i32_e32 vcc_lo, s2, v10
	s_mov_b32 s2, s14
	s_waitcnt lgkmcnt(0)
	v_add_f64 v[8:9], v[0:1], v[4:5]
	v_add_f64 v[12:13], v[2:3], v[6:7]
	ds_read_b128 v[0:3], v11 offset:2048
	ds_read_b128 v[4:7], v11 offset:3072
	s_waitcnt lgkmcnt(1)
	v_add_f64 v[0:1], v[8:9], v[0:1]
	v_add_f64 v[2:3], v[12:13], v[2:3]
	s_waitcnt lgkmcnt(0)
	v_add_f64 v[8:9], v[0:1], v[4:5]
	v_add_f64 v[12:13], v[2:3], v[6:7]
	ds_read_b128 v[0:3], v11 offset:4096
	ds_read_b128 v[4:7], v11 offset:5120
	s_waitcnt lgkmcnt(1)
	v_add_f64 v[0:1], v[8:9], v[0:1]
	v_add_f64 v[2:3], v[12:13], v[2:3]
	;; [unrolled: 8-line block ×7, first 2 shown]
                                        ; implicit-def: $vgpr8_vgpr9
	s_waitcnt lgkmcnt(0)
	v_add_f64 v[4:5], v[0:1], v[4:5]
	v_add_f64 v[6:7], v[2:3], v[6:7]
                                        ; implicit-def: $vgpr2_vgpr3
	ds_write_b128 v11, v[4:7]
	s_and_saveexec_b32 s1, vcc_lo
	s_cbranch_execz .LBB347_35
; %bb.32:
	v_mul_f64 v[0:1], s[18:19], v[6:7]
	v_mul_f64 v[2:3], s[16:17], v[6:7]
	v_cmp_neq_f64_e64 s2, s[8:9], 0
	v_cmp_neq_f64_e64 s3, s[10:11], 0
	v_mad_u64_u32 v[8:9], null, s20, v10, 0
	v_fma_f64 v[0:1], s[16:17], v[4:5], -v[0:1]
	v_fma_f64 v[2:3], s[18:19], v[4:5], v[2:3]
	v_ashrrev_i32_e32 v4, 31, v10
	v_mul_lo_u32 v5, s21, v10
	s_or_b32 s2, s2, s3
	s_andn2_b32 vcc_lo, exec_lo, s2
	v_mul_lo_u32 v4, s20, v4
	v_add3_u32 v9, v9, v4, v5
	s_cbranch_vccnz .LBB347_34
; %bb.33:
	v_lshlrev_b64 v[4:5], 4, v[8:9]
	v_add_co_u32 v4, vcc_lo, s12, v4
	v_add_co_ci_u32_e64 v5, null, s13, v5, vcc_lo
	flat_load_dwordx4 v[4:7], v[4:5]
	s_waitcnt vmcnt(0) lgkmcnt(0)
	v_mul_f64 v[10:11], s[10:11], v[6:7]
	v_mul_f64 v[6:7], s[8:9], v[6:7]
	v_fma_f64 v[10:11], s[8:9], v[4:5], -v[10:11]
	v_fma_f64 v[4:5], s[10:11], v[4:5], v[6:7]
	v_add_f64 v[0:1], v[0:1], v[10:11]
	v_add_f64 v[2:3], v[2:3], v[4:5]
.LBB347_34:
	s_or_b32 s2, s14, exec_lo
.LBB347_35:
	s_or_b32 exec_lo, exec_lo, s1
	s_andn2_b32 s1, s14, exec_lo
	s_and_b32 s2, s2, exec_lo
	s_or_b32 s14, s1, s2
.LBB347_36:
	s_or_b32 exec_lo, exec_lo, s0
.LBB347_37:
	s_and_saveexec_b32 s0, s14
	s_cbranch_execz .LBB347_4
; %bb.38:
	v_lshlrev_b64 v[4:5], 4, v[8:9]
	v_add_co_u32 v4, vcc_lo, s12, v4
	v_add_co_ci_u32_e64 v5, null, s13, v5, vcc_lo
	flat_store_dwordx4 v[4:5], v[0:3]
	s_endpgm
	.section	.rodata,"a",@progbits
	.p2align	6, 0x0
	.amdhsa_kernel _ZL20rocblas_gemvn_kernelILi64ELi16ElPK19rocblas_complex_numIdES3_KPS1_EviiT3_lPKT2_lT1_lS9_lSA_lS6_lPT4_lSA_li
		.amdhsa_group_segment_fixed_size 16384
		.amdhsa_private_segment_fixed_size 0
		.amdhsa_kernarg_size 400
		.amdhsa_user_sgpr_count 6
		.amdhsa_user_sgpr_private_segment_buffer 1
		.amdhsa_user_sgpr_dispatch_ptr 0
		.amdhsa_user_sgpr_queue_ptr 0
		.amdhsa_user_sgpr_kernarg_segment_ptr 1
		.amdhsa_user_sgpr_dispatch_id 0
		.amdhsa_user_sgpr_flat_scratch_init 0
		.amdhsa_user_sgpr_private_segment_size 0
		.amdhsa_wavefront_size32 1
		.amdhsa_uses_dynamic_stack 0
		.amdhsa_system_sgpr_private_segment_wavefront_offset 0
		.amdhsa_system_sgpr_workgroup_id_x 1
		.amdhsa_system_sgpr_workgroup_id_y 0
		.amdhsa_system_sgpr_workgroup_id_z 1
		.amdhsa_system_sgpr_workgroup_info 0
		.amdhsa_system_vgpr_workitem_id 1
		.amdhsa_next_free_vgpr 21
		.amdhsa_next_free_sgpr 34
		.amdhsa_reserve_vcc 1
		.amdhsa_reserve_flat_scratch 0
		.amdhsa_float_round_mode_32 0
		.amdhsa_float_round_mode_16_64 0
		.amdhsa_float_denorm_mode_32 3
		.amdhsa_float_denorm_mode_16_64 3
		.amdhsa_dx10_clamp 1
		.amdhsa_ieee_mode 1
		.amdhsa_fp16_overflow 0
		.amdhsa_workgroup_processor_mode 1
		.amdhsa_memory_ordered 1
		.amdhsa_forward_progress 1
		.amdhsa_shared_vgpr_count 0
		.amdhsa_exception_fp_ieee_invalid_op 0
		.amdhsa_exception_fp_denorm_src 0
		.amdhsa_exception_fp_ieee_div_zero 0
		.amdhsa_exception_fp_ieee_overflow 0
		.amdhsa_exception_fp_ieee_underflow 0
		.amdhsa_exception_fp_ieee_inexact 0
		.amdhsa_exception_int_div_zero 0
	.end_amdhsa_kernel
	.section	.text._ZL20rocblas_gemvn_kernelILi64ELi16ElPK19rocblas_complex_numIdES3_KPS1_EviiT3_lPKT2_lT1_lS9_lSA_lS6_lPT4_lSA_li,"axG",@progbits,_ZL20rocblas_gemvn_kernelILi64ELi16ElPK19rocblas_complex_numIdES3_KPS1_EviiT3_lPKT2_lT1_lS9_lSA_lS6_lPT4_lSA_li,comdat
.Lfunc_end347:
	.size	_ZL20rocblas_gemvn_kernelILi64ELi16ElPK19rocblas_complex_numIdES3_KPS1_EviiT3_lPKT2_lT1_lS9_lSA_lS6_lPT4_lSA_li, .Lfunc_end347-_ZL20rocblas_gemvn_kernelILi64ELi16ElPK19rocblas_complex_numIdES3_KPS1_EviiT3_lPKT2_lT1_lS9_lSA_lS6_lPT4_lSA_li
                                        ; -- End function
	.set _ZL20rocblas_gemvn_kernelILi64ELi16ElPK19rocblas_complex_numIdES3_KPS1_EviiT3_lPKT2_lT1_lS9_lSA_lS6_lPT4_lSA_li.num_vgpr, 21
	.set _ZL20rocblas_gemvn_kernelILi64ELi16ElPK19rocblas_complex_numIdES3_KPS1_EviiT3_lPKT2_lT1_lS9_lSA_lS6_lPT4_lSA_li.num_agpr, 0
	.set _ZL20rocblas_gemvn_kernelILi64ELi16ElPK19rocblas_complex_numIdES3_KPS1_EviiT3_lPKT2_lT1_lS9_lSA_lS6_lPT4_lSA_li.numbered_sgpr, 34
	.set _ZL20rocblas_gemvn_kernelILi64ELi16ElPK19rocblas_complex_numIdES3_KPS1_EviiT3_lPKT2_lT1_lS9_lSA_lS6_lPT4_lSA_li.num_named_barrier, 0
	.set _ZL20rocblas_gemvn_kernelILi64ELi16ElPK19rocblas_complex_numIdES3_KPS1_EviiT3_lPKT2_lT1_lS9_lSA_lS6_lPT4_lSA_li.private_seg_size, 0
	.set _ZL20rocblas_gemvn_kernelILi64ELi16ElPK19rocblas_complex_numIdES3_KPS1_EviiT3_lPKT2_lT1_lS9_lSA_lS6_lPT4_lSA_li.uses_vcc, 1
	.set _ZL20rocblas_gemvn_kernelILi64ELi16ElPK19rocblas_complex_numIdES3_KPS1_EviiT3_lPKT2_lT1_lS9_lSA_lS6_lPT4_lSA_li.uses_flat_scratch, 0
	.set _ZL20rocblas_gemvn_kernelILi64ELi16ElPK19rocblas_complex_numIdES3_KPS1_EviiT3_lPKT2_lT1_lS9_lSA_lS6_lPT4_lSA_li.has_dyn_sized_stack, 0
	.set _ZL20rocblas_gemvn_kernelILi64ELi16ElPK19rocblas_complex_numIdES3_KPS1_EviiT3_lPKT2_lT1_lS9_lSA_lS6_lPT4_lSA_li.has_recursion, 0
	.set _ZL20rocblas_gemvn_kernelILi64ELi16ElPK19rocblas_complex_numIdES3_KPS1_EviiT3_lPKT2_lT1_lS9_lSA_lS6_lPT4_lSA_li.has_indirect_call, 0
	.section	.AMDGPU.csdata,"",@progbits
; Kernel info:
; codeLenInByte = 2104
; TotalNumSgprs: 36
; NumVgprs: 21
; ScratchSize: 0
; MemoryBound: 1
; FloatMode: 240
; IeeeMode: 1
; LDSByteSize: 16384 bytes/workgroup (compile time only)
; SGPRBlocks: 0
; VGPRBlocks: 2
; NumSGPRsForWavesPerEU: 36
; NumVGPRsForWavesPerEU: 21
; Occupancy: 16
; WaveLimiterHint : 1
; COMPUTE_PGM_RSRC2:SCRATCH_EN: 0
; COMPUTE_PGM_RSRC2:USER_SGPR: 6
; COMPUTE_PGM_RSRC2:TRAP_HANDLER: 0
; COMPUTE_PGM_RSRC2:TGID_X_EN: 1
; COMPUTE_PGM_RSRC2:TGID_Y_EN: 0
; COMPUTE_PGM_RSRC2:TGID_Z_EN: 1
; COMPUTE_PGM_RSRC2:TIDIG_COMP_CNT: 1
	.section	.text._ZL20rocblas_gemvn_kernelILi64ELi16EiPK19rocblas_complex_numIdES1_KPS1_EviiT3_lPKT2_lT1_lS9_lSA_lS6_lPT4_lSA_li,"axG",@progbits,_ZL20rocblas_gemvn_kernelILi64ELi16EiPK19rocblas_complex_numIdES1_KPS1_EviiT3_lPKT2_lT1_lS9_lSA_lS6_lPT4_lSA_li,comdat
	.globl	_ZL20rocblas_gemvn_kernelILi64ELi16EiPK19rocblas_complex_numIdES1_KPS1_EviiT3_lPKT2_lT1_lS9_lSA_lS6_lPT4_lSA_li ; -- Begin function _ZL20rocblas_gemvn_kernelILi64ELi16EiPK19rocblas_complex_numIdES1_KPS1_EviiT3_lPKT2_lT1_lS9_lSA_lS6_lPT4_lSA_li
	.p2align	8
	.type	_ZL20rocblas_gemvn_kernelILi64ELi16EiPK19rocblas_complex_numIdES1_KPS1_EviiT3_lPKT2_lT1_lS9_lSA_lS6_lPT4_lSA_li,@function
_ZL20rocblas_gemvn_kernelILi64ELi16EiPK19rocblas_complex_numIdES1_KPS1_EviiT3_lPKT2_lT1_lS9_lSA_lS6_lPT4_lSA_li: ; @_ZL20rocblas_gemvn_kernelILi64ELi16EiPK19rocblas_complex_numIdES1_KPS1_EviiT3_lPKT2_lT1_lS9_lSA_lS6_lPT4_lSA_li
; %bb.0:
	s_load_dwordx2 s[0:1], s[4:5], 0xac
	s_mov_b32 s2, s7
	s_waitcnt lgkmcnt(0)
	s_lshr_b32 s3, s0, 16
	s_and_b32 s7, s0, 0xffff
	s_and_b32 s0, s1, 0xffff
	s_mul_i32 s1, s3, s7
	s_mul_i32 s1, s1, s0
	s_cmpk_lg_i32 s1, 0x400
	s_cbranch_scc1 .LBB348_39
; %bb.1:
	s_clause 0x1
	s_load_dwordx4 s[12:15], s[4:5], 0x8
	s_load_dwordx4 s[8:11], s[4:5], 0x60
	s_mov_b32 s3, 0
	s_mov_b64 s[16:17], 0
	s_mov_b32 s19, -1
	s_mov_b32 s20, s3
	s_waitcnt lgkmcnt(0)
	v_cmp_neq_f64_e64 s0, s[12:13], 0
	v_cmp_neq_f64_e64 s1, s[14:15], 0
	s_or_b32 s18, s0, s1
	s_mov_b64 s[0:1], s[2:3]
	s_and_b32 vcc_lo, exec_lo, s18
	s_cbranch_vccnz .LBB348_4
; %bb.2:
	v_cmp_eq_f64_e64 s0, s[8:9], 1.0
	v_cmp_eq_f64_e64 s1, s[10:11], 0
	s_mov_b32 s19, 0
	s_mov_b32 s20, 0
	s_and_b32 s0, s0, s1
	s_andn2_b32 vcc_lo, exec_lo, s0
                                        ; implicit-def: $sgpr0_sgpr1
	s_cbranch_vccz .LBB348_4
; %bb.3:
	s_mov_b32 s1, 0
	s_mov_b32 s0, s2
	s_mov_b32 s20, -1
.LBB348_4:
	s_and_b32 vcc_lo, exec_lo, s19
	s_cbranch_vccz .LBB348_6
; %bb.5:
	s_load_dwordx4 s[20:23], s[4:5], 0x20
	s_lshl_b64 s[2:3], s[2:3], 3
	s_waitcnt lgkmcnt(0)
	s_add_u32 s2, s20, s2
	s_addc_u32 s3, s21, s3
	s_lshl_b64 s[16:17], s[22:23], 4
	s_load_dwordx2 s[2:3], s[2:3], 0x0
	s_mov_b32 s20, -1
	s_waitcnt lgkmcnt(0)
	s_add_u32 s16, s2, s16
	s_addc_u32 s17, s3, s17
.LBB348_6:
	s_andn2_b32 vcc_lo, exec_lo, s20
	s_cbranch_vccnz .LBB348_39
; %bb.7:
	v_cndmask_b32_e64 v2, 0, 1, s18
	s_xor_b32 s21, s18, -1
	s_mov_b64 s[18:19], 0
	v_cmp_ne_u32_e32 vcc_lo, 1, v2
	s_cbranch_vccnz .LBB348_9
; %bb.8:
	s_load_dwordx4 s[24:27], s[4:5], 0x40
	s_lshl_b64 s[2:3], s[0:1], 3
	s_waitcnt lgkmcnt(0)
	s_add_u32 s2, s24, s2
	s_addc_u32 s3, s25, s3
	s_lshl_b64 s[18:19], s[26:27], 4
	s_load_dwordx2 s[2:3], s[2:3], 0x0
	s_waitcnt lgkmcnt(0)
	s_add_u32 s18, s2, s18
	s_addc_u32 s19, s3, s19
.LBB348_9:
	s_load_dwordx4 s[24:27], s[4:5], 0x78
	s_lshl_b64 s[0:1], s[0:1], 3
	v_mad_u32_u24 v10, v1, s7, v0
	s_waitcnt lgkmcnt(0)
	s_add_u32 s0, s24, s0
	s_addc_u32 s1, s25, s1
	s_lshl_b64 s[24:25], s[26:27], 4
	s_load_dwordx2 s[22:23], s[0:1], 0x0
	s_clause 0x1
	s_load_dwordx2 s[2:3], s[4:5], 0x0
	s_load_dword s20, s[4:5], 0x88
	v_cmp_gt_u32_e64 s0, 64, v10
	s_waitcnt lgkmcnt(0)
	s_add_u32 s1, s22, s24
	s_addc_u32 s7, s23, s25
	s_andn2_b32 vcc_lo, exec_lo, s21
	s_cbranch_vccnz .LBB348_16
; %bb.10:
	s_mov_b32 s22, 0
	s_mov_b32 s21, 0
                                        ; implicit-def: $vgpr2_vgpr3
                                        ; implicit-def: $vgpr8_vgpr9
	s_and_saveexec_b32 s23, s0
	s_cbranch_execz .LBB348_17
; %bb.11:
	v_lshl_or_b32 v0, s6, 6, v10
	v_mov_b32_e32 v1, 0
	s_ashr_i32 s25, s2, 31
	s_mov_b32 s24, s2
                                        ; implicit-def: $vgpr8_vgpr9
	v_cmp_gt_i64_e32 vcc_lo, s[24:25], v[0:1]
                                        ; implicit-def: $vgpr2_vgpr3
	s_and_saveexec_b32 s0, vcc_lo
	s_cbranch_execz .LBB348_15
; %bb.12:
	v_cmp_neq_f64_e64 s21, s[8:9], 0
	v_cmp_neq_f64_e64 s24, s[10:11], 0
	v_mad_u64_u32 v[8:9], null, v0, s20, 0
	s_ashr_i32 s25, s20, 31
	v_mov_b32_e32 v1, v9
	v_mad_u64_u32 v[4:5], null, v0, s25, v[1:2]
	v_mov_b32_e32 v2, 0
	v_mov_b32_e32 v0, 0
	;; [unrolled: 1-line block ×5, first 2 shown]
	s_or_b32 s21, s21, s24
	s_andn2_b32 vcc_lo, exec_lo, s21
	s_cbranch_vccnz .LBB348_14
; %bb.13:
	v_lshlrev_b64 v[0:1], 4, v[8:9]
	v_add_co_u32 v0, vcc_lo, s1, v0
	v_add_co_ci_u32_e64 v1, null, s7, v1, vcc_lo
	flat_load_dwordx4 v[2:5], v[0:1]
	s_waitcnt vmcnt(0) lgkmcnt(0)
	v_mul_f64 v[0:1], s[10:11], v[4:5]
	v_mul_f64 v[4:5], s[8:9], v[4:5]
	v_fma_f64 v[0:1], s[8:9], v[2:3], -v[0:1]
	v_fma_f64 v[2:3], s[10:11], v[2:3], v[4:5]
.LBB348_14:
	s_mov_b32 s21, exec_lo
.LBB348_15:
	s_or_b32 exec_lo, exec_lo, s0
	s_and_b32 s21, s21, exec_lo
	s_or_b32 exec_lo, exec_lo, s23
	s_and_b32 vcc_lo, exec_lo, s22
	s_cbranch_vccnz .LBB348_18
	s_branch .LBB348_37
.LBB348_16:
	s_mov_b32 s21, 0
                                        ; implicit-def: $vgpr2_vgpr3
                                        ; implicit-def: $vgpr8_vgpr9
	s_cbranch_execnz .LBB348_18
	s_branch .LBB348_37
.LBB348_17:
	s_or_b32 exec_lo, exec_lo, s23
	s_and_b32 vcc_lo, exec_lo, s22
	s_cbranch_vccz .LBB348_37
.LBB348_18:
	s_clause 0x1
	s_load_dword s22, s[4:5], 0x30
	s_load_dword s5, s[4:5], 0x50
	v_and_b32_e32 v5, 63, v10
	s_ashr_i32 s0, s3, 31
	s_lshl_b32 s4, s6, 6
	s_lshr_b32 s0, s0, 28
	v_mov_b32_e32 v2, 0
	v_mov_b32_e32 v0, 0
	v_lshrrev_b32_e32 v8, 6, v10
	v_or_b32_e32 v9, s4, v5
	v_mov_b32_e32 v3, 0
	v_mov_b32_e32 v1, 0
	s_add_i32 s0, s3, s0
	s_mov_b32 s23, exec_lo
	s_and_b32 s6, s0, -16
	v_cmpx_gt_i32_e64 s6, v8
	s_cbranch_execz .LBB348_24
; %bb.19:
	s_waitcnt lgkmcnt(0)
	v_mul_lo_u32 v0, s22, v8
	v_mov_b32_e32 v2, 0
	v_mov_b32_e32 v3, 0
	v_mul_lo_u32 v4, s5, v8
	s_lshl_b32 s24, s5, 4
	s_lshl_b32 s26, s22, 4
	s_mov_b32 s25, 0
	v_cmp_gt_i32_e32 vcc_lo, s2, v9
	v_add3_u32 v6, v0, s4, v5
	v_mov_b32_e32 v0, v2
	v_mov_b32_e32 v1, v3
	s_inst_prefetch 0x1
	s_branch .LBB348_21
	.p2align	6
.LBB348_20:                             ;   in Loop: Header=BB348_21 Depth=1
	s_or_b32 exec_lo, exec_lo, s27
	v_add_nc_u32_e32 v8, 16, v8
	v_add_nc_u32_e32 v4, s24, v4
	;; [unrolled: 1-line block ×3, first 2 shown]
	v_cmp_le_i32_e64 s0, s6, v8
	s_or_b32 s25, s0, s25
	s_andn2_b32 exec_lo, exec_lo, s25
	s_cbranch_execz .LBB348_23
.LBB348_21:                             ; =>This Inner Loop Header: Depth=1
	s_and_saveexec_b32 s27, vcc_lo
	s_cbranch_execz .LBB348_20
; %bb.22:                               ;   in Loop: Header=BB348_21 Depth=1
	v_ashrrev_i32_e32 v5, 31, v4
	v_ashrrev_i32_e32 v7, 31, v6
	v_lshlrev_b64 v[11:12], 4, v[4:5]
	v_lshlrev_b64 v[13:14], 4, v[6:7]
	v_add_co_u32 v11, s0, s18, v11
	v_add_co_ci_u32_e64 v12, null, s19, v12, s0
	v_add_co_u32 v15, s0, s16, v13
	v_add_co_ci_u32_e64 v16, null, s17, v14, s0
	flat_load_dwordx4 v[11:14], v[11:12]
	flat_load_dwordx4 v[15:18], v[15:16]
	s_waitcnt vmcnt(0) lgkmcnt(0)
	v_mul_f64 v[19:20], v[13:14], v[17:18]
	v_mul_f64 v[17:18], v[11:12], v[17:18]
	v_fma_f64 v[11:12], v[11:12], v[15:16], -v[19:20]
	v_fma_f64 v[13:14], v[13:14], v[15:16], v[17:18]
	v_add_f64 v[0:1], v[0:1], v[11:12]
	v_add_f64 v[2:3], v[2:3], v[13:14]
	s_branch .LBB348_20
.LBB348_23:
	s_inst_prefetch 0x2
	s_or_b32 exec_lo, exec_lo, s25
.LBB348_24:
	s_or_b32 exec_lo, exec_lo, s23
	s_sub_i32 s0, s3, s6
	s_cmp_lt_i32 s0, 1
	s_cbranch_scc1 .LBB348_30
; %bb.25:
	v_mov_b32_e32 v4, 0
	v_mov_b32_e32 v6, 0
	;; [unrolled: 1-line block ×4, first 2 shown]
	v_cmp_gt_i32_e32 vcc_lo, s3, v8
	s_and_saveexec_b32 s3, vcc_lo
	s_cbranch_execz .LBB348_27
; %bb.26:
	s_waitcnt lgkmcnt(0)
	v_mul_lo_u32 v4, v8, s5
	v_ashrrev_i32_e32 v5, 31, v4
	v_lshlrev_b64 v[4:5], 4, v[4:5]
	v_add_co_u32 v4, s0, s18, v4
	v_add_co_ci_u32_e64 v5, null, s19, v5, s0
	flat_load_dwordx4 v[4:7], v[4:5]
.LBB348_27:
	s_or_b32 exec_lo, exec_lo, s3
	s_mov_b32 s3, exec_lo
	v_cmpx_gt_i32_e64 s2, v9
	s_cbranch_execz .LBB348_29
; %bb.28:
	s_waitcnt lgkmcnt(0)
	v_mul_lo_u32 v8, v8, s22
	v_cndmask_b32_e32 v8, 0, v8, vcc_lo
	v_add_nc_u32_e32 v8, v8, v9
	v_ashrrev_i32_e32 v9, 31, v8
	v_lshlrev_b64 v[8:9], 4, v[8:9]
	v_add_co_u32 v8, vcc_lo, s16, v8
	v_add_co_ci_u32_e64 v9, null, s17, v9, vcc_lo
	flat_load_dwordx4 v[11:14], v[8:9]
	s_waitcnt vmcnt(0) lgkmcnt(0)
	v_mul_f64 v[8:9], v[6:7], v[13:14]
	v_mul_f64 v[13:14], v[4:5], v[13:14]
	v_fma_f64 v[4:5], v[4:5], v[11:12], -v[8:9]
	v_fma_f64 v[6:7], v[6:7], v[11:12], v[13:14]
	v_add_f64 v[0:1], v[0:1], v[4:5]
	v_add_f64 v[2:3], v[2:3], v[6:7]
.LBB348_29:
	s_or_b32 exec_lo, exec_lo, s3
.LBB348_30:
	v_lshlrev_b32_e32 v11, 4, v10
	s_mov_b32 s0, exec_lo
                                        ; implicit-def: $vgpr8_vgpr9
	ds_write_b128 v11, v[0:3]
	s_waitcnt vmcnt(0) lgkmcnt(0)
	s_barrier
	buffer_gl0_inv
                                        ; implicit-def: $vgpr2_vgpr3
	v_cmpx_gt_u32_e32 64, v10
	s_cbranch_execz .LBB348_36
; %bb.31:
	ds_read_b128 v[0:3], v11
	ds_read_b128 v[4:7], v11 offset:1024
	v_or_b32_e32 v10, s4, v10
	s_mov_b32 s3, s21
	v_cmp_gt_i32_e32 vcc_lo, s2, v10
	s_waitcnt lgkmcnt(0)
	v_add_f64 v[8:9], v[0:1], v[4:5]
	v_add_f64 v[12:13], v[2:3], v[6:7]
	ds_read_b128 v[0:3], v11 offset:2048
	ds_read_b128 v[4:7], v11 offset:3072
	s_waitcnt lgkmcnt(1)
	v_add_f64 v[0:1], v[8:9], v[0:1]
	v_add_f64 v[2:3], v[12:13], v[2:3]
	s_waitcnt lgkmcnt(0)
	v_add_f64 v[8:9], v[0:1], v[4:5]
	v_add_f64 v[12:13], v[2:3], v[6:7]
	ds_read_b128 v[0:3], v11 offset:4096
	ds_read_b128 v[4:7], v11 offset:5120
	s_waitcnt lgkmcnt(1)
	v_add_f64 v[0:1], v[8:9], v[0:1]
	v_add_f64 v[2:3], v[12:13], v[2:3]
	;; [unrolled: 8-line block ×7, first 2 shown]
                                        ; implicit-def: $vgpr8_vgpr9
	s_waitcnt lgkmcnt(0)
	v_add_f64 v[4:5], v[0:1], v[4:5]
	v_add_f64 v[6:7], v[2:3], v[6:7]
                                        ; implicit-def: $vgpr2_vgpr3
	ds_write_b128 v11, v[4:7]
	s_and_saveexec_b32 s2, vcc_lo
	s_cbranch_execz .LBB348_35
; %bb.32:
	v_mul_f64 v[0:1], s[14:15], v[6:7]
	v_mul_f64 v[2:3], s[12:13], v[6:7]
	v_cmp_neq_f64_e64 s3, s[8:9], 0
	v_cmp_neq_f64_e64 s4, s[10:11], 0
	v_mul_lo_u32 v8, v10, s20
	v_ashrrev_i32_e32 v9, 31, v8
	v_fma_f64 v[0:1], s[12:13], v[4:5], -v[0:1]
	v_fma_f64 v[2:3], s[14:15], v[4:5], v[2:3]
	s_or_b32 s3, s3, s4
	s_andn2_b32 vcc_lo, exec_lo, s3
	s_cbranch_vccnz .LBB348_34
; %bb.33:
	v_lshlrev_b64 v[4:5], 4, v[8:9]
	v_add_co_u32 v4, vcc_lo, s1, v4
	v_add_co_ci_u32_e64 v5, null, s7, v5, vcc_lo
	flat_load_dwordx4 v[4:7], v[4:5]
	s_waitcnt vmcnt(0) lgkmcnt(0)
	v_mul_f64 v[10:11], s[10:11], v[6:7]
	v_mul_f64 v[6:7], s[8:9], v[6:7]
	v_fma_f64 v[10:11], s[8:9], v[4:5], -v[10:11]
	v_fma_f64 v[4:5], s[10:11], v[4:5], v[6:7]
	v_add_f64 v[0:1], v[0:1], v[10:11]
	v_add_f64 v[2:3], v[2:3], v[4:5]
.LBB348_34:
	s_or_b32 s3, s21, exec_lo
.LBB348_35:
	s_or_b32 exec_lo, exec_lo, s2
	s_andn2_b32 s2, s21, exec_lo
	s_and_b32 s3, s3, exec_lo
	s_or_b32 s21, s2, s3
.LBB348_36:
	s_or_b32 exec_lo, exec_lo, s0
.LBB348_37:
	s_and_saveexec_b32 s0, s21
	s_cbranch_execz .LBB348_39
; %bb.38:
	v_lshlrev_b64 v[4:5], 4, v[8:9]
	v_add_co_u32 v4, vcc_lo, s1, v4
	v_add_co_ci_u32_e64 v5, null, s7, v5, vcc_lo
	flat_store_dwordx4 v[4:5], v[0:3]
.LBB348_39:
	s_endpgm
	.section	.rodata,"a",@progbits
	.p2align	6, 0x0
	.amdhsa_kernel _ZL20rocblas_gemvn_kernelILi64ELi16EiPK19rocblas_complex_numIdES1_KPS1_EviiT3_lPKT2_lT1_lS9_lSA_lS6_lPT4_lSA_li
		.amdhsa_group_segment_fixed_size 16384
		.amdhsa_private_segment_fixed_size 0
		.amdhsa_kernarg_size 416
		.amdhsa_user_sgpr_count 6
		.amdhsa_user_sgpr_private_segment_buffer 1
		.amdhsa_user_sgpr_dispatch_ptr 0
		.amdhsa_user_sgpr_queue_ptr 0
		.amdhsa_user_sgpr_kernarg_segment_ptr 1
		.amdhsa_user_sgpr_dispatch_id 0
		.amdhsa_user_sgpr_flat_scratch_init 0
		.amdhsa_user_sgpr_private_segment_size 0
		.amdhsa_wavefront_size32 1
		.amdhsa_uses_dynamic_stack 0
		.amdhsa_system_sgpr_private_segment_wavefront_offset 0
		.amdhsa_system_sgpr_workgroup_id_x 1
		.amdhsa_system_sgpr_workgroup_id_y 0
		.amdhsa_system_sgpr_workgroup_id_z 1
		.amdhsa_system_sgpr_workgroup_info 0
		.amdhsa_system_vgpr_workitem_id 1
		.amdhsa_next_free_vgpr 21
		.amdhsa_next_free_sgpr 28
		.amdhsa_reserve_vcc 1
		.amdhsa_reserve_flat_scratch 0
		.amdhsa_float_round_mode_32 0
		.amdhsa_float_round_mode_16_64 0
		.amdhsa_float_denorm_mode_32 3
		.amdhsa_float_denorm_mode_16_64 3
		.amdhsa_dx10_clamp 1
		.amdhsa_ieee_mode 1
		.amdhsa_fp16_overflow 0
		.amdhsa_workgroup_processor_mode 1
		.amdhsa_memory_ordered 1
		.amdhsa_forward_progress 1
		.amdhsa_shared_vgpr_count 0
		.amdhsa_exception_fp_ieee_invalid_op 0
		.amdhsa_exception_fp_denorm_src 0
		.amdhsa_exception_fp_ieee_div_zero 0
		.amdhsa_exception_fp_ieee_overflow 0
		.amdhsa_exception_fp_ieee_underflow 0
		.amdhsa_exception_fp_ieee_inexact 0
		.amdhsa_exception_int_div_zero 0
	.end_amdhsa_kernel
	.section	.text._ZL20rocblas_gemvn_kernelILi64ELi16EiPK19rocblas_complex_numIdES1_KPS1_EviiT3_lPKT2_lT1_lS9_lSA_lS6_lPT4_lSA_li,"axG",@progbits,_ZL20rocblas_gemvn_kernelILi64ELi16EiPK19rocblas_complex_numIdES1_KPS1_EviiT3_lPKT2_lT1_lS9_lSA_lS6_lPT4_lSA_li,comdat
.Lfunc_end348:
	.size	_ZL20rocblas_gemvn_kernelILi64ELi16EiPK19rocblas_complex_numIdES1_KPS1_EviiT3_lPKT2_lT1_lS9_lSA_lS6_lPT4_lSA_li, .Lfunc_end348-_ZL20rocblas_gemvn_kernelILi64ELi16EiPK19rocblas_complex_numIdES1_KPS1_EviiT3_lPKT2_lT1_lS9_lSA_lS6_lPT4_lSA_li
                                        ; -- End function
	.set _ZL20rocblas_gemvn_kernelILi64ELi16EiPK19rocblas_complex_numIdES1_KPS1_EviiT3_lPKT2_lT1_lS9_lSA_lS6_lPT4_lSA_li.num_vgpr, 21
	.set _ZL20rocblas_gemvn_kernelILi64ELi16EiPK19rocblas_complex_numIdES1_KPS1_EviiT3_lPKT2_lT1_lS9_lSA_lS6_lPT4_lSA_li.num_agpr, 0
	.set _ZL20rocblas_gemvn_kernelILi64ELi16EiPK19rocblas_complex_numIdES1_KPS1_EviiT3_lPKT2_lT1_lS9_lSA_lS6_lPT4_lSA_li.numbered_sgpr, 28
	.set _ZL20rocblas_gemvn_kernelILi64ELi16EiPK19rocblas_complex_numIdES1_KPS1_EviiT3_lPKT2_lT1_lS9_lSA_lS6_lPT4_lSA_li.num_named_barrier, 0
	.set _ZL20rocblas_gemvn_kernelILi64ELi16EiPK19rocblas_complex_numIdES1_KPS1_EviiT3_lPKT2_lT1_lS9_lSA_lS6_lPT4_lSA_li.private_seg_size, 0
	.set _ZL20rocblas_gemvn_kernelILi64ELi16EiPK19rocblas_complex_numIdES1_KPS1_EviiT3_lPKT2_lT1_lS9_lSA_lS6_lPT4_lSA_li.uses_vcc, 1
	.set _ZL20rocblas_gemvn_kernelILi64ELi16EiPK19rocblas_complex_numIdES1_KPS1_EviiT3_lPKT2_lT1_lS9_lSA_lS6_lPT4_lSA_li.uses_flat_scratch, 0
	.set _ZL20rocblas_gemvn_kernelILi64ELi16EiPK19rocblas_complex_numIdES1_KPS1_EviiT3_lPKT2_lT1_lS9_lSA_lS6_lPT4_lSA_li.has_dyn_sized_stack, 0
	.set _ZL20rocblas_gemvn_kernelILi64ELi16EiPK19rocblas_complex_numIdES1_KPS1_EviiT3_lPKT2_lT1_lS9_lSA_lS6_lPT4_lSA_li.has_recursion, 0
	.set _ZL20rocblas_gemvn_kernelILi64ELi16EiPK19rocblas_complex_numIdES1_KPS1_EviiT3_lPKT2_lT1_lS9_lSA_lS6_lPT4_lSA_li.has_indirect_call, 0
	.section	.AMDGPU.csdata,"",@progbits
; Kernel info:
; codeLenInByte = 1956
; TotalNumSgprs: 30
; NumVgprs: 21
; ScratchSize: 0
; MemoryBound: 1
; FloatMode: 240
; IeeeMode: 1
; LDSByteSize: 16384 bytes/workgroup (compile time only)
; SGPRBlocks: 0
; VGPRBlocks: 2
; NumSGPRsForWavesPerEU: 30
; NumVGPRsForWavesPerEU: 21
; Occupancy: 16
; WaveLimiterHint : 1
; COMPUTE_PGM_RSRC2:SCRATCH_EN: 0
; COMPUTE_PGM_RSRC2:USER_SGPR: 6
; COMPUTE_PGM_RSRC2:TRAP_HANDLER: 0
; COMPUTE_PGM_RSRC2:TGID_X_EN: 1
; COMPUTE_PGM_RSRC2:TGID_Y_EN: 0
; COMPUTE_PGM_RSRC2:TGID_Z_EN: 1
; COMPUTE_PGM_RSRC2:TIDIG_COMP_CNT: 1
	.section	.text._ZL20rocblas_gemvn_kernelILi64ELi16ElPK19rocblas_complex_numIdES1_KPS1_EviiT3_lPKT2_lT1_lS9_lSA_lS6_lPT4_lSA_li,"axG",@progbits,_ZL20rocblas_gemvn_kernelILi64ELi16ElPK19rocblas_complex_numIdES1_KPS1_EviiT3_lPKT2_lT1_lS9_lSA_lS6_lPT4_lSA_li,comdat
	.globl	_ZL20rocblas_gemvn_kernelILi64ELi16ElPK19rocblas_complex_numIdES1_KPS1_EviiT3_lPKT2_lT1_lS9_lSA_lS6_lPT4_lSA_li ; -- Begin function _ZL20rocblas_gemvn_kernelILi64ELi16ElPK19rocblas_complex_numIdES1_KPS1_EviiT3_lPKT2_lT1_lS9_lSA_lS6_lPT4_lSA_li
	.p2align	8
	.type	_ZL20rocblas_gemvn_kernelILi64ELi16ElPK19rocblas_complex_numIdES1_KPS1_EviiT3_lPKT2_lT1_lS9_lSA_lS6_lPT4_lSA_li,@function
_ZL20rocblas_gemvn_kernelILi64ELi16ElPK19rocblas_complex_numIdES1_KPS1_EviiT3_lPKT2_lT1_lS9_lSA_lS6_lPT4_lSA_li: ; @_ZL20rocblas_gemvn_kernelILi64ELi16ElPK19rocblas_complex_numIdES1_KPS1_EviiT3_lPKT2_lT1_lS9_lSA_lS6_lPT4_lSA_li
; %bb.0:
	s_load_dwordx2 s[0:1], s[4:5], 0xac
	s_mov_b32 s16, s7
	s_waitcnt lgkmcnt(0)
	s_lshr_b32 s2, s0, 16
	s_and_b32 s7, s0, 0xffff
	s_and_b32 s0, s1, 0xffff
	s_mul_i32 s1, s2, s7
	s_mul_i32 s1, s1, s0
	s_cmpk_lg_i32 s1, 0x400
	s_cbranch_scc1 .LBB349_39
; %bb.1:
	s_clause 0x3
	s_load_dwordx4 s[12:15], s[4:5], 0x8
	s_load_dwordx4 s[0:3], s[4:5], 0x20
	s_load_dwordx2 s[18:19], s[4:5], 0x30
	s_load_dwordx4 s[8:11], s[4:5], 0x60
	s_mov_b64 s[20:21], 0
	s_mov_b32 s22, -1
	s_waitcnt lgkmcnt(0)
	v_cmp_neq_f64_e64 s17, s[12:13], 0
	v_cmp_neq_f64_e64 s23, s[14:15], 0
	s_or_b32 s24, s17, s23
	s_mov_b32 s17, 0
	s_and_b32 vcc_lo, exec_lo, s24
	s_mov_b64 s[26:27], s[16:17]
	s_mov_b32 s23, s17
	s_cbranch_vccnz .LBB349_4
; %bb.2:
	v_cmp_eq_f64_e64 s22, s[8:9], 1.0
	v_cmp_eq_f64_e64 s23, s[10:11], 0
                                        ; implicit-def: $sgpr26_sgpr27
	s_and_b32 s23, s22, s23
	s_mov_b32 s22, 0
	s_andn2_b32 vcc_lo, exec_lo, s23
	s_mov_b32 s23, 0
	s_cbranch_vccz .LBB349_4
; %bb.3:
	s_mov_b32 s27, 0
	s_mov_b32 s26, s16
	s_mov_b32 s23, -1
.LBB349_4:
	s_and_b32 vcc_lo, exec_lo, s22
	s_cbranch_vccz .LBB349_6
; %bb.5:
	s_lshl_b64 s[16:17], s[16:17], 3
	s_mov_b32 s23, -1
	s_add_u32 s0, s0, s16
	s_addc_u32 s1, s1, s17
	s_lshl_b64 s[2:3], s[2:3], 4
	s_load_dwordx2 s[0:1], s[0:1], 0x0
	s_waitcnt lgkmcnt(0)
	s_add_u32 s20, s0, s2
	s_addc_u32 s21, s1, s3
.LBB349_6:
	s_andn2_b32 vcc_lo, exec_lo, s23
	s_cbranch_vccnz .LBB349_39
; %bb.7:
	s_clause 0x1
	s_load_dwordx4 s[0:3], s[4:5], 0x40
	s_load_dwordx2 s[22:23], s[4:5], 0x50
	v_cndmask_b32_e64 v2, 0, 1, s24
	s_xor_b32 s28, s24, -1
	s_mov_b64 s[24:25], 0
	v_cmp_ne_u32_e32 vcc_lo, 1, v2
	s_cbranch_vccnz .LBB349_9
; %bb.8:
	s_lshl_b64 s[16:17], s[26:27], 3
	s_waitcnt lgkmcnt(0)
	s_add_u32 s0, s0, s16
	s_addc_u32 s1, s1, s17
	s_lshl_b64 s[2:3], s[2:3], 4
	s_load_dwordx2 s[0:1], s[0:1], 0x0
	s_waitcnt lgkmcnt(0)
	s_add_u32 s24, s0, s2
	s_addc_u32 s25, s1, s3
.LBB349_9:
	s_load_dwordx4 s[36:39], s[4:5], 0x78
	s_waitcnt lgkmcnt(0)
	s_lshl_b64 s[0:1], s[26:27], 3
	v_mad_u32_u24 v10, v1, s7, v0
	s_add_u32 s0, s36, s0
	s_addc_u32 s1, s37, s1
	s_load_dwordx2 s[26:27], s[0:1], 0x0
	s_clause 0x1
	s_load_dwordx2 s[16:17], s[4:5], 0x0
	s_load_dwordx2 s[2:3], s[4:5], 0x88
	s_lshl_b64 s[4:5], s[38:39], 4
	v_cmp_gt_u32_e64 s0, 64, v10
	s_waitcnt lgkmcnt(0)
	s_add_u32 s26, s26, s4
	s_addc_u32 s27, s27, s5
	s_andn2_b32 vcc_lo, exec_lo, s28
	s_cbranch_vccnz .LBB349_16
; %bb.10:
	s_mov_b32 s1, 0
	s_mov_b32 s28, 0
                                        ; implicit-def: $vgpr2_vgpr3
                                        ; implicit-def: $vgpr8_vgpr9
	s_and_saveexec_b32 s4, s0
	s_cbranch_execz .LBB349_17
; %bb.11:
	v_lshl_or_b32 v0, s6, 6, v10
	v_mov_b32_e32 v1, 0
	s_ashr_i32 s29, s16, 31
	s_mov_b32 s28, s16
	s_mov_b32 s5, 0
                                        ; implicit-def: $vgpr8_vgpr9
	v_cmp_gt_i64_e32 vcc_lo, s[28:29], v[0:1]
                                        ; implicit-def: $vgpr2_vgpr3
	s_and_saveexec_b32 s0, vcc_lo
	s_cbranch_execz .LBB349_15
; %bb.12:
	v_cmp_neq_f64_e64 s5, s[8:9], 0
	v_cmp_neq_f64_e64 s7, s[10:11], 0
	v_mad_u64_u32 v[8:9], null, s2, v0, 0
	v_mov_b32_e32 v1, v9
	v_mad_u64_u32 v[4:5], null, s3, v0, v[1:2]
	v_mov_b32_e32 v2, 0
	v_mov_b32_e32 v0, 0
	;; [unrolled: 1-line block ×5, first 2 shown]
	s_or_b32 s5, s5, s7
	s_andn2_b32 vcc_lo, exec_lo, s5
	s_cbranch_vccnz .LBB349_14
; %bb.13:
	v_lshlrev_b64 v[0:1], 4, v[8:9]
	v_add_co_u32 v0, vcc_lo, s26, v0
	v_add_co_ci_u32_e64 v1, null, s27, v1, vcc_lo
	flat_load_dwordx4 v[2:5], v[0:1]
	s_waitcnt vmcnt(0) lgkmcnt(0)
	v_mul_f64 v[0:1], s[10:11], v[4:5]
	v_mul_f64 v[4:5], s[8:9], v[4:5]
	v_fma_f64 v[0:1], s[8:9], v[2:3], -v[0:1]
	v_fma_f64 v[2:3], s[10:11], v[2:3], v[4:5]
.LBB349_14:
	s_mov_b32 s5, exec_lo
.LBB349_15:
	s_or_b32 exec_lo, exec_lo, s0
	s_and_b32 s28, s5, exec_lo
	s_or_b32 exec_lo, exec_lo, s4
	s_and_b32 vcc_lo, exec_lo, s1
	s_cbranch_vccnz .LBB349_18
	s_branch .LBB349_37
.LBB349_16:
	s_mov_b32 s28, 0
                                        ; implicit-def: $vgpr2_vgpr3
                                        ; implicit-def: $vgpr8_vgpr9
	s_cbranch_execnz .LBB349_18
	s_branch .LBB349_37
.LBB349_17:
	s_or_b32 exec_lo, exec_lo, s4
	s_and_b32 vcc_lo, exec_lo, s1
	s_cbranch_vccz .LBB349_37
.LBB349_18:
	v_and_b32_e32 v4, 63, v10
	s_ashr_i32 s0, s17, 31
	s_lshl_b32 s29, s6, 6
	s_lshr_b32 s0, s0, 28
	v_mov_b32_e32 v2, 0
	v_mov_b32_e32 v0, 0
	v_lshrrev_b32_e32 v9, 6, v10
	v_or_b32_e32 v8, s29, v4
	v_mov_b32_e32 v3, 0
	v_mov_b32_e32 v1, 0
	s_add_i32 s0, s17, s0
	s_mov_b32 s31, exec_lo
	s_and_b32 s30, s0, -16
	v_cmpx_gt_i32_e64 s30, v9
	s_cbranch_execz .LBB349_24
; %bb.19:
	v_lshrrev_b32_e32 v11, 6, v10
	v_add_nc_u32_e32 v3, s29, v4
	s_lshl_b64 s[4:5], s[22:23], 8
	s_lshl_b64 s[6:7], s[18:19], 8
	s_mov_b32 s33, 0
	v_mad_u64_u32 v[5:6], null, s22, v11, 0
	v_mad_u64_u32 v[0:1], null, s18, v11, 0
	v_ashrrev_i32_e32 v4, 31, v3
	v_cmp_gt_i32_e32 vcc_lo, s16, v8
	v_mov_b32_e32 v2, v6
	v_mad_u64_u32 v[6:7], null, s19, v11, v[1:2]
	v_mad_u64_u32 v[11:12], null, s23, v11, v[2:3]
	v_lshlrev_b64 v[12:13], 4, v[3:4]
	v_mov_b32_e32 v2, 0
	v_mov_b32_e32 v3, 0
	;; [unrolled: 1-line block ×4, first 2 shown]
	v_lshlrev_b64 v[0:1], 4, v[0:1]
	v_lshlrev_b64 v[4:5], 4, v[5:6]
	v_add_co_u32 v0, s0, v0, v12
	v_add_co_ci_u32_e64 v1, null, v1, v13, s0
	v_add_co_u32 v4, s0, s24, v4
	v_add_co_ci_u32_e64 v5, null, s25, v5, s0
	;; [unrolled: 2-line block ×3, first 2 shown]
	v_mov_b32_e32 v0, v2
	v_mov_b32_e32 v1, v3
	s_inst_prefetch 0x1
	s_branch .LBB349_21
	.p2align	6
.LBB349_20:                             ;   in Loop: Header=BB349_21 Depth=1
	s_or_b32 exec_lo, exec_lo, s0
	v_add_nc_u32_e32 v9, 16, v9
	v_add_co_u32 v4, s0, v4, s4
	v_add_co_ci_u32_e64 v5, null, s5, v5, s0
	v_cmp_le_i32_e64 s0, s30, v9
	v_add_co_u32 v6, s1, v6, s6
	v_add_co_ci_u32_e64 v7, null, s7, v7, s1
	s_or_b32 s33, s0, s33
	s_andn2_b32 exec_lo, exec_lo, s33
	s_cbranch_execz .LBB349_23
.LBB349_21:                             ; =>This Inner Loop Header: Depth=1
	s_and_saveexec_b32 s0, vcc_lo
	s_cbranch_execz .LBB349_20
; %bb.22:                               ;   in Loop: Header=BB349_21 Depth=1
	flat_load_dwordx4 v[11:14], v[4:5]
	flat_load_dwordx4 v[15:18], v[6:7]
	s_waitcnt vmcnt(0) lgkmcnt(0)
	v_mul_f64 v[19:20], v[13:14], v[17:18]
	v_mul_f64 v[17:18], v[11:12], v[17:18]
	v_fma_f64 v[11:12], v[11:12], v[15:16], -v[19:20]
	v_fma_f64 v[13:14], v[13:14], v[15:16], v[17:18]
	v_add_f64 v[0:1], v[0:1], v[11:12]
	v_add_f64 v[2:3], v[2:3], v[13:14]
	s_branch .LBB349_20
.LBB349_23:
	s_inst_prefetch 0x2
	s_or_b32 exec_lo, exec_lo, s33
.LBB349_24:
	s_or_b32 exec_lo, exec_lo, s31
	s_sub_i32 s0, s17, s30
	s_cmp_lt_i32 s0, 1
	s_cbranch_scc1 .LBB349_30
; %bb.25:
	v_mov_b32_e32 v4, 0
	v_mov_b32_e32 v6, 0
	v_mov_b32_e32 v5, 0
	v_mov_b32_e32 v7, 0
	v_cmp_gt_i32_e32 vcc_lo, s17, v9
	s_and_saveexec_b32 s1, vcc_lo
	s_cbranch_execz .LBB349_27
; %bb.26:
	v_mad_u64_u32 v[4:5], null, s22, v9, 0
	v_mad_u64_u32 v[5:6], null, s23, v9, v[5:6]
	v_lshlrev_b64 v[4:5], 4, v[4:5]
	v_add_co_u32 v4, s0, s24, v4
	v_add_co_ci_u32_e64 v5, null, s25, v5, s0
	flat_load_dwordx4 v[4:7], v[4:5]
.LBB349_27:
	s_or_b32 exec_lo, exec_lo, s1
	s_mov_b32 s1, exec_lo
	v_cmpx_gt_i32_e64 s16, v8
	s_cbranch_execz .LBB349_29
; %bb.28:
	v_mad_u64_u32 v[11:12], null, s18, v9, 0
	v_mad_u64_u32 v[12:13], null, s19, v9, v[12:13]
	v_cndmask_b32_e32 v11, 0, v11, vcc_lo
	v_ashrrev_i32_e32 v9, 31, v8
	v_lshlrev_b64 v[8:9], 4, v[8:9]
	v_cndmask_b32_e32 v12, 0, v12, vcc_lo
	v_lshlrev_b64 v[11:12], 4, v[11:12]
	v_add_co_u32 v11, vcc_lo, s20, v11
	v_add_co_ci_u32_e64 v12, null, s21, v12, vcc_lo
	v_add_co_u32 v8, vcc_lo, v11, v8
	v_add_co_ci_u32_e64 v9, null, v12, v9, vcc_lo
	flat_load_dwordx4 v[11:14], v[8:9]
	s_waitcnt vmcnt(0) lgkmcnt(0)
	v_mul_f64 v[8:9], v[6:7], v[13:14]
	v_mul_f64 v[13:14], v[4:5], v[13:14]
	v_fma_f64 v[4:5], v[4:5], v[11:12], -v[8:9]
	v_fma_f64 v[6:7], v[6:7], v[11:12], v[13:14]
	v_add_f64 v[0:1], v[0:1], v[4:5]
	v_add_f64 v[2:3], v[2:3], v[6:7]
.LBB349_29:
	s_or_b32 exec_lo, exec_lo, s1
.LBB349_30:
	v_lshlrev_b32_e32 v11, 4, v10
	s_mov_b32 s0, exec_lo
                                        ; implicit-def: $vgpr8_vgpr9
	ds_write_b128 v11, v[0:3]
	s_waitcnt vmcnt(0) lgkmcnt(0)
	s_barrier
	buffer_gl0_inv
                                        ; implicit-def: $vgpr2_vgpr3
	v_cmpx_gt_u32_e32 64, v10
	s_cbranch_execz .LBB349_36
; %bb.31:
	ds_read_b128 v[0:3], v11
	ds_read_b128 v[4:7], v11 offset:1024
	v_or_b32_e32 v10, s29, v10
	s_mov_b32 s4, s28
	s_mov_b32 s1, exec_lo
	s_waitcnt lgkmcnt(0)
	v_add_f64 v[8:9], v[0:1], v[4:5]
	v_add_f64 v[12:13], v[2:3], v[6:7]
	ds_read_b128 v[0:3], v11 offset:2048
	ds_read_b128 v[4:7], v11 offset:3072
	s_waitcnt lgkmcnt(1)
	v_add_f64 v[0:1], v[8:9], v[0:1]
	v_add_f64 v[2:3], v[12:13], v[2:3]
	s_waitcnt lgkmcnt(0)
	v_add_f64 v[8:9], v[0:1], v[4:5]
	v_add_f64 v[12:13], v[2:3], v[6:7]
	ds_read_b128 v[0:3], v11 offset:4096
	ds_read_b128 v[4:7], v11 offset:5120
	s_waitcnt lgkmcnt(1)
	v_add_f64 v[0:1], v[8:9], v[0:1]
	v_add_f64 v[2:3], v[12:13], v[2:3]
	s_waitcnt lgkmcnt(0)
	v_add_f64 v[8:9], v[0:1], v[4:5]
	v_add_f64 v[12:13], v[2:3], v[6:7]
	ds_read_b128 v[0:3], v11 offset:6144
	ds_read_b128 v[4:7], v11 offset:7168
	s_waitcnt lgkmcnt(1)
	v_add_f64 v[0:1], v[8:9], v[0:1]
	v_add_f64 v[2:3], v[12:13], v[2:3]
	s_waitcnt lgkmcnt(0)
	v_add_f64 v[8:9], v[0:1], v[4:5]
	v_add_f64 v[12:13], v[2:3], v[6:7]
	ds_read_b128 v[0:3], v11 offset:8192
	ds_read_b128 v[4:7], v11 offset:9216
	s_waitcnt lgkmcnt(1)
	v_add_f64 v[0:1], v[8:9], v[0:1]
	v_add_f64 v[2:3], v[12:13], v[2:3]
	s_waitcnt lgkmcnt(0)
	v_add_f64 v[8:9], v[0:1], v[4:5]
	v_add_f64 v[12:13], v[2:3], v[6:7]
	ds_read_b128 v[0:3], v11 offset:10240
	ds_read_b128 v[4:7], v11 offset:11264
	s_waitcnt lgkmcnt(1)
	v_add_f64 v[0:1], v[8:9], v[0:1]
	v_add_f64 v[2:3], v[12:13], v[2:3]
	s_waitcnt lgkmcnt(0)
	v_add_f64 v[8:9], v[0:1], v[4:5]
	v_add_f64 v[12:13], v[2:3], v[6:7]
	ds_read_b128 v[0:3], v11 offset:12288
	ds_read_b128 v[4:7], v11 offset:13312
	s_waitcnt lgkmcnt(1)
	v_add_f64 v[0:1], v[8:9], v[0:1]
	v_add_f64 v[2:3], v[12:13], v[2:3]
	s_waitcnt lgkmcnt(0)
	v_add_f64 v[8:9], v[0:1], v[4:5]
	v_add_f64 v[12:13], v[2:3], v[6:7]
	ds_read_b128 v[0:3], v11 offset:14336
	ds_read_b128 v[4:7], v11 offset:15360
	s_waitcnt lgkmcnt(1)
	v_add_f64 v[0:1], v[8:9], v[0:1]
	v_add_f64 v[2:3], v[12:13], v[2:3]
                                        ; implicit-def: $vgpr8_vgpr9
	s_waitcnt lgkmcnt(0)
	v_add_f64 v[4:5], v[0:1], v[4:5]
	v_add_f64 v[6:7], v[2:3], v[6:7]
                                        ; implicit-def: $vgpr2_vgpr3
	ds_write_b128 v11, v[4:7]
	v_cmpx_gt_i32_e64 s16, v10
	s_cbranch_execz .LBB349_35
; %bb.32:
	v_mul_f64 v[0:1], s[14:15], v[6:7]
	v_mul_f64 v[2:3], s[12:13], v[6:7]
	v_cmp_neq_f64_e64 s4, s[8:9], 0
	v_cmp_neq_f64_e64 s5, s[10:11], 0
	v_mad_u64_u32 v[8:9], null, s2, v10, 0
	v_fma_f64 v[0:1], s[12:13], v[4:5], -v[0:1]
	v_fma_f64 v[2:3], s[14:15], v[4:5], v[2:3]
	v_ashrrev_i32_e32 v4, 31, v10
	v_mul_lo_u32 v5, s3, v10
	v_mul_lo_u32 v4, s2, v4
	s_or_b32 s2, s4, s5
	s_andn2_b32 vcc_lo, exec_lo, s2
	v_add3_u32 v9, v9, v4, v5
	s_cbranch_vccnz .LBB349_34
; %bb.33:
	v_lshlrev_b64 v[4:5], 4, v[8:9]
	v_add_co_u32 v4, vcc_lo, s26, v4
	v_add_co_ci_u32_e64 v5, null, s27, v5, vcc_lo
	flat_load_dwordx4 v[4:7], v[4:5]
	s_waitcnt vmcnt(0) lgkmcnt(0)
	v_mul_f64 v[10:11], s[10:11], v[6:7]
	v_mul_f64 v[6:7], s[8:9], v[6:7]
	v_fma_f64 v[10:11], s[8:9], v[4:5], -v[10:11]
	v_fma_f64 v[4:5], s[10:11], v[4:5], v[6:7]
	v_add_f64 v[0:1], v[0:1], v[10:11]
	v_add_f64 v[2:3], v[2:3], v[4:5]
.LBB349_34:
	s_or_b32 s4, s28, exec_lo
.LBB349_35:
	s_or_b32 exec_lo, exec_lo, s1
	s_andn2_b32 s1, s28, exec_lo
	s_and_b32 s2, s4, exec_lo
	s_or_b32 s28, s1, s2
.LBB349_36:
	s_or_b32 exec_lo, exec_lo, s0
.LBB349_37:
	s_and_saveexec_b32 s0, s28
	s_cbranch_execz .LBB349_39
; %bb.38:
	v_lshlrev_b64 v[4:5], 4, v[8:9]
	v_add_co_u32 v4, vcc_lo, s26, v4
	v_add_co_ci_u32_e64 v5, null, s27, v5, vcc_lo
	flat_store_dwordx4 v[4:5], v[0:3]
.LBB349_39:
	s_endpgm
	.section	.rodata,"a",@progbits
	.p2align	6, 0x0
	.amdhsa_kernel _ZL20rocblas_gemvn_kernelILi64ELi16ElPK19rocblas_complex_numIdES1_KPS1_EviiT3_lPKT2_lT1_lS9_lSA_lS6_lPT4_lSA_li
		.amdhsa_group_segment_fixed_size 16384
		.amdhsa_private_segment_fixed_size 0
		.amdhsa_kernarg_size 416
		.amdhsa_user_sgpr_count 6
		.amdhsa_user_sgpr_private_segment_buffer 1
		.amdhsa_user_sgpr_dispatch_ptr 0
		.amdhsa_user_sgpr_queue_ptr 0
		.amdhsa_user_sgpr_kernarg_segment_ptr 1
		.amdhsa_user_sgpr_dispatch_id 0
		.amdhsa_user_sgpr_flat_scratch_init 0
		.amdhsa_user_sgpr_private_segment_size 0
		.amdhsa_wavefront_size32 1
		.amdhsa_uses_dynamic_stack 0
		.amdhsa_system_sgpr_private_segment_wavefront_offset 0
		.amdhsa_system_sgpr_workgroup_id_x 1
		.amdhsa_system_sgpr_workgroup_id_y 0
		.amdhsa_system_sgpr_workgroup_id_z 1
		.amdhsa_system_sgpr_workgroup_info 0
		.amdhsa_system_vgpr_workitem_id 1
		.amdhsa_next_free_vgpr 21
		.amdhsa_next_free_sgpr 40
		.amdhsa_reserve_vcc 1
		.amdhsa_reserve_flat_scratch 0
		.amdhsa_float_round_mode_32 0
		.amdhsa_float_round_mode_16_64 0
		.amdhsa_float_denorm_mode_32 3
		.amdhsa_float_denorm_mode_16_64 3
		.amdhsa_dx10_clamp 1
		.amdhsa_ieee_mode 1
		.amdhsa_fp16_overflow 0
		.amdhsa_workgroup_processor_mode 1
		.amdhsa_memory_ordered 1
		.amdhsa_forward_progress 1
		.amdhsa_shared_vgpr_count 0
		.amdhsa_exception_fp_ieee_invalid_op 0
		.amdhsa_exception_fp_denorm_src 0
		.amdhsa_exception_fp_ieee_div_zero 0
		.amdhsa_exception_fp_ieee_overflow 0
		.amdhsa_exception_fp_ieee_underflow 0
		.amdhsa_exception_fp_ieee_inexact 0
		.amdhsa_exception_int_div_zero 0
	.end_amdhsa_kernel
	.section	.text._ZL20rocblas_gemvn_kernelILi64ELi16ElPK19rocblas_complex_numIdES1_KPS1_EviiT3_lPKT2_lT1_lS9_lSA_lS6_lPT4_lSA_li,"axG",@progbits,_ZL20rocblas_gemvn_kernelILi64ELi16ElPK19rocblas_complex_numIdES1_KPS1_EviiT3_lPKT2_lT1_lS9_lSA_lS6_lPT4_lSA_li,comdat
.Lfunc_end349:
	.size	_ZL20rocblas_gemvn_kernelILi64ELi16ElPK19rocblas_complex_numIdES1_KPS1_EviiT3_lPKT2_lT1_lS9_lSA_lS6_lPT4_lSA_li, .Lfunc_end349-_ZL20rocblas_gemvn_kernelILi64ELi16ElPK19rocblas_complex_numIdES1_KPS1_EviiT3_lPKT2_lT1_lS9_lSA_lS6_lPT4_lSA_li
                                        ; -- End function
	.set _ZL20rocblas_gemvn_kernelILi64ELi16ElPK19rocblas_complex_numIdES1_KPS1_EviiT3_lPKT2_lT1_lS9_lSA_lS6_lPT4_lSA_li.num_vgpr, 21
	.set _ZL20rocblas_gemvn_kernelILi64ELi16ElPK19rocblas_complex_numIdES1_KPS1_EviiT3_lPKT2_lT1_lS9_lSA_lS6_lPT4_lSA_li.num_agpr, 0
	.set _ZL20rocblas_gemvn_kernelILi64ELi16ElPK19rocblas_complex_numIdES1_KPS1_EviiT3_lPKT2_lT1_lS9_lSA_lS6_lPT4_lSA_li.numbered_sgpr, 40
	.set _ZL20rocblas_gemvn_kernelILi64ELi16ElPK19rocblas_complex_numIdES1_KPS1_EviiT3_lPKT2_lT1_lS9_lSA_lS6_lPT4_lSA_li.num_named_barrier, 0
	.set _ZL20rocblas_gemvn_kernelILi64ELi16ElPK19rocblas_complex_numIdES1_KPS1_EviiT3_lPKT2_lT1_lS9_lSA_lS6_lPT4_lSA_li.private_seg_size, 0
	.set _ZL20rocblas_gemvn_kernelILi64ELi16ElPK19rocblas_complex_numIdES1_KPS1_EviiT3_lPKT2_lT1_lS9_lSA_lS6_lPT4_lSA_li.uses_vcc, 1
	.set _ZL20rocblas_gemvn_kernelILi64ELi16ElPK19rocblas_complex_numIdES1_KPS1_EviiT3_lPKT2_lT1_lS9_lSA_lS6_lPT4_lSA_li.uses_flat_scratch, 0
	.set _ZL20rocblas_gemvn_kernelILi64ELi16ElPK19rocblas_complex_numIdES1_KPS1_EviiT3_lPKT2_lT1_lS9_lSA_lS6_lPT4_lSA_li.has_dyn_sized_stack, 0
	.set _ZL20rocblas_gemvn_kernelILi64ELi16ElPK19rocblas_complex_numIdES1_KPS1_EviiT3_lPKT2_lT1_lS9_lSA_lS6_lPT4_lSA_li.has_recursion, 0
	.set _ZL20rocblas_gemvn_kernelILi64ELi16ElPK19rocblas_complex_numIdES1_KPS1_EviiT3_lPKT2_lT1_lS9_lSA_lS6_lPT4_lSA_li.has_indirect_call, 0
	.section	.AMDGPU.csdata,"",@progbits
; Kernel info:
; codeLenInByte = 2044
; TotalNumSgprs: 42
; NumVgprs: 21
; ScratchSize: 0
; MemoryBound: 1
; FloatMode: 240
; IeeeMode: 1
; LDSByteSize: 16384 bytes/workgroup (compile time only)
; SGPRBlocks: 0
; VGPRBlocks: 2
; NumSGPRsForWavesPerEU: 42
; NumVGPRsForWavesPerEU: 21
; Occupancy: 16
; WaveLimiterHint : 1
; COMPUTE_PGM_RSRC2:SCRATCH_EN: 0
; COMPUTE_PGM_RSRC2:USER_SGPR: 6
; COMPUTE_PGM_RSRC2:TRAP_HANDLER: 0
; COMPUTE_PGM_RSRC2:TGID_X_EN: 1
; COMPUTE_PGM_RSRC2:TGID_Y_EN: 0
; COMPUTE_PGM_RSRC2:TGID_Z_EN: 1
; COMPUTE_PGM_RSRC2:TIDIG_COMP_CNT: 1
	.section	.text._ZL22rocblas_gemvtsm_kernelILb0ELi256EPK19rocblas_complex_numIdES3_KPS1_EviiT2_lPKT1_lilS9_lilS6_lPT3_lil,"axG",@progbits,_ZL22rocblas_gemvtsm_kernelILb0ELi256EPK19rocblas_complex_numIdES3_KPS1_EviiT2_lPKT1_lilS9_lilS6_lPT3_lil,comdat
	.globl	_ZL22rocblas_gemvtsm_kernelILb0ELi256EPK19rocblas_complex_numIdES3_KPS1_EviiT2_lPKT1_lilS9_lilS6_lPT3_lil ; -- Begin function _ZL22rocblas_gemvtsm_kernelILb0ELi256EPK19rocblas_complex_numIdES3_KPS1_EviiT2_lPKT1_lilS9_lilS6_lPT3_lil
	.p2align	8
	.type	_ZL22rocblas_gemvtsm_kernelILb0ELi256EPK19rocblas_complex_numIdES3_KPS1_EviiT2_lPKT1_lilS9_lilS6_lPT3_lil,@function
_ZL22rocblas_gemvtsm_kernelILb0ELi256EPK19rocblas_complex_numIdES3_KPS1_EviiT2_lPKT1_lilS9_lilS6_lPT3_lil: ; @_ZL22rocblas_gemvtsm_kernelILb0ELi256EPK19rocblas_complex_numIdES3_KPS1_EviiT2_lPKT1_lilS9_lilS6_lPT3_lil
; %bb.0:
	s_clause 0x1
	s_load_dwordx8 s[16:23], s[4:5], 0x8
	s_load_dwordx8 s[8:15], s[4:5], 0x58
	s_mov_b32 s7, 0
	s_waitcnt lgkmcnt(0)
	s_mul_i32 s1, s19, s6
	s_mul_hi_u32 s2, s18, s6
	s_mul_i32 s0, s18, s6
	s_add_i32 s1, s2, s1
	s_lshl_b64 s[0:1], s[0:1], 4
	s_add_u32 s0, s16, s0
	s_addc_u32 s1, s17, s1
	s_load_dwordx4 s[16:19], s[0:1], 0x0
	s_mul_i32 s0, s11, s6
	s_mul_hi_u32 s1, s10, s6
	s_add_i32 s1, s1, s0
	s_mul_i32 s0, s10, s6
	s_mov_b64 s[10:11], 0
	s_lshl_b64 s[0:1], s[0:1], 4
	s_add_u32 s0, s8, s0
	s_addc_u32 s1, s9, s1
	s_mov_b32 s9, s7
	s_load_dwordx4 s[0:3], s[0:1], 0x0
	s_waitcnt lgkmcnt(0)
	v_cmp_neq_f64_e64 s24, s[16:17], 0
	v_cmp_neq_f64_e64 s25, s[18:19], 0
	s_or_b32 s8, s24, s25
	s_mov_b32 s24, -1
	s_and_b32 vcc_lo, exec_lo, s8
	s_cbranch_vccz .LBB350_3
; %bb.1:
	s_andn2_b32 vcc_lo, exec_lo, s24
	s_cbranch_vccz .LBB350_4
.LBB350_2:
	s_andn2_b32 vcc_lo, exec_lo, s9
	s_cbranch_vccz .LBB350_5
	s_branch .LBB350_40
.LBB350_3:
	v_cmp_neq_f64_e64 s9, s[0:1], 1.0
	v_cmp_neq_f64_e64 s24, s[2:3], 0
	s_or_b32 s9, s9, s24
	s_cbranch_execnz .LBB350_2
.LBB350_4:
	s_lshl_b64 s[10:11], s[6:7], 3
	s_add_u32 s10, s20, s10
	s_addc_u32 s11, s21, s11
	s_lshl_b64 s[20:21], s[22:23], 4
	s_load_dwordx2 s[10:11], s[10:11], 0x0
	s_waitcnt lgkmcnt(0)
	s_add_u32 s10, s10, s20
	s_addc_u32 s11, s11, s21
.LBB350_5:
	v_cndmask_b32_e64 v1, 0, 1, s8
	s_xor_b32 s9, s8, -1
	s_mov_b64 s[20:21], 0
	v_cmp_ne_u32_e32 vcc_lo, 1, v1
	s_cbranch_vccnz .LBB350_7
; %bb.6:
	s_load_dwordx4 s[20:23], s[4:5], 0x38
	s_lshl_b64 s[24:25], s[6:7], 3
	s_waitcnt lgkmcnt(0)
	s_add_u32 s20, s20, s24
	s_addc_u32 s21, s21, s25
	s_lshl_b64 s[22:23], s[22:23], 4
	s_load_dwordx2 s[20:21], s[20:21], 0x0
	s_waitcnt lgkmcnt(0)
	s_add_u32 s20, s20, s22
	s_addc_u32 s21, s21, s23
.LBB350_7:
	s_lshl_b64 s[6:7], s[6:7], 3
	s_add_u32 s12, s12, s6
	s_addc_u32 s13, s13, s7
	s_clause 0x1
	s_load_dwordx2 s[6:7], s[4:5], 0x0
	s_load_dword s8, s[4:5], 0x78
	s_load_dwordx2 s[12:13], s[12:13], 0x0
	s_andn2_b32 vcc_lo, exec_lo, s9
	s_mov_b32 s9, -1
	s_cbranch_vccnz .LBB350_22
; %bb.8:
	v_cmp_neq_f64_e64 s9, s[0:1], 0
	v_cmp_neq_f64_e64 s22, s[2:3], 0
	s_or_b32 s9, s9, s22
	s_waitcnt lgkmcnt(0)
	s_cmp_gt_i32 s7, 0
	s_cselect_b32 s24, -1, 0
	s_and_b32 vcc_lo, exec_lo, s9
	s_mov_b32 s9, -1
	s_cbranch_vccnz .LBB350_15
; %bb.9:
	s_andn2_b32 vcc_lo, exec_lo, s24
	s_cbranch_vccnz .LBB350_14
; %bb.10:
	v_mad_i64_i32 v[1:2], null, s8, v0, 0
	s_lshl_b64 s[22:23], s[14:15], 4
	s_ashr_i32 s9, s8, 31
	s_add_u32 s22, s12, s22
	s_addc_u32 s23, s13, s23
	v_lshlrev_b64 v[1:2], 4, v[1:2]
	v_add_co_u32 v5, vcc_lo, s22, v1
	v_add_co_ci_u32_e64 v6, null, s23, v2, vcc_lo
	v_mov_b32_e32 v1, 0
	s_lshl_b64 s[22:23], s[8:9], 12
	s_mov_b32 s9, 0
	s_branch .LBB350_12
	.p2align	6
.LBB350_11:                             ;   in Loop: Header=BB350_12 Depth=1
	s_or_b32 exec_lo, exec_lo, s25
	v_add_co_u32 v5, vcc_lo, v5, s22
	v_add_co_ci_u32_e64 v6, null, s23, v6, vcc_lo
	s_addk_i32 s9, 0x100
	s_cmp_ge_i32 s9, s7
	s_cbranch_scc1 .LBB350_14
.LBB350_12:                             ; =>This Inner Loop Header: Depth=1
	v_add_nc_u32_e32 v2, s9, v0
	s_mov_b32 s25, exec_lo
	v_cmpx_gt_i32_e64 s7, v2
	s_cbranch_execz .LBB350_11
; %bb.13:                               ;   in Loop: Header=BB350_12 Depth=1
	v_mov_b32_e32 v2, v1
	v_mov_b32_e32 v3, v1
	;; [unrolled: 1-line block ×3, first 2 shown]
	flat_store_dwordx4 v[5:6], v[1:4]
	s_branch .LBB350_11
.LBB350_14:
	s_mov_b32 s9, 0
.LBB350_15:
	s_andn2_b32 vcc_lo, exec_lo, s9
	s_cbranch_vccnz .LBB350_21
; %bb.16:
	s_andn2_b32 vcc_lo, exec_lo, s24
	s_cbranch_vccnz .LBB350_21
; %bb.17:
	v_mad_i64_i32 v[1:2], null, s8, v0, 0
	s_lshl_b64 s[22:23], s[14:15], 4
	s_ashr_i32 s9, s8, 31
	s_add_u32 s22, s12, s22
	s_addc_u32 s23, s13, s23
	v_lshlrev_b64 v[1:2], 4, v[1:2]
	v_add_co_u32 v1, vcc_lo, s22, v1
	v_add_co_ci_u32_e64 v2, null, s23, v2, vcc_lo
	s_lshl_b64 s[22:23], s[8:9], 12
	s_mov_b32 s9, 0
	s_inst_prefetch 0x1
	s_branch .LBB350_19
	.p2align	6
.LBB350_18:                             ;   in Loop: Header=BB350_19 Depth=1
	s_or_b32 exec_lo, exec_lo, s24
	v_add_co_u32 v1, vcc_lo, v1, s22
	v_add_co_ci_u32_e64 v2, null, s23, v2, vcc_lo
	s_addk_i32 s9, 0x100
	s_cmp_ge_i32 s9, s7
	s_cbranch_scc1 .LBB350_21
.LBB350_19:                             ; =>This Inner Loop Header: Depth=1
	v_add_nc_u32_e32 v3, s9, v0
	s_mov_b32 s24, exec_lo
	v_cmpx_gt_i32_e64 s7, v3
	s_cbranch_execz .LBB350_18
; %bb.20:                               ;   in Loop: Header=BB350_19 Depth=1
	flat_load_dwordx4 v[3:6], v[1:2]
	s_waitcnt vmcnt(0) lgkmcnt(0)
	v_mul_f64 v[7:8], s[2:3], v[5:6]
	v_mul_f64 v[9:10], s[0:1], v[5:6]
	v_fma_f64 v[5:6], s[0:1], v[3:4], -v[7:8]
	v_fma_f64 v[7:8], s[2:3], v[3:4], v[9:10]
	flat_store_dwordx4 v[1:2], v[5:8]
	s_branch .LBB350_18
.LBB350_21:
	s_inst_prefetch 0x2
	s_mov_b32 s9, 0
.LBB350_22:
	s_andn2_b32 vcc_lo, exec_lo, s9
	s_cbranch_vccnz .LBB350_40
; %bb.23:
	s_mov_b32 s9, exec_lo
	s_waitcnt lgkmcnt(0)
	v_cmpx_gt_i32_e64 s6, v0
	s_cbranch_execz .LBB350_25
; %bb.24:
	s_load_dword s22, s[4:5], 0x48
	s_waitcnt lgkmcnt(0)
	v_mad_i64_i32 v[1:2], null, s22, v0, 0
	v_lshlrev_b64 v[1:2], 4, v[1:2]
	v_add_co_u32 v1, vcc_lo, s20, v1
	v_add_co_ci_u32_e64 v2, null, s21, v2, vcc_lo
	flat_load_dwordx4 v[1:4], v[1:2]
	s_waitcnt vmcnt(0) lgkmcnt(0)
	v_mul_f64 v[5:6], s[18:19], v[3:4]
	v_mul_f64 v[7:8], s[16:17], v[3:4]
	v_fma_f64 v[3:4], s[16:17], v[1:2], -v[5:6]
	v_fma_f64 v[5:6], s[18:19], v[1:2], v[7:8]
	v_lshlrev_b32_e32 v1, 4, v0
	ds_write_b128 v1, v[3:6]
.LBB350_25:
	s_or_b32 exec_lo, exec_lo, s9
	s_cmp_lt_i32 s7, 1
	s_waitcnt lgkmcnt(0)
	s_waitcnt_vscnt null, 0x0
	s_barrier
	buffer_gl0_inv
	s_cbranch_scc1 .LBB350_40
; %bb.26:
	s_load_dword s22, s[4:5], 0x28
	v_cmp_neq_f64_e64 s4, s[0:1], 0
	v_cmp_neq_f64_e64 s16, s[2:3], 0
	s_lshl_b64 s[14:15], s[14:15], 4
	s_mov_b32 s5, 0
	s_add_u32 s9, s12, s14
	s_addc_u32 s14, s13, s15
	s_ashr_i32 s15, s8, 31
	s_mov_b32 s21, 0
	s_waitcnt lgkmcnt(0)
	v_mad_i64_i32 v[1:2], null, s22, v0, 0
	s_ashr_i32 s23, s22, 31
	s_or_b32 s16, s4, s16
	s_cmp_gt_i32 s6, 0
	s_cselect_b32 s17, -1, 0
	v_lshlrev_b64 v[1:2], 4, v[1:2]
	s_and_b32 s18, s6, 7
	s_cmp_gt_u32 s6, 7
	s_cselect_b32 s19, -1, 0
	s_and_b32 s6, s6, 0x7ffffff8
	v_add_co_u32 v5, vcc_lo, s10, v1
	v_add_co_ci_u32_e64 v6, null, s11, v2, vcc_lo
	s_cmp_lg_u32 s18, 0
	s_cselect_b32 s20, -1, 0
	s_lshl_b64 s[10:11], s[22:23], 12
	s_branch .LBB350_29
.LBB350_27:                             ;   in Loop: Header=BB350_29 Depth=1
	v_add_co_u32 v7, vcc_lo, s9, v7
	v_add_co_ci_u32_e64 v8, null, s14, v8, vcc_lo
	flat_store_dwordx4 v[7:8], v[1:4]
.LBB350_28:                             ;   in Loop: Header=BB350_29 Depth=1
	s_or_b32 exec_lo, exec_lo, s22
	v_add_co_u32 v5, vcc_lo, v5, s10
	v_add_co_ci_u32_e64 v6, null, s11, v6, vcc_lo
	s_addk_i32 s21, 0x100
	s_cmp_ge_i32 s21, s7
	s_cbranch_scc1 .LBB350_40
.LBB350_29:                             ; =>This Loop Header: Depth=1
                                        ;     Child Loop BB350_35 Depth 2
                                        ;     Child Loop BB350_39 Depth 2
	v_add_nc_u32_e32 v1, s21, v0
	s_mov_b32 s22, exec_lo
	v_cmpx_gt_i32_e64 s7, v1
	s_cbranch_execz .LBB350_28
; %bb.30:                               ;   in Loop: Header=BB350_29 Depth=1
	v_mad_u64_u32 v[3:4], null, v1, s8, 0
	s_andn2_b32 vcc_lo, exec_lo, s16
	v_mov_b32_e32 v2, v4
	v_mad_u64_u32 v[1:2], null, v1, s15, v[2:3]
	v_mov_b32_e32 v4, v1
	v_mov_b32_e32 v1, 0
	;; [unrolled: 1-line block ×3, first 2 shown]
	v_lshlrev_b64 v[7:8], 4, v[3:4]
	v_mov_b32_e32 v3, 0
	v_mov_b32_e32 v4, 0
	s_cbranch_vccnz .LBB350_32
; %bb.31:                               ;   in Loop: Header=BB350_29 Depth=1
	v_add_co_u32 v1, vcc_lo, s9, v7
	v_add_co_ci_u32_e64 v2, null, s14, v8, vcc_lo
	flat_load_dwordx4 v[9:12], v[1:2]
	s_waitcnt vmcnt(0) lgkmcnt(0)
	v_mul_f64 v[1:2], s[2:3], v[11:12]
	v_mul_f64 v[3:4], s[0:1], v[11:12]
	v_fma_f64 v[1:2], s[0:1], v[9:10], -v[1:2]
	v_fma_f64 v[3:4], s[2:3], v[9:10], v[3:4]
.LBB350_32:                             ;   in Loop: Header=BB350_29 Depth=1
	s_andn2_b32 vcc_lo, exec_lo, s17
	s_cbranch_vccnz .LBB350_27
; %bb.33:                               ;   in Loop: Header=BB350_29 Depth=1
	s_andn2_b32 vcc_lo, exec_lo, s19
	s_mov_b32 s4, 0
	s_cbranch_vccnz .LBB350_37
; %bb.34:                               ;   in Loop: Header=BB350_29 Depth=1
	v_mov_b32_e32 v10, v6
	v_mov_b32_e32 v9, v5
	s_mov_b32 s12, 0
.LBB350_35:                             ;   Parent Loop BB350_29 Depth=1
                                        ; =>  This Inner Loop Header: Depth=2
	s_clause 0x7
	flat_load_dwordx4 v[11:14], v[9:10]
	flat_load_dwordx4 v[15:18], v[9:10] offset:16
	flat_load_dwordx4 v[19:22], v[9:10] offset:32
	;; [unrolled: 1-line block ×7, first 2 shown]
	v_mov_b32_e32 v59, s4
	v_add_co_u32 v9, vcc_lo, 0x80, v9
	v_add_co_ci_u32_e64 v10, null, 0, v10, vcc_lo
	ds_read_b128 v[43:46], v59
	ds_read_b128 v[47:50], v59 offset:16
	s_add_i32 s12, s12, 8
	s_addk_i32 s4, 0x80
	s_cmp_eq_u32 s6, s12
	s_waitcnt vmcnt(7) lgkmcnt(1)
	v_mul_f64 v[51:52], v[13:14], v[45:46]
	v_mul_f64 v[45:46], v[11:12], v[45:46]
	s_waitcnt vmcnt(6) lgkmcnt(0)
	v_mul_f64 v[53:54], v[17:18], v[49:50]
	v_mul_f64 v[49:50], v[15:16], v[49:50]
	v_fma_f64 v[51:52], v[11:12], v[43:44], -v[51:52]
	v_fma_f64 v[55:56], v[13:14], v[43:44], v[45:46]
	ds_read_b128 v[11:14], v59 offset:32
	ds_read_b128 v[43:46], v59 offset:48
	v_fma_f64 v[15:16], v[15:16], v[47:48], -v[53:54]
	v_fma_f64 v[17:18], v[17:18], v[47:48], v[49:50]
	s_waitcnt vmcnt(5) lgkmcnt(1)
	v_mul_f64 v[57:58], v[21:22], v[13:14]
	v_mul_f64 v[13:14], v[19:20], v[13:14]
	v_add_f64 v[1:2], v[1:2], v[51:52]
	v_add_f64 v[3:4], v[3:4], v[55:56]
	s_waitcnt vmcnt(4) lgkmcnt(0)
	v_mul_f64 v[47:48], v[25:26], v[45:46]
	v_mul_f64 v[45:46], v[23:24], v[45:46]
	v_fma_f64 v[19:20], v[19:20], v[11:12], -v[57:58]
	v_fma_f64 v[21:22], v[21:22], v[11:12], v[13:14]
	v_add_f64 v[15:16], v[1:2], v[15:16]
	v_add_f64 v[17:18], v[3:4], v[17:18]
	ds_read_b128 v[1:4], v59 offset:64
	ds_read_b128 v[11:14], v59 offset:80
	v_fma_f64 v[23:24], v[23:24], v[43:44], -v[47:48]
	v_fma_f64 v[25:26], v[25:26], v[43:44], v[45:46]
	s_waitcnt vmcnt(3) lgkmcnt(1)
	v_mul_f64 v[49:50], v[29:30], v[3:4]
	v_mul_f64 v[3:4], v[27:28], v[3:4]
	v_add_f64 v[15:16], v[15:16], v[19:20]
	v_add_f64 v[17:18], v[17:18], v[21:22]
	s_waitcnt vmcnt(2) lgkmcnt(0)
	v_mul_f64 v[19:20], v[33:34], v[13:14]
	v_mul_f64 v[21:22], v[31:32], v[13:14]
	v_fma_f64 v[27:28], v[27:28], v[1:2], -v[49:50]
	v_fma_f64 v[29:30], v[29:30], v[1:2], v[3:4]
	v_add_f64 v[23:24], v[15:16], v[23:24]
	v_add_f64 v[17:18], v[17:18], v[25:26]
	;; [unrolled: 16-line block ×3, first 2 shown]
	v_fma_f64 v[17:18], v[39:40], v[13:14], -v[23:24]
	v_fma_f64 v[13:14], v[41:42], v[13:14], v[15:16]
	v_add_f64 v[3:4], v[3:4], v[25:26]
	v_add_f64 v[11:12], v[11:12], v[1:2]
	;; [unrolled: 1-line block ×4, first 2 shown]
	s_cbranch_scc0 .LBB350_35
; %bb.36:                               ;   in Loop: Header=BB350_29 Depth=1
	s_mov_b32 s4, s6
.LBB350_37:                             ;   in Loop: Header=BB350_29 Depth=1
	s_andn2_b32 vcc_lo, exec_lo, s20
	s_cbranch_vccnz .LBB350_27
; %bb.38:                               ;   in Loop: Header=BB350_29 Depth=1
	s_lshl_b32 s23, s4, 4
	s_lshl_b64 s[12:13], s[4:5], 4
	s_mov_b32 s4, s18
	.p2align	6
.LBB350_39:                             ;   Parent Loop BB350_29 Depth=1
                                        ; =>  This Inner Loop Header: Depth=2
	v_add_co_u32 v9, vcc_lo, v5, s12
	v_add_co_ci_u32_e64 v10, null, s13, v6, vcc_lo
	v_mov_b32_e32 v13, s23
	s_add_i32 s23, s23, 16
	s_add_u32 s12, s12, 16
	flat_load_dwordx4 v[9:12], v[9:10]
	s_addc_u32 s13, s13, 0
	ds_read_b128 v[13:16], v13
	s_add_i32 s4, s4, -1
	s_cmp_lg_u32 s4, 0
	s_waitcnt vmcnt(0) lgkmcnt(0)
	v_mul_f64 v[17:18], v[11:12], v[15:16]
	v_mul_f64 v[15:16], v[9:10], v[15:16]
	v_fma_f64 v[9:10], v[9:10], v[13:14], -v[17:18]
	v_fma_f64 v[11:12], v[11:12], v[13:14], v[15:16]
	v_add_f64 v[1:2], v[1:2], v[9:10]
	v_add_f64 v[3:4], v[3:4], v[11:12]
	s_cbranch_scc1 .LBB350_39
	s_branch .LBB350_27
.LBB350_40:
	s_endpgm
	.section	.rodata,"a",@progbits
	.p2align	6, 0x0
	.amdhsa_kernel _ZL22rocblas_gemvtsm_kernelILb0ELi256EPK19rocblas_complex_numIdES3_KPS1_EviiT2_lPKT1_lilS9_lilS6_lPT3_lil
		.amdhsa_group_segment_fixed_size 1024
		.amdhsa_private_segment_fixed_size 0
		.amdhsa_kernarg_size 136
		.amdhsa_user_sgpr_count 6
		.amdhsa_user_sgpr_private_segment_buffer 1
		.amdhsa_user_sgpr_dispatch_ptr 0
		.amdhsa_user_sgpr_queue_ptr 0
		.amdhsa_user_sgpr_kernarg_segment_ptr 1
		.amdhsa_user_sgpr_dispatch_id 0
		.amdhsa_user_sgpr_flat_scratch_init 0
		.amdhsa_user_sgpr_private_segment_size 0
		.amdhsa_wavefront_size32 1
		.amdhsa_uses_dynamic_stack 0
		.amdhsa_system_sgpr_private_segment_wavefront_offset 0
		.amdhsa_system_sgpr_workgroup_id_x 1
		.amdhsa_system_sgpr_workgroup_id_y 0
		.amdhsa_system_sgpr_workgroup_id_z 0
		.amdhsa_system_sgpr_workgroup_info 0
		.amdhsa_system_vgpr_workitem_id 0
		.amdhsa_next_free_vgpr 60
		.amdhsa_next_free_sgpr 26
		.amdhsa_reserve_vcc 1
		.amdhsa_reserve_flat_scratch 1
		.amdhsa_float_round_mode_32 0
		.amdhsa_float_round_mode_16_64 0
		.amdhsa_float_denorm_mode_32 3
		.amdhsa_float_denorm_mode_16_64 3
		.amdhsa_dx10_clamp 1
		.amdhsa_ieee_mode 1
		.amdhsa_fp16_overflow 0
		.amdhsa_workgroup_processor_mode 1
		.amdhsa_memory_ordered 1
		.amdhsa_forward_progress 1
		.amdhsa_shared_vgpr_count 0
		.amdhsa_exception_fp_ieee_invalid_op 0
		.amdhsa_exception_fp_denorm_src 0
		.amdhsa_exception_fp_ieee_div_zero 0
		.amdhsa_exception_fp_ieee_overflow 0
		.amdhsa_exception_fp_ieee_underflow 0
		.amdhsa_exception_fp_ieee_inexact 0
		.amdhsa_exception_int_div_zero 0
	.end_amdhsa_kernel
	.section	.text._ZL22rocblas_gemvtsm_kernelILb0ELi256EPK19rocblas_complex_numIdES3_KPS1_EviiT2_lPKT1_lilS9_lilS6_lPT3_lil,"axG",@progbits,_ZL22rocblas_gemvtsm_kernelILb0ELi256EPK19rocblas_complex_numIdES3_KPS1_EviiT2_lPKT1_lilS9_lilS6_lPT3_lil,comdat
.Lfunc_end350:
	.size	_ZL22rocblas_gemvtsm_kernelILb0ELi256EPK19rocblas_complex_numIdES3_KPS1_EviiT2_lPKT1_lilS9_lilS6_lPT3_lil, .Lfunc_end350-_ZL22rocblas_gemvtsm_kernelILb0ELi256EPK19rocblas_complex_numIdES3_KPS1_EviiT2_lPKT1_lilS9_lilS6_lPT3_lil
                                        ; -- End function
	.set _ZL22rocblas_gemvtsm_kernelILb0ELi256EPK19rocblas_complex_numIdES3_KPS1_EviiT2_lPKT1_lilS9_lilS6_lPT3_lil.num_vgpr, 60
	.set _ZL22rocblas_gemvtsm_kernelILb0ELi256EPK19rocblas_complex_numIdES3_KPS1_EviiT2_lPKT1_lilS9_lilS6_lPT3_lil.num_agpr, 0
	.set _ZL22rocblas_gemvtsm_kernelILb0ELi256EPK19rocblas_complex_numIdES3_KPS1_EviiT2_lPKT1_lilS9_lilS6_lPT3_lil.numbered_sgpr, 26
	.set _ZL22rocblas_gemvtsm_kernelILb0ELi256EPK19rocblas_complex_numIdES3_KPS1_EviiT2_lPKT1_lilS9_lilS6_lPT3_lil.num_named_barrier, 0
	.set _ZL22rocblas_gemvtsm_kernelILb0ELi256EPK19rocblas_complex_numIdES3_KPS1_EviiT2_lPKT1_lilS9_lilS6_lPT3_lil.private_seg_size, 0
	.set _ZL22rocblas_gemvtsm_kernelILb0ELi256EPK19rocblas_complex_numIdES3_KPS1_EviiT2_lPKT1_lilS9_lilS6_lPT3_lil.uses_vcc, 1
	.set _ZL22rocblas_gemvtsm_kernelILb0ELi256EPK19rocblas_complex_numIdES3_KPS1_EviiT2_lPKT1_lilS9_lilS6_lPT3_lil.uses_flat_scratch, 1
	.set _ZL22rocblas_gemvtsm_kernelILb0ELi256EPK19rocblas_complex_numIdES3_KPS1_EviiT2_lPKT1_lilS9_lilS6_lPT3_lil.has_dyn_sized_stack, 0
	.set _ZL22rocblas_gemvtsm_kernelILb0ELi256EPK19rocblas_complex_numIdES3_KPS1_EviiT2_lPKT1_lilS9_lilS6_lPT3_lil.has_recursion, 0
	.set _ZL22rocblas_gemvtsm_kernelILb0ELi256EPK19rocblas_complex_numIdES3_KPS1_EviiT2_lPKT1_lilS9_lilS6_lPT3_lil.has_indirect_call, 0
	.section	.AMDGPU.csdata,"",@progbits
; Kernel info:
; codeLenInByte = 2104
; TotalNumSgprs: 28
; NumVgprs: 60
; ScratchSize: 0
; MemoryBound: 0
; FloatMode: 240
; IeeeMode: 1
; LDSByteSize: 1024 bytes/workgroup (compile time only)
; SGPRBlocks: 0
; VGPRBlocks: 7
; NumSGPRsForWavesPerEU: 28
; NumVGPRsForWavesPerEU: 60
; Occupancy: 16
; WaveLimiterHint : 1
; COMPUTE_PGM_RSRC2:SCRATCH_EN: 0
; COMPUTE_PGM_RSRC2:USER_SGPR: 6
; COMPUTE_PGM_RSRC2:TRAP_HANDLER: 0
; COMPUTE_PGM_RSRC2:TGID_X_EN: 1
; COMPUTE_PGM_RSRC2:TGID_Y_EN: 0
; COMPUTE_PGM_RSRC2:TGID_Z_EN: 0
; COMPUTE_PGM_RSRC2:TIDIG_COMP_CNT: 0
	.section	.text._ZL22rocblas_gemvtsm_kernelILb0ELi256EPK19rocblas_complex_numIdES1_KPS1_EviiT2_lPKT1_lilS9_lilS6_lPT3_lil,"axG",@progbits,_ZL22rocblas_gemvtsm_kernelILb0ELi256EPK19rocblas_complex_numIdES1_KPS1_EviiT2_lPKT1_lilS9_lilS6_lPT3_lil,comdat
	.globl	_ZL22rocblas_gemvtsm_kernelILb0ELi256EPK19rocblas_complex_numIdES1_KPS1_EviiT2_lPKT1_lilS9_lilS6_lPT3_lil ; -- Begin function _ZL22rocblas_gemvtsm_kernelILb0ELi256EPK19rocblas_complex_numIdES1_KPS1_EviiT2_lPKT1_lilS9_lilS6_lPT3_lil
	.p2align	8
	.type	_ZL22rocblas_gemvtsm_kernelILb0ELi256EPK19rocblas_complex_numIdES1_KPS1_EviiT2_lPKT1_lilS9_lilS6_lPT3_lil,@function
_ZL22rocblas_gemvtsm_kernelILb0ELi256EPK19rocblas_complex_numIdES1_KPS1_EviiT2_lPKT1_lilS9_lilS6_lPT3_lil: ; @_ZL22rocblas_gemvtsm_kernelILb0ELi256EPK19rocblas_complex_numIdES1_KPS1_EviiT2_lPKT1_lilS9_lilS6_lPT3_lil
; %bb.0:
	s_clause 0x1
	s_load_dwordx4 s[8:11], s[4:5], 0x8
	s_load_dwordx4 s[0:3], s[4:5], 0x60
	s_waitcnt lgkmcnt(0)
	v_cmp_neq_f64_e64 s7, s[8:9], 0
	v_cmp_neq_f64_e64 s12, s[10:11], 0
	s_or_b32 s12, s7, s12
	s_mov_b32 s7, -1
	s_and_b32 vcc_lo, exec_lo, s12
	s_cbranch_vccnz .LBB351_2
; %bb.1:
	v_cmp_neq_f64_e64 s7, s[0:1], 1.0
	v_cmp_neq_f64_e64 s13, s[2:3], 0
	s_or_b32 s7, s7, s13
.LBB351_2:
	s_andn2_b32 vcc_lo, exec_lo, s7
	s_cbranch_vccnz .LBB351_42
; %bb.3:
	s_xor_b32 s7, s12, -1
	v_cndmask_b32_e64 v1, 0, 1, s7
	s_andn2_b32 vcc_lo, exec_lo, s7
	s_mov_b32 s7, 0
	s_cbranch_vccnz .LBB351_5
; %bb.4:
	s_mov_b32 s13, s7
	s_mov_b64 s[18:19], 0
	s_andn2_b32 vcc_lo, exec_lo, s13
	s_mov_b64 s[16:17], 0
	s_cbranch_vccz .LBB351_6
	s_branch .LBB351_7
.LBB351_5:
	s_mov_b64 s[18:19], 0
	s_mov_b64 s[16:17], 0
.LBB351_6:
	s_load_dwordx4 s[20:23], s[4:5], 0x20
	s_lshl_b64 s[14:15], s[6:7], 3
	s_waitcnt lgkmcnt(0)
	s_add_u32 s14, s20, s14
	s_addc_u32 s15, s21, s15
	s_lshl_b64 s[16:17], s[22:23], 4
	s_load_dwordx2 s[14:15], s[14:15], 0x0
	s_waitcnt lgkmcnt(0)
	s_add_u32 s16, s14, s16
	s_addc_u32 s17, s15, s17
.LBB351_7:
	s_andn2_b32 vcc_lo, exec_lo, s12
	s_cbranch_vccnz .LBB351_9
; %bb.8:
	s_load_dwordx4 s[12:15], s[4:5], 0x40
	s_lshl_b64 s[18:19], s[6:7], 3
	s_waitcnt lgkmcnt(0)
	s_add_u32 s12, s12, s18
	s_addc_u32 s13, s13, s19
	s_lshl_b64 s[14:15], s[14:15], 4
	s_load_dwordx2 s[12:13], s[12:13], 0x0
	s_waitcnt lgkmcnt(0)
	s_add_u32 s18, s12, s14
	s_addc_u32 s19, s13, s15
.LBB351_9:
	s_load_dwordx4 s[12:15], s[4:5], 0x78
	s_lshl_b64 s[20:21], s[6:7], 3
	s_load_dwordx2 s[6:7], s[4:5], 0x0
	v_cmp_ne_u32_e32 vcc_lo, 1, v1
	s_waitcnt lgkmcnt(0)
	s_add_u32 s20, s12, s20
	s_addc_u32 s21, s13, s21
	s_load_dword s12, s[4:5], 0x88
	s_load_dwordx2 s[20:21], s[20:21], 0x0
	s_mov_b32 s13, -1
	s_cbranch_vccnz .LBB351_24
; %bb.10:
	v_cmp_neq_f64_e64 s13, s[0:1], 0
	v_cmp_neq_f64_e64 s22, s[2:3], 0
	s_or_b32 s13, s13, s22
	s_cmp_gt_i32 s7, 0
	s_cselect_b32 s24, -1, 0
	s_and_b32 vcc_lo, exec_lo, s13
	s_mov_b32 s13, -1
	s_cbranch_vccnz .LBB351_17
; %bb.11:
	s_andn2_b32 vcc_lo, exec_lo, s24
	s_cbranch_vccnz .LBB351_16
; %bb.12:
	s_waitcnt lgkmcnt(0)
	v_mad_i64_i32 v[1:2], null, s12, v0, 0
	s_lshl_b64 s[22:23], s[14:15], 4
	s_ashr_i32 s13, s12, 31
	s_add_u32 s22, s20, s22
	s_addc_u32 s23, s21, s23
	v_lshlrev_b64 v[1:2], 4, v[1:2]
	v_add_co_u32 v5, vcc_lo, s22, v1
	v_add_co_ci_u32_e64 v6, null, s23, v2, vcc_lo
	v_mov_b32_e32 v1, 0
	s_lshl_b64 s[22:23], s[12:13], 12
	s_mov_b32 s13, 0
	s_branch .LBB351_14
	.p2align	6
.LBB351_13:                             ;   in Loop: Header=BB351_14 Depth=1
	s_or_b32 exec_lo, exec_lo, s25
	v_add_co_u32 v5, vcc_lo, v5, s22
	v_add_co_ci_u32_e64 v6, null, s23, v6, vcc_lo
	s_addk_i32 s13, 0x100
	s_cmp_ge_i32 s13, s7
	s_cbranch_scc1 .LBB351_16
.LBB351_14:                             ; =>This Inner Loop Header: Depth=1
	v_add_nc_u32_e32 v2, s13, v0
	s_mov_b32 s25, exec_lo
	v_cmpx_gt_i32_e64 s7, v2
	s_cbranch_execz .LBB351_13
; %bb.15:                               ;   in Loop: Header=BB351_14 Depth=1
	v_mov_b32_e32 v2, v1
	v_mov_b32_e32 v3, v1
	;; [unrolled: 1-line block ×3, first 2 shown]
	flat_store_dwordx4 v[5:6], v[1:4]
	s_branch .LBB351_13
.LBB351_16:
	s_mov_b32 s13, 0
.LBB351_17:
	s_andn2_b32 vcc_lo, exec_lo, s13
	s_cbranch_vccnz .LBB351_23
; %bb.18:
	s_andn2_b32 vcc_lo, exec_lo, s24
	s_cbranch_vccnz .LBB351_23
; %bb.19:
	s_waitcnt lgkmcnt(0)
	v_mad_i64_i32 v[1:2], null, s12, v0, 0
	s_lshl_b64 s[22:23], s[14:15], 4
	s_ashr_i32 s13, s12, 31
	s_add_u32 s22, s20, s22
	s_addc_u32 s23, s21, s23
	v_lshlrev_b64 v[1:2], 4, v[1:2]
	v_add_co_u32 v1, vcc_lo, s22, v1
	v_add_co_ci_u32_e64 v2, null, s23, v2, vcc_lo
	s_lshl_b64 s[22:23], s[12:13], 12
	s_mov_b32 s13, 0
	s_inst_prefetch 0x1
	s_branch .LBB351_21
	.p2align	6
.LBB351_20:                             ;   in Loop: Header=BB351_21 Depth=1
	s_or_b32 exec_lo, exec_lo, s24
	v_add_co_u32 v1, vcc_lo, v1, s22
	v_add_co_ci_u32_e64 v2, null, s23, v2, vcc_lo
	s_addk_i32 s13, 0x100
	s_cmp_ge_i32 s13, s7
	s_cbranch_scc1 .LBB351_23
.LBB351_21:                             ; =>This Inner Loop Header: Depth=1
	v_add_nc_u32_e32 v3, s13, v0
	s_mov_b32 s24, exec_lo
	v_cmpx_gt_i32_e64 s7, v3
	s_cbranch_execz .LBB351_20
; %bb.22:                               ;   in Loop: Header=BB351_21 Depth=1
	flat_load_dwordx4 v[3:6], v[1:2]
	s_waitcnt vmcnt(0) lgkmcnt(0)
	v_mul_f64 v[7:8], s[2:3], v[5:6]
	v_mul_f64 v[9:10], s[0:1], v[5:6]
	v_fma_f64 v[5:6], s[0:1], v[3:4], -v[7:8]
	v_fma_f64 v[7:8], s[2:3], v[3:4], v[9:10]
	flat_store_dwordx4 v[1:2], v[5:8]
	s_branch .LBB351_20
.LBB351_23:
	s_inst_prefetch 0x2
	s_mov_b32 s13, 0
.LBB351_24:
	s_andn2_b32 vcc_lo, exec_lo, s13
	s_cbranch_vccnz .LBB351_42
; %bb.25:
	s_mov_b32 s13, exec_lo
	v_cmpx_gt_i32_e64 s6, v0
	s_cbranch_execz .LBB351_27
; %bb.26:
	s_load_dword s22, s[4:5], 0x50
	s_waitcnt lgkmcnt(0)
	v_mad_i64_i32 v[1:2], null, s22, v0, 0
	v_lshlrev_b64 v[1:2], 4, v[1:2]
	v_add_co_u32 v1, vcc_lo, s18, v1
	v_add_co_ci_u32_e64 v2, null, s19, v2, vcc_lo
	flat_load_dwordx4 v[1:4], v[1:2]
	s_waitcnt vmcnt(0) lgkmcnt(0)
	v_mul_f64 v[5:6], s[10:11], v[3:4]
	v_mul_f64 v[7:8], s[8:9], v[3:4]
	v_fma_f64 v[3:4], s[8:9], v[1:2], -v[5:6]
	v_fma_f64 v[5:6], s[10:11], v[1:2], v[7:8]
	v_lshlrev_b32_e32 v1, 4, v0
	ds_write_b128 v1, v[3:6]
.LBB351_27:
	s_or_b32 exec_lo, exec_lo, s13
	s_cmp_lt_i32 s7, 1
	s_waitcnt lgkmcnt(0)
	s_waitcnt_vscnt null, 0x0
	s_barrier
	buffer_gl0_inv
	s_cbranch_scc1 .LBB351_42
; %bb.28:
	s_load_dword s8, s[4:5], 0x30
	v_cmp_neq_f64_e64 s4, s[0:1], 0
	v_cmp_neq_f64_e64 s18, s[2:3], 0
	s_lshl_b64 s[10:11], s[14:15], 4
	s_mov_b32 s5, 0
	s_add_u32 s13, s20, s10
	s_addc_u32 s14, s21, s11
	s_ashr_i32 s15, s12, 31
	s_waitcnt lgkmcnt(0)
	v_mad_i64_i32 v[1:2], null, s8, v0, 0
	s_ashr_i32 s9, s8, 31
	s_or_b32 s18, s4, s18
	s_cmp_gt_i32 s6, 0
	s_cselect_b32 s19, -1, 0
	v_lshlrev_b64 v[1:2], 4, v[1:2]
	s_and_b32 s20, s6, 7
	s_cmp_gt_u32 s6, 7
	s_cselect_b32 s21, -1, 0
	s_and_b32 s6, s6, 0x7ffffff8
	v_add_co_u32 v5, vcc_lo, s16, v1
	v_add_co_ci_u32_e64 v6, null, s17, v2, vcc_lo
	s_cmp_lg_u32 s20, 0
	s_mov_b32 s17, 0
	s_cselect_b32 s16, -1, 0
	s_lshl_b64 s[8:9], s[8:9], 12
	s_branch .LBB351_31
.LBB351_29:                             ;   in Loop: Header=BB351_31 Depth=1
	v_add_co_u32 v7, vcc_lo, s13, v7
	v_add_co_ci_u32_e64 v8, null, s14, v8, vcc_lo
	flat_store_dwordx4 v[7:8], v[1:4]
.LBB351_30:                             ;   in Loop: Header=BB351_31 Depth=1
	s_or_b32 exec_lo, exec_lo, s22
	v_add_co_u32 v5, vcc_lo, v5, s8
	v_add_co_ci_u32_e64 v6, null, s9, v6, vcc_lo
	s_addk_i32 s17, 0x100
	s_cmp_ge_i32 s17, s7
	s_cbranch_scc1 .LBB351_42
.LBB351_31:                             ; =>This Loop Header: Depth=1
                                        ;     Child Loop BB351_37 Depth 2
                                        ;     Child Loop BB351_41 Depth 2
	v_add_nc_u32_e32 v1, s17, v0
	s_mov_b32 s22, exec_lo
	v_cmpx_gt_i32_e64 s7, v1
	s_cbranch_execz .LBB351_30
; %bb.32:                               ;   in Loop: Header=BB351_31 Depth=1
	v_mad_u64_u32 v[3:4], null, v1, s12, 0
	s_andn2_b32 vcc_lo, exec_lo, s18
	v_mov_b32_e32 v2, v4
	v_mad_u64_u32 v[1:2], null, v1, s15, v[2:3]
	v_mov_b32_e32 v4, v1
	v_mov_b32_e32 v1, 0
	;; [unrolled: 1-line block ×3, first 2 shown]
	v_lshlrev_b64 v[7:8], 4, v[3:4]
	v_mov_b32_e32 v3, 0
	v_mov_b32_e32 v4, 0
	s_cbranch_vccnz .LBB351_34
; %bb.33:                               ;   in Loop: Header=BB351_31 Depth=1
	v_add_co_u32 v1, vcc_lo, s13, v7
	v_add_co_ci_u32_e64 v2, null, s14, v8, vcc_lo
	flat_load_dwordx4 v[9:12], v[1:2]
	s_waitcnt vmcnt(0) lgkmcnt(0)
	v_mul_f64 v[1:2], s[2:3], v[11:12]
	v_mul_f64 v[3:4], s[0:1], v[11:12]
	v_fma_f64 v[1:2], s[0:1], v[9:10], -v[1:2]
	v_fma_f64 v[3:4], s[2:3], v[9:10], v[3:4]
.LBB351_34:                             ;   in Loop: Header=BB351_31 Depth=1
	s_andn2_b32 vcc_lo, exec_lo, s19
	s_cbranch_vccnz .LBB351_29
; %bb.35:                               ;   in Loop: Header=BB351_31 Depth=1
	s_andn2_b32 vcc_lo, exec_lo, s21
	s_mov_b32 s4, 0
	s_cbranch_vccnz .LBB351_39
; %bb.36:                               ;   in Loop: Header=BB351_31 Depth=1
	v_mov_b32_e32 v10, v6
	v_mov_b32_e32 v9, v5
	s_mov_b32 s10, 0
.LBB351_37:                             ;   Parent Loop BB351_31 Depth=1
                                        ; =>  This Inner Loop Header: Depth=2
	s_clause 0x7
	flat_load_dwordx4 v[11:14], v[9:10]
	flat_load_dwordx4 v[15:18], v[9:10] offset:16
	flat_load_dwordx4 v[19:22], v[9:10] offset:32
	;; [unrolled: 1-line block ×7, first 2 shown]
	v_mov_b32_e32 v59, s4
	v_add_co_u32 v9, vcc_lo, 0x80, v9
	v_add_co_ci_u32_e64 v10, null, 0, v10, vcc_lo
	ds_read_b128 v[43:46], v59
	ds_read_b128 v[47:50], v59 offset:16
	s_add_i32 s10, s10, 8
	s_addk_i32 s4, 0x80
	s_cmp_eq_u32 s6, s10
	s_waitcnt vmcnt(7) lgkmcnt(1)
	v_mul_f64 v[51:52], v[13:14], v[45:46]
	v_mul_f64 v[45:46], v[11:12], v[45:46]
	s_waitcnt vmcnt(6) lgkmcnt(0)
	v_mul_f64 v[53:54], v[17:18], v[49:50]
	v_mul_f64 v[49:50], v[15:16], v[49:50]
	v_fma_f64 v[51:52], v[11:12], v[43:44], -v[51:52]
	v_fma_f64 v[55:56], v[13:14], v[43:44], v[45:46]
	ds_read_b128 v[11:14], v59 offset:32
	ds_read_b128 v[43:46], v59 offset:48
	v_fma_f64 v[15:16], v[15:16], v[47:48], -v[53:54]
	v_fma_f64 v[17:18], v[17:18], v[47:48], v[49:50]
	s_waitcnt vmcnt(5) lgkmcnt(1)
	v_mul_f64 v[57:58], v[21:22], v[13:14]
	v_mul_f64 v[13:14], v[19:20], v[13:14]
	v_add_f64 v[1:2], v[1:2], v[51:52]
	v_add_f64 v[3:4], v[3:4], v[55:56]
	s_waitcnt vmcnt(4) lgkmcnt(0)
	v_mul_f64 v[47:48], v[25:26], v[45:46]
	v_mul_f64 v[45:46], v[23:24], v[45:46]
	v_fma_f64 v[19:20], v[19:20], v[11:12], -v[57:58]
	v_fma_f64 v[21:22], v[21:22], v[11:12], v[13:14]
	v_add_f64 v[15:16], v[1:2], v[15:16]
	v_add_f64 v[17:18], v[3:4], v[17:18]
	ds_read_b128 v[1:4], v59 offset:64
	ds_read_b128 v[11:14], v59 offset:80
	v_fma_f64 v[23:24], v[23:24], v[43:44], -v[47:48]
	v_fma_f64 v[25:26], v[25:26], v[43:44], v[45:46]
	s_waitcnt vmcnt(3) lgkmcnt(1)
	v_mul_f64 v[49:50], v[29:30], v[3:4]
	v_mul_f64 v[3:4], v[27:28], v[3:4]
	v_add_f64 v[15:16], v[15:16], v[19:20]
	v_add_f64 v[17:18], v[17:18], v[21:22]
	s_waitcnt vmcnt(2) lgkmcnt(0)
	v_mul_f64 v[19:20], v[33:34], v[13:14]
	v_mul_f64 v[21:22], v[31:32], v[13:14]
	v_fma_f64 v[27:28], v[27:28], v[1:2], -v[49:50]
	v_fma_f64 v[29:30], v[29:30], v[1:2], v[3:4]
	v_add_f64 v[23:24], v[15:16], v[23:24]
	v_add_f64 v[17:18], v[17:18], v[25:26]
	ds_read_b128 v[1:4], v59 offset:96
	ds_read_b128 v[13:16], v59 offset:112
	v_fma_f64 v[19:20], v[31:32], v[11:12], -v[19:20]
	v_fma_f64 v[11:12], v[33:34], v[11:12], v[21:22]
	s_waitcnt vmcnt(1) lgkmcnt(1)
	v_mul_f64 v[25:26], v[37:38], v[3:4]
	v_mul_f64 v[3:4], v[35:36], v[3:4]
	v_add_f64 v[21:22], v[23:24], v[27:28]
	v_add_f64 v[17:18], v[17:18], v[29:30]
	s_waitcnt vmcnt(0) lgkmcnt(0)
	v_mul_f64 v[23:24], v[41:42], v[15:16]
	v_mul_f64 v[15:16], v[39:40], v[15:16]
	v_fma_f64 v[25:26], v[35:36], v[1:2], -v[25:26]
	v_fma_f64 v[1:2], v[37:38], v[1:2], v[3:4]
	v_add_f64 v[3:4], v[21:22], v[19:20]
	v_add_f64 v[11:12], v[17:18], v[11:12]
	v_fma_f64 v[17:18], v[39:40], v[13:14], -v[23:24]
	v_fma_f64 v[13:14], v[41:42], v[13:14], v[15:16]
	v_add_f64 v[3:4], v[3:4], v[25:26]
	v_add_f64 v[11:12], v[11:12], v[1:2]
	;; [unrolled: 1-line block ×4, first 2 shown]
	s_cbranch_scc0 .LBB351_37
; %bb.38:                               ;   in Loop: Header=BB351_31 Depth=1
	s_mov_b32 s4, s6
.LBB351_39:                             ;   in Loop: Header=BB351_31 Depth=1
	s_andn2_b32 vcc_lo, exec_lo, s16
	s_cbranch_vccnz .LBB351_29
; %bb.40:                               ;   in Loop: Header=BB351_31 Depth=1
	s_lshl_b32 s23, s4, 4
	s_lshl_b64 s[10:11], s[4:5], 4
	s_mov_b32 s4, s20
	.p2align	6
.LBB351_41:                             ;   Parent Loop BB351_31 Depth=1
                                        ; =>  This Inner Loop Header: Depth=2
	v_add_co_u32 v9, vcc_lo, v5, s10
	v_add_co_ci_u32_e64 v10, null, s11, v6, vcc_lo
	v_mov_b32_e32 v13, s23
	s_add_i32 s23, s23, 16
	s_add_u32 s10, s10, 16
	flat_load_dwordx4 v[9:12], v[9:10]
	s_addc_u32 s11, s11, 0
	ds_read_b128 v[13:16], v13
	s_add_i32 s4, s4, -1
	s_cmp_lg_u32 s4, 0
	s_waitcnt vmcnt(0) lgkmcnt(0)
	v_mul_f64 v[17:18], v[11:12], v[15:16]
	v_mul_f64 v[15:16], v[9:10], v[15:16]
	v_fma_f64 v[9:10], v[9:10], v[13:14], -v[17:18]
	v_fma_f64 v[11:12], v[11:12], v[13:14], v[15:16]
	v_add_f64 v[1:2], v[1:2], v[9:10]
	v_add_f64 v[3:4], v[3:4], v[11:12]
	s_cbranch_scc1 .LBB351_41
	s_branch .LBB351_29
.LBB351_42:
	s_endpgm
	.section	.rodata,"a",@progbits
	.p2align	6, 0x0
	.amdhsa_kernel _ZL22rocblas_gemvtsm_kernelILb0ELi256EPK19rocblas_complex_numIdES1_KPS1_EviiT2_lPKT1_lilS9_lilS6_lPT3_lil
		.amdhsa_group_segment_fixed_size 1024
		.amdhsa_private_segment_fixed_size 0
		.amdhsa_kernarg_size 152
		.amdhsa_user_sgpr_count 6
		.amdhsa_user_sgpr_private_segment_buffer 1
		.amdhsa_user_sgpr_dispatch_ptr 0
		.amdhsa_user_sgpr_queue_ptr 0
		.amdhsa_user_sgpr_kernarg_segment_ptr 1
		.amdhsa_user_sgpr_dispatch_id 0
		.amdhsa_user_sgpr_flat_scratch_init 0
		.amdhsa_user_sgpr_private_segment_size 0
		.amdhsa_wavefront_size32 1
		.amdhsa_uses_dynamic_stack 0
		.amdhsa_system_sgpr_private_segment_wavefront_offset 0
		.amdhsa_system_sgpr_workgroup_id_x 1
		.amdhsa_system_sgpr_workgroup_id_y 0
		.amdhsa_system_sgpr_workgroup_id_z 0
		.amdhsa_system_sgpr_workgroup_info 0
		.amdhsa_system_vgpr_workitem_id 0
		.amdhsa_next_free_vgpr 60
		.amdhsa_next_free_sgpr 26
		.amdhsa_reserve_vcc 1
		.amdhsa_reserve_flat_scratch 1
		.amdhsa_float_round_mode_32 0
		.amdhsa_float_round_mode_16_64 0
		.amdhsa_float_denorm_mode_32 3
		.amdhsa_float_denorm_mode_16_64 3
		.amdhsa_dx10_clamp 1
		.amdhsa_ieee_mode 1
		.amdhsa_fp16_overflow 0
		.amdhsa_workgroup_processor_mode 1
		.amdhsa_memory_ordered 1
		.amdhsa_forward_progress 1
		.amdhsa_shared_vgpr_count 0
		.amdhsa_exception_fp_ieee_invalid_op 0
		.amdhsa_exception_fp_denorm_src 0
		.amdhsa_exception_fp_ieee_div_zero 0
		.amdhsa_exception_fp_ieee_overflow 0
		.amdhsa_exception_fp_ieee_underflow 0
		.amdhsa_exception_fp_ieee_inexact 0
		.amdhsa_exception_int_div_zero 0
	.end_amdhsa_kernel
	.section	.text._ZL22rocblas_gemvtsm_kernelILb0ELi256EPK19rocblas_complex_numIdES1_KPS1_EviiT2_lPKT1_lilS9_lilS6_lPT3_lil,"axG",@progbits,_ZL22rocblas_gemvtsm_kernelILb0ELi256EPK19rocblas_complex_numIdES1_KPS1_EviiT2_lPKT1_lilS9_lilS6_lPT3_lil,comdat
.Lfunc_end351:
	.size	_ZL22rocblas_gemvtsm_kernelILb0ELi256EPK19rocblas_complex_numIdES1_KPS1_EviiT2_lPKT1_lilS9_lilS6_lPT3_lil, .Lfunc_end351-_ZL22rocblas_gemvtsm_kernelILb0ELi256EPK19rocblas_complex_numIdES1_KPS1_EviiT2_lPKT1_lilS9_lilS6_lPT3_lil
                                        ; -- End function
	.set _ZL22rocblas_gemvtsm_kernelILb0ELi256EPK19rocblas_complex_numIdES1_KPS1_EviiT2_lPKT1_lilS9_lilS6_lPT3_lil.num_vgpr, 60
	.set _ZL22rocblas_gemvtsm_kernelILb0ELi256EPK19rocblas_complex_numIdES1_KPS1_EviiT2_lPKT1_lilS9_lilS6_lPT3_lil.num_agpr, 0
	.set _ZL22rocblas_gemvtsm_kernelILb0ELi256EPK19rocblas_complex_numIdES1_KPS1_EviiT2_lPKT1_lilS9_lilS6_lPT3_lil.numbered_sgpr, 26
	.set _ZL22rocblas_gemvtsm_kernelILb0ELi256EPK19rocblas_complex_numIdES1_KPS1_EviiT2_lPKT1_lilS9_lilS6_lPT3_lil.num_named_barrier, 0
	.set _ZL22rocblas_gemvtsm_kernelILb0ELi256EPK19rocblas_complex_numIdES1_KPS1_EviiT2_lPKT1_lilS9_lilS6_lPT3_lil.private_seg_size, 0
	.set _ZL22rocblas_gemvtsm_kernelILb0ELi256EPK19rocblas_complex_numIdES1_KPS1_EviiT2_lPKT1_lilS9_lilS6_lPT3_lil.uses_vcc, 1
	.set _ZL22rocblas_gemvtsm_kernelILb0ELi256EPK19rocblas_complex_numIdES1_KPS1_EviiT2_lPKT1_lilS9_lilS6_lPT3_lil.uses_flat_scratch, 1
	.set _ZL22rocblas_gemvtsm_kernelILb0ELi256EPK19rocblas_complex_numIdES1_KPS1_EviiT2_lPKT1_lilS9_lilS6_lPT3_lil.has_dyn_sized_stack, 0
	.set _ZL22rocblas_gemvtsm_kernelILb0ELi256EPK19rocblas_complex_numIdES1_KPS1_EviiT2_lPKT1_lilS9_lilS6_lPT3_lil.has_recursion, 0
	.set _ZL22rocblas_gemvtsm_kernelILb0ELi256EPK19rocblas_complex_numIdES1_KPS1_EviiT2_lPKT1_lilS9_lilS6_lPT3_lil.has_indirect_call, 0
	.section	.AMDGPU.csdata,"",@progbits
; Kernel info:
; codeLenInByte = 2040
; TotalNumSgprs: 28
; NumVgprs: 60
; ScratchSize: 0
; MemoryBound: 0
; FloatMode: 240
; IeeeMode: 1
; LDSByteSize: 1024 bytes/workgroup (compile time only)
; SGPRBlocks: 0
; VGPRBlocks: 7
; NumSGPRsForWavesPerEU: 28
; NumVGPRsForWavesPerEU: 60
; Occupancy: 16
; WaveLimiterHint : 1
; COMPUTE_PGM_RSRC2:SCRATCH_EN: 0
; COMPUTE_PGM_RSRC2:USER_SGPR: 6
; COMPUTE_PGM_RSRC2:TRAP_HANDLER: 0
; COMPUTE_PGM_RSRC2:TGID_X_EN: 1
; COMPUTE_PGM_RSRC2:TGID_Y_EN: 0
; COMPUTE_PGM_RSRC2:TGID_Z_EN: 0
; COMPUTE_PGM_RSRC2:TIDIG_COMP_CNT: 0
	.section	.text._ZL23rocblas_gemvt_sn_kernelILb0ELi256ELi4EiPK19rocblas_complex_numIdES3_S1_EviiT4_lPKT3_lilS7_lilPT5_i,"axG",@progbits,_ZL23rocblas_gemvt_sn_kernelILb0ELi256ELi4EiPK19rocblas_complex_numIdES3_S1_EviiT4_lPKT3_lilS7_lilPT5_i,comdat
	.globl	_ZL23rocblas_gemvt_sn_kernelILb0ELi256ELi4EiPK19rocblas_complex_numIdES3_S1_EviiT4_lPKT3_lilS7_lilPT5_i ; -- Begin function _ZL23rocblas_gemvt_sn_kernelILb0ELi256ELi4EiPK19rocblas_complex_numIdES3_S1_EviiT4_lPKT3_lilS7_lilPT5_i
	.p2align	8
	.type	_ZL23rocblas_gemvt_sn_kernelILb0ELi256ELi4EiPK19rocblas_complex_numIdES3_S1_EviiT4_lPKT3_lilS7_lilPT5_i,@function
_ZL23rocblas_gemvt_sn_kernelILb0ELi256ELi4EiPK19rocblas_complex_numIdES3_S1_EviiT4_lPKT3_lilS7_lilPT5_i: ; @_ZL23rocblas_gemvt_sn_kernelILb0ELi256ELi4EiPK19rocblas_complex_numIdES3_S1_EviiT4_lPKT3_lilS7_lilPT5_i
; %bb.0:
	s_add_u32 s0, s0, s8
	s_load_dwordx8 s[8:15], s[4:5], 0x8
	s_mov_b32 s22, s7
	s_addc_u32 s1, s1, 0
	s_mov_b32 s23, 0
	s_mov_b64 s[20:21], 0
	s_waitcnt lgkmcnt(0)
	s_mul_i32 s7, s11, s7
	s_mul_hi_u32 s11, s10, s22
	s_mul_i32 s10, s10, s22
	s_add_i32 s11, s11, s7
	s_lshl_b64 s[10:11], s[10:11], 4
	s_add_u32 s8, s8, s10
	s_addc_u32 s9, s9, s11
	s_load_dwordx4 s[16:19], s[8:9], 0x0
	s_waitcnt lgkmcnt(0)
	v_cmp_neq_f64_e64 s7, s[16:17], 0
	v_cmp_neq_f64_e64 s8, s[18:19], 0
	s_or_b32 s7, s7, s8
	s_mov_b64 s[8:9], 0
	s_xor_b32 s24, s7, -1
	s_and_b32 vcc_lo, exec_lo, s24
	s_cbranch_vccnz .LBB352_2
; %bb.1:
	s_lshl_b64 s[8:9], s[22:23], 3
	s_add_u32 s8, s12, s8
	s_addc_u32 s9, s13, s9
	s_lshl_b64 s[10:11], s[14:15], 4
	s_load_dwordx2 s[8:9], s[8:9], 0x0
	s_waitcnt lgkmcnt(0)
	s_add_u32 s8, s8, s10
	s_addc_u32 s9, s9, s11
.LBB352_2:
	s_andn2_b32 vcc_lo, exec_lo, s7
	s_cbranch_vccnz .LBB352_4
; %bb.3:
	s_load_dwordx4 s[12:15], s[4:5], 0x38
	s_lshl_b64 s[10:11], s[22:23], 3
	s_waitcnt lgkmcnt(0)
	s_add_u32 s10, s12, s10
	s_addc_u32 s11, s13, s11
	s_lshl_b64 s[12:13], s[14:15], 4
	s_load_dwordx2 s[10:11], s[10:11], 0x0
	s_waitcnt lgkmcnt(0)
	s_add_u32 s20, s10, s12
	s_addc_u32 s21, s11, s13
.LBB352_4:
	s_clause 0x2
	s_load_dwordx2 s[12:13], s[4:5], 0x0
	s_load_dword s14, s[4:5], 0x68
	s_load_dwordx2 s[10:11], s[4:5], 0x58
	s_andn2_b32 vcc_lo, exec_lo, s24
	v_cmp_eq_u32_e64 s7, 0, v0
	s_mov_b32 s15, 0
	s_waitcnt lgkmcnt(0)
	s_ashr_i32 s28, s13, 31
	s_mul_hi_u32 s23, s13, s22
	s_mul_i32 s24, s28, s22
	s_mul_i32 s22, s13, s22
	s_add_i32 s23, s23, s24
	s_mul_hi_u32 s24, s22, s14
	s_mul_i32 s23, s23, s14
	s_mul_i32 s22, s22, s14
	s_add_i32 s23, s24, s23
	s_mov_b32 s24, -1
	s_cbranch_vccnz .LBB352_9
; %bb.5:
	s_cmp_gt_i32 s13, 0
	s_cselect_b32 s24, -1, 0
	s_and_b32 s7, s7, s24
	s_and_saveexec_b32 s29, s7
	s_cbranch_execz .LBB352_8
; %bb.6:
	s_mov_b32 s7, 0
	v_mov_b32_e32 v1, 0
	s_lshl_b64 s[24:25], s[22:23], 4
	s_lshl_b64 s[26:27], s[6:7], 4
	s_add_u32 s7, s24, s26
	s_addc_u32 s24, s25, s27
	s_add_u32 s7, s10, s7
	v_mov_b32_e32 v2, v1
	v_mov_b32_e32 v3, v1
	v_mov_b32_e32 v4, v1
	s_addc_u32 s25, s11, s24
	s_add_u32 s24, s7, 8
	s_addc_u32 s25, s25, 0
	s_lshl_b64 s[26:27], s[14:15], 4
	s_mov_b32 s7, s13
.LBB352_7:                              ; =>This Inner Loop Header: Depth=1
	s_add_i32 s7, s7, -1
	global_store_dwordx4 v1, v[1:4], s[24:25] offset:-8
	s_add_u32 s24, s24, s26
	s_addc_u32 s25, s25, s27
	s_cmp_eq_u32 s7, 0
	s_cbranch_scc0 .LBB352_7
.LBB352_8:
	s_or_b32 exec_lo, exec_lo, s29
	s_mov_b32 s24, 0
.LBB352_9:
	s_andn2_b32 vcc_lo, exec_lo, s24
	s_cbranch_vccnz .LBB352_81
; %bb.10:
	s_lshl_b64 s[22:23], s[22:23], 4
	s_clause 0x1
	s_load_dword s15, s[4:5], 0x28
	s_load_dword s33, s[4:5], 0x48
	s_add_u32 s36, s10, s22
	s_addc_u32 s11, s11, s23
	s_lshl_b32 s7, s6, 10
	s_ashr_i32 s4, s12, 31
	v_lshl_or_b32 v1, v0, 2, s7
	s_lshr_b32 s4, s4, 30
	s_lshr_b32 s5, s28, 30
	s_add_i32 s4, s12, s4
	s_add_i32 s5, s13, s5
	v_ashrrev_i32_e32 v2, 31, v1
	s_and_b32 s4, s4, -4
	s_and_b32 s37, s5, -4
	s_sub_i32 s34, s12, s4
	v_add_nc_u32_e32 v43, 4, v1
	v_lshlrev_b64 v[2:3], 4, v[1:2]
	v_add_nc_u32_e32 v44, s34, v1
	v_and_b32_e32 v41, 31, v0
	v_cmp_gt_u32_e64 s4, 32, v0
	v_mbcnt_lo_u32_b32 v42, -1, 0
	s_waitcnt lgkmcnt(0)
	v_mul_lo_u32 v21, s33, v1
	v_add_co_u32 v35, vcc_lo, s8, v2
	v_add_co_ci_u32_e64 v36, null, s9, v3, vcc_lo
	v_cmp_gt_u32_e64 s5, 8, v0
	v_lshrrev_b32_e32 v40, 1, v0
	v_mov_b32_e32 v37, 16
	v_mov_b32_e32 v38, 32
	;; [unrolled: 1-line block ×3, first 2 shown]
	s_cmp_lt_i32 s37, 1
	s_cbranch_scc1 .LBB352_58
; %bb.11:
	v_cmp_gt_u32_e32 vcc_lo, 24, v42
	v_mul_lo_u32 v22, s33, v1
	v_cmp_ge_i32_e64 s7, s12, v43
	v_cmp_ge_i32_e64 s8, s12, v44
	v_lshl_or_b32 v45, v42, 2, 64
	v_cndmask_b32_e64 v2, 0, 8, vcc_lo
	v_cmp_gt_u32_e32 vcc_lo, 28, v42
	v_cmp_eq_u32_e64 s9, 0, v41
	v_lshlrev_b32_e32 v50, 4, v41
	v_ashrrev_i32_e32 v23, 31, v22
	v_add_lshl_u32 v46, v2, v42, 2
	v_cndmask_b32_e64 v3, 0, 4, vcc_lo
	v_cmp_gt_u32_e32 vcc_lo, 30, v42
	v_and_b32_e32 v51, 0x70, v40
	v_lshlrev_b64 v[5:6], 4, v[22:23]
	v_cmp_eq_u32_e64 s10, 0, v0
	v_add_lshl_u32 v47, v3, v42, 2
	v_cndmask_b32_e64 v1, 0, 2, vcc_lo
	v_cmp_ne_u32_e32 vcc_lo, 31, v42
	s_cmp_gt_i32 s34, 0
	s_mov_b32 s23, 0
	s_cselect_b32 s38, -1, 0
	v_add_lshl_u32 v48, v1, v42, 2
	v_add_nc_u32_e32 v1, s33, v22
	v_add_co_ci_u32_e64 v4, null, 0, v42, vcc_lo
	v_add_co_u32 v23, vcc_lo, s20, v5
	v_add_nc_u32_e32 v3, s33, v1
	v_ashrrev_i32_e32 v2, 31, v1
	v_lshlrev_b32_e32 v49, 2, v4
	v_add_co_ci_u32_e64 v24, null, s21, v6, vcc_lo
	v_add_nc_u32_e32 v7, s33, v3
	v_lshlrev_b64 v[1:2], 4, v[1:2]
	v_ashrrev_i32_e32 v4, 31, v3
	s_lshl_b32 s39, s15, 2
	s_lshl_b32 s40, s15, 1
	v_ashrrev_i32_e32 v8, 31, v7
	s_mul_i32 s41, s15, 3
	v_lshlrev_b64 v[3:4], 4, v[3:4]
	v_add_co_u32 v25, vcc_lo, s20, v1
	v_add_co_ci_u32_e64 v26, null, s21, v2, vcc_lo
	v_lshlrev_b64 v[1:2], 4, v[7:8]
	v_add_co_u32 v27, vcc_lo, s20, v3
	v_add_co_ci_u32_e64 v28, null, s21, v4, vcc_lo
	s_mov_b32 s24, s23
	v_add_co_u32 v29, vcc_lo, s20, v1
	v_add_co_ci_u32_e64 v30, null, s21, v2, vcc_lo
	v_mov_b32_e32 v1, 0
	s_mov_b32 s42, s15
	s_mov_b32 s35, 0
	s_branch .LBB352_13
.LBB352_12:                             ;   in Loop: Header=BB352_13 Depth=1
	s_or_b32 exec_lo, exec_lo, s25
	s_add_i32 s35, s35, 4
	s_add_i32 s42, s42, s39
	;; [unrolled: 1-line block ×5, first 2 shown]
	s_cmp_ge_i32 s35, s37
	s_cbranch_scc1 .LBB352_59
.LBB352_13:                             ; =>This Loop Header: Depth=1
                                        ;     Child Loop BB352_44 Depth 2
                                        ;     Child Loop BB352_46 Depth 2
                                        ; implicit-def: $vgpr17_vgpr18
                                        ; implicit-def: $vgpr19_vgpr20
                                        ; implicit-def: $vgpr13_vgpr14
                                        ; implicit-def: $vgpr15_vgpr16
                                        ; implicit-def: $vgpr9_vgpr10
                                        ; implicit-def: $vgpr11_vgpr12
                                        ; implicit-def: $vgpr33_vgpr34
                                        ; implicit-def: $vgpr31_vgpr32
	s_and_saveexec_b32 s22, s7
	s_xor_b32 s22, exec_lo, s22
	s_cbranch_execnz .LBB352_40
; %bb.14:                               ;   in Loop: Header=BB352_13 Depth=1
	s_andn2_saveexec_b32 s22, s22
	s_cbranch_execnz .LBB352_41
.LBB352_15:                             ;   in Loop: Header=BB352_13 Depth=1
	s_or_b32 exec_lo, exec_lo, s22
	s_and_saveexec_b32 s22, s4
	s_cbranch_execz .LBB352_17
.LBB352_16:                             ;   in Loop: Header=BB352_13 Depth=1
	v_mov_b32_e32 v2, v1
	v_mov_b32_e32 v3, v1
	;; [unrolled: 1-line block ×3, first 2 shown]
	ds_write_b128 v50, v[1:4]
.LBB352_17:                             ;   in Loop: Header=BB352_13 Depth=1
	s_or_b32 exec_lo, exec_lo, s22
	ds_bpermute_b32 v2, v45, v33
	ds_bpermute_b32 v3, v45, v34
	;; [unrolled: 1-line block ×4, first 2 shown]
	s_waitcnt lgkmcnt(0)
	s_waitcnt_vscnt null, 0x0
	s_barrier
	buffer_gl0_inv
	v_add_f64 v[2:3], v[33:34], v[2:3]
	v_add_f64 v[4:5], v[31:32], v[4:5]
	ds_bpermute_b32 v6, v46, v2
	ds_bpermute_b32 v7, v46, v3
	ds_bpermute_b32 v31, v46, v4
	ds_bpermute_b32 v32, v46, v5
	s_waitcnt lgkmcnt(2)
	v_add_f64 v[2:3], v[2:3], v[6:7]
	s_waitcnt lgkmcnt(0)
	v_add_f64 v[4:5], v[4:5], v[31:32]
	ds_bpermute_b32 v6, v47, v2
	ds_bpermute_b32 v7, v47, v3
	ds_bpermute_b32 v31, v47, v4
	ds_bpermute_b32 v32, v47, v5
	s_waitcnt lgkmcnt(2)
	v_add_f64 v[2:3], v[2:3], v[6:7]
	s_waitcnt lgkmcnt(0)
	v_add_f64 v[4:5], v[4:5], v[31:32]
	ds_bpermute_b32 v6, v48, v2
	ds_bpermute_b32 v7, v48, v3
	ds_bpermute_b32 v31, v48, v4
	ds_bpermute_b32 v32, v48, v5
	s_waitcnt lgkmcnt(2)
	v_add_f64 v[2:3], v[2:3], v[6:7]
	s_waitcnt lgkmcnt(0)
	v_add_f64 v[6:7], v[4:5], v[31:32]
	ds_bpermute_b32 v4, v49, v2
	ds_bpermute_b32 v5, v49, v3
	;; [unrolled: 1-line block ×4, first 2 shown]
	s_and_saveexec_b32 s22, s9
	s_cbranch_execz .LBB352_19
; %bb.18:                               ;   in Loop: Header=BB352_13 Depth=1
	s_waitcnt lgkmcnt(0)
	v_add_f64 v[6:7], v[6:7], v[31:32]
	v_add_f64 v[4:5], v[2:3], v[4:5]
	ds_write_b128 v51, v[4:7]
.LBB352_19:                             ;   in Loop: Header=BB352_13 Depth=1
	s_or_b32 exec_lo, exec_lo, s22
	v_mov_b32_e32 v7, 0
	s_waitcnt lgkmcnt(2)
	v_mov_b32_e32 v5, 0
	v_mov_b32_e32 v8, 0
	;; [unrolled: 1-line block ×3, first 2 shown]
	s_waitcnt lgkmcnt(0)
	s_barrier
	buffer_gl0_inv
	s_and_saveexec_b32 s22, s5
	s_cbranch_execnz .LBB352_47
; %bb.20:                               ;   in Loop: Header=BB352_13 Depth=1
	s_or_b32 exec_lo, exec_lo, s22
	s_and_saveexec_b32 s22, s4
	s_cbranch_execnz .LBB352_48
.LBB352_21:                             ;   in Loop: Header=BB352_13 Depth=1
	s_or_b32 exec_lo, exec_lo, s22
	s_and_saveexec_b32 s22, s4
	s_cbranch_execz .LBB352_23
.LBB352_22:                             ;   in Loop: Header=BB352_13 Depth=1
	v_mov_b32_e32 v2, v1
	v_mov_b32_e32 v3, v1
	;; [unrolled: 1-line block ×3, first 2 shown]
	ds_write_b128 v50, v[1:4]
.LBB352_23:                             ;   in Loop: Header=BB352_13 Depth=1
	s_or_b32 exec_lo, exec_lo, s22
	ds_bpermute_b32 v2, v45, v9
	ds_bpermute_b32 v3, v45, v10
	;; [unrolled: 1-line block ×4, first 2 shown]
	s_waitcnt lgkmcnt(0)
	s_barrier
	buffer_gl0_inv
	v_add_f64 v[2:3], v[9:10], v[2:3]
	v_add_f64 v[9:10], v[11:12], v[31:32]
	ds_bpermute_b32 v11, v46, v2
	ds_bpermute_b32 v12, v46, v3
	ds_bpermute_b32 v31, v46, v9
	ds_bpermute_b32 v32, v46, v10
	s_waitcnt lgkmcnt(2)
	v_add_f64 v[2:3], v[2:3], v[11:12]
	s_waitcnt lgkmcnt(0)
	v_add_f64 v[9:10], v[9:10], v[31:32]
	ds_bpermute_b32 v11, v47, v2
	ds_bpermute_b32 v12, v47, v3
	ds_bpermute_b32 v31, v47, v9
	ds_bpermute_b32 v32, v47, v10
	s_waitcnt lgkmcnt(2)
	v_add_f64 v[2:3], v[2:3], v[11:12]
	s_waitcnt lgkmcnt(0)
	v_add_f64 v[9:10], v[9:10], v[31:32]
	ds_bpermute_b32 v11, v48, v2
	ds_bpermute_b32 v12, v48, v3
	ds_bpermute_b32 v31, v48, v9
	ds_bpermute_b32 v32, v48, v10
	s_waitcnt lgkmcnt(2)
	v_add_f64 v[2:3], v[2:3], v[11:12]
	s_waitcnt lgkmcnt(0)
	v_add_f64 v[11:12], v[9:10], v[31:32]
	ds_bpermute_b32 v9, v49, v2
	ds_bpermute_b32 v10, v49, v3
	;; [unrolled: 1-line block ×4, first 2 shown]
	s_and_saveexec_b32 s22, s9
	s_cbranch_execz .LBB352_25
; %bb.24:                               ;   in Loop: Header=BB352_13 Depth=1
	s_waitcnt lgkmcnt(0)
	v_add_f64 v[11:12], v[11:12], v[31:32]
	v_add_f64 v[9:10], v[2:3], v[9:10]
	ds_write_b128 v51, v[9:12]
.LBB352_25:                             ;   in Loop: Header=BB352_13 Depth=1
	s_or_b32 exec_lo, exec_lo, s22
	v_mov_b32_e32 v11, 0
	s_waitcnt lgkmcnt(2)
	v_mov_b32_e32 v9, 0
	v_mov_b32_e32 v12, 0
	;; [unrolled: 1-line block ×3, first 2 shown]
	s_waitcnt lgkmcnt(0)
	s_barrier
	buffer_gl0_inv
	s_and_saveexec_b32 s22, s5
	s_cbranch_execnz .LBB352_49
; %bb.26:                               ;   in Loop: Header=BB352_13 Depth=1
	s_or_b32 exec_lo, exec_lo, s22
	s_and_saveexec_b32 s22, s4
	s_cbranch_execnz .LBB352_50
.LBB352_27:                             ;   in Loop: Header=BB352_13 Depth=1
	s_or_b32 exec_lo, exec_lo, s22
	s_and_saveexec_b32 s22, s4
	s_cbranch_execz .LBB352_29
.LBB352_28:                             ;   in Loop: Header=BB352_13 Depth=1
	v_mov_b32_e32 v2, v1
	v_mov_b32_e32 v3, v1
	;; [unrolled: 1-line block ×3, first 2 shown]
	ds_write_b128 v50, v[1:4]
.LBB352_29:                             ;   in Loop: Header=BB352_13 Depth=1
	s_or_b32 exec_lo, exec_lo, s22
	ds_bpermute_b32 v2, v45, v13
	ds_bpermute_b32 v3, v45, v14
	;; [unrolled: 1-line block ×4, first 2 shown]
	s_waitcnt lgkmcnt(0)
	s_barrier
	buffer_gl0_inv
	v_add_f64 v[2:3], v[13:14], v[2:3]
	v_add_f64 v[13:14], v[15:16], v[31:32]
	ds_bpermute_b32 v15, v46, v2
	ds_bpermute_b32 v16, v46, v3
	ds_bpermute_b32 v31, v46, v13
	ds_bpermute_b32 v32, v46, v14
	s_waitcnt lgkmcnt(2)
	v_add_f64 v[2:3], v[2:3], v[15:16]
	s_waitcnt lgkmcnt(0)
	v_add_f64 v[13:14], v[13:14], v[31:32]
	ds_bpermute_b32 v15, v47, v2
	ds_bpermute_b32 v16, v47, v3
	ds_bpermute_b32 v31, v47, v13
	ds_bpermute_b32 v32, v47, v14
	s_waitcnt lgkmcnt(2)
	v_add_f64 v[2:3], v[2:3], v[15:16]
	s_waitcnt lgkmcnt(0)
	;; [unrolled: 8-line block ×3, first 2 shown]
	v_add_f64 v[15:16], v[13:14], v[31:32]
	ds_bpermute_b32 v13, v49, v2
	ds_bpermute_b32 v14, v49, v3
	;; [unrolled: 1-line block ×4, first 2 shown]
	s_and_saveexec_b32 s22, s9
	s_cbranch_execz .LBB352_31
; %bb.30:                               ;   in Loop: Header=BB352_13 Depth=1
	s_waitcnt lgkmcnt(0)
	v_add_f64 v[15:16], v[15:16], v[31:32]
	v_add_f64 v[13:14], v[2:3], v[13:14]
	ds_write_b128 v51, v[13:16]
.LBB352_31:                             ;   in Loop: Header=BB352_13 Depth=1
	s_or_b32 exec_lo, exec_lo, s22
	v_mov_b32_e32 v15, 0
	s_waitcnt lgkmcnt(2)
	v_mov_b32_e32 v13, 0
	v_mov_b32_e32 v16, 0
	;; [unrolled: 1-line block ×3, first 2 shown]
	s_waitcnt lgkmcnt(0)
	s_barrier
	buffer_gl0_inv
	s_and_saveexec_b32 s22, s5
	s_cbranch_execnz .LBB352_51
; %bb.32:                               ;   in Loop: Header=BB352_13 Depth=1
	s_or_b32 exec_lo, exec_lo, s22
	s_and_saveexec_b32 s22, s4
	s_cbranch_execnz .LBB352_52
.LBB352_33:                             ;   in Loop: Header=BB352_13 Depth=1
	s_or_b32 exec_lo, exec_lo, s22
	s_and_saveexec_b32 s22, s4
	s_cbranch_execz .LBB352_35
.LBB352_34:                             ;   in Loop: Header=BB352_13 Depth=1
	v_mov_b32_e32 v2, v1
	v_mov_b32_e32 v3, v1
	;; [unrolled: 1-line block ×3, first 2 shown]
	ds_write_b128 v50, v[1:4]
.LBB352_35:                             ;   in Loop: Header=BB352_13 Depth=1
	s_or_b32 exec_lo, exec_lo, s22
	ds_bpermute_b32 v2, v45, v17
	ds_bpermute_b32 v3, v45, v18
	;; [unrolled: 1-line block ×4, first 2 shown]
	s_waitcnt lgkmcnt(0)
	s_barrier
	buffer_gl0_inv
	v_add_f64 v[2:3], v[17:18], v[2:3]
	v_add_f64 v[17:18], v[19:20], v[31:32]
	ds_bpermute_b32 v19, v46, v2
	ds_bpermute_b32 v20, v46, v3
	ds_bpermute_b32 v31, v46, v17
	ds_bpermute_b32 v32, v46, v18
	s_waitcnt lgkmcnt(2)
	v_add_f64 v[2:3], v[2:3], v[19:20]
	s_waitcnt lgkmcnt(0)
	v_add_f64 v[17:18], v[17:18], v[31:32]
	ds_bpermute_b32 v19, v47, v2
	ds_bpermute_b32 v20, v47, v3
	ds_bpermute_b32 v31, v47, v17
	ds_bpermute_b32 v32, v47, v18
	s_waitcnt lgkmcnt(2)
	v_add_f64 v[2:3], v[2:3], v[19:20]
	s_waitcnt lgkmcnt(0)
	;; [unrolled: 8-line block ×3, first 2 shown]
	v_add_f64 v[19:20], v[17:18], v[31:32]
	ds_bpermute_b32 v17, v49, v2
	ds_bpermute_b32 v18, v49, v3
	;; [unrolled: 1-line block ×4, first 2 shown]
	s_and_saveexec_b32 s22, s9
	s_cbranch_execz .LBB352_37
; %bb.36:                               ;   in Loop: Header=BB352_13 Depth=1
	s_waitcnt lgkmcnt(0)
	v_add_f64 v[19:20], v[19:20], v[31:32]
	v_add_f64 v[17:18], v[2:3], v[17:18]
	ds_write_b128 v51, v[17:20]
.LBB352_37:                             ;   in Loop: Header=BB352_13 Depth=1
	s_or_b32 exec_lo, exec_lo, s22
	v_mov_b32_e32 v19, 0
	s_waitcnt lgkmcnt(2)
	v_mov_b32_e32 v17, 0
	v_mov_b32_e32 v20, 0
	v_mov_b32_e32 v18, 0
	s_waitcnt lgkmcnt(0)
	s_barrier
	buffer_gl0_inv
	s_and_saveexec_b32 s22, s5
	s_cbranch_execnz .LBB352_53
; %bb.38:                               ;   in Loop: Header=BB352_13 Depth=1
	s_or_b32 exec_lo, exec_lo, s22
	s_and_saveexec_b32 s22, s4
	s_cbranch_execnz .LBB352_54
.LBB352_39:                             ;   in Loop: Header=BB352_13 Depth=1
	s_or_b32 exec_lo, exec_lo, s22
	s_and_saveexec_b32 s25, s10
	s_cbranch_execz .LBB352_12
	s_branch .LBB352_55
.LBB352_40:                             ;   in Loop: Header=BB352_13 Depth=1
	flat_load_dwordx4 v[8:11], v[23:24]
	s_mul_i32 s26, s35, s15
	s_waitcnt vmcnt(0) lgkmcnt(0)
	buffer_store_dword v11, off, s[0:3], 0 offset:12
	buffer_store_dword v10, off, s[0:3], 0 offset:8
	;; [unrolled: 1-line block ×3, first 2 shown]
	buffer_store_dword v8, off, s[0:3], 0
	flat_load_dwordx4 v[2:5], v[25:26]
	s_ashr_i32 s27, s26, 31
	s_waitcnt vmcnt(0) lgkmcnt(0)
	buffer_store_dword v5, v37, s[0:3], 0 offen offset:12
	buffer_store_dword v4, v37, s[0:3], 0 offen offset:8
	;; [unrolled: 1-line block ×3, first 2 shown]
	buffer_store_dword v2, v37, s[0:3], 0 offen
	flat_load_dwordx4 v[2:5], v[27:28]
	s_lshl_b64 s[28:29], s[26:27], 4
	s_add_i32 s26, s26, s15
	s_waitcnt vmcnt(0) lgkmcnt(0)
	buffer_store_dword v5, v38, s[0:3], 0 offen offset:12
	buffer_store_dword v4, v38, s[0:3], 0 offen offset:8
	buffer_store_dword v3, v38, s[0:3], 0 offen offset:4
	buffer_store_dword v2, v38, s[0:3], 0 offen
	flat_load_dwordx4 v[2:5], v[29:30]
	s_ashr_i32 s27, s26, 31
	s_waitcnt vmcnt(0) lgkmcnt(0)
	buffer_store_dword v5, v39, s[0:3], 0 offen offset:12
	buffer_store_dword v4, v39, s[0:3], 0 offen offset:8
	;; [unrolled: 1-line block ×3, first 2 shown]
	buffer_store_dword v2, v39, s[0:3], 0 offen
	v_add_co_u32 v4, vcc_lo, v35, s28
	v_add_co_ci_u32_e64 v5, null, s29, v36, vcc_lo
	s_lshl_b64 s[28:29], s[26:27], 4
	s_add_i32 s26, s26, s15
	flat_load_dwordx4 v[12:15], v[4:5]
	s_ashr_i32 s27, s26, 31
	s_waitcnt vmcnt(0) lgkmcnt(0)
	v_mul_f64 v[6:7], v[8:9], v[14:15]
	v_mul_f64 v[2:3], v[10:11], v[14:15]
	v_fma_f64 v[6:7], v[10:11], v[12:13], v[6:7]
	v_fma_f64 v[2:3], v[8:9], v[12:13], -v[2:3]
	v_add_f64 v[31:32], v[6:7], 0
	v_add_co_u32 v6, vcc_lo, v35, s28
	v_add_co_ci_u32_e64 v7, null, s29, v36, vcc_lo
	v_add_f64 v[19:20], v[2:3], 0
	s_lshl_b64 s[28:29], s[26:27], 4
	s_add_i32 s26, s26, s15
	flat_load_dwordx4 v[12:15], v[6:7]
	s_ashr_i32 s27, s26, 31
	s_lshl_b64 s[26:27], s[26:27], 4
	s_waitcnt vmcnt(0) lgkmcnt(0)
	v_mul_f64 v[2:3], v[10:11], v[14:15]
	v_mul_f64 v[14:15], v[8:9], v[14:15]
	v_fma_f64 v[2:3], v[8:9], v[12:13], -v[2:3]
	v_fma_f64 v[12:13], v[10:11], v[12:13], v[14:15]
	v_add_f64 v[33:34], v[2:3], 0
	v_add_f64 v[52:53], v[12:13], 0
	v_add_co_u32 v13, vcc_lo, v35, s28
	v_add_co_ci_u32_e64 v14, null, s29, v36, vcc_lo
	flat_load_dwordx4 v[15:18], v[13:14]
	s_waitcnt vmcnt(0) lgkmcnt(0)
	v_mul_f64 v[2:3], v[10:11], v[17:18]
	v_mul_f64 v[17:18], v[8:9], v[17:18]
	v_fma_f64 v[2:3], v[8:9], v[15:16], -v[2:3]
	v_fma_f64 v[15:16], v[10:11], v[15:16], v[17:18]
	v_add_f64 v[54:55], v[2:3], 0
	v_add_co_u32 v2, vcc_lo, v35, s26
	v_add_co_ci_u32_e64 v3, null, s27, v36, vcc_lo
	v_add_f64 v[56:57], v[15:16], 0
	flat_load_dwordx4 v[15:18], v[2:3]
	s_waitcnt vmcnt(0) lgkmcnt(0)
	v_mul_f64 v[58:59], v[10:11], v[17:18]
	v_fma_f64 v[58:59], v[8:9], v[15:16], -v[58:59]
	v_mul_f64 v[8:9], v[8:9], v[17:18]
	v_fma_f64 v[8:9], v[10:11], v[15:16], v[8:9]
	v_add_f64 v[15:16], v[58:59], 0
	s_clause 0x3
	buffer_load_dword v58, off, s[0:3], 0 offset:16
	buffer_load_dword v59, off, s[0:3], 0 offset:20
	;; [unrolled: 1-line block ×4, first 2 shown]
	v_add_f64 v[17:18], v[8:9], 0
	flat_load_dwordx4 v[8:11], v[4:5] offset:16
	s_waitcnt vmcnt(0) lgkmcnt(0)
	v_mul_f64 v[62:63], v[60:61], v[10:11]
	v_mul_f64 v[10:11], v[58:59], v[10:11]
	v_fma_f64 v[62:63], v[58:59], v[8:9], -v[62:63]
	v_fma_f64 v[8:9], v[60:61], v[8:9], v[10:11]
	v_add_f64 v[19:20], v[19:20], v[62:63]
	v_add_f64 v[31:32], v[31:32], v[8:9]
	flat_load_dwordx4 v[8:11], v[6:7] offset:16
	s_waitcnt vmcnt(0) lgkmcnt(0)
	v_mul_f64 v[62:63], v[60:61], v[10:11]
	v_mul_f64 v[10:11], v[58:59], v[10:11]
	v_fma_f64 v[62:63], v[58:59], v[8:9], -v[62:63]
	v_fma_f64 v[8:9], v[60:61], v[8:9], v[10:11]
	v_add_f64 v[33:34], v[33:34], v[62:63]
	;; [unrolled: 8-line block ×3, first 2 shown]
	v_add_f64 v[56:57], v[56:57], v[8:9]
	flat_load_dwordx4 v[8:11], v[2:3] offset:16
	s_waitcnt vmcnt(0) lgkmcnt(0)
	v_mul_f64 v[62:63], v[60:61], v[10:11]
	v_mul_f64 v[10:11], v[58:59], v[10:11]
	v_fma_f64 v[62:63], v[58:59], v[8:9], -v[62:63]
	v_fma_f64 v[8:9], v[60:61], v[8:9], v[10:11]
	s_clause 0x3
	buffer_load_dword v58, off, s[0:3], 0 offset:32
	buffer_load_dword v59, off, s[0:3], 0 offset:36
	;; [unrolled: 1-line block ×4, first 2 shown]
	v_add_f64 v[15:16], v[15:16], v[62:63]
	v_add_f64 v[17:18], v[17:18], v[8:9]
	flat_load_dwordx4 v[8:11], v[4:5] offset:32
	s_waitcnt vmcnt(0) lgkmcnt(0)
	v_mul_f64 v[62:63], v[60:61], v[10:11]
	v_mul_f64 v[10:11], v[58:59], v[10:11]
	v_fma_f64 v[62:63], v[58:59], v[8:9], -v[62:63]
	v_fma_f64 v[8:9], v[60:61], v[8:9], v[10:11]
	v_add_f64 v[19:20], v[19:20], v[62:63]
	v_add_f64 v[31:32], v[31:32], v[8:9]
	flat_load_dwordx4 v[8:11], v[6:7] offset:32
	s_waitcnt vmcnt(0) lgkmcnt(0)
	v_mul_f64 v[62:63], v[60:61], v[10:11]
	v_mul_f64 v[10:11], v[58:59], v[10:11]
	v_fma_f64 v[62:63], v[58:59], v[8:9], -v[62:63]
	v_fma_f64 v[8:9], v[60:61], v[8:9], v[10:11]
	;; [unrolled: 8-line block ×4, first 2 shown]
	v_add_f64 v[58:59], v[15:16], v[33:34]
	v_add_f64 v[60:61], v[17:18], v[8:9]
	s_clause 0x3
	buffer_load_dword v17, off, s[0:3], 0 offset:48
	buffer_load_dword v18, off, s[0:3], 0 offset:52
	;; [unrolled: 1-line block ×4, first 2 shown]
	flat_load_dwordx4 v[8:11], v[4:5] offset:48
	s_waitcnt vmcnt(0) lgkmcnt(0)
	v_mul_f64 v[4:5], v[64:65], v[10:11]
	v_mul_f64 v[10:11], v[17:18], v[10:11]
	v_fma_f64 v[4:5], v[17:18], v[8:9], -v[4:5]
	v_fma_f64 v[8:9], v[64:65], v[8:9], v[10:11]
	v_add_f64 v[33:34], v[19:20], v[4:5]
	flat_load_dwordx4 v[4:7], v[6:7] offset:48
	v_add_f64 v[31:32], v[31:32], v[8:9]
	s_waitcnt vmcnt(0) lgkmcnt(0)
	v_mul_f64 v[8:9], v[64:65], v[6:7]
	v_mul_f64 v[6:7], v[17:18], v[6:7]
	v_fma_f64 v[8:9], v[17:18], v[4:5], -v[8:9]
	v_fma_f64 v[4:5], v[64:65], v[4:5], v[6:7]
	v_add_f64 v[9:10], v[62:63], v[8:9]
	v_add_f64 v[11:12], v[52:53], v[4:5]
	flat_load_dwordx4 v[4:7], v[13:14] offset:48
	s_waitcnt vmcnt(0) lgkmcnt(0)
	v_mul_f64 v[13:14], v[64:65], v[6:7]
	v_mul_f64 v[6:7], v[17:18], v[6:7]
	v_fma_f64 v[13:14], v[17:18], v[4:5], -v[13:14]
	v_fma_f64 v[4:5], v[64:65], v[4:5], v[6:7]
	v_add_f64 v[13:14], v[54:55], v[13:14]
	v_add_f64 v[15:16], v[56:57], v[4:5]
	flat_load_dwordx4 v[2:5], v[2:3] offset:48
	s_waitcnt vmcnt(0) lgkmcnt(0)
	v_mul_f64 v[6:7], v[64:65], v[4:5]
	v_mul_f64 v[4:5], v[17:18], v[4:5]
	v_fma_f64 v[6:7], v[17:18], v[2:3], -v[6:7]
	v_fma_f64 v[2:3], v[64:65], v[2:3], v[4:5]
	v_add_f64 v[17:18], v[58:59], v[6:7]
	v_add_f64 v[19:20], v[60:61], v[2:3]
	s_andn2_saveexec_b32 s22, s22
	s_cbranch_execz .LBB352_15
.LBB352_41:                             ;   in Loop: Header=BB352_13 Depth=1
	s_waitcnt lgkmcnt(0)
	v_mov_b32_e32 v17, 0
	v_mov_b32_e32 v19, 0
	;; [unrolled: 1-line block ×16, first 2 shown]
	s_and_saveexec_b32 s43, s8
	s_cbranch_execz .LBB352_57
; %bb.42:                               ;   in Loop: Header=BB352_13 Depth=1
	s_andn2_b32 vcc_lo, exec_lo, s38
	s_cbranch_vccnz .LBB352_56
; %bb.43:                               ;   in Loop: Header=BB352_13 Depth=1
	v_mov_b32_e32 v2, v22
	s_mov_b32 s25, 0
	s_mov_b32 s26, s34
	.p2align	6
.LBB352_44:                             ;   Parent Loop BB352_13 Depth=1
                                        ; =>  This Inner Loop Header: Depth=2
	v_ashrrev_i32_e32 v3, 31, v2
	v_mov_b32_e32 v7, s25
	s_add_i32 s26, s26, -1
	s_add_i32 s25, s25, 16
	s_cmp_eq_u32 s26, 0
	v_lshlrev_b64 v[3:4], 4, v[2:3]
	v_add_nc_u32_e32 v2, s33, v2
	v_add_co_u32 v3, vcc_lo, s20, v3
	v_add_co_ci_u32_e64 v4, null, s21, v4, vcc_lo
	flat_load_dwordx4 v[3:6], v[3:4]
	s_waitcnt vmcnt(0) lgkmcnt(0)
	buffer_store_dword v6, v7, s[0:3], 0 offen offset:12
	buffer_store_dword v5, v7, s[0:3], 0 offen offset:8
	;; [unrolled: 1-line block ×3, first 2 shown]
	buffer_store_dword v3, v7, s[0:3], 0 offen
	s_cbranch_scc0 .LBB352_44
; %bb.45:                               ;   in Loop: Header=BB352_13 Depth=1
	s_ashr_i32 s25, s24, 31
	v_mov_b32_e32 v31, 0
	s_lshl_b64 s[26:27], s[24:25], 4
	v_mov_b32_e32 v33, 0
	v_add_co_u32 v2, vcc_lo, v35, s26
	v_mov_b32_e32 v11, 0
	v_mov_b32_e32 v9, 0
	;; [unrolled: 1-line block ×6, first 2 shown]
	v_add_co_ci_u32_e64 v3, null, s27, v36, vcc_lo
	v_mov_b32_e32 v32, 0
	v_mov_b32_e32 v34, 0
	;; [unrolled: 1-line block ×8, first 2 shown]
	s_mov_b32 s25, 0
	s_mov_b32 s26, s41
	;; [unrolled: 1-line block ×5, first 2 shown]
.LBB352_46:                             ;   Parent Loop BB352_13 Depth=1
                                        ; =>  This Inner Loop Header: Depth=2
	s_ashr_i32 s31, s30, 31
	s_ashr_i32 s29, s28, 31
	s_lshl_b64 s[46:47], s[30:31], 4
	s_ashr_i32 s27, s26, 31
	s_lshl_b64 s[48:49], s[28:29], 4
	v_add_co_u32 v52, vcc_lo, v35, s46
	s_lshl_b64 s[50:51], s[26:27], 4
	v_add_co_ci_u32_e64 v53, null, s47, v36, vcc_lo
	v_add_co_u32 v56, vcc_lo, v35, s48
	v_mov_b32_e32 v8, s25
	v_add_co_ci_u32_e64 v57, null, s49, v36, vcc_lo
	v_add_co_u32 v60, vcc_lo, v35, s50
	v_add_co_ci_u32_e64 v61, null, s51, v36, vcc_lo
	flat_load_dwordx4 v[4:7], v[2:3]
	s_clause 0x3
	buffer_load_dword v64, v8, s[0:3], 0 offen
	buffer_load_dword v66, v8, s[0:3], 0 offen offset:8
	buffer_load_dword v67, v8, s[0:3], 0 offen offset:12
	;; [unrolled: 1-line block ×3, first 2 shown]
	s_clause 0x2
	flat_load_dwordx4 v[52:55], v[52:53]
	flat_load_dwordx4 v[56:59], v[56:57]
	;; [unrolled: 1-line block ×3, first 2 shown]
	v_add_co_u32 v2, vcc_lo, v2, 16
	v_add_co_ci_u32_e64 v3, null, 0, v3, vcc_lo
	s_add_i32 s44, s44, -1
	s_add_i32 s25, s25, 16
	s_add_i32 s30, s30, 1
	;; [unrolled: 1-line block ×4, first 2 shown]
	s_cmp_lg_u32 s44, 0
	s_waitcnt vmcnt(4) lgkmcnt(3)
	v_mul_f64 v[68:69], v[66:67], v[6:7]
	s_waitcnt vmcnt(3)
	v_mul_f64 v[6:7], v[64:65], v[6:7]
	s_waitcnt vmcnt(2) lgkmcnt(2)
	v_mul_f64 v[70:71], v[66:67], v[54:55]
	v_mul_f64 v[54:55], v[64:65], v[54:55]
	s_waitcnt vmcnt(1) lgkmcnt(1)
	v_mul_f64 v[72:73], v[66:67], v[58:59]
	;; [unrolled: 3-line block ×3, first 2 shown]
	v_mul_f64 v[62:63], v[64:65], v[62:63]
	v_fma_f64 v[68:69], v[64:65], v[4:5], -v[68:69]
	v_fma_f64 v[4:5], v[66:67], v[4:5], v[6:7]
	v_fma_f64 v[6:7], v[64:65], v[52:53], -v[70:71]
	v_fma_f64 v[52:53], v[66:67], v[52:53], v[54:55]
	;; [unrolled: 2-line block ×4, first 2 shown]
	v_add_f64 v[33:34], v[33:34], v[68:69]
	v_add_f64 v[31:32], v[31:32], v[4:5]
	;; [unrolled: 1-line block ×8, first 2 shown]
	s_cbranch_scc1 .LBB352_46
	s_branch .LBB352_57
.LBB352_47:                             ;   in Loop: Header=BB352_13 Depth=1
	ds_read_b128 v[5:8], v50
	s_or_b32 exec_lo, exec_lo, s22
	s_and_saveexec_b32 s22, s4
	s_cbranch_execz .LBB352_21
.LBB352_48:                             ;   in Loop: Header=BB352_13 Depth=1
	s_waitcnt lgkmcnt(0)
	ds_bpermute_b32 v2, v47, v5
	ds_bpermute_b32 v3, v47, v6
	ds_bpermute_b32 v31, v47, v7
	ds_bpermute_b32 v32, v47, v8
	s_waitcnt lgkmcnt(2)
	v_add_f64 v[2:3], v[5:6], v[2:3]
	s_waitcnt lgkmcnt(0)
	v_add_f64 v[4:5], v[7:8], v[31:32]
	ds_bpermute_b32 v6, v48, v2
	ds_bpermute_b32 v7, v48, v3
	ds_bpermute_b32 v31, v48, v4
	ds_bpermute_b32 v32, v48, v5
	s_waitcnt lgkmcnt(2)
	v_add_f64 v[2:3], v[2:3], v[6:7]
	s_waitcnt lgkmcnt(0)
	v_add_f64 v[7:8], v[4:5], v[31:32]
	;; [unrolled: 8-line block ×3, first 2 shown]
	s_or_b32 exec_lo, exec_lo, s22
	s_and_saveexec_b32 s22, s4
	s_cbranch_execnz .LBB352_22
	s_branch .LBB352_23
.LBB352_49:                             ;   in Loop: Header=BB352_13 Depth=1
	ds_read_b128 v[9:12], v50
	s_or_b32 exec_lo, exec_lo, s22
	s_and_saveexec_b32 s22, s4
	s_cbranch_execz .LBB352_27
.LBB352_50:                             ;   in Loop: Header=BB352_13 Depth=1
	s_waitcnt lgkmcnt(0)
	ds_bpermute_b32 v2, v47, v9
	ds_bpermute_b32 v3, v47, v10
	ds_bpermute_b32 v31, v47, v11
	ds_bpermute_b32 v32, v47, v12
	s_waitcnt lgkmcnt(2)
	v_add_f64 v[2:3], v[9:10], v[2:3]
	s_waitcnt lgkmcnt(0)
	v_add_f64 v[9:10], v[11:12], v[31:32]
	ds_bpermute_b32 v11, v48, v2
	ds_bpermute_b32 v12, v48, v3
	ds_bpermute_b32 v31, v48, v9
	ds_bpermute_b32 v32, v48, v10
	s_waitcnt lgkmcnt(2)
	v_add_f64 v[2:3], v[2:3], v[11:12]
	s_waitcnt lgkmcnt(0)
	v_add_f64 v[11:12], v[9:10], v[31:32]
	;; [unrolled: 8-line block ×3, first 2 shown]
	s_or_b32 exec_lo, exec_lo, s22
	s_and_saveexec_b32 s22, s4
	s_cbranch_execnz .LBB352_28
	s_branch .LBB352_29
.LBB352_51:                             ;   in Loop: Header=BB352_13 Depth=1
	ds_read_b128 v[13:16], v50
	s_or_b32 exec_lo, exec_lo, s22
	s_and_saveexec_b32 s22, s4
	s_cbranch_execz .LBB352_33
.LBB352_52:                             ;   in Loop: Header=BB352_13 Depth=1
	s_waitcnt lgkmcnt(0)
	ds_bpermute_b32 v2, v47, v13
	ds_bpermute_b32 v3, v47, v14
	ds_bpermute_b32 v31, v47, v15
	ds_bpermute_b32 v32, v47, v16
	s_waitcnt lgkmcnt(2)
	v_add_f64 v[2:3], v[13:14], v[2:3]
	s_waitcnt lgkmcnt(0)
	v_add_f64 v[13:14], v[15:16], v[31:32]
	ds_bpermute_b32 v15, v48, v2
	ds_bpermute_b32 v16, v48, v3
	ds_bpermute_b32 v31, v48, v13
	ds_bpermute_b32 v32, v48, v14
	s_waitcnt lgkmcnt(2)
	v_add_f64 v[2:3], v[2:3], v[15:16]
	s_waitcnt lgkmcnt(0)
	v_add_f64 v[15:16], v[13:14], v[31:32]
	;; [unrolled: 8-line block ×3, first 2 shown]
	s_or_b32 exec_lo, exec_lo, s22
	s_and_saveexec_b32 s22, s4
	s_cbranch_execnz .LBB352_34
	s_branch .LBB352_35
.LBB352_53:                             ;   in Loop: Header=BB352_13 Depth=1
	ds_read_b128 v[17:20], v50
	s_or_b32 exec_lo, exec_lo, s22
	s_and_saveexec_b32 s22, s4
	s_cbranch_execz .LBB352_39
.LBB352_54:                             ;   in Loop: Header=BB352_13 Depth=1
	s_waitcnt lgkmcnt(0)
	ds_bpermute_b32 v2, v47, v17
	ds_bpermute_b32 v3, v47, v18
	ds_bpermute_b32 v31, v47, v19
	ds_bpermute_b32 v32, v47, v20
	s_waitcnt lgkmcnt(2)
	v_add_f64 v[2:3], v[17:18], v[2:3]
	s_waitcnt lgkmcnt(0)
	v_add_f64 v[17:18], v[19:20], v[31:32]
	ds_bpermute_b32 v19, v48, v2
	ds_bpermute_b32 v20, v48, v3
	ds_bpermute_b32 v31, v48, v17
	ds_bpermute_b32 v32, v48, v18
	s_waitcnt lgkmcnt(2)
	v_add_f64 v[2:3], v[2:3], v[19:20]
	s_waitcnt lgkmcnt(0)
	v_add_f64 v[19:20], v[17:18], v[31:32]
	;; [unrolled: 8-line block ×3, first 2 shown]
	s_or_b32 exec_lo, exec_lo, s22
	s_and_saveexec_b32 s25, s10
	s_cbranch_execz .LBB352_12
.LBB352_55:                             ;   in Loop: Header=BB352_13 Depth=1
	v_mul_f64 v[2:3], s[18:19], v[7:8]
	v_mul_f64 v[7:8], s[16:17], v[7:8]
	v_mul_f64 v[31:32], s[18:19], v[11:12]
	v_mul_f64 v[11:12], s[16:17], v[11:12]
	v_mul_f64 v[33:34], s[18:19], v[15:16]
	v_mul_f64 v[15:16], s[16:17], v[15:16]
	s_waitcnt lgkmcnt(0)
	v_mul_f64 v[52:53], s[18:19], v[19:20]
	v_mul_f64 v[19:20], s[16:17], v[19:20]
	s_mul_i32 s22, s35, s14
	s_add_i32 s22, s22, s6
	s_lshl_b64 s[26:27], s[22:23], 4
	s_add_u32 s26, s36, s26
	s_addc_u32 s27, s11, s27
	s_add_i32 s22, s22, s14
	s_lshl_b64 s[28:29], s[22:23], 4
	s_add_u32 s28, s36, s28
	s_addc_u32 s29, s11, s29
	v_fma_f64 v[2:3], s[16:17], v[5:6], -v[2:3]
	v_fma_f64 v[4:5], s[18:19], v[5:6], v[7:8]
	v_fma_f64 v[6:7], s[16:17], v[9:10], -v[31:32]
	v_fma_f64 v[8:9], s[18:19], v[9:10], v[11:12]
	;; [unrolled: 2-line block ×4, first 2 shown]
	s_add_i32 s22, s22, s14
	s_lshl_b64 s[30:31], s[22:23], 4
	s_add_u32 s30, s36, s30
	s_addc_u32 s31, s11, s31
	s_add_i32 s22, s22, s14
	s_lshl_b64 s[44:45], s[22:23], 4
	s_add_u32 s44, s36, s44
	s_addc_u32 s45, s11, s45
	global_store_dwordx4 v1, v[2:5], s[26:27]
	global_store_dwordx4 v1, v[6:9], s[28:29]
	;; [unrolled: 1-line block ×4, first 2 shown]
	s_branch .LBB352_12
.LBB352_56:                             ;   in Loop: Header=BB352_13 Depth=1
	v_mov_b32_e32 v17, 0
	v_mov_b32_e32 v19, 0
	;; [unrolled: 1-line block ×16, first 2 shown]
.LBB352_57:                             ;   in Loop: Header=BB352_13 Depth=1
	s_or_b32 exec_lo, exec_lo, s43
	s_or_b32 exec_lo, exec_lo, s22
	s_and_saveexec_b32 s22, s4
	s_cbranch_execnz .LBB352_16
	s_branch .LBB352_17
.LBB352_58:
	s_mov_b32 s35, 0
.LBB352_59:
	s_cmp_ge_i32 s35, s13
	s_cbranch_scc1 .LBB352_81
; %bb.60:
	v_cmp_gt_u32_e64 s5, 24, v42
	v_ashrrev_i32_e32 v22, 31, v21
	v_cmp_gt_u32_e64 s4, 32, v0
	v_cmp_gt_u32_e64 s8, 8, v0
	v_cmp_eq_u32_e64 s9, 0, v0
	v_cndmask_b32_e64 v1, 0, 8, s5
	v_cmp_gt_u32_e64 s5, 28, v42
	s_cmp_gt_i32 s34, 0
	s_mov_b32 s7, 0
	s_cselect_b32 s24, -1, 0
	s_waitcnt lgkmcnt(0)
	v_add_lshl_u32 v19, v1, v42, 2
	v_cndmask_b32_e64 v2, 0, 4, s5
	v_cmp_gt_u32_e64 s5, 30, v42
	v_add_nc_u32_e32 v1, s33, v21
	s_lshl_b64 s[22:23], s[6:7], 4
	v_cmp_ge_i32_e64 s10, s12, v44
	v_add_lshl_u32 v20, v2, v42, 2
	v_cndmask_b32_e64 v3, 0, 2, s5
	v_cmp_ne_u32_e64 s5, 31, v42
	v_ashrrev_i32_e32 v2, 31, v1
	v_add_nc_u32_e32 v0, s33, v1
	v_lshlrev_b32_e32 v17, 4, v41
	v_add_lshl_u32 v23, v3, v42, 2
	v_add_co_ci_u32_e64 v4, null, 0, v42, s5
	v_lshlrev_b64 v[7:8], 4, v[1:2]
	v_add_nc_u32_e32 v2, s33, v0
	v_ashrrev_i32_e32 v1, 31, v0
	v_lshlrev_b32_e32 v24, 2, v4
	v_lshlrev_b64 v[3:4], 4, v[21:22]
	v_lshl_or_b32 v18, v42, 2, 64
	v_cmp_eq_u32_e64 s5, 0, v41
	v_lshlrev_b64 v[0:1], 4, v[0:1]
	v_and_b32_e32 v25, 0x70, v40
	s_add_u32 s7, s36, s22
	v_add_co_u32 v5, s6, s20, v3
	v_ashrrev_i32_e32 v3, 31, v2
	v_add_co_ci_u32_e64 v6, null, s21, v4, s6
	v_add_co_u32 v7, s6, s20, v7
	v_lshlrev_b64 v[2:3], 4, v[2:3]
	v_add_co_ci_u32_e64 v8, null, s21, v8, s6
	v_add_co_u32 v9, s6, s20, v0
	v_add_co_ci_u32_e64 v10, null, s21, v1, s6
	v_add_co_u32 v11, s6, s20, v2
	v_add_co_ci_u32_e64 v12, null, s21, v3, s6
	v_mov_b32_e32 v0, 0
	v_cmp_ge_i32_e32 vcc_lo, s12, v43
	s_addc_u32 s12, s11, s23
	s_and_b32 s22, s24, s10
	s_mul_i32 s10, s35, s15
	s_branch .LBB352_62
.LBB352_61:                             ;   in Loop: Header=BB352_62 Depth=1
	s_or_b32 exec_lo, exec_lo, s6
	s_add_i32 s35, s35, 1
	s_add_i32 s10, s10, s15
	s_cmp_lt_i32 s35, s13
	s_cbranch_scc0 .LBB352_81
.LBB352_62:                             ; =>This Loop Header: Depth=1
                                        ;     Child Loop BB352_74 Depth 2
                                        ;     Child Loop BB352_76 Depth 2
                                        ; implicit-def: $vgpr13_vgpr14
                                        ; implicit-def: $vgpr15_vgpr16
	s_and_saveexec_b32 s6, vcc_lo
	s_xor_b32 s11, exec_lo, s6
	s_cbranch_execnz .LBB352_71
; %bb.63:                               ;   in Loop: Header=BB352_62 Depth=1
	s_andn2_saveexec_b32 s23, s11
	s_cbranch_execnz .LBB352_72
.LBB352_64:                             ;   in Loop: Header=BB352_62 Depth=1
	s_or_b32 exec_lo, exec_lo, s23
	s_and_saveexec_b32 s6, s4
	s_cbranch_execz .LBB352_66
.LBB352_65:                             ;   in Loop: Header=BB352_62 Depth=1
	s_waitcnt lgkmcnt(0)
	v_mov_b32_e32 v1, v0
	v_mov_b32_e32 v2, v0
	;; [unrolled: 1-line block ×3, first 2 shown]
	ds_write_b128 v17, v[0:3]
.LBB352_66:                             ;   in Loop: Header=BB352_62 Depth=1
	s_or_b32 exec_lo, exec_lo, s6
	s_waitcnt lgkmcnt(0)
	ds_bpermute_b32 v1, v18, v13
	ds_bpermute_b32 v2, v18, v14
	;; [unrolled: 1-line block ×4, first 2 shown]
	s_waitcnt lgkmcnt(0)
	s_waitcnt_vscnt null, 0x0
	s_barrier
	buffer_gl0_inv
	v_add_f64 v[1:2], v[13:14], v[1:2]
	v_add_f64 v[3:4], v[15:16], v[3:4]
	ds_bpermute_b32 v13, v19, v1
	ds_bpermute_b32 v14, v19, v2
	ds_bpermute_b32 v15, v19, v3
	ds_bpermute_b32 v16, v19, v4
	s_waitcnt lgkmcnt(2)
	v_add_f64 v[1:2], v[1:2], v[13:14]
	s_waitcnt lgkmcnt(0)
	v_add_f64 v[3:4], v[3:4], v[15:16]
	ds_bpermute_b32 v13, v20, v1
	ds_bpermute_b32 v14, v20, v2
	ds_bpermute_b32 v15, v20, v3
	ds_bpermute_b32 v16, v20, v4
	s_waitcnt lgkmcnt(2)
	v_add_f64 v[1:2], v[1:2], v[13:14]
	s_waitcnt lgkmcnt(0)
	;; [unrolled: 8-line block ×3, first 2 shown]
	v_add_f64 v[13:14], v[3:4], v[15:16]
	ds_bpermute_b32 v3, v24, v1
	ds_bpermute_b32 v4, v24, v2
	;; [unrolled: 1-line block ×4, first 2 shown]
	s_and_saveexec_b32 s6, s5
	s_cbranch_execz .LBB352_68
; %bb.67:                               ;   in Loop: Header=BB352_62 Depth=1
	s_waitcnt lgkmcnt(0)
	v_add_f64 v[15:16], v[13:14], v[15:16]
	v_add_f64 v[13:14], v[1:2], v[3:4]
	ds_write_b128 v25, v[13:16]
.LBB352_68:                             ;   in Loop: Header=BB352_62 Depth=1
	s_or_b32 exec_lo, exec_lo, s6
	s_waitcnt lgkmcnt(2)
	v_mov_b32_e32 v3, 0
	v_mov_b32_e32 v1, 0
	v_mov_b32_e32 v4, 0
	v_mov_b32_e32 v2, 0
	s_waitcnt lgkmcnt(0)
	s_barrier
	buffer_gl0_inv
	s_and_saveexec_b32 s6, s8
	s_cbranch_execnz .LBB352_78
; %bb.69:                               ;   in Loop: Header=BB352_62 Depth=1
	s_or_b32 exec_lo, exec_lo, s6
	s_and_saveexec_b32 s6, s4
	s_cbranch_execnz .LBB352_79
.LBB352_70:                             ;   in Loop: Header=BB352_62 Depth=1
	s_or_b32 exec_lo, exec_lo, s6
	s_and_saveexec_b32 s6, s9
	s_cbranch_execz .LBB352_61
	s_branch .LBB352_80
.LBB352_71:                             ;   in Loop: Header=BB352_62 Depth=1
	s_waitcnt lgkmcnt(0)
	s_clause 0x2
	flat_load_dwordx4 v[1:4], v[7:8]
	flat_load_dwordx4 v[13:16], v[9:10]
	;; [unrolled: 1-line block ×3, first 2 shown]
	s_mul_i32 s24, s35, s15
	s_ashr_i32 s25, s24, 31
	s_lshl_b64 s[24:25], s[24:25], 4
	v_add_co_u32 v48, s6, v35, s24
	v_add_co_ci_u32_e64 v49, null, s25, v36, s6
	flat_load_dwordx4 v[30:33], v[5:6]
	s_clause 0x1
	flat_load_dwordx4 v[40:43], v[48:49]
	flat_load_dwordx4 v[44:47], v[48:49] offset:16
	s_waitcnt vmcnt(5) lgkmcnt(5)
	buffer_store_dword v4, v37, s[0:3], 0 offen offset:12
	buffer_store_dword v3, v37, s[0:3], 0 offen offset:8
	s_waitcnt vmcnt(4) lgkmcnt(4)
	buffer_store_dword v16, v38, s[0:3], 0 offen offset:12
	buffer_store_dword v15, v38, s[0:3], 0 offen offset:8
	;; [unrolled: 1-line block ×3, first 2 shown]
	buffer_store_dword v13, v38, s[0:3], 0 offen
	s_clause 0x4
	buffer_load_dword v51, off, s[0:3], 0 offset:28
	buffer_load_dword v52, off, s[0:3], 0 offset:32
	;; [unrolled: 1-line block ×5, first 2 shown]
	buffer_store_dword v2, v37, s[0:3], 0 offen offset:4
	buffer_store_dword v1, v37, s[0:3], 0 offen
	flat_load_dwordx4 v[1:4], v[48:49] offset:32
	s_clause 0x2
	buffer_load_dword v55, off, s[0:3], 0 offset:44
	buffer_load_dword v56, off, s[0:3], 0 offset:16
	;; [unrolled: 1-line block ×3, first 2 shown]
	flat_load_dwordx4 v[13:16], v[48:49] offset:48
	s_waitcnt vmcnt(13) lgkmcnt(5)
	buffer_store_dword v29, v39, s[0:3], 0 offen offset:12
	buffer_store_dword v28, v39, s[0:3], 0 offen offset:8
	s_clause 0x1
	buffer_load_dword v29, off, s[0:3], 0 offset:60
	buffer_load_dword v28, off, s[0:3], 0 offset:56
	buffer_store_dword v27, v39, s[0:3], 0 offen offset:4
	buffer_store_dword v26, v39, s[0:3], 0 offen
	s_clause 0x1
	buffer_load_dword v26, off, s[0:3], 0 offset:48
	buffer_load_dword v27, off, s[0:3], 0 offset:52
	s_waitcnt vmcnt(16) lgkmcnt(4)
	buffer_store_dword v33, off, s[0:3], 0 offset:12
	buffer_store_dword v32, off, s[0:3], 0 offset:8
	;; [unrolled: 1-line block ×3, first 2 shown]
	buffer_store_dword v30, off, s[0:3], 0
	s_waitcnt vmcnt(15) lgkmcnt(3)
	v_mul_f64 v[48:49], v[42:43], v[32:33]
	v_mul_f64 v[58:59], v[40:41], v[32:33]
	v_fma_f64 v[40:41], v[40:41], v[30:31], -v[48:49]
	v_fma_f64 v[42:43], v[42:43], v[30:31], v[58:59]
	v_add_f64 v[40:41], v[40:41], 0
	v_add_f64 v[42:43], v[42:43], 0
	s_waitcnt vmcnt(9) lgkmcnt(2)
	v_mul_f64 v[48:49], v[46:47], v[50:51]
	v_mul_f64 v[50:51], v[44:45], v[50:51]
	s_waitcnt vmcnt(7) lgkmcnt(1)
	v_mul_f64 v[58:59], v[3:4], v[54:55]
	v_mul_f64 v[54:55], v[1:2], v[54:55]
	s_waitcnt vmcnt(5)
	v_fma_f64 v[44:45], v[44:45], v[56:57], -v[48:49]
	v_fma_f64 v[46:47], v[46:47], v[56:57], v[50:51]
	s_waitcnt vmcnt(2) lgkmcnt(0)
	v_mul_f64 v[48:49], v[15:16], v[28:29]
	v_mul_f64 v[28:29], v[13:14], v[28:29]
	v_fma_f64 v[1:2], v[1:2], v[52:53], -v[58:59]
	v_fma_f64 v[3:4], v[3:4], v[52:53], v[54:55]
	v_add_f64 v[40:41], v[40:41], v[44:45]
	v_add_f64 v[42:43], v[42:43], v[46:47]
	s_waitcnt vmcnt(0)
	v_fma_f64 v[13:14], v[13:14], v[26:27], -v[48:49]
	v_fma_f64 v[15:16], v[15:16], v[26:27], v[28:29]
	v_add_f64 v[1:2], v[40:41], v[1:2]
	v_add_f64 v[3:4], v[42:43], v[3:4]
	;; [unrolled: 1-line block ×4, first 2 shown]
	s_andn2_saveexec_b32 s23, s11
	s_cbranch_execz .LBB352_64
.LBB352_72:                             ;   in Loop: Header=BB352_62 Depth=1
	v_mov_b32_e32 v13, 0
	v_mov_b32_e32 v15, 0
	;; [unrolled: 1-line block ×4, first 2 shown]
	s_and_saveexec_b32 s24, s22
	s_cbranch_execz .LBB352_77
; %bb.73:                               ;   in Loop: Header=BB352_62 Depth=1
	s_waitcnt lgkmcnt(0)
	v_mov_b32_e32 v1, v21
	s_mov_b32 s11, 0
	s_mov_b32 s25, s34
	.p2align	6
.LBB352_74:                             ;   Parent Loop BB352_62 Depth=1
                                        ; =>  This Inner Loop Header: Depth=2
	v_ashrrev_i32_e32 v2, 31, v1
	s_add_i32 s25, s25, -1
	v_lshlrev_b64 v[2:3], 4, v[1:2]
	v_add_nc_u32_e32 v1, s33, v1
	v_add_co_u32 v2, s6, s20, v2
	v_add_co_ci_u32_e64 v3, null, s21, v3, s6
	flat_load_dwordx4 v[13:16], v[2:3]
	v_mov_b32_e32 v2, s11
	s_add_i32 s11, s11, 16
	s_cmp_eq_u32 s25, 0
	s_waitcnt vmcnt(0) lgkmcnt(0)
	buffer_store_dword v16, v2, s[0:3], 0 offen offset:12
	buffer_store_dword v15, v2, s[0:3], 0 offen offset:8
	;; [unrolled: 1-line block ×3, first 2 shown]
	buffer_store_dword v13, v2, s[0:3], 0 offen
	s_cbranch_scc0 .LBB352_74
; %bb.75:                               ;   in Loop: Header=BB352_62 Depth=1
	s_ashr_i32 s11, s10, 31
	v_mov_b32_e32 v13, 0
	s_lshl_b64 s[26:27], s[10:11], 4
	v_mov_b32_e32 v15, 0
	v_add_co_u32 v1, s6, v35, s26
	v_mov_b32_e32 v14, 0
	v_mov_b32_e32 v16, 0
	v_add_co_ci_u32_e64 v2, null, s27, v36, s6
	s_mov_b32 s11, 0
	s_mov_b32 s25, s34
	.p2align	6
.LBB352_76:                             ;   Parent Loop BB352_62 Depth=1
                                        ; =>  This Inner Loop Header: Depth=2
	v_mov_b32_e32 v22, s11
	flat_load_dwordx4 v[26:29], v[1:2]
	v_add_co_u32 v1, s6, v1, 16
	v_add_co_ci_u32_e64 v2, null, 0, v2, s6
	s_clause 0x3
	buffer_load_dword v3, v22, s[0:3], 0 offen offset:8
	buffer_load_dword v4, v22, s[0:3], 0 offen offset:12
	buffer_load_dword v30, v22, s[0:3], 0 offen
	buffer_load_dword v31, v22, s[0:3], 0 offen offset:4
	s_add_i32 s25, s25, -1
	s_add_i32 s11, s11, 16
	s_cmp_lg_u32 s25, 0
	s_waitcnt vmcnt(2) lgkmcnt(0)
	v_mul_f64 v[32:33], v[28:29], v[3:4]
	v_mul_f64 v[3:4], v[26:27], v[3:4]
	s_waitcnt vmcnt(0)
	v_fma_f64 v[26:27], v[26:27], v[30:31], -v[32:33]
	v_fma_f64 v[3:4], v[28:29], v[30:31], v[3:4]
	v_add_f64 v[13:14], v[13:14], v[26:27]
	v_add_f64 v[15:16], v[15:16], v[3:4]
	s_cbranch_scc1 .LBB352_76
.LBB352_77:                             ;   in Loop: Header=BB352_62 Depth=1
	s_or_b32 exec_lo, exec_lo, s24
	s_or_b32 exec_lo, exec_lo, s23
	s_and_saveexec_b32 s6, s4
	s_cbranch_execnz .LBB352_65
	s_branch .LBB352_66
.LBB352_78:                             ;   in Loop: Header=BB352_62 Depth=1
	ds_read_b128 v[1:4], v17
	s_or_b32 exec_lo, exec_lo, s6
	s_and_saveexec_b32 s6, s4
	s_cbranch_execz .LBB352_70
.LBB352_79:                             ;   in Loop: Header=BB352_62 Depth=1
	s_waitcnt lgkmcnt(0)
	ds_bpermute_b32 v13, v20, v1
	ds_bpermute_b32 v14, v20, v2
	ds_bpermute_b32 v15, v20, v3
	ds_bpermute_b32 v16, v20, v4
	s_waitcnt lgkmcnt(2)
	v_add_f64 v[1:2], v[1:2], v[13:14]
	s_waitcnt lgkmcnt(0)
	v_add_f64 v[3:4], v[3:4], v[15:16]
	ds_bpermute_b32 v13, v23, v1
	ds_bpermute_b32 v14, v23, v2
	ds_bpermute_b32 v15, v23, v3
	ds_bpermute_b32 v16, v23, v4
	s_waitcnt lgkmcnt(2)
	v_add_f64 v[1:2], v[1:2], v[13:14]
	s_waitcnt lgkmcnt(0)
	v_add_f64 v[3:4], v[3:4], v[15:16]
	;; [unrolled: 8-line block ×3, first 2 shown]
	s_or_b32 exec_lo, exec_lo, s6
	s_and_saveexec_b32 s6, s9
	s_cbranch_execz .LBB352_61
.LBB352_80:                             ;   in Loop: Header=BB352_62 Depth=1
	s_waitcnt lgkmcnt(0)
	v_mul_f64 v[13:14], s[18:19], v[3:4]
	v_mul_f64 v[3:4], s[16:17], v[3:4]
	s_mul_hi_u32 s25, s35, s14
	s_mul_i32 s24, s35, s14
	s_lshl_b64 s[24:25], s[24:25], 4
	s_add_u32 s24, s7, s24
	s_addc_u32 s25, s12, s25
	v_fma_f64 v[13:14], s[16:17], v[1:2], -v[13:14]
	v_fma_f64 v[15:16], s[18:19], v[1:2], v[3:4]
	global_store_dwordx4 v0, v[13:16], s[24:25]
	s_branch .LBB352_61
.LBB352_81:
	s_endpgm
	.section	.rodata,"a",@progbits
	.p2align	6, 0x0
	.amdhsa_kernel _ZL23rocblas_gemvt_sn_kernelILb0ELi256ELi4EiPK19rocblas_complex_numIdES3_S1_EviiT4_lPKT3_lilS7_lilPT5_i
		.amdhsa_group_segment_fixed_size 512
		.amdhsa_private_segment_fixed_size 80
		.amdhsa_kernarg_size 360
		.amdhsa_user_sgpr_count 6
		.amdhsa_user_sgpr_private_segment_buffer 1
		.amdhsa_user_sgpr_dispatch_ptr 0
		.amdhsa_user_sgpr_queue_ptr 0
		.amdhsa_user_sgpr_kernarg_segment_ptr 1
		.amdhsa_user_sgpr_dispatch_id 0
		.amdhsa_user_sgpr_flat_scratch_init 0
		.amdhsa_user_sgpr_private_segment_size 0
		.amdhsa_wavefront_size32 1
		.amdhsa_uses_dynamic_stack 0
		.amdhsa_system_sgpr_private_segment_wavefront_offset 1
		.amdhsa_system_sgpr_workgroup_id_x 1
		.amdhsa_system_sgpr_workgroup_id_y 0
		.amdhsa_system_sgpr_workgroup_id_z 1
		.amdhsa_system_sgpr_workgroup_info 0
		.amdhsa_system_vgpr_workitem_id 0
		.amdhsa_next_free_vgpr 76
		.amdhsa_next_free_sgpr 52
		.amdhsa_reserve_vcc 1
		.amdhsa_reserve_flat_scratch 1
		.amdhsa_float_round_mode_32 0
		.amdhsa_float_round_mode_16_64 0
		.amdhsa_float_denorm_mode_32 3
		.amdhsa_float_denorm_mode_16_64 3
		.amdhsa_dx10_clamp 1
		.amdhsa_ieee_mode 1
		.amdhsa_fp16_overflow 0
		.amdhsa_workgroup_processor_mode 1
		.amdhsa_memory_ordered 1
		.amdhsa_forward_progress 1
		.amdhsa_shared_vgpr_count 0
		.amdhsa_exception_fp_ieee_invalid_op 0
		.amdhsa_exception_fp_denorm_src 0
		.amdhsa_exception_fp_ieee_div_zero 0
		.amdhsa_exception_fp_ieee_overflow 0
		.amdhsa_exception_fp_ieee_underflow 0
		.amdhsa_exception_fp_ieee_inexact 0
		.amdhsa_exception_int_div_zero 0
	.end_amdhsa_kernel
	.section	.text._ZL23rocblas_gemvt_sn_kernelILb0ELi256ELi4EiPK19rocblas_complex_numIdES3_S1_EviiT4_lPKT3_lilS7_lilPT5_i,"axG",@progbits,_ZL23rocblas_gemvt_sn_kernelILb0ELi256ELi4EiPK19rocblas_complex_numIdES3_S1_EviiT4_lPKT3_lilS7_lilPT5_i,comdat
.Lfunc_end352:
	.size	_ZL23rocblas_gemvt_sn_kernelILb0ELi256ELi4EiPK19rocblas_complex_numIdES3_S1_EviiT4_lPKT3_lilS7_lilPT5_i, .Lfunc_end352-_ZL23rocblas_gemvt_sn_kernelILb0ELi256ELi4EiPK19rocblas_complex_numIdES3_S1_EviiT4_lPKT3_lilS7_lilPT5_i
                                        ; -- End function
	.set _ZL23rocblas_gemvt_sn_kernelILb0ELi256ELi4EiPK19rocblas_complex_numIdES3_S1_EviiT4_lPKT3_lilS7_lilPT5_i.num_vgpr, 76
	.set _ZL23rocblas_gemvt_sn_kernelILb0ELi256ELi4EiPK19rocblas_complex_numIdES3_S1_EviiT4_lPKT3_lilS7_lilPT5_i.num_agpr, 0
	.set _ZL23rocblas_gemvt_sn_kernelILb0ELi256ELi4EiPK19rocblas_complex_numIdES3_S1_EviiT4_lPKT3_lilS7_lilPT5_i.numbered_sgpr, 52
	.set _ZL23rocblas_gemvt_sn_kernelILb0ELi256ELi4EiPK19rocblas_complex_numIdES3_S1_EviiT4_lPKT3_lilS7_lilPT5_i.num_named_barrier, 0
	.set _ZL23rocblas_gemvt_sn_kernelILb0ELi256ELi4EiPK19rocblas_complex_numIdES3_S1_EviiT4_lPKT3_lilS7_lilPT5_i.private_seg_size, 80
	.set _ZL23rocblas_gemvt_sn_kernelILb0ELi256ELi4EiPK19rocblas_complex_numIdES3_S1_EviiT4_lPKT3_lilS7_lilPT5_i.uses_vcc, 1
	.set _ZL23rocblas_gemvt_sn_kernelILb0ELi256ELi4EiPK19rocblas_complex_numIdES3_S1_EviiT4_lPKT3_lilS7_lilPT5_i.uses_flat_scratch, 1
	.set _ZL23rocblas_gemvt_sn_kernelILb0ELi256ELi4EiPK19rocblas_complex_numIdES3_S1_EviiT4_lPKT3_lilS7_lilPT5_i.has_dyn_sized_stack, 0
	.set _ZL23rocblas_gemvt_sn_kernelILb0ELi256ELi4EiPK19rocblas_complex_numIdES3_S1_EviiT4_lPKT3_lilS7_lilPT5_i.has_recursion, 0
	.set _ZL23rocblas_gemvt_sn_kernelILb0ELi256ELi4EiPK19rocblas_complex_numIdES3_S1_EviiT4_lPKT3_lilS7_lilPT5_i.has_indirect_call, 0
	.section	.AMDGPU.csdata,"",@progbits
; Kernel info:
; codeLenInByte = 7856
; TotalNumSgprs: 54
; NumVgprs: 76
; ScratchSize: 80
; MemoryBound: 0
; FloatMode: 240
; IeeeMode: 1
; LDSByteSize: 512 bytes/workgroup (compile time only)
; SGPRBlocks: 0
; VGPRBlocks: 9
; NumSGPRsForWavesPerEU: 54
; NumVGPRsForWavesPerEU: 76
; Occupancy: 12
; WaveLimiterHint : 0
; COMPUTE_PGM_RSRC2:SCRATCH_EN: 1
; COMPUTE_PGM_RSRC2:USER_SGPR: 6
; COMPUTE_PGM_RSRC2:TRAP_HANDLER: 0
; COMPUTE_PGM_RSRC2:TGID_X_EN: 1
; COMPUTE_PGM_RSRC2:TGID_Y_EN: 0
; COMPUTE_PGM_RSRC2:TGID_Z_EN: 1
; COMPUTE_PGM_RSRC2:TIDIG_COMP_CNT: 0
	.section	.text._ZL23rocblas_gemvt_sn_kernelILb0ELi256ELi4ElPK19rocblas_complex_numIdES3_S1_EviiT4_lPKT3_lilS7_lilPT5_i,"axG",@progbits,_ZL23rocblas_gemvt_sn_kernelILb0ELi256ELi4ElPK19rocblas_complex_numIdES3_S1_EviiT4_lPKT3_lilS7_lilPT5_i,comdat
	.globl	_ZL23rocblas_gemvt_sn_kernelILb0ELi256ELi4ElPK19rocblas_complex_numIdES3_S1_EviiT4_lPKT3_lilS7_lilPT5_i ; -- Begin function _ZL23rocblas_gemvt_sn_kernelILb0ELi256ELi4ElPK19rocblas_complex_numIdES3_S1_EviiT4_lPKT3_lilS7_lilPT5_i
	.p2align	8
	.type	_ZL23rocblas_gemvt_sn_kernelILb0ELi256ELi4ElPK19rocblas_complex_numIdES3_S1_EviiT4_lPKT3_lilS7_lilPT5_i,@function
_ZL23rocblas_gemvt_sn_kernelILb0ELi256ELi4ElPK19rocblas_complex_numIdES3_S1_EviiT4_lPKT3_lilS7_lilPT5_i: ; @_ZL23rocblas_gemvt_sn_kernelILb0ELi256ELi4ElPK19rocblas_complex_numIdES3_S1_EviiT4_lPKT3_lilS7_lilPT5_i
; %bb.0:
	s_add_u32 s0, s0, s8
	s_load_dwordx8 s[8:15], s[4:5], 0x8
	s_mov_b32 s20, s7
	s_addc_u32 s1, s1, 0
	s_mov_b32 s21, 0
	s_mov_b64 s[24:25], 0
	s_mov_b64 s[22:23], 0
	s_waitcnt lgkmcnt(0)
	s_mul_i32 s7, s11, s7
	s_mul_hi_u32 s11, s10, s20
	s_mul_i32 s10, s10, s20
	s_add_i32 s11, s11, s7
	s_lshl_b64 s[10:11], s[10:11], 4
	s_add_u32 s8, s8, s10
	s_addc_u32 s9, s9, s11
	s_load_dwordx4 s[16:19], s[8:9], 0x0
	s_waitcnt lgkmcnt(0)
	v_cmp_neq_f64_e64 s7, s[16:17], 0
	v_cmp_neq_f64_e64 s8, s[18:19], 0
	s_or_b32 s7, s7, s8
	s_xor_b32 s10, s7, -1
	s_and_b32 vcc_lo, exec_lo, s10
	s_cbranch_vccnz .LBB353_2
; %bb.1:
	s_lshl_b64 s[8:9], s[20:21], 3
	s_add_u32 s8, s12, s8
	s_addc_u32 s9, s13, s9
	s_lshl_b64 s[12:13], s[14:15], 4
	s_load_dwordx2 s[8:9], s[8:9], 0x0
	s_waitcnt lgkmcnt(0)
	s_add_u32 s22, s8, s12
	s_addc_u32 s23, s9, s13
.LBB353_2:
	s_andn2_b32 vcc_lo, exec_lo, s7
	s_cbranch_vccnz .LBB353_4
; %bb.3:
	s_load_dwordx4 s[12:15], s[4:5], 0x38
	s_lshl_b64 s[8:9], s[20:21], 3
	s_waitcnt lgkmcnt(0)
	s_add_u32 s8, s12, s8
	s_addc_u32 s9, s13, s9
	s_lshl_b64 s[12:13], s[14:15], 4
	s_load_dwordx2 s[8:9], s[8:9], 0x0
	s_waitcnt lgkmcnt(0)
	s_add_u32 s24, s8, s12
	s_addc_u32 s25, s9, s13
.LBB353_4:
	s_clause 0x2
	s_load_dwordx2 s[12:13], s[4:5], 0x0
	s_load_dword s14, s[4:5], 0x68
	s_load_dwordx2 s[8:9], s[4:5], 0x58
	s_andn2_b32 vcc_lo, exec_lo, s10
	v_cmp_eq_u32_e64 s7, 0, v0
	s_mov_b32 s15, 0
	s_waitcnt lgkmcnt(0)
	s_ashr_i32 s28, s13, 31
	s_mul_hi_u32 s10, s13, s20
	s_mul_i32 s11, s28, s20
	s_mul_i32 s20, s13, s20
	s_add_i32 s10, s10, s11
	s_mul_hi_u32 s11, s20, s14
	s_mul_i32 s21, s10, s14
	s_mul_i32 s10, s20, s14
	s_add_i32 s11, s11, s21
	s_mov_b32 s20, -1
	s_cbranch_vccnz .LBB353_9
; %bb.5:
	s_cmp_gt_i32 s13, 0
	s_cselect_b32 s20, -1, 0
	s_and_b32 s7, s7, s20
	s_and_saveexec_b32 s29, s7
	s_cbranch_execz .LBB353_8
; %bb.6:
	s_mov_b32 s7, 0
	v_mov_b32_e32 v1, 0
	s_lshl_b64 s[20:21], s[10:11], 4
	s_lshl_b64 s[26:27], s[6:7], 4
	s_add_u32 s7, s20, s26
	s_addc_u32 s20, s21, s27
	s_add_u32 s7, s8, s7
	v_mov_b32_e32 v2, v1
	v_mov_b32_e32 v3, v1
	v_mov_b32_e32 v4, v1
	s_addc_u32 s21, s9, s20
	s_add_u32 s20, s7, 8
	s_addc_u32 s21, s21, 0
	s_lshl_b64 s[26:27], s[14:15], 4
	s_mov_b32 s7, s13
.LBB353_7:                              ; =>This Inner Loop Header: Depth=1
	s_add_i32 s7, s7, -1
	global_store_dwordx4 v1, v[1:4], s[20:21] offset:-8
	s_add_u32 s20, s20, s26
	s_addc_u32 s21, s21, s27
	s_cmp_eq_u32 s7, 0
	s_cbranch_scc0 .LBB353_7
.LBB353_8:
	s_or_b32 exec_lo, exec_lo, s29
	s_mov_b32 s20, 0
.LBB353_9:
	s_andn2_b32 vcc_lo, exec_lo, s20
	s_cbranch_vccnz .LBB353_81
; %bb.10:
	s_clause 0x1
	s_load_dword s20, s[4:5], 0x28
	s_load_dword s26, s[4:5], 0x48
	s_lshl_b64 s[10:11], s[10:11], 4
	v_and_b32_e32 v45, 31, v0
	v_cmp_gt_u32_e64 s4, 32, v0
	v_mbcnt_lo_u32_b32 v47, -1, 0
	v_cmp_gt_u32_e64 s5, 8, v0
	v_lshrrev_b32_e32 v46, 1, v0
	v_mov_b32_e32 v40, 16
	v_mov_b32_e32 v41, 32
	;; [unrolled: 1-line block ×3, first 2 shown]
	s_waitcnt lgkmcnt(0)
	s_ashr_i32 s21, s20, 31
	s_ashr_i32 s27, s26, 31
	s_add_u32 s33, s8, s10
	s_addc_u32 s36, s9, s11
	s_lshl_b32 s7, s6, 10
	s_ashr_i32 s8, s12, 31
	v_lshl_or_b32 v25, v0, 2, s7
	s_lshr_b32 s7, s28, 30
	s_lshr_b32 s8, s8, 30
	s_add_i32 s7, s13, s7
	s_add_i32 s8, s12, s8
	v_ashrrev_i32_e32 v26, 31, v25
	s_and_b32 s37, s7, -4
	s_and_b32 s7, s8, -4
	v_add_nc_u32_e32 v49, 4, v25
	s_sub_i32 s15, s12, s7
	v_lshlrev_b64 v[23:24], 4, v[25:26]
	v_or_b32_e32 v48, 1, v25
	v_or_b32_e32 v44, 2, v25
	;; [unrolled: 1-line block ×3, first 2 shown]
	v_add_nc_u32_e32 v50, s15, v25
	s_cmp_lt_i32 s37, 1
	v_add_co_u32 v21, vcc_lo, s22, v23
	v_add_co_ci_u32_e64 v22, null, s23, v24, vcc_lo
	s_cbranch_scc1 .LBB353_58
; %bb.11:
	v_cmp_gt_u32_e32 vcc_lo, 24, v47
	v_mad_i64_i32 v[5:6], null, s26, v44, 0
	v_mad_i64_i32 v[7:8], null, s26, v43, 0
	v_cndmask_b32_e64 v1, 0, 8, vcc_lo
	v_cmp_gt_u32_e32 vcc_lo, 28, v47
	s_cmp_gt_i32 s15, 0
	s_mov_b32 s7, 0
	v_mov_b32_e32 v35, v22
	v_add_lshl_u32 v52, v1, v47, 2
	v_cndmask_b32_e64 v2, 0, 4, vcc_lo
	v_cmp_gt_u32_e32 vcc_lo, 30, v47
	v_cmp_ge_i32_e64 s8, s12, v49
	v_cmp_ge_i32_e64 s9, s12, v50
	s_cselect_b32 s38, -1, 0
	v_add_lshl_u32 v53, v2, v47, 2
	v_cndmask_b32_e64 v3, 0, 2, vcc_lo
	v_cmp_ne_u32_e32 vcc_lo, 31, v47
	v_mad_i64_i32 v[1:2], null, s26, v25, 0
	v_lshl_or_b32 v51, v47, 2, 64
	v_add_lshl_u32 v54, v3, v47, 2
	v_add_co_ci_u32_e64 v4, null, 0, v47, vcc_lo
	v_cmp_eq_u32_e64 s10, 0, v45
	v_lshlrev_b32_e32 v56, 4, v45
	v_lshlrev_b64 v[1:2], 4, v[1:2]
	v_lshlrev_b32_e32 v55, 2, v4
	v_mad_i64_i32 v[3:4], null, s26, v48, 0
	v_and_b32_e32 v57, 0x70, v46
	s_lshl_b64 s[28:29], s[6:7], 4
	v_add_co_u32 v26, vcc_lo, s24, v1
	v_add_co_ci_u32_e64 v27, null, s25, v2, vcc_lo
	v_lshlrev_b64 v[3:4], 4, v[3:4]
	v_lshlrev_b64 v[1:2], 4, v[5:6]
	v_cmp_eq_u32_e64 s11, 0, v0
	v_mov_b32_e32 v34, v21
	s_add_u32 s39, s33, s28
	s_addc_u32 s40, s36, s29
	v_add_co_u32 v28, vcc_lo, s24, v3
	v_add_co_ci_u32_e64 v29, null, s25, v4, vcc_lo
	v_lshlrev_b64 v[3:4], 4, v[7:8]
	v_add_co_u32 v30, vcc_lo, s24, v1
	v_add_co_ci_u32_e64 v31, null, s25, v2, vcc_lo
	v_mov_b32_e32 v1, 0
	v_add_co_u32 v32, vcc_lo, s24, v3
	v_add_co_ci_u32_e64 v33, null, s25, v4, vcc_lo
	s_lshl_b64 s[28:29], s[26:27], 4
	s_lshl_b64 s[30:31], s[20:21], 6
	;; [unrolled: 1-line block ×3, first 2 shown]
	s_branch .LBB353_13
.LBB353_12:                             ;   in Loop: Header=BB353_13 Depth=1
	s_or_b32 exec_lo, exec_lo, s41
	v_add_co_u32 v34, vcc_lo, v34, s30
	v_add_co_ci_u32_e64 v35, null, s31, v35, vcc_lo
	s_add_i32 s7, s7, 4
	s_cmp_ge_i32 s7, s37
	s_cbranch_scc1 .LBB353_59
.LBB353_13:                             ; =>This Loop Header: Depth=1
                                        ;     Child Loop BB353_44 Depth 2
                                        ;     Child Loop BB353_46 Depth 2
                                        ; implicit-def: $vgpr17_vgpr18
                                        ; implicit-def: $vgpr19_vgpr20
                                        ; implicit-def: $vgpr13_vgpr14
                                        ; implicit-def: $vgpr15_vgpr16
                                        ; implicit-def: $vgpr9_vgpr10
                                        ; implicit-def: $vgpr11_vgpr12
                                        ; implicit-def: $vgpr38_vgpr39
                                        ; implicit-def: $vgpr36_vgpr37
	s_and_saveexec_b32 s41, s8
	s_xor_b32 s41, exec_lo, s41
	s_cbranch_execnz .LBB353_40
; %bb.14:                               ;   in Loop: Header=BB353_13 Depth=1
	s_andn2_saveexec_b32 s41, s41
	s_cbranch_execnz .LBB353_41
.LBB353_15:                             ;   in Loop: Header=BB353_13 Depth=1
	s_or_b32 exec_lo, exec_lo, s41
	s_and_saveexec_b32 s41, s4
	s_cbranch_execz .LBB353_17
.LBB353_16:                             ;   in Loop: Header=BB353_13 Depth=1
	v_mov_b32_e32 v2, v1
	v_mov_b32_e32 v3, v1
	;; [unrolled: 1-line block ×3, first 2 shown]
	ds_write_b128 v56, v[1:4]
.LBB353_17:                             ;   in Loop: Header=BB353_13 Depth=1
	s_or_b32 exec_lo, exec_lo, s41
	ds_bpermute_b32 v2, v51, v38
	ds_bpermute_b32 v3, v51, v39
	;; [unrolled: 1-line block ×4, first 2 shown]
	s_waitcnt lgkmcnt(0)
	s_waitcnt_vscnt null, 0x0
	s_barrier
	buffer_gl0_inv
	v_add_f64 v[2:3], v[38:39], v[2:3]
	v_add_f64 v[4:5], v[36:37], v[4:5]
	ds_bpermute_b32 v6, v52, v2
	ds_bpermute_b32 v7, v52, v3
	ds_bpermute_b32 v36, v52, v4
	ds_bpermute_b32 v37, v52, v5
	s_waitcnt lgkmcnt(2)
	v_add_f64 v[2:3], v[2:3], v[6:7]
	s_waitcnt lgkmcnt(0)
	v_add_f64 v[4:5], v[4:5], v[36:37]
	ds_bpermute_b32 v6, v53, v2
	ds_bpermute_b32 v7, v53, v3
	ds_bpermute_b32 v36, v53, v4
	ds_bpermute_b32 v37, v53, v5
	s_waitcnt lgkmcnt(2)
	v_add_f64 v[2:3], v[2:3], v[6:7]
	s_waitcnt lgkmcnt(0)
	;; [unrolled: 8-line block ×3, first 2 shown]
	v_add_f64 v[6:7], v[4:5], v[36:37]
	ds_bpermute_b32 v4, v55, v2
	ds_bpermute_b32 v5, v55, v3
	ds_bpermute_b32 v36, v55, v6
	ds_bpermute_b32 v37, v55, v7
	s_and_saveexec_b32 s41, s10
	s_cbranch_execz .LBB353_19
; %bb.18:                               ;   in Loop: Header=BB353_13 Depth=1
	s_waitcnt lgkmcnt(0)
	v_add_f64 v[6:7], v[6:7], v[36:37]
	v_add_f64 v[4:5], v[2:3], v[4:5]
	ds_write_b128 v57, v[4:7]
.LBB353_19:                             ;   in Loop: Header=BB353_13 Depth=1
	s_or_b32 exec_lo, exec_lo, s41
	v_mov_b32_e32 v7, 0
	s_waitcnt lgkmcnt(2)
	v_mov_b32_e32 v5, 0
	v_mov_b32_e32 v8, 0
	;; [unrolled: 1-line block ×3, first 2 shown]
	s_waitcnt lgkmcnt(0)
	s_barrier
	buffer_gl0_inv
	s_and_saveexec_b32 s41, s5
	s_cbranch_execnz .LBB353_47
; %bb.20:                               ;   in Loop: Header=BB353_13 Depth=1
	s_or_b32 exec_lo, exec_lo, s41
	s_and_saveexec_b32 s41, s4
	s_cbranch_execnz .LBB353_48
.LBB353_21:                             ;   in Loop: Header=BB353_13 Depth=1
	s_or_b32 exec_lo, exec_lo, s41
	s_and_saveexec_b32 s41, s4
	s_cbranch_execz .LBB353_23
.LBB353_22:                             ;   in Loop: Header=BB353_13 Depth=1
	v_mov_b32_e32 v2, v1
	v_mov_b32_e32 v3, v1
	;; [unrolled: 1-line block ×3, first 2 shown]
	ds_write_b128 v56, v[1:4]
.LBB353_23:                             ;   in Loop: Header=BB353_13 Depth=1
	s_or_b32 exec_lo, exec_lo, s41
	ds_bpermute_b32 v2, v51, v9
	ds_bpermute_b32 v3, v51, v10
	;; [unrolled: 1-line block ×4, first 2 shown]
	s_waitcnt lgkmcnt(0)
	s_barrier
	buffer_gl0_inv
	v_add_f64 v[2:3], v[9:10], v[2:3]
	v_add_f64 v[9:10], v[11:12], v[36:37]
	ds_bpermute_b32 v11, v52, v2
	ds_bpermute_b32 v12, v52, v3
	ds_bpermute_b32 v36, v52, v9
	ds_bpermute_b32 v37, v52, v10
	s_waitcnt lgkmcnt(2)
	v_add_f64 v[2:3], v[2:3], v[11:12]
	s_waitcnt lgkmcnt(0)
	v_add_f64 v[9:10], v[9:10], v[36:37]
	ds_bpermute_b32 v11, v53, v2
	ds_bpermute_b32 v12, v53, v3
	ds_bpermute_b32 v36, v53, v9
	ds_bpermute_b32 v37, v53, v10
	s_waitcnt lgkmcnt(2)
	v_add_f64 v[2:3], v[2:3], v[11:12]
	s_waitcnt lgkmcnt(0)
	;; [unrolled: 8-line block ×3, first 2 shown]
	v_add_f64 v[11:12], v[9:10], v[36:37]
	ds_bpermute_b32 v9, v55, v2
	ds_bpermute_b32 v10, v55, v3
	;; [unrolled: 1-line block ×4, first 2 shown]
	s_and_saveexec_b32 s41, s10
	s_cbranch_execz .LBB353_25
; %bb.24:                               ;   in Loop: Header=BB353_13 Depth=1
	s_waitcnt lgkmcnt(0)
	v_add_f64 v[11:12], v[11:12], v[36:37]
	v_add_f64 v[9:10], v[2:3], v[9:10]
	ds_write_b128 v57, v[9:12]
.LBB353_25:                             ;   in Loop: Header=BB353_13 Depth=1
	s_or_b32 exec_lo, exec_lo, s41
	v_mov_b32_e32 v11, 0
	s_waitcnt lgkmcnt(2)
	v_mov_b32_e32 v9, 0
	v_mov_b32_e32 v12, 0
	;; [unrolled: 1-line block ×3, first 2 shown]
	s_waitcnt lgkmcnt(0)
	s_barrier
	buffer_gl0_inv
	s_and_saveexec_b32 s41, s5
	s_cbranch_execnz .LBB353_49
; %bb.26:                               ;   in Loop: Header=BB353_13 Depth=1
	s_or_b32 exec_lo, exec_lo, s41
	s_and_saveexec_b32 s41, s4
	s_cbranch_execnz .LBB353_50
.LBB353_27:                             ;   in Loop: Header=BB353_13 Depth=1
	s_or_b32 exec_lo, exec_lo, s41
	s_and_saveexec_b32 s41, s4
	s_cbranch_execz .LBB353_29
.LBB353_28:                             ;   in Loop: Header=BB353_13 Depth=1
	v_mov_b32_e32 v2, v1
	v_mov_b32_e32 v3, v1
	;; [unrolled: 1-line block ×3, first 2 shown]
	ds_write_b128 v56, v[1:4]
.LBB353_29:                             ;   in Loop: Header=BB353_13 Depth=1
	s_or_b32 exec_lo, exec_lo, s41
	ds_bpermute_b32 v2, v51, v13
	ds_bpermute_b32 v3, v51, v14
	;; [unrolled: 1-line block ×4, first 2 shown]
	s_waitcnt lgkmcnt(0)
	s_barrier
	buffer_gl0_inv
	v_add_f64 v[2:3], v[13:14], v[2:3]
	v_add_f64 v[13:14], v[15:16], v[36:37]
	ds_bpermute_b32 v15, v52, v2
	ds_bpermute_b32 v16, v52, v3
	ds_bpermute_b32 v36, v52, v13
	ds_bpermute_b32 v37, v52, v14
	s_waitcnt lgkmcnt(2)
	v_add_f64 v[2:3], v[2:3], v[15:16]
	s_waitcnt lgkmcnt(0)
	v_add_f64 v[13:14], v[13:14], v[36:37]
	ds_bpermute_b32 v15, v53, v2
	ds_bpermute_b32 v16, v53, v3
	ds_bpermute_b32 v36, v53, v13
	ds_bpermute_b32 v37, v53, v14
	s_waitcnt lgkmcnt(2)
	v_add_f64 v[2:3], v[2:3], v[15:16]
	s_waitcnt lgkmcnt(0)
	;; [unrolled: 8-line block ×3, first 2 shown]
	v_add_f64 v[15:16], v[13:14], v[36:37]
	ds_bpermute_b32 v13, v55, v2
	ds_bpermute_b32 v14, v55, v3
	;; [unrolled: 1-line block ×4, first 2 shown]
	s_and_saveexec_b32 s41, s10
	s_cbranch_execz .LBB353_31
; %bb.30:                               ;   in Loop: Header=BB353_13 Depth=1
	s_waitcnt lgkmcnt(0)
	v_add_f64 v[15:16], v[15:16], v[36:37]
	v_add_f64 v[13:14], v[2:3], v[13:14]
	ds_write_b128 v57, v[13:16]
.LBB353_31:                             ;   in Loop: Header=BB353_13 Depth=1
	s_or_b32 exec_lo, exec_lo, s41
	v_mov_b32_e32 v15, 0
	s_waitcnt lgkmcnt(2)
	v_mov_b32_e32 v13, 0
	v_mov_b32_e32 v16, 0
	;; [unrolled: 1-line block ×3, first 2 shown]
	s_waitcnt lgkmcnt(0)
	s_barrier
	buffer_gl0_inv
	s_and_saveexec_b32 s41, s5
	s_cbranch_execnz .LBB353_51
; %bb.32:                               ;   in Loop: Header=BB353_13 Depth=1
	s_or_b32 exec_lo, exec_lo, s41
	s_and_saveexec_b32 s41, s4
	s_cbranch_execnz .LBB353_52
.LBB353_33:                             ;   in Loop: Header=BB353_13 Depth=1
	s_or_b32 exec_lo, exec_lo, s41
	s_and_saveexec_b32 s41, s4
	s_cbranch_execz .LBB353_35
.LBB353_34:                             ;   in Loop: Header=BB353_13 Depth=1
	v_mov_b32_e32 v2, v1
	v_mov_b32_e32 v3, v1
	;; [unrolled: 1-line block ×3, first 2 shown]
	ds_write_b128 v56, v[1:4]
.LBB353_35:                             ;   in Loop: Header=BB353_13 Depth=1
	s_or_b32 exec_lo, exec_lo, s41
	ds_bpermute_b32 v2, v51, v17
	ds_bpermute_b32 v3, v51, v18
	;; [unrolled: 1-line block ×4, first 2 shown]
	s_waitcnt lgkmcnt(0)
	s_barrier
	buffer_gl0_inv
	v_add_f64 v[2:3], v[17:18], v[2:3]
	v_add_f64 v[17:18], v[19:20], v[36:37]
	ds_bpermute_b32 v19, v52, v2
	ds_bpermute_b32 v20, v52, v3
	ds_bpermute_b32 v36, v52, v17
	ds_bpermute_b32 v37, v52, v18
	s_waitcnt lgkmcnt(2)
	v_add_f64 v[2:3], v[2:3], v[19:20]
	s_waitcnt lgkmcnt(0)
	v_add_f64 v[17:18], v[17:18], v[36:37]
	ds_bpermute_b32 v19, v53, v2
	ds_bpermute_b32 v20, v53, v3
	ds_bpermute_b32 v36, v53, v17
	ds_bpermute_b32 v37, v53, v18
	s_waitcnt lgkmcnt(2)
	v_add_f64 v[2:3], v[2:3], v[19:20]
	s_waitcnt lgkmcnt(0)
	;; [unrolled: 8-line block ×3, first 2 shown]
	v_add_f64 v[19:20], v[17:18], v[36:37]
	ds_bpermute_b32 v17, v55, v2
	ds_bpermute_b32 v18, v55, v3
	;; [unrolled: 1-line block ×4, first 2 shown]
	s_and_saveexec_b32 s41, s10
	s_cbranch_execz .LBB353_37
; %bb.36:                               ;   in Loop: Header=BB353_13 Depth=1
	s_waitcnt lgkmcnt(0)
	v_add_f64 v[19:20], v[19:20], v[36:37]
	v_add_f64 v[17:18], v[2:3], v[17:18]
	ds_write_b128 v57, v[17:20]
.LBB353_37:                             ;   in Loop: Header=BB353_13 Depth=1
	s_or_b32 exec_lo, exec_lo, s41
	v_mov_b32_e32 v19, 0
	s_waitcnt lgkmcnt(2)
	v_mov_b32_e32 v17, 0
	v_mov_b32_e32 v20, 0
	;; [unrolled: 1-line block ×3, first 2 shown]
	s_waitcnt lgkmcnt(0)
	s_barrier
	buffer_gl0_inv
	s_and_saveexec_b32 s41, s5
	s_cbranch_execnz .LBB353_53
; %bb.38:                               ;   in Loop: Header=BB353_13 Depth=1
	s_or_b32 exec_lo, exec_lo, s41
	s_and_saveexec_b32 s41, s4
	s_cbranch_execnz .LBB353_54
.LBB353_39:                             ;   in Loop: Header=BB353_13 Depth=1
	s_or_b32 exec_lo, exec_lo, s41
	s_and_saveexec_b32 s41, s11
	s_cbranch_execz .LBB353_12
	s_branch .LBB353_55
.LBB353_40:                             ;   in Loop: Header=BB353_13 Depth=1
	flat_load_dwordx4 v[8:11], v[26:27]
	s_mul_i32 s42, s7, s21
	s_mul_hi_u32 s43, s7, s20
	s_waitcnt vmcnt(0) lgkmcnt(0)
	buffer_store_dword v11, off, s[0:3], 0 offset:12
	buffer_store_dword v10, off, s[0:3], 0 offset:8
	;; [unrolled: 1-line block ×3, first 2 shown]
	buffer_store_dword v8, off, s[0:3], 0
	flat_load_dwordx4 v[2:5], v[28:29]
	s_add_i32 s43, s43, s42
	s_mul_i32 s42, s7, s20
	s_waitcnt vmcnt(0) lgkmcnt(0)
	buffer_store_dword v5, v40, s[0:3], 0 offen offset:12
	buffer_store_dword v4, v40, s[0:3], 0 offen offset:8
	buffer_store_dword v3, v40, s[0:3], 0 offen offset:4
	buffer_store_dword v2, v40, s[0:3], 0 offen
	flat_load_dwordx4 v[2:5], v[30:31]
	s_lshl_b64 s[42:43], s[42:43], 4
	s_waitcnt vmcnt(0) lgkmcnt(0)
	buffer_store_dword v5, v41, s[0:3], 0 offen offset:12
	buffer_store_dword v4, v41, s[0:3], 0 offen offset:8
	;; [unrolled: 1-line block ×3, first 2 shown]
	buffer_store_dword v2, v41, s[0:3], 0 offen
	flat_load_dwordx4 v[2:5], v[32:33]
	s_waitcnt vmcnt(0) lgkmcnt(0)
	buffer_store_dword v5, v42, s[0:3], 0 offen offset:12
	buffer_store_dword v4, v42, s[0:3], 0 offen offset:8
	;; [unrolled: 1-line block ×3, first 2 shown]
	buffer_store_dword v2, v42, s[0:3], 0 offen
	v_add_co_u32 v2, vcc_lo, v21, s42
	v_add_co_ci_u32_e64 v3, null, s43, v22, vcc_lo
	s_or_b32 s42, s7, 1
	s_mul_i32 s43, s42, s21
	flat_load_dwordx4 v[4:7], v[2:3]
	s_mul_hi_u32 s44, s42, s20
	s_mul_i32 s42, s42, s20
	s_add_i32 s43, s44, s43
	s_lshl_b64 s[42:43], s[42:43], 4
	s_waitcnt vmcnt(0) lgkmcnt(0)
	v_mul_f64 v[12:13], v[10:11], v[6:7]
	v_mul_f64 v[6:7], v[8:9], v[6:7]
	v_fma_f64 v[12:13], v[8:9], v[4:5], -v[12:13]
	v_fma_f64 v[4:5], v[10:11], v[4:5], v[6:7]
	v_add_f64 v[19:20], v[12:13], 0
	v_add_f64 v[36:37], v[4:5], 0
	v_add_co_u32 v4, vcc_lo, v21, s42
	v_add_co_ci_u32_e64 v5, null, s43, v22, vcc_lo
	s_or_b32 s42, s7, 2
	s_mul_i32 s43, s42, s21
	flat_load_dwordx4 v[12:15], v[4:5]
	s_mul_hi_u32 s44, s42, s20
	s_mul_i32 s42, s42, s20
	s_add_i32 s43, s44, s43
	s_lshl_b64 s[42:43], s[42:43], 4
	s_waitcnt vmcnt(0) lgkmcnt(0)
	v_mul_f64 v[6:7], v[10:11], v[14:15]
	v_mul_f64 v[14:15], v[8:9], v[14:15]
	v_fma_f64 v[6:7], v[8:9], v[12:13], -v[6:7]
	v_fma_f64 v[12:13], v[10:11], v[12:13], v[14:15]
	v_add_f64 v[38:39], v[6:7], 0
	v_add_co_u32 v6, vcc_lo, v21, s42
	v_add_co_ci_u32_e64 v7, null, s43, v22, vcc_lo
	v_add_f64 v[58:59], v[12:13], 0
	s_or_b32 s42, s7, 3
	flat_load_dwordx4 v[12:15], v[6:7]
	s_mul_i32 s43, s42, s21
	s_mul_hi_u32 s44, s42, s20
	s_mul_i32 s42, s42, s20
	s_add_i32 s43, s44, s43
	s_lshl_b64 s[42:43], s[42:43], 4
	s_waitcnt vmcnt(0) lgkmcnt(0)
	v_mul_f64 v[16:17], v[10:11], v[14:15]
	v_mul_f64 v[14:15], v[8:9], v[14:15]
	v_fma_f64 v[16:17], v[8:9], v[12:13], -v[16:17]
	v_fma_f64 v[12:13], v[10:11], v[12:13], v[14:15]
	v_add_f64 v[60:61], v[16:17], 0
	v_add_co_u32 v17, vcc_lo, v21, s42
	v_add_co_ci_u32_e64 v18, null, s43, v22, vcc_lo
	v_add_f64 v[62:63], v[12:13], 0
	flat_load_dwordx4 v[12:15], v[17:18]
	s_waitcnt vmcnt(0) lgkmcnt(0)
	v_mul_f64 v[64:65], v[10:11], v[14:15]
	v_fma_f64 v[64:65], v[8:9], v[12:13], -v[64:65]
	v_mul_f64 v[8:9], v[8:9], v[14:15]
	v_fma_f64 v[8:9], v[10:11], v[12:13], v[8:9]
	v_add_f64 v[12:13], v[64:65], 0
	s_clause 0x3
	buffer_load_dword v64, off, s[0:3], 0 offset:16
	buffer_load_dword v65, off, s[0:3], 0 offset:20
	buffer_load_dword v67, off, s[0:3], 0 offset:28
	buffer_load_dword v66, off, s[0:3], 0 offset:24
	v_add_f64 v[14:15], v[8:9], 0
	flat_load_dwordx4 v[8:11], v[2:3] offset:16
	s_waitcnt vmcnt(0) lgkmcnt(0)
	v_mul_f64 v[68:69], v[66:67], v[10:11]
	v_mul_f64 v[10:11], v[64:65], v[10:11]
	v_fma_f64 v[68:69], v[64:65], v[8:9], -v[68:69]
	v_fma_f64 v[8:9], v[66:67], v[8:9], v[10:11]
	v_add_f64 v[19:20], v[19:20], v[68:69]
	v_add_f64 v[36:37], v[36:37], v[8:9]
	flat_load_dwordx4 v[8:11], v[4:5] offset:16
	s_waitcnt vmcnt(0) lgkmcnt(0)
	v_mul_f64 v[68:69], v[66:67], v[10:11]
	v_mul_f64 v[10:11], v[64:65], v[10:11]
	v_fma_f64 v[68:69], v[64:65], v[8:9], -v[68:69]
	v_fma_f64 v[8:9], v[66:67], v[8:9], v[10:11]
	v_add_f64 v[38:39], v[38:39], v[68:69]
	;; [unrolled: 8-line block ×3, first 2 shown]
	v_add_f64 v[62:63], v[62:63], v[8:9]
	flat_load_dwordx4 v[8:11], v[17:18] offset:16
	s_waitcnt vmcnt(0) lgkmcnt(0)
	v_mul_f64 v[68:69], v[66:67], v[10:11]
	v_mul_f64 v[10:11], v[64:65], v[10:11]
	v_fma_f64 v[68:69], v[64:65], v[8:9], -v[68:69]
	v_fma_f64 v[8:9], v[66:67], v[8:9], v[10:11]
	s_clause 0x3
	buffer_load_dword v64, off, s[0:3], 0 offset:32
	buffer_load_dword v65, off, s[0:3], 0 offset:36
	;; [unrolled: 1-line block ×4, first 2 shown]
	v_add_f64 v[12:13], v[12:13], v[68:69]
	v_add_f64 v[14:15], v[14:15], v[8:9]
	flat_load_dwordx4 v[8:11], v[2:3] offset:32
	s_waitcnt vmcnt(0) lgkmcnt(0)
	v_mul_f64 v[68:69], v[66:67], v[10:11]
	v_mul_f64 v[10:11], v[64:65], v[10:11]
	v_fma_f64 v[68:69], v[64:65], v[8:9], -v[68:69]
	v_fma_f64 v[8:9], v[66:67], v[8:9], v[10:11]
	v_add_f64 v[19:20], v[19:20], v[68:69]
	v_add_f64 v[36:37], v[36:37], v[8:9]
	flat_load_dwordx4 v[8:11], v[4:5] offset:32
	s_waitcnt vmcnt(0) lgkmcnt(0)
	v_mul_f64 v[68:69], v[66:67], v[10:11]
	v_mul_f64 v[10:11], v[64:65], v[10:11]
	v_fma_f64 v[68:69], v[64:65], v[8:9], -v[68:69]
	v_fma_f64 v[8:9], v[66:67], v[8:9], v[10:11]
	;; [unrolled: 8-line block ×3, first 2 shown]
	v_add_f64 v[60:61], v[60:61], v[38:39]
	v_add_f64 v[62:63], v[62:63], v[8:9]
	flat_load_dwordx4 v[8:11], v[17:18] offset:32
	s_clause 0x3
	buffer_load_dword v70, off, s[0:3], 0 offset:48
	buffer_load_dword v71, off, s[0:3], 0 offset:52
	;; [unrolled: 1-line block ×4, first 2 shown]
	s_waitcnt vmcnt(4) lgkmcnt(0)
	v_mul_f64 v[38:39], v[66:67], v[10:11]
	v_mul_f64 v[10:11], v[64:65], v[10:11]
	v_fma_f64 v[38:39], v[64:65], v[8:9], -v[38:39]
	v_fma_f64 v[8:9], v[66:67], v[8:9], v[10:11]
	v_add_f64 v[64:65], v[12:13], v[38:39]
	v_add_f64 v[66:67], v[14:15], v[8:9]
	flat_load_dwordx4 v[8:11], v[2:3] offset:48
	s_waitcnt vmcnt(0) lgkmcnt(0)
	v_mul_f64 v[2:3], v[72:73], v[10:11]
	v_mul_f64 v[10:11], v[70:71], v[10:11]
	v_fma_f64 v[2:3], v[70:71], v[8:9], -v[2:3]
	v_fma_f64 v[8:9], v[72:73], v[8:9], v[10:11]
	v_add_f64 v[38:39], v[19:20], v[2:3]
	flat_load_dwordx4 v[2:5], v[4:5] offset:48
	v_add_f64 v[36:37], v[36:37], v[8:9]
	s_waitcnt vmcnt(0) lgkmcnt(0)
	v_mul_f64 v[8:9], v[72:73], v[4:5]
	v_mul_f64 v[4:5], v[70:71], v[4:5]
	v_fma_f64 v[8:9], v[70:71], v[2:3], -v[8:9]
	v_fma_f64 v[2:3], v[72:73], v[2:3], v[4:5]
	v_add_f64 v[9:10], v[68:69], v[8:9]
	v_add_f64 v[11:12], v[58:59], v[2:3]
	flat_load_dwordx4 v[2:5], v[6:7] offset:48
	s_waitcnt vmcnt(0) lgkmcnt(0)
	v_mul_f64 v[6:7], v[72:73], v[4:5]
	v_mul_f64 v[4:5], v[70:71], v[4:5]
	v_fma_f64 v[6:7], v[70:71], v[2:3], -v[6:7]
	v_fma_f64 v[2:3], v[72:73], v[2:3], v[4:5]
	v_add_f64 v[13:14], v[60:61], v[6:7]
	v_add_f64 v[15:16], v[62:63], v[2:3]
	flat_load_dwordx4 v[2:5], v[17:18] offset:48
	s_waitcnt vmcnt(0) lgkmcnt(0)
	v_mul_f64 v[6:7], v[72:73], v[4:5]
	v_mul_f64 v[4:5], v[70:71], v[4:5]
	v_fma_f64 v[6:7], v[70:71], v[2:3], -v[6:7]
	v_fma_f64 v[2:3], v[72:73], v[2:3], v[4:5]
	v_add_f64 v[17:18], v[64:65], v[6:7]
	v_add_f64 v[19:20], v[66:67], v[2:3]
	s_andn2_saveexec_b32 s41, s41
	s_cbranch_execz .LBB353_15
.LBB353_41:                             ;   in Loop: Header=BB353_13 Depth=1
	s_waitcnt lgkmcnt(0)
	v_mov_b32_e32 v17, 0
	v_mov_b32_e32 v19, 0
	;; [unrolled: 1-line block ×16, first 2 shown]
	s_and_saveexec_b32 s42, s9
	s_cbranch_execz .LBB353_57
; %bb.42:                               ;   in Loop: Header=BB353_13 Depth=1
	s_andn2_b32 vcc_lo, exec_lo, s38
	s_cbranch_vccnz .LBB353_56
; %bb.43:                               ;   in Loop: Header=BB353_13 Depth=1
	v_mov_b32_e32 v2, v26
	v_mov_b32_e32 v3, v27
	s_mov_b32 s43, 0
	s_mov_b32 s44, s15
	.p2align	6
.LBB353_44:                             ;   Parent Loop BB353_13 Depth=1
                                        ; =>  This Inner Loop Header: Depth=2
	flat_load_dwordx4 v[4:7], v[2:3]
	v_add_co_u32 v2, vcc_lo, v2, s28
	v_mov_b32_e32 v8, s43
	v_add_co_ci_u32_e64 v3, null, s29, v3, vcc_lo
	s_add_i32 s44, s44, -1
	s_add_i32 s43, s43, 16
	s_cmp_eq_u32 s44, 0
	s_waitcnt vmcnt(0) lgkmcnt(0)
	buffer_store_dword v7, v8, s[0:3], 0 offen offset:12
	buffer_store_dword v6, v8, s[0:3], 0 offen offset:8
	;; [unrolled: 1-line block ×3, first 2 shown]
	buffer_store_dword v4, v8, s[0:3], 0 offen
	s_cbranch_scc0 .LBB353_44
; %bb.45:                               ;   in Loop: Header=BB353_13 Depth=1
	v_mov_b32_e32 v36, 0
	v_mov_b32_e32 v38, 0
	;; [unrolled: 1-line block ×18, first 2 shown]
	s_mov_b32 s43, 0
	s_mov_b32 s44, s15
.LBB353_46:                             ;   Parent Loop BB353_13 Depth=1
                                        ; =>  This Inner Loop Header: Depth=2
	v_mov_b32_e32 v4, s43
	s_add_i32 s44, s44, -1
	s_add_i32 s43, s43, 16
	s_cmp_lg_u32 s44, 0
	s_clause 0x3
	buffer_load_dword v58, v4, s[0:3], 0 offen
	buffer_load_dword v59, v4, s[0:3], 0 offen offset:4
	buffer_load_dword v60, v4, s[0:3], 0 offen offset:8
	;; [unrolled: 1-line block ×3, first 2 shown]
	flat_load_dwordx4 v[4:7], v[2:3]
	s_waitcnt vmcnt(0) lgkmcnt(0)
	v_mul_f64 v[62:63], v[60:61], v[6:7]
	v_mul_f64 v[6:7], v[58:59], v[6:7]
	v_fma_f64 v[62:63], v[58:59], v[4:5], -v[62:63]
	v_fma_f64 v[4:5], v[60:61], v[4:5], v[6:7]
	v_add_f64 v[38:39], v[38:39], v[62:63]
	v_add_co_u32 v62, vcc_lo, v2, s34
	v_add_co_ci_u32_e64 v63, null, s35, v3, vcc_lo
	v_add_f64 v[36:37], v[36:37], v[4:5]
	flat_load_dwordx4 v[4:7], v[62:63]
	v_add_co_u32 v62, vcc_lo, v62, s34
	v_add_co_ci_u32_e64 v63, null, s35, v63, vcc_lo
	s_waitcnt vmcnt(0) lgkmcnt(0)
	v_mul_f64 v[64:65], v[60:61], v[6:7]
	v_mul_f64 v[6:7], v[58:59], v[6:7]
	v_fma_f64 v[64:65], v[58:59], v[4:5], -v[64:65]
	v_fma_f64 v[4:5], v[60:61], v[4:5], v[6:7]
	v_add_f64 v[9:10], v[9:10], v[64:65]
	v_add_f64 v[11:12], v[11:12], v[4:5]
	flat_load_dwordx4 v[4:7], v[62:63]
	s_waitcnt vmcnt(0) lgkmcnt(0)
	v_mul_f64 v[64:65], v[60:61], v[6:7]
	v_mul_f64 v[6:7], v[58:59], v[6:7]
	v_fma_f64 v[64:65], v[58:59], v[4:5], -v[64:65]
	v_fma_f64 v[4:5], v[60:61], v[4:5], v[6:7]
	v_add_f64 v[13:14], v[13:14], v[64:65]
	v_add_f64 v[15:16], v[15:16], v[4:5]
	v_add_co_u32 v4, vcc_lo, v62, s34
	v_add_co_ci_u32_e64 v5, null, s35, v63, vcc_lo
	v_add_co_u32 v2, vcc_lo, v2, 16
	v_add_co_ci_u32_e64 v3, null, 0, v3, vcc_lo
	flat_load_dwordx4 v[4:7], v[4:5]
	s_waitcnt vmcnt(0) lgkmcnt(0)
	v_mul_f64 v[62:63], v[60:61], v[6:7]
	v_mul_f64 v[6:7], v[58:59], v[6:7]
	v_fma_f64 v[62:63], v[58:59], v[4:5], -v[62:63]
	v_fma_f64 v[4:5], v[60:61], v[4:5], v[6:7]
	v_add_f64 v[17:18], v[17:18], v[62:63]
	v_add_f64 v[19:20], v[19:20], v[4:5]
	s_cbranch_scc1 .LBB353_46
	s_branch .LBB353_57
.LBB353_47:                             ;   in Loop: Header=BB353_13 Depth=1
	ds_read_b128 v[5:8], v56
	s_or_b32 exec_lo, exec_lo, s41
	s_and_saveexec_b32 s41, s4
	s_cbranch_execz .LBB353_21
.LBB353_48:                             ;   in Loop: Header=BB353_13 Depth=1
	s_waitcnt lgkmcnt(0)
	ds_bpermute_b32 v2, v53, v5
	ds_bpermute_b32 v3, v53, v6
	ds_bpermute_b32 v36, v53, v7
	ds_bpermute_b32 v37, v53, v8
	s_waitcnt lgkmcnt(2)
	v_add_f64 v[2:3], v[5:6], v[2:3]
	s_waitcnt lgkmcnt(0)
	v_add_f64 v[4:5], v[7:8], v[36:37]
	ds_bpermute_b32 v6, v54, v2
	ds_bpermute_b32 v7, v54, v3
	ds_bpermute_b32 v36, v54, v4
	ds_bpermute_b32 v37, v54, v5
	s_waitcnt lgkmcnt(2)
	v_add_f64 v[2:3], v[2:3], v[6:7]
	s_waitcnt lgkmcnt(0)
	v_add_f64 v[7:8], v[4:5], v[36:37]
	;; [unrolled: 8-line block ×3, first 2 shown]
	s_or_b32 exec_lo, exec_lo, s41
	s_and_saveexec_b32 s41, s4
	s_cbranch_execnz .LBB353_22
	s_branch .LBB353_23
.LBB353_49:                             ;   in Loop: Header=BB353_13 Depth=1
	ds_read_b128 v[9:12], v56
	s_or_b32 exec_lo, exec_lo, s41
	s_and_saveexec_b32 s41, s4
	s_cbranch_execz .LBB353_27
.LBB353_50:                             ;   in Loop: Header=BB353_13 Depth=1
	s_waitcnt lgkmcnt(0)
	ds_bpermute_b32 v2, v53, v9
	ds_bpermute_b32 v3, v53, v10
	ds_bpermute_b32 v36, v53, v11
	ds_bpermute_b32 v37, v53, v12
	s_waitcnt lgkmcnt(2)
	v_add_f64 v[2:3], v[9:10], v[2:3]
	s_waitcnt lgkmcnt(0)
	v_add_f64 v[9:10], v[11:12], v[36:37]
	ds_bpermute_b32 v11, v54, v2
	ds_bpermute_b32 v12, v54, v3
	ds_bpermute_b32 v36, v54, v9
	ds_bpermute_b32 v37, v54, v10
	s_waitcnt lgkmcnt(2)
	v_add_f64 v[2:3], v[2:3], v[11:12]
	s_waitcnt lgkmcnt(0)
	v_add_f64 v[11:12], v[9:10], v[36:37]
	;; [unrolled: 8-line block ×3, first 2 shown]
	s_or_b32 exec_lo, exec_lo, s41
	s_and_saveexec_b32 s41, s4
	s_cbranch_execnz .LBB353_28
	s_branch .LBB353_29
.LBB353_51:                             ;   in Loop: Header=BB353_13 Depth=1
	ds_read_b128 v[13:16], v56
	s_or_b32 exec_lo, exec_lo, s41
	s_and_saveexec_b32 s41, s4
	s_cbranch_execz .LBB353_33
.LBB353_52:                             ;   in Loop: Header=BB353_13 Depth=1
	s_waitcnt lgkmcnt(0)
	ds_bpermute_b32 v2, v53, v13
	ds_bpermute_b32 v3, v53, v14
	ds_bpermute_b32 v36, v53, v15
	ds_bpermute_b32 v37, v53, v16
	s_waitcnt lgkmcnt(2)
	v_add_f64 v[2:3], v[13:14], v[2:3]
	s_waitcnt lgkmcnt(0)
	v_add_f64 v[13:14], v[15:16], v[36:37]
	ds_bpermute_b32 v15, v54, v2
	ds_bpermute_b32 v16, v54, v3
	ds_bpermute_b32 v36, v54, v13
	ds_bpermute_b32 v37, v54, v14
	s_waitcnt lgkmcnt(2)
	v_add_f64 v[2:3], v[2:3], v[15:16]
	s_waitcnt lgkmcnt(0)
	v_add_f64 v[15:16], v[13:14], v[36:37]
	ds_bpermute_b32 v13, v55, v2
	ds_bpermute_b32 v14, v55, v3
	ds_bpermute_b32 v36, v55, v15
	ds_bpermute_b32 v37, v55, v16
	s_waitcnt lgkmcnt(2)
	v_add_f64 v[13:14], v[2:3], v[13:14]
	s_waitcnt lgkmcnt(0)
	v_add_f64 v[15:16], v[15:16], v[36:37]
	s_or_b32 exec_lo, exec_lo, s41
	s_and_saveexec_b32 s41, s4
	s_cbranch_execnz .LBB353_34
	s_branch .LBB353_35
.LBB353_53:                             ;   in Loop: Header=BB353_13 Depth=1
	ds_read_b128 v[17:20], v56
	s_or_b32 exec_lo, exec_lo, s41
	s_and_saveexec_b32 s41, s4
	s_cbranch_execz .LBB353_39
.LBB353_54:                             ;   in Loop: Header=BB353_13 Depth=1
	s_waitcnt lgkmcnt(0)
	ds_bpermute_b32 v2, v53, v17
	ds_bpermute_b32 v3, v53, v18
	ds_bpermute_b32 v36, v53, v19
	ds_bpermute_b32 v37, v53, v20
	s_waitcnt lgkmcnt(2)
	v_add_f64 v[2:3], v[17:18], v[2:3]
	s_waitcnt lgkmcnt(0)
	v_add_f64 v[17:18], v[19:20], v[36:37]
	ds_bpermute_b32 v19, v54, v2
	ds_bpermute_b32 v20, v54, v3
	ds_bpermute_b32 v36, v54, v17
	ds_bpermute_b32 v37, v54, v18
	s_waitcnt lgkmcnt(2)
	v_add_f64 v[2:3], v[2:3], v[19:20]
	s_waitcnt lgkmcnt(0)
	v_add_f64 v[19:20], v[17:18], v[36:37]
	;; [unrolled: 8-line block ×3, first 2 shown]
	s_or_b32 exec_lo, exec_lo, s41
	s_and_saveexec_b32 s41, s11
	s_cbranch_execz .LBB353_12
.LBB353_55:                             ;   in Loop: Header=BB353_13 Depth=1
	v_mul_f64 v[2:3], s[18:19], v[7:8]
	v_mul_f64 v[7:8], s[16:17], v[7:8]
	;; [unrolled: 1-line block ×6, first 2 shown]
	s_waitcnt lgkmcnt(0)
	v_mul_f64 v[58:59], s[18:19], v[19:20]
	v_mul_f64 v[19:20], s[16:17], v[19:20]
	s_mul_hi_u32 s43, s7, s14
	s_mul_i32 s42, s7, s14
	s_lshl_b64 s[42:43], s[42:43], 4
	s_add_u32 s42, s39, s42
	s_addc_u32 s43, s40, s43
	s_or_b32 s44, s7, 1
	s_mul_hi_u32 s45, s44, s14
	s_mul_i32 s44, s44, s14
	s_lshl_b64 s[44:45], s[44:45], 4
	s_add_u32 s44, s39, s44
	v_fma_f64 v[2:3], s[16:17], v[5:6], -v[2:3]
	v_fma_f64 v[4:5], s[18:19], v[5:6], v[7:8]
	v_fma_f64 v[6:7], s[16:17], v[9:10], -v[36:37]
	v_fma_f64 v[8:9], s[18:19], v[9:10], v[11:12]
	;; [unrolled: 2-line block ×4, first 2 shown]
	s_addc_u32 s45, s40, s45
	s_or_b32 s46, s7, 2
	s_mul_hi_u32 s47, s46, s14
	s_mul_i32 s46, s46, s14
	s_lshl_b64 s[46:47], s[46:47], 4
	s_add_u32 s46, s39, s46
	s_addc_u32 s47, s40, s47
	s_or_b32 s48, s7, 3
	s_mul_hi_u32 s49, s48, s14
	s_mul_i32 s48, s48, s14
	s_lshl_b64 s[48:49], s[48:49], 4
	s_add_u32 s48, s39, s48
	s_addc_u32 s49, s40, s49
	global_store_dwordx4 v1, v[2:5], s[42:43]
	global_store_dwordx4 v1, v[6:9], s[44:45]
	;; [unrolled: 1-line block ×4, first 2 shown]
	s_branch .LBB353_12
.LBB353_56:                             ;   in Loop: Header=BB353_13 Depth=1
	v_mov_b32_e32 v17, 0
	v_mov_b32_e32 v19, 0
	;; [unrolled: 1-line block ×16, first 2 shown]
.LBB353_57:                             ;   in Loop: Header=BB353_13 Depth=1
	s_or_b32 exec_lo, exec_lo, s42
	s_or_b32 exec_lo, exec_lo, s41
	s_and_saveexec_b32 s41, s4
	s_cbranch_execnz .LBB353_16
	s_branch .LBB353_17
.LBB353_58:
	s_mov_b32 s7, 0
.LBB353_59:
	s_cmp_ge_i32 s7, s13
	s_cbranch_scc1 .LBB353_81
; %bb.60:
	v_cmp_gt_u32_e64 s5, 24, v47
	v_cmp_gt_u32_e64 s4, 32, v0
	;; [unrolled: 1-line block ×3, first 2 shown]
	s_mov_b32 s10, s6
	v_cmp_eq_u32_e64 s6, 0, v0
	v_cndmask_b32_e64 v1, 0, 8, s5
	v_cmp_gt_u32_e64 s5, 28, v47
	v_mad_i64_i32 v[7:8], null, s26, v44, 0
	s_cmp_gt_i32 s15, 0
	v_add_lshl_u32 v26, v1, v47, 2
	v_cndmask_b32_e64 v2, 0, 4, s5
	v_cmp_gt_u32_e64 s5, 30, v47
	s_mov_b32 s11, 0
	v_mad_i64_i32 v[9:10], null, s26, v43, 0
	v_add_lshl_u32 v27, v2, v47, 2
	v_cndmask_b32_e64 v3, 0, 2, s5
	v_cmp_ne_u32_e64 s5, 31, v47
	v_mad_i64_i32 v[1:2], null, s26, v25, 0
	s_cselect_b32 s29, -1, 0
	v_add_lshl_u32 v28, v3, v47, 2
	v_add_co_ci_u32_e64 v4, null, 0, v47, s5
	s_lshl_b64 s[10:11], s[10:11], 4
	v_cmp_ge_i32_e32 vcc_lo, s12, v49
	v_lshlrev_b64 v[0:1], 4, v[1:2]
	v_lshlrev_b32_e32 v29, 2, v4
	v_mad_i64_i32 v[3:4], null, s26, v48, 0
	v_cmp_ge_i32_e64 s9, s12, v50
	s_add_u32 s12, s33, s10
	v_add_co_u32 v5, s10, s24, v0
	v_add_co_ci_u32_e64 v6, null, s25, v1, s10
	v_lshlrev_b64 v[2:3], 4, v[3:4]
	v_lshlrev_b64 v[0:1], 4, v[7:8]
	s_addc_u32 s28, s36, s11
	s_mul_i32 s11, s21, s7
	s_mul_hi_u32 s30, s20, s7
	s_waitcnt lgkmcnt(0)
	v_lshlrev_b32_e32 v19, 4, v45
	v_add_co_u32 v7, s10, s24, v2
	v_add_co_ci_u32_e64 v8, null, s25, v3, s10
	v_lshlrev_b64 v[2:3], 4, v[9:10]
	v_add_co_u32 v9, s10, s24, v0
	v_add_co_ci_u32_e64 v10, null, s25, v1, s10
	s_add_i32 s11, s30, s11
	v_add_co_u32 v11, s10, s24, v2
	v_add_co_ci_u32_e64 v12, null, s25, v3, s10
	s_mul_i32 s10, s20, s7
	s_and_b32 s24, s29, s9
	s_lshl_b64 s[30:31], s[10:11], 4
	s_lshl_b64 s[10:11], s[26:27], 4
	s_add_u32 s9, s22, s30
	s_addc_u32 s22, s23, s31
	v_add_co_u32 v13, s9, s9, v23
	v_lshl_or_b32 v20, v47, 2, 64
	v_cmp_eq_u32_e64 s5, 0, v45
	v_and_b32_e32 v30, 0x70, v46
	v_add_co_ci_u32_e64 v14, null, s22, v24, s9
	v_mov_b32_e32 v0, 0
	s_lshl_b64 s[22:23], s[20:21], 4
	s_branch .LBB353_62
.LBB353_61:                             ;   in Loop: Header=BB353_62 Depth=1
	s_or_b32 exec_lo, exec_lo, s9
	v_add_co_u32 v13, s9, v13, s22
	v_add_co_ci_u32_e64 v14, null, s23, v14, s9
	s_add_i32 s7, s7, 1
	s_cmp_lt_i32 s7, s13
	s_cbranch_scc0 .LBB353_81
.LBB353_62:                             ; =>This Loop Header: Depth=1
                                        ;     Child Loop BB353_74 Depth 2
                                        ;     Child Loop BB353_76 Depth 2
                                        ; implicit-def: $vgpr15_vgpr16
                                        ; implicit-def: $vgpr17_vgpr18
	s_and_saveexec_b32 s9, vcc_lo
	s_xor_b32 s25, exec_lo, s9
	s_cbranch_execnz .LBB353_71
; %bb.63:                               ;   in Loop: Header=BB353_62 Depth=1
	s_andn2_saveexec_b32 s25, s25
	s_cbranch_execnz .LBB353_72
.LBB353_64:                             ;   in Loop: Header=BB353_62 Depth=1
	s_or_b32 exec_lo, exec_lo, s25
	s_and_saveexec_b32 s9, s4
	s_cbranch_execz .LBB353_66
.LBB353_65:                             ;   in Loop: Header=BB353_62 Depth=1
	s_waitcnt lgkmcnt(0)
	v_mov_b32_e32 v1, v0
	v_mov_b32_e32 v2, v0
	;; [unrolled: 1-line block ×3, first 2 shown]
	ds_write_b128 v19, v[0:3]
.LBB353_66:                             ;   in Loop: Header=BB353_62 Depth=1
	s_or_b32 exec_lo, exec_lo, s9
	s_waitcnt lgkmcnt(0)
	ds_bpermute_b32 v1, v20, v15
	ds_bpermute_b32 v2, v20, v16
	;; [unrolled: 1-line block ×4, first 2 shown]
	s_waitcnt lgkmcnt(0)
	s_waitcnt_vscnt null, 0x0
	s_barrier
	buffer_gl0_inv
	v_add_f64 v[1:2], v[15:16], v[1:2]
	v_add_f64 v[3:4], v[17:18], v[3:4]
	ds_bpermute_b32 v15, v26, v1
	ds_bpermute_b32 v16, v26, v2
	ds_bpermute_b32 v17, v26, v3
	ds_bpermute_b32 v18, v26, v4
	s_waitcnt lgkmcnt(2)
	v_add_f64 v[1:2], v[1:2], v[15:16]
	s_waitcnt lgkmcnt(0)
	v_add_f64 v[3:4], v[3:4], v[17:18]
	ds_bpermute_b32 v15, v27, v1
	ds_bpermute_b32 v16, v27, v2
	ds_bpermute_b32 v17, v27, v3
	ds_bpermute_b32 v18, v27, v4
	s_waitcnt lgkmcnt(2)
	v_add_f64 v[1:2], v[1:2], v[15:16]
	s_waitcnt lgkmcnt(0)
	;; [unrolled: 8-line block ×3, first 2 shown]
	v_add_f64 v[15:16], v[3:4], v[17:18]
	ds_bpermute_b32 v3, v29, v1
	ds_bpermute_b32 v4, v29, v2
	ds_bpermute_b32 v17, v29, v15
	ds_bpermute_b32 v18, v29, v16
	s_and_saveexec_b32 s9, s5
	s_cbranch_execz .LBB353_68
; %bb.67:                               ;   in Loop: Header=BB353_62 Depth=1
	s_waitcnt lgkmcnt(0)
	v_add_f64 v[17:18], v[15:16], v[17:18]
	v_add_f64 v[15:16], v[1:2], v[3:4]
	ds_write_b128 v30, v[15:18]
.LBB353_68:                             ;   in Loop: Header=BB353_62 Depth=1
	s_or_b32 exec_lo, exec_lo, s9
	s_waitcnt lgkmcnt(2)
	v_mov_b32_e32 v3, 0
	v_mov_b32_e32 v1, 0
	;; [unrolled: 1-line block ×4, first 2 shown]
	s_waitcnt lgkmcnt(0)
	s_barrier
	buffer_gl0_inv
	s_and_saveexec_b32 s9, s8
	s_cbranch_execnz .LBB353_78
; %bb.69:                               ;   in Loop: Header=BB353_62 Depth=1
	s_or_b32 exec_lo, exec_lo, s9
	s_and_saveexec_b32 s9, s4
	s_cbranch_execnz .LBB353_79
.LBB353_70:                             ;   in Loop: Header=BB353_62 Depth=1
	s_or_b32 exec_lo, exec_lo, s9
	s_and_saveexec_b32 s9, s6
	s_cbranch_execz .LBB353_61
	s_branch .LBB353_80
.LBB353_71:                             ;   in Loop: Header=BB353_62 Depth=1
	s_waitcnt lgkmcnt(0)
	s_clause 0x2
	flat_load_dwordx4 v[1:4], v[7:8]
	flat_load_dwordx4 v[15:18], v[9:10]
	;; [unrolled: 1-line block ×3, first 2 shown]
	s_mul_i32 s9, s7, s21
	s_mul_hi_u32 s27, s7, s20
	s_mul_i32 s26, s7, s20
	s_add_i32 s27, s27, s9
	s_lshl_b64 s[26:27], s[26:27], 4
	v_add_co_u32 v23, s9, v21, s26
	v_add_co_ci_u32_e64 v24, null, s27, v22, s9
	flat_load_dwordx4 v[35:38], v[5:6]
	s_clause 0x1
	flat_load_dwordx4 v[43:46], v[23:24]
	flat_load_dwordx4 v[47:50], v[23:24] offset:16
	s_waitcnt vmcnt(5) lgkmcnt(5)
	buffer_store_dword v4, v40, s[0:3], 0 offen offset:12
	buffer_store_dword v3, v40, s[0:3], 0 offen offset:8
	s_waitcnt vmcnt(4) lgkmcnt(4)
	buffer_store_dword v18, v41, s[0:3], 0 offen offset:12
	buffer_store_dword v17, v41, s[0:3], 0 offen offset:8
	;; [unrolled: 1-line block ×3, first 2 shown]
	buffer_store_dword v15, v41, s[0:3], 0 offen
	s_clause 0x4
	buffer_load_dword v52, off, s[0:3], 0 offset:28
	buffer_load_dword v53, off, s[0:3], 0 offset:32
	;; [unrolled: 1-line block ×5, first 2 shown]
	buffer_store_dword v2, v40, s[0:3], 0 offen offset:4
	buffer_store_dword v1, v40, s[0:3], 0 offen
	flat_load_dwordx4 v[1:4], v[23:24] offset:32
	s_clause 0x2
	buffer_load_dword v56, off, s[0:3], 0 offset:44
	buffer_load_dword v57, off, s[0:3], 0 offset:16
	;; [unrolled: 1-line block ×3, first 2 shown]
	flat_load_dwordx4 v[15:18], v[23:24] offset:48
	s_waitcnt vmcnt(13) lgkmcnt(5)
	buffer_store_dword v34, v42, s[0:3], 0 offen offset:12
	buffer_store_dword v33, v42, s[0:3], 0 offen offset:8
	s_clause 0x1
	buffer_load_dword v24, off, s[0:3], 0 offset:60
	buffer_load_dword v23, off, s[0:3], 0 offset:56
	buffer_store_dword v32, v42, s[0:3], 0 offen offset:4
	buffer_store_dword v31, v42, s[0:3], 0 offen
	s_clause 0x1
	buffer_load_dword v31, off, s[0:3], 0 offset:48
	buffer_load_dword v32, off, s[0:3], 0 offset:52
	s_waitcnt vmcnt(16) lgkmcnt(4)
	buffer_store_dword v38, off, s[0:3], 0 offset:12
	buffer_store_dword v37, off, s[0:3], 0 offset:8
	;; [unrolled: 1-line block ×3, first 2 shown]
	buffer_store_dword v35, off, s[0:3], 0
	s_waitcnt vmcnt(15) lgkmcnt(3)
	v_mul_f64 v[33:34], v[45:46], v[37:38]
	v_mul_f64 v[59:60], v[43:44], v[37:38]
	v_fma_f64 v[33:34], v[43:44], v[35:36], -v[33:34]
	v_fma_f64 v[43:44], v[45:46], v[35:36], v[59:60]
	v_add_f64 v[33:34], v[33:34], 0
	v_add_f64 v[43:44], v[43:44], 0
	s_waitcnt vmcnt(9) lgkmcnt(2)
	v_mul_f64 v[45:46], v[49:50], v[51:52]
	v_mul_f64 v[51:52], v[47:48], v[51:52]
	s_waitcnt vmcnt(7) lgkmcnt(1)
	v_mul_f64 v[59:60], v[3:4], v[55:56]
	v_mul_f64 v[55:56], v[1:2], v[55:56]
	s_waitcnt vmcnt(5)
	v_fma_f64 v[45:46], v[47:48], v[57:58], -v[45:46]
	v_fma_f64 v[47:48], v[49:50], v[57:58], v[51:52]
	s_waitcnt vmcnt(2) lgkmcnt(0)
	v_mul_f64 v[49:50], v[17:18], v[23:24]
	v_mul_f64 v[23:24], v[15:16], v[23:24]
	v_fma_f64 v[1:2], v[1:2], v[53:54], -v[59:60]
	v_fma_f64 v[3:4], v[3:4], v[53:54], v[55:56]
	v_add_f64 v[33:34], v[33:34], v[45:46]
	v_add_f64 v[43:44], v[43:44], v[47:48]
	s_waitcnt vmcnt(0)
	v_fma_f64 v[15:16], v[15:16], v[31:32], -v[49:50]
	v_fma_f64 v[17:18], v[17:18], v[31:32], v[23:24]
	v_add_f64 v[1:2], v[33:34], v[1:2]
	v_add_f64 v[3:4], v[43:44], v[3:4]
	;; [unrolled: 1-line block ×4, first 2 shown]
	s_andn2_saveexec_b32 s25, s25
	s_cbranch_execz .LBB353_64
.LBB353_72:                             ;   in Loop: Header=BB353_62 Depth=1
	v_mov_b32_e32 v15, 0
	v_mov_b32_e32 v17, 0
	;; [unrolled: 1-line block ×4, first 2 shown]
	s_and_saveexec_b32 s26, s24
	s_cbranch_execz .LBB353_77
; %bb.73:                               ;   in Loop: Header=BB353_62 Depth=1
	s_waitcnt lgkmcnt(0)
	v_mov_b32_e32 v1, v5
	v_mov_b32_e32 v2, v6
	s_mov_b32 s27, 0
	s_mov_b32 s29, s15
	.p2align	6
.LBB353_74:                             ;   Parent Loop BB353_62 Depth=1
                                        ; =>  This Inner Loop Header: Depth=2
	flat_load_dwordx4 v[15:18], v[1:2]
	v_add_co_u32 v1, s9, v1, s10
	v_mov_b32_e32 v3, s27
	v_add_co_ci_u32_e64 v2, null, s11, v2, s9
	s_add_i32 s29, s29, -1
	s_add_i32 s27, s27, 16
	s_cmp_eq_u32 s29, 0
	s_waitcnt vmcnt(0) lgkmcnt(0)
	buffer_store_dword v18, v3, s[0:3], 0 offen offset:12
	buffer_store_dword v17, v3, s[0:3], 0 offen offset:8
	;; [unrolled: 1-line block ×3, first 2 shown]
	buffer_store_dword v15, v3, s[0:3], 0 offen
	s_cbranch_scc0 .LBB353_74
; %bb.75:                               ;   in Loop: Header=BB353_62 Depth=1
	v_mov_b32_e32 v15, 0
	v_mov_b32_e32 v17, 0
	;; [unrolled: 1-line block ×6, first 2 shown]
	s_mov_b32 s27, 0
	s_mov_b32 s29, s15
	.p2align	6
.LBB353_76:                             ;   Parent Loop BB353_62 Depth=1
                                        ; =>  This Inner Loop Header: Depth=2
	v_mov_b32_e32 v24, s27
	flat_load_dwordx4 v[31:34], v[1:2]
	v_add_co_u32 v1, s9, v1, 16
	v_add_co_ci_u32_e64 v2, null, 0, v2, s9
	s_clause 0x3
	buffer_load_dword v3, v24, s[0:3], 0 offen offset:8
	buffer_load_dword v4, v24, s[0:3], 0 offen offset:12
	buffer_load_dword v23, v24, s[0:3], 0 offen
	buffer_load_dword v24, v24, s[0:3], 0 offen offset:4
	s_add_i32 s29, s29, -1
	s_add_i32 s27, s27, 16
	s_cmp_lg_u32 s29, 0
	s_waitcnt vmcnt(2) lgkmcnt(0)
	v_mul_f64 v[35:36], v[33:34], v[3:4]
	v_mul_f64 v[3:4], v[31:32], v[3:4]
	s_waitcnt vmcnt(0)
	v_fma_f64 v[31:32], v[31:32], v[23:24], -v[35:36]
	v_fma_f64 v[3:4], v[33:34], v[23:24], v[3:4]
	v_add_f64 v[15:16], v[15:16], v[31:32]
	v_add_f64 v[17:18], v[17:18], v[3:4]
	s_cbranch_scc1 .LBB353_76
.LBB353_77:                             ;   in Loop: Header=BB353_62 Depth=1
	s_or_b32 exec_lo, exec_lo, s26
	s_or_b32 exec_lo, exec_lo, s25
	s_and_saveexec_b32 s9, s4
	s_cbranch_execnz .LBB353_65
	s_branch .LBB353_66
.LBB353_78:                             ;   in Loop: Header=BB353_62 Depth=1
	ds_read_b128 v[1:4], v19
	s_or_b32 exec_lo, exec_lo, s9
	s_and_saveexec_b32 s9, s4
	s_cbranch_execz .LBB353_70
.LBB353_79:                             ;   in Loop: Header=BB353_62 Depth=1
	s_waitcnt lgkmcnt(0)
	ds_bpermute_b32 v15, v27, v1
	ds_bpermute_b32 v16, v27, v2
	ds_bpermute_b32 v17, v27, v3
	ds_bpermute_b32 v18, v27, v4
	s_waitcnt lgkmcnt(2)
	v_add_f64 v[1:2], v[1:2], v[15:16]
	s_waitcnt lgkmcnt(0)
	v_add_f64 v[3:4], v[3:4], v[17:18]
	ds_bpermute_b32 v15, v28, v1
	ds_bpermute_b32 v16, v28, v2
	ds_bpermute_b32 v17, v28, v3
	ds_bpermute_b32 v18, v28, v4
	s_waitcnt lgkmcnt(2)
	v_add_f64 v[1:2], v[1:2], v[15:16]
	s_waitcnt lgkmcnt(0)
	v_add_f64 v[3:4], v[3:4], v[17:18]
	ds_bpermute_b32 v15, v29, v1
	ds_bpermute_b32 v16, v29, v2
	ds_bpermute_b32 v17, v29, v3
	ds_bpermute_b32 v18, v29, v4
	s_waitcnt lgkmcnt(2)
	v_add_f64 v[1:2], v[1:2], v[15:16]
	s_waitcnt lgkmcnt(0)
	v_add_f64 v[3:4], v[3:4], v[17:18]
	s_or_b32 exec_lo, exec_lo, s9
	s_and_saveexec_b32 s9, s6
	s_cbranch_execz .LBB353_61
.LBB353_80:                             ;   in Loop: Header=BB353_62 Depth=1
	s_waitcnt lgkmcnt(0)
	v_mul_f64 v[15:16], s[18:19], v[3:4]
	v_mul_f64 v[3:4], s[16:17], v[3:4]
	s_mul_hi_u32 s27, s7, s14
	s_mul_i32 s26, s7, s14
	s_lshl_b64 s[26:27], s[26:27], 4
	s_add_u32 s26, s12, s26
	s_addc_u32 s27, s28, s27
	v_fma_f64 v[15:16], s[16:17], v[1:2], -v[15:16]
	v_fma_f64 v[17:18], s[18:19], v[1:2], v[3:4]
	global_store_dwordx4 v0, v[15:18], s[26:27]
	s_branch .LBB353_61
.LBB353_81:
	s_endpgm
	.section	.rodata,"a",@progbits
	.p2align	6, 0x0
	.amdhsa_kernel _ZL23rocblas_gemvt_sn_kernelILb0ELi256ELi4ElPK19rocblas_complex_numIdES3_S1_EviiT4_lPKT3_lilS7_lilPT5_i
		.amdhsa_group_segment_fixed_size 512
		.amdhsa_private_segment_fixed_size 80
		.amdhsa_kernarg_size 360
		.amdhsa_user_sgpr_count 6
		.amdhsa_user_sgpr_private_segment_buffer 1
		.amdhsa_user_sgpr_dispatch_ptr 0
		.amdhsa_user_sgpr_queue_ptr 0
		.amdhsa_user_sgpr_kernarg_segment_ptr 1
		.amdhsa_user_sgpr_dispatch_id 0
		.amdhsa_user_sgpr_flat_scratch_init 0
		.amdhsa_user_sgpr_private_segment_size 0
		.amdhsa_wavefront_size32 1
		.amdhsa_uses_dynamic_stack 0
		.amdhsa_system_sgpr_private_segment_wavefront_offset 1
		.amdhsa_system_sgpr_workgroup_id_x 1
		.amdhsa_system_sgpr_workgroup_id_y 0
		.amdhsa_system_sgpr_workgroup_id_z 1
		.amdhsa_system_sgpr_workgroup_info 0
		.amdhsa_system_vgpr_workitem_id 0
		.amdhsa_next_free_vgpr 74
		.amdhsa_next_free_sgpr 50
		.amdhsa_reserve_vcc 1
		.amdhsa_reserve_flat_scratch 1
		.amdhsa_float_round_mode_32 0
		.amdhsa_float_round_mode_16_64 0
		.amdhsa_float_denorm_mode_32 3
		.amdhsa_float_denorm_mode_16_64 3
		.amdhsa_dx10_clamp 1
		.amdhsa_ieee_mode 1
		.amdhsa_fp16_overflow 0
		.amdhsa_workgroup_processor_mode 1
		.amdhsa_memory_ordered 1
		.amdhsa_forward_progress 1
		.amdhsa_shared_vgpr_count 0
		.amdhsa_exception_fp_ieee_invalid_op 0
		.amdhsa_exception_fp_denorm_src 0
		.amdhsa_exception_fp_ieee_div_zero 0
		.amdhsa_exception_fp_ieee_overflow 0
		.amdhsa_exception_fp_ieee_underflow 0
		.amdhsa_exception_fp_ieee_inexact 0
		.amdhsa_exception_int_div_zero 0
	.end_amdhsa_kernel
	.section	.text._ZL23rocblas_gemvt_sn_kernelILb0ELi256ELi4ElPK19rocblas_complex_numIdES3_S1_EviiT4_lPKT3_lilS7_lilPT5_i,"axG",@progbits,_ZL23rocblas_gemvt_sn_kernelILb0ELi256ELi4ElPK19rocblas_complex_numIdES3_S1_EviiT4_lPKT3_lilS7_lilPT5_i,comdat
.Lfunc_end353:
	.size	_ZL23rocblas_gemvt_sn_kernelILb0ELi256ELi4ElPK19rocblas_complex_numIdES3_S1_EviiT4_lPKT3_lilS7_lilPT5_i, .Lfunc_end353-_ZL23rocblas_gemvt_sn_kernelILb0ELi256ELi4ElPK19rocblas_complex_numIdES3_S1_EviiT4_lPKT3_lilS7_lilPT5_i
                                        ; -- End function
	.set _ZL23rocblas_gemvt_sn_kernelILb0ELi256ELi4ElPK19rocblas_complex_numIdES3_S1_EviiT4_lPKT3_lilS7_lilPT5_i.num_vgpr, 74
	.set _ZL23rocblas_gemvt_sn_kernelILb0ELi256ELi4ElPK19rocblas_complex_numIdES3_S1_EviiT4_lPKT3_lilS7_lilPT5_i.num_agpr, 0
	.set _ZL23rocblas_gemvt_sn_kernelILb0ELi256ELi4ElPK19rocblas_complex_numIdES3_S1_EviiT4_lPKT3_lilS7_lilPT5_i.numbered_sgpr, 50
	.set _ZL23rocblas_gemvt_sn_kernelILb0ELi256ELi4ElPK19rocblas_complex_numIdES3_S1_EviiT4_lPKT3_lilS7_lilPT5_i.num_named_barrier, 0
	.set _ZL23rocblas_gemvt_sn_kernelILb0ELi256ELi4ElPK19rocblas_complex_numIdES3_S1_EviiT4_lPKT3_lilS7_lilPT5_i.private_seg_size, 80
	.set _ZL23rocblas_gemvt_sn_kernelILb0ELi256ELi4ElPK19rocblas_complex_numIdES3_S1_EviiT4_lPKT3_lilS7_lilPT5_i.uses_vcc, 1
	.set _ZL23rocblas_gemvt_sn_kernelILb0ELi256ELi4ElPK19rocblas_complex_numIdES3_S1_EviiT4_lPKT3_lilS7_lilPT5_i.uses_flat_scratch, 1
	.set _ZL23rocblas_gemvt_sn_kernelILb0ELi256ELi4ElPK19rocblas_complex_numIdES3_S1_EviiT4_lPKT3_lilS7_lilPT5_i.has_dyn_sized_stack, 0
	.set _ZL23rocblas_gemvt_sn_kernelILb0ELi256ELi4ElPK19rocblas_complex_numIdES3_S1_EviiT4_lPKT3_lilS7_lilPT5_i.has_recursion, 0
	.set _ZL23rocblas_gemvt_sn_kernelILb0ELi256ELi4ElPK19rocblas_complex_numIdES3_S1_EviiT4_lPKT3_lilS7_lilPT5_i.has_indirect_call, 0
	.section	.AMDGPU.csdata,"",@progbits
; Kernel info:
; codeLenInByte = 7856
; TotalNumSgprs: 52
; NumVgprs: 74
; ScratchSize: 80
; MemoryBound: 0
; FloatMode: 240
; IeeeMode: 1
; LDSByteSize: 512 bytes/workgroup (compile time only)
; SGPRBlocks: 0
; VGPRBlocks: 9
; NumSGPRsForWavesPerEU: 52
; NumVGPRsForWavesPerEU: 74
; Occupancy: 12
; WaveLimiterHint : 0
; COMPUTE_PGM_RSRC2:SCRATCH_EN: 1
; COMPUTE_PGM_RSRC2:USER_SGPR: 6
; COMPUTE_PGM_RSRC2:TRAP_HANDLER: 0
; COMPUTE_PGM_RSRC2:TGID_X_EN: 1
; COMPUTE_PGM_RSRC2:TGID_Y_EN: 0
; COMPUTE_PGM_RSRC2:TGID_Z_EN: 1
; COMPUTE_PGM_RSRC2:TIDIG_COMP_CNT: 0
	.section	.text._ZL23rocblas_gemvt_sn_reduceILi256ELi8E19rocblas_complex_numIdEPKS1_KPS1_EviT2_lPT3_lilPT1_i,"axG",@progbits,_ZL23rocblas_gemvt_sn_reduceILi256ELi8E19rocblas_complex_numIdEPKS1_KPS1_EviT2_lPT3_lilPT1_i,comdat
	.globl	_ZL23rocblas_gemvt_sn_reduceILi256ELi8E19rocblas_complex_numIdEPKS1_KPS1_EviT2_lPT3_lilPT1_i ; -- Begin function _ZL23rocblas_gemvt_sn_reduceILi256ELi8E19rocblas_complex_numIdEPKS1_KPS1_EviT2_lPT3_lilPT1_i
	.p2align	8
	.type	_ZL23rocblas_gemvt_sn_reduceILi256ELi8E19rocblas_complex_numIdEPKS1_KPS1_EviT2_lPT3_lilPT1_i,@function
_ZL23rocblas_gemvt_sn_reduceILi256ELi8E19rocblas_complex_numIdEPKS1_KPS1_EviT2_lPT3_lilPT1_i: ; @_ZL23rocblas_gemvt_sn_reduceILi256ELi8E19rocblas_complex_numIdEPKS1_KPS1_EviT2_lPT3_lilPT1_i
; %bb.0:
	s_clause 0x2
	s_load_dword s6, s[4:5], 0x0
	s_load_dwordx8 s[12:19], s[4:5], 0x8
	s_load_dword s20, s[4:5], 0x4c
	s_mov_b32 s9, 0
	s_load_dwordx2 s[10:11], s[4:5], 0x38
	s_lshl_b64 s[0:1], s[8:9], 3
	v_mov_b32_e32 v1, 0
	v_mov_b32_e32 v3, 0
	v_lshlrev_b32_e32 v7, 3, v0
	v_mov_b32_e32 v2, 0
	v_mov_b32_e32 v4, 0
	s_waitcnt lgkmcnt(0)
	s_ashr_i32 s21, s6, 31
	s_mul_i32 s2, s15, s8
	s_mul_hi_u32 s3, s14, s8
	s_add_u32 s0, s16, s0
	s_addc_u32 s1, s17, s1
	s_add_i32 s3, s3, s2
	s_mul_i32 s2, s14, s8
	s_mul_i32 s8, s20, s8
	s_lshl_b64 s[2:3], s[2:3], 4
	s_add_u32 s12, s12, s2
	s_addc_u32 s13, s13, s3
	s_load_dwordx2 s[2:3], s[0:1], 0x0
	s_load_dwordx4 s[12:15], s[12:13], 0x0
	s_add_u32 s0, s4, 0x48
	s_addc_u32 s1, s5, 0
	s_add_i32 s16, s8, s7
	s_lshr_b32 s8, s21, 29
	s_mul_i32 s17, s16, s21
	s_add_i32 s8, s6, s8
	s_mul_hi_u32 s20, s16, s6
	s_and_b32 s8, s8, -8
	s_add_i32 s17, s20, s17
	s_mul_i32 s16, s16, s6
	s_mov_b32 s20, exec_lo
	v_cmpx_gt_i32_e64 s8, v7
	s_cbranch_execz .LBB354_4
; %bb.1:
	s_load_dword s0, s[0:1], 0xc
	v_lshlrev_b32_e32 v3, 7, v0
	s_lshl_b64 s[22:23], s[16:17], 4
	v_mov_b32_e32 v1, 0
	v_mov_b32_e32 v2, 0
	s_waitcnt lgkmcnt(0)
	s_and_b32 s0, s0, 0xffff
	s_lshl_b32 s1, s0, 3
	s_add_u32 s21, s10, s22
	s_addc_u32 s22, s11, s23
	v_add_co_u32 v5, s21, s21, v3
	v_add_co_ci_u32_e64 v6, null, s22, 0, s21
	v_mov_b32_e32 v3, 0
	v_add_co_u32 v5, vcc_lo, 0x78, v5
	v_mov_b32_e32 v4, 0
	v_add_co_ci_u32_e64 v6, null, 0, v6, vcc_lo
	s_lshl_b32 s21, s0, 7
.LBB354_2:                              ; =>This Inner Loop Header: Depth=1
	s_clause 0x7
	global_load_dwordx4 v[8:11], v[5:6], off offset:-120
	global_load_dwordx4 v[12:15], v[5:6], off offset:-104
	;; [unrolled: 1-line block ×8, first 2 shown]
	v_add_nc_u32_e32 v7, s1, v7
	v_add_co_u32 v5, s0, v5, s21
	v_add_co_ci_u32_e64 v6, null, 0, v6, s0
	v_cmp_le_i32_e32 vcc_lo, s8, v7
	s_or_b32 s9, vcc_lo, s9
	s_waitcnt vmcnt(7)
	v_add_f64 v[3:4], v[3:4], v[8:9]
	v_add_f64 v[1:2], v[1:2], v[10:11]
	s_waitcnt vmcnt(6)
	v_add_f64 v[3:4], v[3:4], v[12:13]
	v_add_f64 v[1:2], v[1:2], v[14:15]
	;; [unrolled: 3-line block ×8, first 2 shown]
	s_andn2_b32 exec_lo, exec_lo, s9
	s_cbranch_execnz .LBB354_2
; %bb.3:
	s_or_b32 exec_lo, exec_lo, s9
.LBB354_4:
	s_or_b32 exec_lo, exec_lo, s20
	s_sub_i32 s0, s6, s8
	v_cmp_gt_u32_e32 vcc_lo, s0, v0
	s_and_saveexec_b32 s0, vcc_lo
	s_cbranch_execz .LBB354_6
; %bb.5:
	v_xad_u32 v5, v0, -1, s6
	v_mov_b32_e32 v6, 0
	s_lshl_b64 s[8:9], s[16:17], 4
	s_add_u32 s1, s10, s8
	s_addc_u32 s6, s11, s9
	v_lshlrev_b64 v[5:6], 4, v[5:6]
	v_add_co_u32 v5, vcc_lo, s1, v5
	v_add_co_ci_u32_e64 v6, null, s6, v6, vcc_lo
	global_load_dwordx4 v[5:8], v[5:6], off
	s_waitcnt vmcnt(0)
	v_add_f64 v[3:4], v[3:4], v[5:6]
	v_add_f64 v[1:2], v[1:2], v[7:8]
.LBB354_6:
	s_or_b32 exec_lo, exec_lo, s0
	v_and_b32_e32 v13, 31, v0
	v_cmp_gt_u32_e32 vcc_lo, 32, v0
	v_lshlrev_b32_e32 v9, 4, v13
	s_and_saveexec_b32 s0, vcc_lo
	s_cbranch_execz .LBB354_8
; %bb.7:
	v_mov_b32_e32 v5, 0
	v_mov_b32_e32 v6, v5
	;; [unrolled: 1-line block ×4, first 2 shown]
	ds_write_b128 v9, v[5:8]
.LBB354_8:
	s_or_b32 exec_lo, exec_lo, s0
	v_mbcnt_lo_u32_b32 v12, -1, 0
	s_mov_b32 s1, exec_lo
	s_waitcnt lgkmcnt(0)
	s_barrier
	buffer_gl0_inv
	v_lshl_or_b32 v8, v12, 2, 64
	v_cmp_gt_u32_e64 s0, 24, v12
	ds_bpermute_b32 v5, v8, v3
	ds_bpermute_b32 v6, v8, v4
	ds_bpermute_b32 v7, v8, v1
	ds_bpermute_b32 v8, v8, v2
	s_waitcnt lgkmcnt(2)
	v_add_f64 v[3:4], v[3:4], v[5:6]
	v_cndmask_b32_e64 v5, 0, 8, s0
	s_waitcnt lgkmcnt(0)
	v_add_f64 v[1:2], v[1:2], v[7:8]
	v_cmp_gt_u32_e64 s0, 28, v12
	v_add_lshl_u32 v8, v5, v12, 2
	ds_bpermute_b32 v5, v8, v3
	ds_bpermute_b32 v6, v8, v4
	;; [unrolled: 1-line block ×4, first 2 shown]
	s_waitcnt lgkmcnt(2)
	v_add_f64 v[3:4], v[3:4], v[5:6]
	v_cndmask_b32_e64 v5, 0, 4, s0
	s_waitcnt lgkmcnt(0)
	v_add_f64 v[1:2], v[1:2], v[7:8]
	v_cmp_gt_u32_e64 s0, 30, v12
	v_add_lshl_u32 v10, v5, v12, 2
	ds_bpermute_b32 v5, v10, v3
	ds_bpermute_b32 v6, v10, v4
	;; [unrolled: 1-line block ×4, first 2 shown]
	s_waitcnt lgkmcnt(2)
	v_add_f64 v[3:4], v[3:4], v[5:6]
	s_waitcnt lgkmcnt(0)
	v_add_f64 v[5:6], v[1:2], v[7:8]
	v_cndmask_b32_e64 v1, 0, 2, s0
	v_cmp_ne_u32_e64 s0, 31, v12
	v_add_lshl_u32 v11, v1, v12, 2
	ds_bpermute_b32 v1, v11, v3
	ds_bpermute_b32 v2, v11, v4
	;; [unrolled: 1-line block ×4, first 2 shown]
	s_waitcnt lgkmcnt(2)
	v_add_f64 v[1:2], v[3:4], v[1:2]
	s_waitcnt lgkmcnt(0)
	v_add_f64 v[3:4], v[5:6], v[7:8]
	v_add_co_ci_u32_e64 v5, null, 0, v12, s0
	v_lshlrev_b32_e32 v12, 2, v5
	ds_bpermute_b32 v5, v12, v1
	ds_bpermute_b32 v6, v12, v2
	;; [unrolled: 1-line block ×4, first 2 shown]
	v_cmpx_eq_u32_e32 0, v13
	s_cbranch_execz .LBB354_10
; %bb.9:
	s_waitcnt lgkmcnt(0)
	v_add_f64 v[3:4], v[3:4], v[7:8]
	v_add_f64 v[1:2], v[1:2], v[5:6]
	v_lshrrev_b32_e32 v5, 1, v0
	v_and_b32_e32 v5, 0x70, v5
	ds_write_b128 v5, v[1:4]
.LBB354_10:
	s_or_b32 exec_lo, exec_lo, s1
	v_mov_b32_e32 v3, 0
	v_mov_b32_e32 v1, 0
	;; [unrolled: 1-line block ×4, first 2 shown]
	s_mov_b32 s1, exec_lo
	s_waitcnt lgkmcnt(0)
	s_barrier
	buffer_gl0_inv
	v_cmpx_gt_u32_e32 8, v0
; %bb.11:
	ds_read_b128 v[1:4], v9
; %bb.12:
	s_or_b32 exec_lo, exec_lo, s1
	s_and_saveexec_b32 s0, vcc_lo
	s_cbranch_execz .LBB354_14
; %bb.13:
	s_waitcnt lgkmcnt(0)
	ds_bpermute_b32 v5, v10, v1
	ds_bpermute_b32 v6, v10, v2
	ds_bpermute_b32 v7, v10, v3
	ds_bpermute_b32 v8, v10, v4
	s_waitcnt lgkmcnt(2)
	v_add_f64 v[1:2], v[1:2], v[5:6]
	s_waitcnt lgkmcnt(0)
	v_add_f64 v[3:4], v[3:4], v[7:8]
	ds_bpermute_b32 v5, v11, v1
	ds_bpermute_b32 v6, v11, v2
	ds_bpermute_b32 v7, v11, v3
	ds_bpermute_b32 v8, v11, v4
	s_waitcnt lgkmcnt(2)
	v_add_f64 v[1:2], v[1:2], v[5:6]
	s_waitcnt lgkmcnt(0)
	v_add_f64 v[3:4], v[3:4], v[7:8]
	;; [unrolled: 8-line block ×3, first 2 shown]
.LBB354_14:
	s_or_b32 exec_lo, exec_lo, s0
	s_mov_b32 s0, exec_lo
	v_cmpx_eq_u32_e32 0, v0
	s_cbranch_execz .LBB354_18
; %bb.15:
	s_load_dword s4, s[4:5], 0x28
	v_cmp_neq_f64_e64 s5, s[12:13], 0
	v_cmp_neq_f64_e64 s6, s[14:15], 0
	s_lshl_b64 s[0:1], s[18:19], 4
	s_waitcnt lgkmcnt(0)
	s_ashr_i32 s8, s4, 31
	s_add_u32 s2, s2, s0
	s_addc_u32 s3, s3, s1
	s_mul_hi_u32 s1, s4, s7
	s_or_b32 s0, s5, s6
	s_mul_i32 s8, s8, s7
	s_andn2_b32 vcc_lo, exec_lo, s0
	s_add_i32 s1, s1, s8
	s_mul_i32 s0, s4, s7
	s_cbranch_vccnz .LBB354_17
; %bb.16:
	s_lshl_b64 s[4:5], s[0:1], 4
	s_add_u32 s4, s2, s4
	s_addc_u32 s5, s3, s5
	v_mov_b32_e32 v6, s5
	v_mov_b32_e32 v5, s4
	flat_load_dwordx4 v[5:8], v[5:6]
	s_waitcnt vmcnt(0) lgkmcnt(0)
	v_mul_f64 v[9:10], s[14:15], v[7:8]
	v_mul_f64 v[7:8], s[12:13], v[7:8]
	v_fma_f64 v[9:10], s[12:13], v[5:6], -v[9:10]
	v_fma_f64 v[5:6], s[14:15], v[5:6], v[7:8]
	v_add_f64 v[1:2], v[1:2], v[9:10]
	v_add_f64 v[3:4], v[3:4], v[5:6]
.LBB354_17:
	s_lshl_b64 s[0:1], s[0:1], 4
	s_add_u32 s0, s2, s0
	s_addc_u32 s1, s3, s1
	v_mov_b32_e32 v6, s1
	v_mov_b32_e32 v5, s0
	flat_store_dwordx4 v[5:6], v[1:4]
.LBB354_18:
	s_endpgm
	.section	.rodata,"a",@progbits
	.p2align	6, 0x0
	.amdhsa_kernel _ZL23rocblas_gemvt_sn_reduceILi256ELi8E19rocblas_complex_numIdEPKS1_KPS1_EviT2_lPT3_lilPT1_i
		.amdhsa_group_segment_fixed_size 512
		.amdhsa_private_segment_fixed_size 0
		.amdhsa_kernarg_size 328
		.amdhsa_user_sgpr_count 6
		.amdhsa_user_sgpr_private_segment_buffer 1
		.amdhsa_user_sgpr_dispatch_ptr 0
		.amdhsa_user_sgpr_queue_ptr 0
		.amdhsa_user_sgpr_kernarg_segment_ptr 1
		.amdhsa_user_sgpr_dispatch_id 0
		.amdhsa_user_sgpr_flat_scratch_init 0
		.amdhsa_user_sgpr_private_segment_size 0
		.amdhsa_wavefront_size32 1
		.amdhsa_uses_dynamic_stack 0
		.amdhsa_system_sgpr_private_segment_wavefront_offset 0
		.amdhsa_system_sgpr_workgroup_id_x 1
		.amdhsa_system_sgpr_workgroup_id_y 1
		.amdhsa_system_sgpr_workgroup_id_z 1
		.amdhsa_system_sgpr_workgroup_info 0
		.amdhsa_system_vgpr_workitem_id 0
		.amdhsa_next_free_vgpr 40
		.amdhsa_next_free_sgpr 24
		.amdhsa_reserve_vcc 1
		.amdhsa_reserve_flat_scratch 0
		.amdhsa_float_round_mode_32 0
		.amdhsa_float_round_mode_16_64 0
		.amdhsa_float_denorm_mode_32 3
		.amdhsa_float_denorm_mode_16_64 3
		.amdhsa_dx10_clamp 1
		.amdhsa_ieee_mode 1
		.amdhsa_fp16_overflow 0
		.amdhsa_workgroup_processor_mode 1
		.amdhsa_memory_ordered 1
		.amdhsa_forward_progress 1
		.amdhsa_shared_vgpr_count 0
		.amdhsa_exception_fp_ieee_invalid_op 0
		.amdhsa_exception_fp_denorm_src 0
		.amdhsa_exception_fp_ieee_div_zero 0
		.amdhsa_exception_fp_ieee_overflow 0
		.amdhsa_exception_fp_ieee_underflow 0
		.amdhsa_exception_fp_ieee_inexact 0
		.amdhsa_exception_int_div_zero 0
	.end_amdhsa_kernel
	.section	.text._ZL23rocblas_gemvt_sn_reduceILi256ELi8E19rocblas_complex_numIdEPKS1_KPS1_EviT2_lPT3_lilPT1_i,"axG",@progbits,_ZL23rocblas_gemvt_sn_reduceILi256ELi8E19rocblas_complex_numIdEPKS1_KPS1_EviT2_lPT3_lilPT1_i,comdat
.Lfunc_end354:
	.size	_ZL23rocblas_gemvt_sn_reduceILi256ELi8E19rocblas_complex_numIdEPKS1_KPS1_EviT2_lPT3_lilPT1_i, .Lfunc_end354-_ZL23rocblas_gemvt_sn_reduceILi256ELi8E19rocblas_complex_numIdEPKS1_KPS1_EviT2_lPT3_lilPT1_i
                                        ; -- End function
	.set _ZL23rocblas_gemvt_sn_reduceILi256ELi8E19rocblas_complex_numIdEPKS1_KPS1_EviT2_lPT3_lilPT1_i.num_vgpr, 40
	.set _ZL23rocblas_gemvt_sn_reduceILi256ELi8E19rocblas_complex_numIdEPKS1_KPS1_EviT2_lPT3_lilPT1_i.num_agpr, 0
	.set _ZL23rocblas_gemvt_sn_reduceILi256ELi8E19rocblas_complex_numIdEPKS1_KPS1_EviT2_lPT3_lilPT1_i.numbered_sgpr, 24
	.set _ZL23rocblas_gemvt_sn_reduceILi256ELi8E19rocblas_complex_numIdEPKS1_KPS1_EviT2_lPT3_lilPT1_i.num_named_barrier, 0
	.set _ZL23rocblas_gemvt_sn_reduceILi256ELi8E19rocblas_complex_numIdEPKS1_KPS1_EviT2_lPT3_lilPT1_i.private_seg_size, 0
	.set _ZL23rocblas_gemvt_sn_reduceILi256ELi8E19rocblas_complex_numIdEPKS1_KPS1_EviT2_lPT3_lilPT1_i.uses_vcc, 1
	.set _ZL23rocblas_gemvt_sn_reduceILi256ELi8E19rocblas_complex_numIdEPKS1_KPS1_EviT2_lPT3_lilPT1_i.uses_flat_scratch, 0
	.set _ZL23rocblas_gemvt_sn_reduceILi256ELi8E19rocblas_complex_numIdEPKS1_KPS1_EviT2_lPT3_lilPT1_i.has_dyn_sized_stack, 0
	.set _ZL23rocblas_gemvt_sn_reduceILi256ELi8E19rocblas_complex_numIdEPKS1_KPS1_EviT2_lPT3_lilPT1_i.has_recursion, 0
	.set _ZL23rocblas_gemvt_sn_reduceILi256ELi8E19rocblas_complex_numIdEPKS1_KPS1_EviT2_lPT3_lilPT1_i.has_indirect_call, 0
	.section	.AMDGPU.csdata,"",@progbits
; Kernel info:
; codeLenInByte = 1568
; TotalNumSgprs: 26
; NumVgprs: 40
; ScratchSize: 0
; MemoryBound: 1
; FloatMode: 240
; IeeeMode: 1
; LDSByteSize: 512 bytes/workgroup (compile time only)
; SGPRBlocks: 0
; VGPRBlocks: 4
; NumSGPRsForWavesPerEU: 26
; NumVGPRsForWavesPerEU: 40
; Occupancy: 16
; WaveLimiterHint : 1
; COMPUTE_PGM_RSRC2:SCRATCH_EN: 0
; COMPUTE_PGM_RSRC2:USER_SGPR: 6
; COMPUTE_PGM_RSRC2:TRAP_HANDLER: 0
; COMPUTE_PGM_RSRC2:TGID_X_EN: 1
; COMPUTE_PGM_RSRC2:TGID_Y_EN: 1
; COMPUTE_PGM_RSRC2:TGID_Z_EN: 1
; COMPUTE_PGM_RSRC2:TIDIG_COMP_CNT: 0
	.section	.text._ZL23rocblas_gemvt_sn_kernelILb0ELi256ELi4EiPK19rocblas_complex_numIdES1_S1_EviiT4_lPKT3_lilS7_lilPT5_i,"axG",@progbits,_ZL23rocblas_gemvt_sn_kernelILb0ELi256ELi4EiPK19rocblas_complex_numIdES1_S1_EviiT4_lPKT3_lilS7_lilPT5_i,comdat
	.globl	_ZL23rocblas_gemvt_sn_kernelILb0ELi256ELi4EiPK19rocblas_complex_numIdES1_S1_EviiT4_lPKT3_lilS7_lilPT5_i ; -- Begin function _ZL23rocblas_gemvt_sn_kernelILb0ELi256ELi4EiPK19rocblas_complex_numIdES1_S1_EviiT4_lPKT3_lilS7_lilPT5_i
	.p2align	8
	.type	_ZL23rocblas_gemvt_sn_kernelILb0ELi256ELi4EiPK19rocblas_complex_numIdES1_S1_EviiT4_lPKT3_lilS7_lilPT5_i,@function
_ZL23rocblas_gemvt_sn_kernelILb0ELi256ELi4EiPK19rocblas_complex_numIdES1_S1_EviiT4_lPKT3_lilS7_lilPT5_i: ; @_ZL23rocblas_gemvt_sn_kernelILb0ELi256ELi4EiPK19rocblas_complex_numIdES1_S1_EviiT4_lPKT3_lilS7_lilPT5_i
; %bb.0:
	s_load_dwordx4 s[12:15], s[4:5], 0x8
	s_mov_b32 s10, s7
	s_add_u32 s0, s0, s8
	s_addc_u32 s1, s1, 0
	s_mov_b64 s[8:9], 0
	s_mov_b32 s16, -1
	s_waitcnt lgkmcnt(0)
	v_cmp_neq_f64_e64 s7, s[12:13], 0
	v_cmp_neq_f64_e64 s11, s[14:15], 0
	s_or_b32 s7, s7, s11
	s_mov_b32 s11, 0
	s_and_b32 vcc_lo, exec_lo, s7
	s_cbranch_vccnz .LBB355_2
; %bb.1:
	s_mov_b32 s16, s11
.LBB355_2:
	s_andn2_b32 vcc_lo, exec_lo, s16
	s_cbranch_vccnz .LBB355_4
; %bb.3:
	s_load_dwordx4 s[16:19], s[4:5], 0x20
	s_lshl_b64 s[8:9], s[10:11], 3
	s_waitcnt lgkmcnt(0)
	s_add_u32 s8, s16, s8
	s_addc_u32 s9, s17, s9
	s_lshl_b64 s[16:17], s[18:19], 4
	s_load_dwordx2 s[8:9], s[8:9], 0x0
	s_waitcnt lgkmcnt(0)
	s_add_u32 s8, s8, s16
	s_addc_u32 s9, s9, s17
.LBB355_4:
	v_cndmask_b32_e64 v1, 0, 1, s7
	s_xor_b32 s24, s7, -1
	s_mov_b64 s[16:17], 0
	v_cmp_ne_u32_e32 vcc_lo, 1, v1
	s_cbranch_vccnz .LBB355_6
; %bb.5:
	s_load_dwordx4 s[16:19], s[4:5], 0x40
	s_lshl_b64 s[20:21], s[10:11], 3
	s_waitcnt lgkmcnt(0)
	s_add_u32 s16, s16, s20
	s_addc_u32 s17, s17, s21
	s_lshl_b64 s[18:19], s[18:19], 4
	s_load_dwordx2 s[16:17], s[16:17], 0x0
	s_waitcnt lgkmcnt(0)
	s_add_u32 s16, s16, s18
	s_addc_u32 s17, s17, s19
.LBB355_6:
	s_clause 0x2
	s_load_dwordx2 s[18:19], s[4:5], 0x0
	s_load_dword s20, s[4:5], 0x70
	s_load_dwordx2 s[22:23], s[4:5], 0x60
	s_andn2_b32 vcc_lo, exec_lo, s24
	v_cmp_eq_u32_e64 s7, 0, v0
	s_mov_b32 s21, 0
	s_waitcnt lgkmcnt(0)
	s_ashr_i32 s28, s19, 31
	s_mul_hi_u32 s11, s10, s19
	s_mul_i32 s24, s10, s28
	s_mul_i32 s10, s10, s19
	s_add_i32 s11, s11, s24
	s_mul_hi_u32 s24, s10, s20
	s_mul_i32 s11, s11, s20
	s_mul_i32 s10, s10, s20
	s_add_i32 s11, s24, s11
	s_mov_b32 s24, -1
	s_cbranch_vccnz .LBB355_11
; %bb.7:
	s_cmp_gt_i32 s19, 0
	s_cselect_b32 s24, -1, 0
	s_and_b32 s7, s7, s24
	s_and_saveexec_b32 s29, s7
	s_cbranch_execz .LBB355_10
; %bb.8:
	s_mov_b32 s7, 0
	v_mov_b32_e32 v1, 0
	s_lshl_b64 s[24:25], s[10:11], 4
	s_lshl_b64 s[26:27], s[6:7], 4
	s_add_u32 s7, s24, s26
	s_addc_u32 s24, s25, s27
	s_add_u32 s7, s22, s7
	v_mov_b32_e32 v2, v1
	v_mov_b32_e32 v3, v1
	;; [unrolled: 1-line block ×3, first 2 shown]
	s_addc_u32 s25, s23, s24
	s_add_u32 s24, s7, 8
	s_addc_u32 s25, s25, 0
	s_lshl_b64 s[26:27], s[20:21], 4
	s_mov_b32 s7, s19
.LBB355_9:                              ; =>This Inner Loop Header: Depth=1
	s_add_i32 s7, s7, -1
	global_store_dwordx4 v1, v[1:4], s[24:25] offset:-8
	s_add_u32 s24, s24, s26
	s_addc_u32 s25, s25, s27
	s_cmp_eq_u32 s7, 0
	s_cbranch_scc0 .LBB355_9
.LBB355_10:
	s_or_b32 exec_lo, exec_lo, s29
	s_mov_b32 s24, 0
.LBB355_11:
	s_andn2_b32 vcc_lo, exec_lo, s24
	s_cbranch_vccnz .LBB355_83
; %bb.12:
	s_lshl_b64 s[10:11], s[10:11], 4
	s_clause 0x1
	s_load_dword s21, s[4:5], 0x30
	s_load_dword s33, s[4:5], 0x50
	s_add_u32 s36, s22, s10
	s_addc_u32 s11, s23, s11
	s_lshl_b32 s7, s6, 10
	s_ashr_i32 s4, s18, 31
	v_lshl_or_b32 v1, v0, 2, s7
	s_lshr_b32 s4, s4, 30
	s_lshr_b32 s5, s28, 30
	s_add_i32 s4, s18, s4
	s_add_i32 s5, s19, s5
	v_ashrrev_i32_e32 v2, 31, v1
	s_and_b32 s4, s4, -4
	s_and_b32 s37, s5, -4
	s_sub_i32 s34, s18, s4
	v_add_nc_u32_e32 v43, 4, v1
	v_lshlrev_b64 v[2:3], 4, v[1:2]
	v_add_nc_u32_e32 v44, s34, v1
	v_and_b32_e32 v41, 31, v0
	v_cmp_gt_u32_e64 s4, 32, v0
	v_mbcnt_lo_u32_b32 v42, -1, 0
	s_waitcnt lgkmcnt(0)
	v_mul_lo_u32 v21, s33, v1
	v_add_co_u32 v35, vcc_lo, s8, v2
	v_add_co_ci_u32_e64 v36, null, s9, v3, vcc_lo
	v_cmp_gt_u32_e64 s5, 8, v0
	v_lshrrev_b32_e32 v40, 1, v0
	v_mov_b32_e32 v37, 16
	v_mov_b32_e32 v38, 32
	;; [unrolled: 1-line block ×3, first 2 shown]
	s_cmp_lt_i32 s37, 1
	s_cbranch_scc1 .LBB355_60
; %bb.13:
	v_cmp_gt_u32_e32 vcc_lo, 24, v42
	v_mul_lo_u32 v22, s33, v1
	v_cmp_ge_i32_e64 s7, s18, v43
	v_cmp_ge_i32_e64 s8, s18, v44
	v_lshl_or_b32 v45, v42, 2, 64
	v_cndmask_b32_e64 v2, 0, 8, vcc_lo
	v_cmp_gt_u32_e32 vcc_lo, 28, v42
	v_cmp_eq_u32_e64 s9, 0, v41
	v_lshlrev_b32_e32 v50, 4, v41
	v_ashrrev_i32_e32 v23, 31, v22
	v_add_lshl_u32 v46, v2, v42, 2
	v_cndmask_b32_e64 v3, 0, 4, vcc_lo
	v_cmp_gt_u32_e32 vcc_lo, 30, v42
	v_and_b32_e32 v51, 0x70, v40
	v_lshlrev_b64 v[5:6], 4, v[22:23]
	v_cmp_eq_u32_e64 s10, 0, v0
	v_add_lshl_u32 v47, v3, v42, 2
	v_cndmask_b32_e64 v1, 0, 2, vcc_lo
	v_cmp_ne_u32_e32 vcc_lo, 31, v42
	s_cmp_gt_i32 s34, 0
	s_mov_b32 s23, 0
	s_cselect_b32 s38, -1, 0
	v_add_lshl_u32 v48, v1, v42, 2
	v_add_nc_u32_e32 v1, s33, v22
	v_add_co_ci_u32_e64 v4, null, 0, v42, vcc_lo
	v_add_co_u32 v23, vcc_lo, s16, v5
	v_add_nc_u32_e32 v3, s33, v1
	v_ashrrev_i32_e32 v2, 31, v1
	v_lshlrev_b32_e32 v49, 2, v4
	v_add_co_ci_u32_e64 v24, null, s17, v6, vcc_lo
	v_add_nc_u32_e32 v7, s33, v3
	v_lshlrev_b64 v[1:2], 4, v[1:2]
	v_ashrrev_i32_e32 v4, 31, v3
	s_lshl_b32 s39, s21, 2
	s_lshl_b32 s40, s21, 1
	v_ashrrev_i32_e32 v8, 31, v7
	s_mul_i32 s41, s21, 3
	v_lshlrev_b64 v[3:4], 4, v[3:4]
	v_add_co_u32 v25, vcc_lo, s16, v1
	v_add_co_ci_u32_e64 v26, null, s17, v2, vcc_lo
	v_lshlrev_b64 v[1:2], 4, v[7:8]
	v_add_co_u32 v27, vcc_lo, s16, v3
	v_add_co_ci_u32_e64 v28, null, s17, v4, vcc_lo
	s_mov_b32 s24, s23
	v_add_co_u32 v29, vcc_lo, s16, v1
	v_add_co_ci_u32_e64 v30, null, s17, v2, vcc_lo
	v_mov_b32_e32 v1, 0
	s_mov_b32 s42, s21
	s_mov_b32 s35, 0
	s_branch .LBB355_15
.LBB355_14:                             ;   in Loop: Header=BB355_15 Depth=1
	s_or_b32 exec_lo, exec_lo, s25
	s_add_i32 s35, s35, 4
	s_add_i32 s42, s42, s39
	;; [unrolled: 1-line block ×5, first 2 shown]
	s_cmp_ge_i32 s35, s37
	s_cbranch_scc1 .LBB355_61
.LBB355_15:                             ; =>This Loop Header: Depth=1
                                        ;     Child Loop BB355_46 Depth 2
                                        ;     Child Loop BB355_48 Depth 2
                                        ; implicit-def: $vgpr17_vgpr18
                                        ; implicit-def: $vgpr19_vgpr20
                                        ; implicit-def: $vgpr13_vgpr14
                                        ; implicit-def: $vgpr15_vgpr16
                                        ; implicit-def: $vgpr9_vgpr10
                                        ; implicit-def: $vgpr11_vgpr12
                                        ; implicit-def: $vgpr33_vgpr34
                                        ; implicit-def: $vgpr31_vgpr32
	s_and_saveexec_b32 s22, s7
	s_xor_b32 s22, exec_lo, s22
	s_cbranch_execnz .LBB355_42
; %bb.16:                               ;   in Loop: Header=BB355_15 Depth=1
	s_andn2_saveexec_b32 s22, s22
	s_cbranch_execnz .LBB355_43
.LBB355_17:                             ;   in Loop: Header=BB355_15 Depth=1
	s_or_b32 exec_lo, exec_lo, s22
	s_and_saveexec_b32 s22, s4
	s_cbranch_execz .LBB355_19
.LBB355_18:                             ;   in Loop: Header=BB355_15 Depth=1
	v_mov_b32_e32 v2, v1
	v_mov_b32_e32 v3, v1
	v_mov_b32_e32 v4, v1
	ds_write_b128 v50, v[1:4]
.LBB355_19:                             ;   in Loop: Header=BB355_15 Depth=1
	s_or_b32 exec_lo, exec_lo, s22
	ds_bpermute_b32 v2, v45, v33
	ds_bpermute_b32 v3, v45, v34
	;; [unrolled: 1-line block ×4, first 2 shown]
	s_waitcnt lgkmcnt(0)
	s_waitcnt_vscnt null, 0x0
	s_barrier
	buffer_gl0_inv
	v_add_f64 v[2:3], v[33:34], v[2:3]
	v_add_f64 v[4:5], v[31:32], v[4:5]
	ds_bpermute_b32 v6, v46, v2
	ds_bpermute_b32 v7, v46, v3
	ds_bpermute_b32 v31, v46, v4
	ds_bpermute_b32 v32, v46, v5
	s_waitcnt lgkmcnt(2)
	v_add_f64 v[2:3], v[2:3], v[6:7]
	s_waitcnt lgkmcnt(0)
	v_add_f64 v[4:5], v[4:5], v[31:32]
	ds_bpermute_b32 v6, v47, v2
	ds_bpermute_b32 v7, v47, v3
	ds_bpermute_b32 v31, v47, v4
	ds_bpermute_b32 v32, v47, v5
	s_waitcnt lgkmcnt(2)
	v_add_f64 v[2:3], v[2:3], v[6:7]
	s_waitcnt lgkmcnt(0)
	;; [unrolled: 8-line block ×3, first 2 shown]
	v_add_f64 v[6:7], v[4:5], v[31:32]
	ds_bpermute_b32 v4, v49, v2
	ds_bpermute_b32 v5, v49, v3
	;; [unrolled: 1-line block ×4, first 2 shown]
	s_and_saveexec_b32 s22, s9
	s_cbranch_execz .LBB355_21
; %bb.20:                               ;   in Loop: Header=BB355_15 Depth=1
	s_waitcnt lgkmcnt(0)
	v_add_f64 v[6:7], v[6:7], v[31:32]
	v_add_f64 v[4:5], v[2:3], v[4:5]
	ds_write_b128 v51, v[4:7]
.LBB355_21:                             ;   in Loop: Header=BB355_15 Depth=1
	s_or_b32 exec_lo, exec_lo, s22
	v_mov_b32_e32 v7, 0
	s_waitcnt lgkmcnt(2)
	v_mov_b32_e32 v5, 0
	v_mov_b32_e32 v8, 0
	;; [unrolled: 1-line block ×3, first 2 shown]
	s_waitcnt lgkmcnt(0)
	s_barrier
	buffer_gl0_inv
	s_and_saveexec_b32 s22, s5
	s_cbranch_execnz .LBB355_49
; %bb.22:                               ;   in Loop: Header=BB355_15 Depth=1
	s_or_b32 exec_lo, exec_lo, s22
	s_and_saveexec_b32 s22, s4
	s_cbranch_execnz .LBB355_50
.LBB355_23:                             ;   in Loop: Header=BB355_15 Depth=1
	s_or_b32 exec_lo, exec_lo, s22
	s_and_saveexec_b32 s22, s4
	s_cbranch_execz .LBB355_25
.LBB355_24:                             ;   in Loop: Header=BB355_15 Depth=1
	v_mov_b32_e32 v2, v1
	v_mov_b32_e32 v3, v1
	;; [unrolled: 1-line block ×3, first 2 shown]
	ds_write_b128 v50, v[1:4]
.LBB355_25:                             ;   in Loop: Header=BB355_15 Depth=1
	s_or_b32 exec_lo, exec_lo, s22
	ds_bpermute_b32 v2, v45, v9
	ds_bpermute_b32 v3, v45, v10
	;; [unrolled: 1-line block ×4, first 2 shown]
	s_waitcnt lgkmcnt(0)
	s_barrier
	buffer_gl0_inv
	v_add_f64 v[2:3], v[9:10], v[2:3]
	v_add_f64 v[9:10], v[11:12], v[31:32]
	ds_bpermute_b32 v11, v46, v2
	ds_bpermute_b32 v12, v46, v3
	ds_bpermute_b32 v31, v46, v9
	ds_bpermute_b32 v32, v46, v10
	s_waitcnt lgkmcnt(2)
	v_add_f64 v[2:3], v[2:3], v[11:12]
	s_waitcnt lgkmcnt(0)
	v_add_f64 v[9:10], v[9:10], v[31:32]
	ds_bpermute_b32 v11, v47, v2
	ds_bpermute_b32 v12, v47, v3
	ds_bpermute_b32 v31, v47, v9
	ds_bpermute_b32 v32, v47, v10
	s_waitcnt lgkmcnt(2)
	v_add_f64 v[2:3], v[2:3], v[11:12]
	s_waitcnt lgkmcnt(0)
	;; [unrolled: 8-line block ×3, first 2 shown]
	v_add_f64 v[11:12], v[9:10], v[31:32]
	ds_bpermute_b32 v9, v49, v2
	ds_bpermute_b32 v10, v49, v3
	;; [unrolled: 1-line block ×4, first 2 shown]
	s_and_saveexec_b32 s22, s9
	s_cbranch_execz .LBB355_27
; %bb.26:                               ;   in Loop: Header=BB355_15 Depth=1
	s_waitcnt lgkmcnt(0)
	v_add_f64 v[11:12], v[11:12], v[31:32]
	v_add_f64 v[9:10], v[2:3], v[9:10]
	ds_write_b128 v51, v[9:12]
.LBB355_27:                             ;   in Loop: Header=BB355_15 Depth=1
	s_or_b32 exec_lo, exec_lo, s22
	v_mov_b32_e32 v11, 0
	s_waitcnt lgkmcnt(2)
	v_mov_b32_e32 v9, 0
	v_mov_b32_e32 v12, 0
	;; [unrolled: 1-line block ×3, first 2 shown]
	s_waitcnt lgkmcnt(0)
	s_barrier
	buffer_gl0_inv
	s_and_saveexec_b32 s22, s5
	s_cbranch_execnz .LBB355_51
; %bb.28:                               ;   in Loop: Header=BB355_15 Depth=1
	s_or_b32 exec_lo, exec_lo, s22
	s_and_saveexec_b32 s22, s4
	s_cbranch_execnz .LBB355_52
.LBB355_29:                             ;   in Loop: Header=BB355_15 Depth=1
	s_or_b32 exec_lo, exec_lo, s22
	s_and_saveexec_b32 s22, s4
	s_cbranch_execz .LBB355_31
.LBB355_30:                             ;   in Loop: Header=BB355_15 Depth=1
	v_mov_b32_e32 v2, v1
	v_mov_b32_e32 v3, v1
	;; [unrolled: 1-line block ×3, first 2 shown]
	ds_write_b128 v50, v[1:4]
.LBB355_31:                             ;   in Loop: Header=BB355_15 Depth=1
	s_or_b32 exec_lo, exec_lo, s22
	ds_bpermute_b32 v2, v45, v13
	ds_bpermute_b32 v3, v45, v14
	ds_bpermute_b32 v31, v45, v15
	ds_bpermute_b32 v32, v45, v16
	s_waitcnt lgkmcnt(0)
	s_barrier
	buffer_gl0_inv
	v_add_f64 v[2:3], v[13:14], v[2:3]
	v_add_f64 v[13:14], v[15:16], v[31:32]
	ds_bpermute_b32 v15, v46, v2
	ds_bpermute_b32 v16, v46, v3
	ds_bpermute_b32 v31, v46, v13
	ds_bpermute_b32 v32, v46, v14
	s_waitcnt lgkmcnt(2)
	v_add_f64 v[2:3], v[2:3], v[15:16]
	s_waitcnt lgkmcnt(0)
	v_add_f64 v[13:14], v[13:14], v[31:32]
	ds_bpermute_b32 v15, v47, v2
	ds_bpermute_b32 v16, v47, v3
	ds_bpermute_b32 v31, v47, v13
	ds_bpermute_b32 v32, v47, v14
	s_waitcnt lgkmcnt(2)
	v_add_f64 v[2:3], v[2:3], v[15:16]
	s_waitcnt lgkmcnt(0)
	v_add_f64 v[13:14], v[13:14], v[31:32]
	ds_bpermute_b32 v15, v48, v2
	ds_bpermute_b32 v16, v48, v3
	ds_bpermute_b32 v31, v48, v13
	ds_bpermute_b32 v32, v48, v14
	s_waitcnt lgkmcnt(2)
	v_add_f64 v[2:3], v[2:3], v[15:16]
	s_waitcnt lgkmcnt(0)
	v_add_f64 v[15:16], v[13:14], v[31:32]
	ds_bpermute_b32 v13, v49, v2
	ds_bpermute_b32 v14, v49, v3
	;; [unrolled: 1-line block ×4, first 2 shown]
	s_and_saveexec_b32 s22, s9
	s_cbranch_execz .LBB355_33
; %bb.32:                               ;   in Loop: Header=BB355_15 Depth=1
	s_waitcnt lgkmcnt(0)
	v_add_f64 v[15:16], v[15:16], v[31:32]
	v_add_f64 v[13:14], v[2:3], v[13:14]
	ds_write_b128 v51, v[13:16]
.LBB355_33:                             ;   in Loop: Header=BB355_15 Depth=1
	s_or_b32 exec_lo, exec_lo, s22
	v_mov_b32_e32 v15, 0
	s_waitcnt lgkmcnt(2)
	v_mov_b32_e32 v13, 0
	v_mov_b32_e32 v16, 0
	;; [unrolled: 1-line block ×3, first 2 shown]
	s_waitcnt lgkmcnt(0)
	s_barrier
	buffer_gl0_inv
	s_and_saveexec_b32 s22, s5
	s_cbranch_execnz .LBB355_53
; %bb.34:                               ;   in Loop: Header=BB355_15 Depth=1
	s_or_b32 exec_lo, exec_lo, s22
	s_and_saveexec_b32 s22, s4
	s_cbranch_execnz .LBB355_54
.LBB355_35:                             ;   in Loop: Header=BB355_15 Depth=1
	s_or_b32 exec_lo, exec_lo, s22
	s_and_saveexec_b32 s22, s4
	s_cbranch_execz .LBB355_37
.LBB355_36:                             ;   in Loop: Header=BB355_15 Depth=1
	v_mov_b32_e32 v2, v1
	v_mov_b32_e32 v3, v1
	;; [unrolled: 1-line block ×3, first 2 shown]
	ds_write_b128 v50, v[1:4]
.LBB355_37:                             ;   in Loop: Header=BB355_15 Depth=1
	s_or_b32 exec_lo, exec_lo, s22
	ds_bpermute_b32 v2, v45, v17
	ds_bpermute_b32 v3, v45, v18
	;; [unrolled: 1-line block ×4, first 2 shown]
	s_waitcnt lgkmcnt(0)
	s_barrier
	buffer_gl0_inv
	v_add_f64 v[2:3], v[17:18], v[2:3]
	v_add_f64 v[17:18], v[19:20], v[31:32]
	ds_bpermute_b32 v19, v46, v2
	ds_bpermute_b32 v20, v46, v3
	ds_bpermute_b32 v31, v46, v17
	ds_bpermute_b32 v32, v46, v18
	s_waitcnt lgkmcnt(2)
	v_add_f64 v[2:3], v[2:3], v[19:20]
	s_waitcnt lgkmcnt(0)
	v_add_f64 v[17:18], v[17:18], v[31:32]
	ds_bpermute_b32 v19, v47, v2
	ds_bpermute_b32 v20, v47, v3
	ds_bpermute_b32 v31, v47, v17
	ds_bpermute_b32 v32, v47, v18
	s_waitcnt lgkmcnt(2)
	v_add_f64 v[2:3], v[2:3], v[19:20]
	s_waitcnt lgkmcnt(0)
	;; [unrolled: 8-line block ×3, first 2 shown]
	v_add_f64 v[19:20], v[17:18], v[31:32]
	ds_bpermute_b32 v17, v49, v2
	ds_bpermute_b32 v18, v49, v3
	ds_bpermute_b32 v31, v49, v19
	ds_bpermute_b32 v32, v49, v20
	s_and_saveexec_b32 s22, s9
	s_cbranch_execz .LBB355_39
; %bb.38:                               ;   in Loop: Header=BB355_15 Depth=1
	s_waitcnt lgkmcnt(0)
	v_add_f64 v[19:20], v[19:20], v[31:32]
	v_add_f64 v[17:18], v[2:3], v[17:18]
	ds_write_b128 v51, v[17:20]
.LBB355_39:                             ;   in Loop: Header=BB355_15 Depth=1
	s_or_b32 exec_lo, exec_lo, s22
	v_mov_b32_e32 v19, 0
	s_waitcnt lgkmcnt(2)
	v_mov_b32_e32 v17, 0
	v_mov_b32_e32 v20, 0
	;; [unrolled: 1-line block ×3, first 2 shown]
	s_waitcnt lgkmcnt(0)
	s_barrier
	buffer_gl0_inv
	s_and_saveexec_b32 s22, s5
	s_cbranch_execnz .LBB355_55
; %bb.40:                               ;   in Loop: Header=BB355_15 Depth=1
	s_or_b32 exec_lo, exec_lo, s22
	s_and_saveexec_b32 s22, s4
	s_cbranch_execnz .LBB355_56
.LBB355_41:                             ;   in Loop: Header=BB355_15 Depth=1
	s_or_b32 exec_lo, exec_lo, s22
	s_and_saveexec_b32 s25, s10
	s_cbranch_execz .LBB355_14
	s_branch .LBB355_57
.LBB355_42:                             ;   in Loop: Header=BB355_15 Depth=1
	flat_load_dwordx4 v[8:11], v[23:24]
	s_mul_i32 s26, s35, s21
	s_waitcnt vmcnt(0) lgkmcnt(0)
	buffer_store_dword v11, off, s[0:3], 0 offset:12
	buffer_store_dword v10, off, s[0:3], 0 offset:8
	buffer_store_dword v9, off, s[0:3], 0 offset:4
	buffer_store_dword v8, off, s[0:3], 0
	flat_load_dwordx4 v[2:5], v[25:26]
	s_ashr_i32 s27, s26, 31
	s_waitcnt vmcnt(0) lgkmcnt(0)
	buffer_store_dword v5, v37, s[0:3], 0 offen offset:12
	buffer_store_dword v4, v37, s[0:3], 0 offen offset:8
	;; [unrolled: 1-line block ×3, first 2 shown]
	buffer_store_dword v2, v37, s[0:3], 0 offen
	flat_load_dwordx4 v[2:5], v[27:28]
	s_lshl_b64 s[28:29], s[26:27], 4
	s_add_i32 s26, s26, s21
	s_waitcnt vmcnt(0) lgkmcnt(0)
	buffer_store_dword v5, v38, s[0:3], 0 offen offset:12
	buffer_store_dword v4, v38, s[0:3], 0 offen offset:8
	;; [unrolled: 1-line block ×3, first 2 shown]
	buffer_store_dword v2, v38, s[0:3], 0 offen
	flat_load_dwordx4 v[2:5], v[29:30]
	s_ashr_i32 s27, s26, 31
	s_waitcnt vmcnt(0) lgkmcnt(0)
	buffer_store_dword v5, v39, s[0:3], 0 offen offset:12
	buffer_store_dword v4, v39, s[0:3], 0 offen offset:8
	;; [unrolled: 1-line block ×3, first 2 shown]
	buffer_store_dword v2, v39, s[0:3], 0 offen
	v_add_co_u32 v4, vcc_lo, v35, s28
	v_add_co_ci_u32_e64 v5, null, s29, v36, vcc_lo
	s_lshl_b64 s[28:29], s[26:27], 4
	s_add_i32 s26, s26, s21
	flat_load_dwordx4 v[12:15], v[4:5]
	s_ashr_i32 s27, s26, 31
	s_waitcnt vmcnt(0) lgkmcnt(0)
	v_mul_f64 v[6:7], v[8:9], v[14:15]
	v_mul_f64 v[2:3], v[10:11], v[14:15]
	v_fma_f64 v[6:7], v[10:11], v[12:13], v[6:7]
	v_fma_f64 v[2:3], v[8:9], v[12:13], -v[2:3]
	v_add_f64 v[31:32], v[6:7], 0
	v_add_co_u32 v6, vcc_lo, v35, s28
	v_add_co_ci_u32_e64 v7, null, s29, v36, vcc_lo
	v_add_f64 v[19:20], v[2:3], 0
	s_lshl_b64 s[28:29], s[26:27], 4
	s_add_i32 s26, s26, s21
	flat_load_dwordx4 v[12:15], v[6:7]
	s_ashr_i32 s27, s26, 31
	s_lshl_b64 s[26:27], s[26:27], 4
	s_waitcnt vmcnt(0) lgkmcnt(0)
	v_mul_f64 v[2:3], v[10:11], v[14:15]
	v_mul_f64 v[14:15], v[8:9], v[14:15]
	v_fma_f64 v[2:3], v[8:9], v[12:13], -v[2:3]
	v_fma_f64 v[12:13], v[10:11], v[12:13], v[14:15]
	v_add_f64 v[33:34], v[2:3], 0
	v_add_f64 v[52:53], v[12:13], 0
	v_add_co_u32 v13, vcc_lo, v35, s28
	v_add_co_ci_u32_e64 v14, null, s29, v36, vcc_lo
	flat_load_dwordx4 v[15:18], v[13:14]
	s_waitcnt vmcnt(0) lgkmcnt(0)
	v_mul_f64 v[2:3], v[10:11], v[17:18]
	v_mul_f64 v[17:18], v[8:9], v[17:18]
	v_fma_f64 v[2:3], v[8:9], v[15:16], -v[2:3]
	v_fma_f64 v[15:16], v[10:11], v[15:16], v[17:18]
	v_add_f64 v[54:55], v[2:3], 0
	v_add_co_u32 v2, vcc_lo, v35, s26
	v_add_co_ci_u32_e64 v3, null, s27, v36, vcc_lo
	v_add_f64 v[56:57], v[15:16], 0
	flat_load_dwordx4 v[15:18], v[2:3]
	s_waitcnt vmcnt(0) lgkmcnt(0)
	v_mul_f64 v[58:59], v[10:11], v[17:18]
	v_fma_f64 v[58:59], v[8:9], v[15:16], -v[58:59]
	v_mul_f64 v[8:9], v[8:9], v[17:18]
	v_fma_f64 v[8:9], v[10:11], v[15:16], v[8:9]
	v_add_f64 v[15:16], v[58:59], 0
	s_clause 0x3
	buffer_load_dword v58, off, s[0:3], 0 offset:16
	buffer_load_dword v59, off, s[0:3], 0 offset:20
	;; [unrolled: 1-line block ×4, first 2 shown]
	v_add_f64 v[17:18], v[8:9], 0
	flat_load_dwordx4 v[8:11], v[4:5] offset:16
	s_waitcnt vmcnt(0) lgkmcnt(0)
	v_mul_f64 v[62:63], v[60:61], v[10:11]
	v_mul_f64 v[10:11], v[58:59], v[10:11]
	v_fma_f64 v[62:63], v[58:59], v[8:9], -v[62:63]
	v_fma_f64 v[8:9], v[60:61], v[8:9], v[10:11]
	v_add_f64 v[19:20], v[19:20], v[62:63]
	v_add_f64 v[31:32], v[31:32], v[8:9]
	flat_load_dwordx4 v[8:11], v[6:7] offset:16
	s_waitcnt vmcnt(0) lgkmcnt(0)
	v_mul_f64 v[62:63], v[60:61], v[10:11]
	v_mul_f64 v[10:11], v[58:59], v[10:11]
	v_fma_f64 v[62:63], v[58:59], v[8:9], -v[62:63]
	v_fma_f64 v[8:9], v[60:61], v[8:9], v[10:11]
	v_add_f64 v[33:34], v[33:34], v[62:63]
	;; [unrolled: 8-line block ×3, first 2 shown]
	v_add_f64 v[56:57], v[56:57], v[8:9]
	flat_load_dwordx4 v[8:11], v[2:3] offset:16
	s_waitcnt vmcnt(0) lgkmcnt(0)
	v_mul_f64 v[62:63], v[60:61], v[10:11]
	v_mul_f64 v[10:11], v[58:59], v[10:11]
	v_fma_f64 v[62:63], v[58:59], v[8:9], -v[62:63]
	v_fma_f64 v[8:9], v[60:61], v[8:9], v[10:11]
	s_clause 0x3
	buffer_load_dword v58, off, s[0:3], 0 offset:32
	buffer_load_dword v59, off, s[0:3], 0 offset:36
	;; [unrolled: 1-line block ×4, first 2 shown]
	v_add_f64 v[15:16], v[15:16], v[62:63]
	v_add_f64 v[17:18], v[17:18], v[8:9]
	flat_load_dwordx4 v[8:11], v[4:5] offset:32
	s_waitcnt vmcnt(0) lgkmcnt(0)
	v_mul_f64 v[62:63], v[60:61], v[10:11]
	v_mul_f64 v[10:11], v[58:59], v[10:11]
	v_fma_f64 v[62:63], v[58:59], v[8:9], -v[62:63]
	v_fma_f64 v[8:9], v[60:61], v[8:9], v[10:11]
	v_add_f64 v[19:20], v[19:20], v[62:63]
	v_add_f64 v[31:32], v[31:32], v[8:9]
	flat_load_dwordx4 v[8:11], v[6:7] offset:32
	s_waitcnt vmcnt(0) lgkmcnt(0)
	v_mul_f64 v[62:63], v[60:61], v[10:11]
	v_mul_f64 v[10:11], v[58:59], v[10:11]
	v_fma_f64 v[62:63], v[58:59], v[8:9], -v[62:63]
	v_fma_f64 v[8:9], v[60:61], v[8:9], v[10:11]
	;; [unrolled: 8-line block ×4, first 2 shown]
	v_add_f64 v[58:59], v[15:16], v[33:34]
	v_add_f64 v[60:61], v[17:18], v[8:9]
	s_clause 0x3
	buffer_load_dword v17, off, s[0:3], 0 offset:48
	buffer_load_dword v18, off, s[0:3], 0 offset:52
	;; [unrolled: 1-line block ×4, first 2 shown]
	flat_load_dwordx4 v[8:11], v[4:5] offset:48
	s_waitcnt vmcnt(0) lgkmcnt(0)
	v_mul_f64 v[4:5], v[64:65], v[10:11]
	v_mul_f64 v[10:11], v[17:18], v[10:11]
	v_fma_f64 v[4:5], v[17:18], v[8:9], -v[4:5]
	v_fma_f64 v[8:9], v[64:65], v[8:9], v[10:11]
	v_add_f64 v[33:34], v[19:20], v[4:5]
	flat_load_dwordx4 v[4:7], v[6:7] offset:48
	v_add_f64 v[31:32], v[31:32], v[8:9]
	s_waitcnt vmcnt(0) lgkmcnt(0)
	v_mul_f64 v[8:9], v[64:65], v[6:7]
	v_mul_f64 v[6:7], v[17:18], v[6:7]
	v_fma_f64 v[8:9], v[17:18], v[4:5], -v[8:9]
	v_fma_f64 v[4:5], v[64:65], v[4:5], v[6:7]
	v_add_f64 v[9:10], v[62:63], v[8:9]
	v_add_f64 v[11:12], v[52:53], v[4:5]
	flat_load_dwordx4 v[4:7], v[13:14] offset:48
	s_waitcnt vmcnt(0) lgkmcnt(0)
	v_mul_f64 v[13:14], v[64:65], v[6:7]
	v_mul_f64 v[6:7], v[17:18], v[6:7]
	v_fma_f64 v[13:14], v[17:18], v[4:5], -v[13:14]
	v_fma_f64 v[4:5], v[64:65], v[4:5], v[6:7]
	v_add_f64 v[13:14], v[54:55], v[13:14]
	v_add_f64 v[15:16], v[56:57], v[4:5]
	flat_load_dwordx4 v[2:5], v[2:3] offset:48
	s_waitcnt vmcnt(0) lgkmcnt(0)
	v_mul_f64 v[6:7], v[64:65], v[4:5]
	v_mul_f64 v[4:5], v[17:18], v[4:5]
	v_fma_f64 v[6:7], v[17:18], v[2:3], -v[6:7]
	v_fma_f64 v[2:3], v[64:65], v[2:3], v[4:5]
	v_add_f64 v[17:18], v[58:59], v[6:7]
	v_add_f64 v[19:20], v[60:61], v[2:3]
	s_andn2_saveexec_b32 s22, s22
	s_cbranch_execz .LBB355_17
.LBB355_43:                             ;   in Loop: Header=BB355_15 Depth=1
	s_waitcnt lgkmcnt(0)
	v_mov_b32_e32 v17, 0
	v_mov_b32_e32 v19, 0
	;; [unrolled: 1-line block ×16, first 2 shown]
	s_and_saveexec_b32 s43, s8
	s_cbranch_execz .LBB355_59
; %bb.44:                               ;   in Loop: Header=BB355_15 Depth=1
	s_andn2_b32 vcc_lo, exec_lo, s38
	s_cbranch_vccnz .LBB355_58
; %bb.45:                               ;   in Loop: Header=BB355_15 Depth=1
	v_mov_b32_e32 v2, v22
	s_mov_b32 s25, 0
	s_mov_b32 s26, s34
	.p2align	6
.LBB355_46:                             ;   Parent Loop BB355_15 Depth=1
                                        ; =>  This Inner Loop Header: Depth=2
	v_ashrrev_i32_e32 v3, 31, v2
	v_mov_b32_e32 v7, s25
	s_add_i32 s26, s26, -1
	s_add_i32 s25, s25, 16
	s_cmp_eq_u32 s26, 0
	v_lshlrev_b64 v[3:4], 4, v[2:3]
	v_add_nc_u32_e32 v2, s33, v2
	v_add_co_u32 v3, vcc_lo, s16, v3
	v_add_co_ci_u32_e64 v4, null, s17, v4, vcc_lo
	flat_load_dwordx4 v[3:6], v[3:4]
	s_waitcnt vmcnt(0) lgkmcnt(0)
	buffer_store_dword v6, v7, s[0:3], 0 offen offset:12
	buffer_store_dword v5, v7, s[0:3], 0 offen offset:8
	buffer_store_dword v4, v7, s[0:3], 0 offen offset:4
	buffer_store_dword v3, v7, s[0:3], 0 offen
	s_cbranch_scc0 .LBB355_46
; %bb.47:                               ;   in Loop: Header=BB355_15 Depth=1
	s_ashr_i32 s25, s24, 31
	v_mov_b32_e32 v31, 0
	s_lshl_b64 s[26:27], s[24:25], 4
	v_mov_b32_e32 v33, 0
	v_add_co_u32 v2, vcc_lo, v35, s26
	v_mov_b32_e32 v11, 0
	v_mov_b32_e32 v9, 0
	;; [unrolled: 1-line block ×6, first 2 shown]
	v_add_co_ci_u32_e64 v3, null, s27, v36, vcc_lo
	v_mov_b32_e32 v32, 0
	v_mov_b32_e32 v34, 0
	;; [unrolled: 1-line block ×8, first 2 shown]
	s_mov_b32 s25, 0
	s_mov_b32 s26, s41
	;; [unrolled: 1-line block ×5, first 2 shown]
.LBB355_48:                             ;   Parent Loop BB355_15 Depth=1
                                        ; =>  This Inner Loop Header: Depth=2
	s_ashr_i32 s31, s30, 31
	s_ashr_i32 s29, s28, 31
	s_lshl_b64 s[46:47], s[30:31], 4
	s_ashr_i32 s27, s26, 31
	s_lshl_b64 s[48:49], s[28:29], 4
	v_add_co_u32 v52, vcc_lo, v35, s46
	s_lshl_b64 s[50:51], s[26:27], 4
	v_add_co_ci_u32_e64 v53, null, s47, v36, vcc_lo
	v_add_co_u32 v56, vcc_lo, v35, s48
	v_mov_b32_e32 v8, s25
	v_add_co_ci_u32_e64 v57, null, s49, v36, vcc_lo
	v_add_co_u32 v60, vcc_lo, v35, s50
	v_add_co_ci_u32_e64 v61, null, s51, v36, vcc_lo
	flat_load_dwordx4 v[4:7], v[2:3]
	s_clause 0x3
	buffer_load_dword v64, v8, s[0:3], 0 offen
	buffer_load_dword v66, v8, s[0:3], 0 offen offset:8
	buffer_load_dword v67, v8, s[0:3], 0 offen offset:12
	;; [unrolled: 1-line block ×3, first 2 shown]
	s_clause 0x2
	flat_load_dwordx4 v[52:55], v[52:53]
	flat_load_dwordx4 v[56:59], v[56:57]
	;; [unrolled: 1-line block ×3, first 2 shown]
	v_add_co_u32 v2, vcc_lo, v2, 16
	v_add_co_ci_u32_e64 v3, null, 0, v3, vcc_lo
	s_add_i32 s44, s44, -1
	s_add_i32 s25, s25, 16
	s_add_i32 s30, s30, 1
	;; [unrolled: 1-line block ×4, first 2 shown]
	s_cmp_lg_u32 s44, 0
	s_waitcnt vmcnt(4) lgkmcnt(3)
	v_mul_f64 v[68:69], v[66:67], v[6:7]
	s_waitcnt vmcnt(3)
	v_mul_f64 v[6:7], v[64:65], v[6:7]
	s_waitcnt vmcnt(2) lgkmcnt(2)
	v_mul_f64 v[70:71], v[66:67], v[54:55]
	v_mul_f64 v[54:55], v[64:65], v[54:55]
	s_waitcnt vmcnt(1) lgkmcnt(1)
	v_mul_f64 v[72:73], v[66:67], v[58:59]
	;; [unrolled: 3-line block ×3, first 2 shown]
	v_mul_f64 v[62:63], v[64:65], v[62:63]
	v_fma_f64 v[68:69], v[64:65], v[4:5], -v[68:69]
	v_fma_f64 v[4:5], v[66:67], v[4:5], v[6:7]
	v_fma_f64 v[6:7], v[64:65], v[52:53], -v[70:71]
	v_fma_f64 v[52:53], v[66:67], v[52:53], v[54:55]
	;; [unrolled: 2-line block ×4, first 2 shown]
	v_add_f64 v[33:34], v[33:34], v[68:69]
	v_add_f64 v[31:32], v[31:32], v[4:5]
	;; [unrolled: 1-line block ×8, first 2 shown]
	s_cbranch_scc1 .LBB355_48
	s_branch .LBB355_59
.LBB355_49:                             ;   in Loop: Header=BB355_15 Depth=1
	ds_read_b128 v[5:8], v50
	s_or_b32 exec_lo, exec_lo, s22
	s_and_saveexec_b32 s22, s4
	s_cbranch_execz .LBB355_23
.LBB355_50:                             ;   in Loop: Header=BB355_15 Depth=1
	s_waitcnt lgkmcnt(0)
	ds_bpermute_b32 v2, v47, v5
	ds_bpermute_b32 v3, v47, v6
	ds_bpermute_b32 v31, v47, v7
	ds_bpermute_b32 v32, v47, v8
	s_waitcnt lgkmcnt(2)
	v_add_f64 v[2:3], v[5:6], v[2:3]
	s_waitcnt lgkmcnt(0)
	v_add_f64 v[4:5], v[7:8], v[31:32]
	ds_bpermute_b32 v6, v48, v2
	ds_bpermute_b32 v7, v48, v3
	ds_bpermute_b32 v31, v48, v4
	ds_bpermute_b32 v32, v48, v5
	s_waitcnt lgkmcnt(2)
	v_add_f64 v[2:3], v[2:3], v[6:7]
	s_waitcnt lgkmcnt(0)
	v_add_f64 v[7:8], v[4:5], v[31:32]
	;; [unrolled: 8-line block ×3, first 2 shown]
	s_or_b32 exec_lo, exec_lo, s22
	s_and_saveexec_b32 s22, s4
	s_cbranch_execnz .LBB355_24
	s_branch .LBB355_25
.LBB355_51:                             ;   in Loop: Header=BB355_15 Depth=1
	ds_read_b128 v[9:12], v50
	s_or_b32 exec_lo, exec_lo, s22
	s_and_saveexec_b32 s22, s4
	s_cbranch_execz .LBB355_29
.LBB355_52:                             ;   in Loop: Header=BB355_15 Depth=1
	s_waitcnt lgkmcnt(0)
	ds_bpermute_b32 v2, v47, v9
	ds_bpermute_b32 v3, v47, v10
	ds_bpermute_b32 v31, v47, v11
	ds_bpermute_b32 v32, v47, v12
	s_waitcnt lgkmcnt(2)
	v_add_f64 v[2:3], v[9:10], v[2:3]
	s_waitcnt lgkmcnt(0)
	v_add_f64 v[9:10], v[11:12], v[31:32]
	ds_bpermute_b32 v11, v48, v2
	ds_bpermute_b32 v12, v48, v3
	ds_bpermute_b32 v31, v48, v9
	ds_bpermute_b32 v32, v48, v10
	s_waitcnt lgkmcnt(2)
	v_add_f64 v[2:3], v[2:3], v[11:12]
	s_waitcnt lgkmcnt(0)
	v_add_f64 v[11:12], v[9:10], v[31:32]
	;; [unrolled: 8-line block ×3, first 2 shown]
	s_or_b32 exec_lo, exec_lo, s22
	s_and_saveexec_b32 s22, s4
	s_cbranch_execnz .LBB355_30
	s_branch .LBB355_31
.LBB355_53:                             ;   in Loop: Header=BB355_15 Depth=1
	ds_read_b128 v[13:16], v50
	s_or_b32 exec_lo, exec_lo, s22
	s_and_saveexec_b32 s22, s4
	s_cbranch_execz .LBB355_35
.LBB355_54:                             ;   in Loop: Header=BB355_15 Depth=1
	s_waitcnt lgkmcnt(0)
	ds_bpermute_b32 v2, v47, v13
	ds_bpermute_b32 v3, v47, v14
	ds_bpermute_b32 v31, v47, v15
	ds_bpermute_b32 v32, v47, v16
	s_waitcnt lgkmcnt(2)
	v_add_f64 v[2:3], v[13:14], v[2:3]
	s_waitcnt lgkmcnt(0)
	v_add_f64 v[13:14], v[15:16], v[31:32]
	ds_bpermute_b32 v15, v48, v2
	ds_bpermute_b32 v16, v48, v3
	ds_bpermute_b32 v31, v48, v13
	ds_bpermute_b32 v32, v48, v14
	s_waitcnt lgkmcnt(2)
	v_add_f64 v[2:3], v[2:3], v[15:16]
	s_waitcnt lgkmcnt(0)
	v_add_f64 v[15:16], v[13:14], v[31:32]
	;; [unrolled: 8-line block ×3, first 2 shown]
	s_or_b32 exec_lo, exec_lo, s22
	s_and_saveexec_b32 s22, s4
	s_cbranch_execnz .LBB355_36
	s_branch .LBB355_37
.LBB355_55:                             ;   in Loop: Header=BB355_15 Depth=1
	ds_read_b128 v[17:20], v50
	s_or_b32 exec_lo, exec_lo, s22
	s_and_saveexec_b32 s22, s4
	s_cbranch_execz .LBB355_41
.LBB355_56:                             ;   in Loop: Header=BB355_15 Depth=1
	s_waitcnt lgkmcnt(0)
	ds_bpermute_b32 v2, v47, v17
	ds_bpermute_b32 v3, v47, v18
	ds_bpermute_b32 v31, v47, v19
	ds_bpermute_b32 v32, v47, v20
	s_waitcnt lgkmcnt(2)
	v_add_f64 v[2:3], v[17:18], v[2:3]
	s_waitcnt lgkmcnt(0)
	v_add_f64 v[17:18], v[19:20], v[31:32]
	ds_bpermute_b32 v19, v48, v2
	ds_bpermute_b32 v20, v48, v3
	ds_bpermute_b32 v31, v48, v17
	ds_bpermute_b32 v32, v48, v18
	s_waitcnt lgkmcnt(2)
	v_add_f64 v[2:3], v[2:3], v[19:20]
	s_waitcnt lgkmcnt(0)
	v_add_f64 v[19:20], v[17:18], v[31:32]
	;; [unrolled: 8-line block ×3, first 2 shown]
	s_or_b32 exec_lo, exec_lo, s22
	s_and_saveexec_b32 s25, s10
	s_cbranch_execz .LBB355_14
.LBB355_57:                             ;   in Loop: Header=BB355_15 Depth=1
	v_mul_f64 v[2:3], s[14:15], v[7:8]
	v_mul_f64 v[7:8], s[12:13], v[7:8]
	;; [unrolled: 1-line block ×6, first 2 shown]
	s_waitcnt lgkmcnt(0)
	v_mul_f64 v[52:53], s[14:15], v[19:20]
	v_mul_f64 v[19:20], s[12:13], v[19:20]
	s_mul_i32 s22, s35, s20
	s_add_i32 s22, s22, s6
	s_lshl_b64 s[26:27], s[22:23], 4
	s_add_u32 s26, s36, s26
	s_addc_u32 s27, s11, s27
	s_add_i32 s22, s22, s20
	s_lshl_b64 s[28:29], s[22:23], 4
	s_add_u32 s28, s36, s28
	s_addc_u32 s29, s11, s29
	v_fma_f64 v[2:3], s[12:13], v[5:6], -v[2:3]
	v_fma_f64 v[4:5], s[14:15], v[5:6], v[7:8]
	v_fma_f64 v[6:7], s[12:13], v[9:10], -v[31:32]
	v_fma_f64 v[8:9], s[14:15], v[9:10], v[11:12]
	;; [unrolled: 2-line block ×4, first 2 shown]
	s_add_i32 s22, s22, s20
	s_lshl_b64 s[30:31], s[22:23], 4
	s_add_u32 s30, s36, s30
	s_addc_u32 s31, s11, s31
	s_add_i32 s22, s22, s20
	s_lshl_b64 s[44:45], s[22:23], 4
	s_add_u32 s44, s36, s44
	s_addc_u32 s45, s11, s45
	global_store_dwordx4 v1, v[2:5], s[26:27]
	global_store_dwordx4 v1, v[6:9], s[28:29]
	;; [unrolled: 1-line block ×4, first 2 shown]
	s_branch .LBB355_14
.LBB355_58:                             ;   in Loop: Header=BB355_15 Depth=1
	v_mov_b32_e32 v17, 0
	v_mov_b32_e32 v19, 0
	;; [unrolled: 1-line block ×16, first 2 shown]
.LBB355_59:                             ;   in Loop: Header=BB355_15 Depth=1
	s_or_b32 exec_lo, exec_lo, s43
	s_or_b32 exec_lo, exec_lo, s22
	s_and_saveexec_b32 s22, s4
	s_cbranch_execnz .LBB355_18
	s_branch .LBB355_19
.LBB355_60:
	s_mov_b32 s35, 0
.LBB355_61:
	s_cmp_ge_i32 s35, s19
	s_cbranch_scc1 .LBB355_83
; %bb.62:
	v_cmp_gt_u32_e64 s5, 24, v42
	v_ashrrev_i32_e32 v22, 31, v21
	v_cmp_gt_u32_e64 s4, 32, v0
	v_cmp_gt_u32_e64 s8, 8, v0
	v_cmp_eq_u32_e64 s9, 0, v0
	v_cndmask_b32_e64 v1, 0, 8, s5
	v_cmp_gt_u32_e64 s5, 28, v42
	s_cmp_gt_i32 s34, 0
	s_mov_b32 s7, 0
	s_cselect_b32 s24, -1, 0
	s_waitcnt lgkmcnt(0)
	v_add_lshl_u32 v19, v1, v42, 2
	v_cndmask_b32_e64 v2, 0, 4, s5
	v_cmp_gt_u32_e64 s5, 30, v42
	v_add_nc_u32_e32 v1, s33, v21
	s_lshl_b64 s[22:23], s[6:7], 4
	v_cmp_ge_i32_e64 s10, s18, v44
	v_add_lshl_u32 v20, v2, v42, 2
	v_cndmask_b32_e64 v3, 0, 2, s5
	v_cmp_ne_u32_e64 s5, 31, v42
	v_ashrrev_i32_e32 v2, 31, v1
	v_add_nc_u32_e32 v0, s33, v1
	v_lshlrev_b32_e32 v17, 4, v41
	v_add_lshl_u32 v23, v3, v42, 2
	v_add_co_ci_u32_e64 v4, null, 0, v42, s5
	v_lshlrev_b64 v[7:8], 4, v[1:2]
	v_add_nc_u32_e32 v2, s33, v0
	v_ashrrev_i32_e32 v1, 31, v0
	v_lshlrev_b32_e32 v24, 2, v4
	v_lshlrev_b64 v[3:4], 4, v[21:22]
	v_lshl_or_b32 v18, v42, 2, 64
	v_cmp_eq_u32_e64 s5, 0, v41
	v_lshlrev_b64 v[0:1], 4, v[0:1]
	v_and_b32_e32 v25, 0x70, v40
	s_add_u32 s7, s36, s22
	v_add_co_u32 v5, s6, s16, v3
	v_ashrrev_i32_e32 v3, 31, v2
	v_add_co_ci_u32_e64 v6, null, s17, v4, s6
	v_add_co_u32 v7, s6, s16, v7
	v_lshlrev_b64 v[2:3], 4, v[2:3]
	v_add_co_ci_u32_e64 v8, null, s17, v8, s6
	v_add_co_u32 v9, s6, s16, v0
	v_add_co_ci_u32_e64 v10, null, s17, v1, s6
	v_add_co_u32 v11, s6, s16, v2
	v_add_co_ci_u32_e64 v12, null, s17, v3, s6
	v_mov_b32_e32 v0, 0
	v_cmp_ge_i32_e32 vcc_lo, s18, v43
	s_addc_u32 s18, s11, s23
	s_and_b32 s22, s24, s10
	s_mul_i32 s10, s35, s21
	s_branch .LBB355_64
.LBB355_63:                             ;   in Loop: Header=BB355_64 Depth=1
	s_or_b32 exec_lo, exec_lo, s6
	s_add_i32 s35, s35, 1
	s_add_i32 s10, s10, s21
	s_cmp_lt_i32 s35, s19
	s_cbranch_scc0 .LBB355_83
.LBB355_64:                             ; =>This Loop Header: Depth=1
                                        ;     Child Loop BB355_76 Depth 2
                                        ;     Child Loop BB355_78 Depth 2
                                        ; implicit-def: $vgpr13_vgpr14
                                        ; implicit-def: $vgpr15_vgpr16
	s_and_saveexec_b32 s6, vcc_lo
	s_xor_b32 s11, exec_lo, s6
	s_cbranch_execnz .LBB355_73
; %bb.65:                               ;   in Loop: Header=BB355_64 Depth=1
	s_andn2_saveexec_b32 s23, s11
	s_cbranch_execnz .LBB355_74
.LBB355_66:                             ;   in Loop: Header=BB355_64 Depth=1
	s_or_b32 exec_lo, exec_lo, s23
	s_and_saveexec_b32 s6, s4
	s_cbranch_execz .LBB355_68
.LBB355_67:                             ;   in Loop: Header=BB355_64 Depth=1
	s_waitcnt lgkmcnt(0)
	v_mov_b32_e32 v1, v0
	v_mov_b32_e32 v2, v0
	;; [unrolled: 1-line block ×3, first 2 shown]
	ds_write_b128 v17, v[0:3]
.LBB355_68:                             ;   in Loop: Header=BB355_64 Depth=1
	s_or_b32 exec_lo, exec_lo, s6
	s_waitcnt lgkmcnt(0)
	ds_bpermute_b32 v1, v18, v13
	ds_bpermute_b32 v2, v18, v14
	;; [unrolled: 1-line block ×4, first 2 shown]
	s_waitcnt lgkmcnt(0)
	s_waitcnt_vscnt null, 0x0
	s_barrier
	buffer_gl0_inv
	v_add_f64 v[1:2], v[13:14], v[1:2]
	v_add_f64 v[3:4], v[15:16], v[3:4]
	ds_bpermute_b32 v13, v19, v1
	ds_bpermute_b32 v14, v19, v2
	ds_bpermute_b32 v15, v19, v3
	ds_bpermute_b32 v16, v19, v4
	s_waitcnt lgkmcnt(2)
	v_add_f64 v[1:2], v[1:2], v[13:14]
	s_waitcnt lgkmcnt(0)
	v_add_f64 v[3:4], v[3:4], v[15:16]
	ds_bpermute_b32 v13, v20, v1
	ds_bpermute_b32 v14, v20, v2
	ds_bpermute_b32 v15, v20, v3
	ds_bpermute_b32 v16, v20, v4
	s_waitcnt lgkmcnt(2)
	v_add_f64 v[1:2], v[1:2], v[13:14]
	s_waitcnt lgkmcnt(0)
	;; [unrolled: 8-line block ×3, first 2 shown]
	v_add_f64 v[13:14], v[3:4], v[15:16]
	ds_bpermute_b32 v3, v24, v1
	ds_bpermute_b32 v4, v24, v2
	ds_bpermute_b32 v15, v24, v13
	ds_bpermute_b32 v16, v24, v14
	s_and_saveexec_b32 s6, s5
	s_cbranch_execz .LBB355_70
; %bb.69:                               ;   in Loop: Header=BB355_64 Depth=1
	s_waitcnt lgkmcnt(0)
	v_add_f64 v[15:16], v[13:14], v[15:16]
	v_add_f64 v[13:14], v[1:2], v[3:4]
	ds_write_b128 v25, v[13:16]
.LBB355_70:                             ;   in Loop: Header=BB355_64 Depth=1
	s_or_b32 exec_lo, exec_lo, s6
	s_waitcnt lgkmcnt(2)
	v_mov_b32_e32 v3, 0
	v_mov_b32_e32 v1, 0
	;; [unrolled: 1-line block ×4, first 2 shown]
	s_waitcnt lgkmcnt(0)
	s_barrier
	buffer_gl0_inv
	s_and_saveexec_b32 s6, s8
	s_cbranch_execnz .LBB355_80
; %bb.71:                               ;   in Loop: Header=BB355_64 Depth=1
	s_or_b32 exec_lo, exec_lo, s6
	s_and_saveexec_b32 s6, s4
	s_cbranch_execnz .LBB355_81
.LBB355_72:                             ;   in Loop: Header=BB355_64 Depth=1
	s_or_b32 exec_lo, exec_lo, s6
	s_and_saveexec_b32 s6, s9
	s_cbranch_execz .LBB355_63
	s_branch .LBB355_82
.LBB355_73:                             ;   in Loop: Header=BB355_64 Depth=1
	s_waitcnt lgkmcnt(0)
	s_clause 0x2
	flat_load_dwordx4 v[1:4], v[7:8]
	flat_load_dwordx4 v[13:16], v[9:10]
	;; [unrolled: 1-line block ×3, first 2 shown]
	s_mul_i32 s24, s35, s21
	s_ashr_i32 s25, s24, 31
	s_lshl_b64 s[24:25], s[24:25], 4
	v_add_co_u32 v48, s6, v35, s24
	v_add_co_ci_u32_e64 v49, null, s25, v36, s6
	flat_load_dwordx4 v[30:33], v[5:6]
	s_clause 0x1
	flat_load_dwordx4 v[40:43], v[48:49]
	flat_load_dwordx4 v[44:47], v[48:49] offset:16
	s_waitcnt vmcnt(5) lgkmcnt(5)
	buffer_store_dword v4, v37, s[0:3], 0 offen offset:12
	buffer_store_dword v3, v37, s[0:3], 0 offen offset:8
	s_waitcnt vmcnt(4) lgkmcnt(4)
	buffer_store_dword v16, v38, s[0:3], 0 offen offset:12
	buffer_store_dword v15, v38, s[0:3], 0 offen offset:8
	;; [unrolled: 1-line block ×3, first 2 shown]
	buffer_store_dword v13, v38, s[0:3], 0 offen
	s_clause 0x4
	buffer_load_dword v51, off, s[0:3], 0 offset:28
	buffer_load_dword v52, off, s[0:3], 0 offset:32
	;; [unrolled: 1-line block ×5, first 2 shown]
	buffer_store_dword v2, v37, s[0:3], 0 offen offset:4
	buffer_store_dword v1, v37, s[0:3], 0 offen
	flat_load_dwordx4 v[1:4], v[48:49] offset:32
	s_clause 0x2
	buffer_load_dword v55, off, s[0:3], 0 offset:44
	buffer_load_dword v56, off, s[0:3], 0 offset:16
	;; [unrolled: 1-line block ×3, first 2 shown]
	flat_load_dwordx4 v[13:16], v[48:49] offset:48
	s_waitcnt vmcnt(13) lgkmcnt(5)
	buffer_store_dword v29, v39, s[0:3], 0 offen offset:12
	buffer_store_dword v28, v39, s[0:3], 0 offen offset:8
	s_clause 0x1
	buffer_load_dword v29, off, s[0:3], 0 offset:60
	buffer_load_dword v28, off, s[0:3], 0 offset:56
	buffer_store_dword v27, v39, s[0:3], 0 offen offset:4
	buffer_store_dword v26, v39, s[0:3], 0 offen
	s_clause 0x1
	buffer_load_dword v26, off, s[0:3], 0 offset:48
	buffer_load_dword v27, off, s[0:3], 0 offset:52
	s_waitcnt vmcnt(16) lgkmcnt(4)
	buffer_store_dword v33, off, s[0:3], 0 offset:12
	buffer_store_dword v32, off, s[0:3], 0 offset:8
	;; [unrolled: 1-line block ×3, first 2 shown]
	buffer_store_dword v30, off, s[0:3], 0
	s_waitcnt vmcnt(15) lgkmcnt(3)
	v_mul_f64 v[48:49], v[42:43], v[32:33]
	v_mul_f64 v[58:59], v[40:41], v[32:33]
	v_fma_f64 v[40:41], v[40:41], v[30:31], -v[48:49]
	v_fma_f64 v[42:43], v[42:43], v[30:31], v[58:59]
	v_add_f64 v[40:41], v[40:41], 0
	v_add_f64 v[42:43], v[42:43], 0
	s_waitcnt vmcnt(9) lgkmcnt(2)
	v_mul_f64 v[48:49], v[46:47], v[50:51]
	v_mul_f64 v[50:51], v[44:45], v[50:51]
	s_waitcnt vmcnt(7) lgkmcnt(1)
	v_mul_f64 v[58:59], v[3:4], v[54:55]
	v_mul_f64 v[54:55], v[1:2], v[54:55]
	s_waitcnt vmcnt(5)
	v_fma_f64 v[44:45], v[44:45], v[56:57], -v[48:49]
	v_fma_f64 v[46:47], v[46:47], v[56:57], v[50:51]
	s_waitcnt vmcnt(2) lgkmcnt(0)
	v_mul_f64 v[48:49], v[15:16], v[28:29]
	v_mul_f64 v[28:29], v[13:14], v[28:29]
	v_fma_f64 v[1:2], v[1:2], v[52:53], -v[58:59]
	v_fma_f64 v[3:4], v[3:4], v[52:53], v[54:55]
	v_add_f64 v[40:41], v[40:41], v[44:45]
	v_add_f64 v[42:43], v[42:43], v[46:47]
	s_waitcnt vmcnt(0)
	v_fma_f64 v[13:14], v[13:14], v[26:27], -v[48:49]
	v_fma_f64 v[15:16], v[15:16], v[26:27], v[28:29]
	v_add_f64 v[1:2], v[40:41], v[1:2]
	v_add_f64 v[3:4], v[42:43], v[3:4]
	;; [unrolled: 1-line block ×4, first 2 shown]
	s_andn2_saveexec_b32 s23, s11
	s_cbranch_execz .LBB355_66
.LBB355_74:                             ;   in Loop: Header=BB355_64 Depth=1
	v_mov_b32_e32 v13, 0
	v_mov_b32_e32 v15, 0
	;; [unrolled: 1-line block ×4, first 2 shown]
	s_and_saveexec_b32 s24, s22
	s_cbranch_execz .LBB355_79
; %bb.75:                               ;   in Loop: Header=BB355_64 Depth=1
	s_waitcnt lgkmcnt(0)
	v_mov_b32_e32 v1, v21
	s_mov_b32 s11, 0
	s_mov_b32 s25, s34
	.p2align	6
.LBB355_76:                             ;   Parent Loop BB355_64 Depth=1
                                        ; =>  This Inner Loop Header: Depth=2
	v_ashrrev_i32_e32 v2, 31, v1
	s_add_i32 s25, s25, -1
	v_lshlrev_b64 v[2:3], 4, v[1:2]
	v_add_nc_u32_e32 v1, s33, v1
	v_add_co_u32 v2, s6, s16, v2
	v_add_co_ci_u32_e64 v3, null, s17, v3, s6
	flat_load_dwordx4 v[13:16], v[2:3]
	v_mov_b32_e32 v2, s11
	s_add_i32 s11, s11, 16
	s_cmp_eq_u32 s25, 0
	s_waitcnt vmcnt(0) lgkmcnt(0)
	buffer_store_dword v16, v2, s[0:3], 0 offen offset:12
	buffer_store_dword v15, v2, s[0:3], 0 offen offset:8
	;; [unrolled: 1-line block ×3, first 2 shown]
	buffer_store_dword v13, v2, s[0:3], 0 offen
	s_cbranch_scc0 .LBB355_76
; %bb.77:                               ;   in Loop: Header=BB355_64 Depth=1
	s_ashr_i32 s11, s10, 31
	v_mov_b32_e32 v13, 0
	s_lshl_b64 s[26:27], s[10:11], 4
	v_mov_b32_e32 v15, 0
	v_add_co_u32 v1, s6, v35, s26
	v_mov_b32_e32 v14, 0
	v_mov_b32_e32 v16, 0
	v_add_co_ci_u32_e64 v2, null, s27, v36, s6
	s_mov_b32 s11, 0
	s_mov_b32 s25, s34
	.p2align	6
.LBB355_78:                             ;   Parent Loop BB355_64 Depth=1
                                        ; =>  This Inner Loop Header: Depth=2
	v_mov_b32_e32 v22, s11
	flat_load_dwordx4 v[26:29], v[1:2]
	v_add_co_u32 v1, s6, v1, 16
	v_add_co_ci_u32_e64 v2, null, 0, v2, s6
	s_clause 0x3
	buffer_load_dword v3, v22, s[0:3], 0 offen offset:8
	buffer_load_dword v4, v22, s[0:3], 0 offen offset:12
	buffer_load_dword v30, v22, s[0:3], 0 offen
	buffer_load_dword v31, v22, s[0:3], 0 offen offset:4
	s_add_i32 s25, s25, -1
	s_add_i32 s11, s11, 16
	s_cmp_lg_u32 s25, 0
	s_waitcnt vmcnt(2) lgkmcnt(0)
	v_mul_f64 v[32:33], v[28:29], v[3:4]
	v_mul_f64 v[3:4], v[26:27], v[3:4]
	s_waitcnt vmcnt(0)
	v_fma_f64 v[26:27], v[26:27], v[30:31], -v[32:33]
	v_fma_f64 v[3:4], v[28:29], v[30:31], v[3:4]
	v_add_f64 v[13:14], v[13:14], v[26:27]
	v_add_f64 v[15:16], v[15:16], v[3:4]
	s_cbranch_scc1 .LBB355_78
.LBB355_79:                             ;   in Loop: Header=BB355_64 Depth=1
	s_or_b32 exec_lo, exec_lo, s24
	s_or_b32 exec_lo, exec_lo, s23
	s_and_saveexec_b32 s6, s4
	s_cbranch_execnz .LBB355_67
	s_branch .LBB355_68
.LBB355_80:                             ;   in Loop: Header=BB355_64 Depth=1
	ds_read_b128 v[1:4], v17
	s_or_b32 exec_lo, exec_lo, s6
	s_and_saveexec_b32 s6, s4
	s_cbranch_execz .LBB355_72
.LBB355_81:                             ;   in Loop: Header=BB355_64 Depth=1
	s_waitcnt lgkmcnt(0)
	ds_bpermute_b32 v13, v20, v1
	ds_bpermute_b32 v14, v20, v2
	ds_bpermute_b32 v15, v20, v3
	ds_bpermute_b32 v16, v20, v4
	s_waitcnt lgkmcnt(2)
	v_add_f64 v[1:2], v[1:2], v[13:14]
	s_waitcnt lgkmcnt(0)
	v_add_f64 v[3:4], v[3:4], v[15:16]
	ds_bpermute_b32 v13, v23, v1
	ds_bpermute_b32 v14, v23, v2
	ds_bpermute_b32 v15, v23, v3
	ds_bpermute_b32 v16, v23, v4
	s_waitcnt lgkmcnt(2)
	v_add_f64 v[1:2], v[1:2], v[13:14]
	s_waitcnt lgkmcnt(0)
	v_add_f64 v[3:4], v[3:4], v[15:16]
	;; [unrolled: 8-line block ×3, first 2 shown]
	s_or_b32 exec_lo, exec_lo, s6
	s_and_saveexec_b32 s6, s9
	s_cbranch_execz .LBB355_63
.LBB355_82:                             ;   in Loop: Header=BB355_64 Depth=1
	s_waitcnt lgkmcnt(0)
	v_mul_f64 v[13:14], s[14:15], v[3:4]
	v_mul_f64 v[3:4], s[12:13], v[3:4]
	s_mul_hi_u32 s25, s35, s20
	s_mul_i32 s24, s35, s20
	s_lshl_b64 s[24:25], s[24:25], 4
	s_add_u32 s24, s7, s24
	s_addc_u32 s25, s18, s25
	v_fma_f64 v[13:14], s[12:13], v[1:2], -v[13:14]
	v_fma_f64 v[15:16], s[14:15], v[1:2], v[3:4]
	global_store_dwordx4 v0, v[13:16], s[24:25]
	s_branch .LBB355_63
.LBB355_83:
	s_endpgm
	.section	.rodata,"a",@progbits
	.p2align	6, 0x0
	.amdhsa_kernel _ZL23rocblas_gemvt_sn_kernelILb0ELi256ELi4EiPK19rocblas_complex_numIdES1_S1_EviiT4_lPKT3_lilS7_lilPT5_i
		.amdhsa_group_segment_fixed_size 512
		.amdhsa_private_segment_fixed_size 80
		.amdhsa_kernarg_size 368
		.amdhsa_user_sgpr_count 6
		.amdhsa_user_sgpr_private_segment_buffer 1
		.amdhsa_user_sgpr_dispatch_ptr 0
		.amdhsa_user_sgpr_queue_ptr 0
		.amdhsa_user_sgpr_kernarg_segment_ptr 1
		.amdhsa_user_sgpr_dispatch_id 0
		.amdhsa_user_sgpr_flat_scratch_init 0
		.amdhsa_user_sgpr_private_segment_size 0
		.amdhsa_wavefront_size32 1
		.amdhsa_uses_dynamic_stack 0
		.amdhsa_system_sgpr_private_segment_wavefront_offset 1
		.amdhsa_system_sgpr_workgroup_id_x 1
		.amdhsa_system_sgpr_workgroup_id_y 0
		.amdhsa_system_sgpr_workgroup_id_z 1
		.amdhsa_system_sgpr_workgroup_info 0
		.amdhsa_system_vgpr_workitem_id 0
		.amdhsa_next_free_vgpr 76
		.amdhsa_next_free_sgpr 52
		.amdhsa_reserve_vcc 1
		.amdhsa_reserve_flat_scratch 1
		.amdhsa_float_round_mode_32 0
		.amdhsa_float_round_mode_16_64 0
		.amdhsa_float_denorm_mode_32 3
		.amdhsa_float_denorm_mode_16_64 3
		.amdhsa_dx10_clamp 1
		.amdhsa_ieee_mode 1
		.amdhsa_fp16_overflow 0
		.amdhsa_workgroup_processor_mode 1
		.amdhsa_memory_ordered 1
		.amdhsa_forward_progress 1
		.amdhsa_shared_vgpr_count 0
		.amdhsa_exception_fp_ieee_invalid_op 0
		.amdhsa_exception_fp_denorm_src 0
		.amdhsa_exception_fp_ieee_div_zero 0
		.amdhsa_exception_fp_ieee_overflow 0
		.amdhsa_exception_fp_ieee_underflow 0
		.amdhsa_exception_fp_ieee_inexact 0
		.amdhsa_exception_int_div_zero 0
	.end_amdhsa_kernel
	.section	.text._ZL23rocblas_gemvt_sn_kernelILb0ELi256ELi4EiPK19rocblas_complex_numIdES1_S1_EviiT4_lPKT3_lilS7_lilPT5_i,"axG",@progbits,_ZL23rocblas_gemvt_sn_kernelILb0ELi256ELi4EiPK19rocblas_complex_numIdES1_S1_EviiT4_lPKT3_lilS7_lilPT5_i,comdat
.Lfunc_end355:
	.size	_ZL23rocblas_gemvt_sn_kernelILb0ELi256ELi4EiPK19rocblas_complex_numIdES1_S1_EviiT4_lPKT3_lilS7_lilPT5_i, .Lfunc_end355-_ZL23rocblas_gemvt_sn_kernelILb0ELi256ELi4EiPK19rocblas_complex_numIdES1_S1_EviiT4_lPKT3_lilS7_lilPT5_i
                                        ; -- End function
	.set _ZL23rocblas_gemvt_sn_kernelILb0ELi256ELi4EiPK19rocblas_complex_numIdES1_S1_EviiT4_lPKT3_lilS7_lilPT5_i.num_vgpr, 76
	.set _ZL23rocblas_gemvt_sn_kernelILb0ELi256ELi4EiPK19rocblas_complex_numIdES1_S1_EviiT4_lPKT3_lilS7_lilPT5_i.num_agpr, 0
	.set _ZL23rocblas_gemvt_sn_kernelILb0ELi256ELi4EiPK19rocblas_complex_numIdES1_S1_EviiT4_lPKT3_lilS7_lilPT5_i.numbered_sgpr, 52
	.set _ZL23rocblas_gemvt_sn_kernelILb0ELi256ELi4EiPK19rocblas_complex_numIdES1_S1_EviiT4_lPKT3_lilS7_lilPT5_i.num_named_barrier, 0
	.set _ZL23rocblas_gemvt_sn_kernelILb0ELi256ELi4EiPK19rocblas_complex_numIdES1_S1_EviiT4_lPKT3_lilS7_lilPT5_i.private_seg_size, 80
	.set _ZL23rocblas_gemvt_sn_kernelILb0ELi256ELi4EiPK19rocblas_complex_numIdES1_S1_EviiT4_lPKT3_lilS7_lilPT5_i.uses_vcc, 1
	.set _ZL23rocblas_gemvt_sn_kernelILb0ELi256ELi4EiPK19rocblas_complex_numIdES1_S1_EviiT4_lPKT3_lilS7_lilPT5_i.uses_flat_scratch, 1
	.set _ZL23rocblas_gemvt_sn_kernelILb0ELi256ELi4EiPK19rocblas_complex_numIdES1_S1_EviiT4_lPKT3_lilS7_lilPT5_i.has_dyn_sized_stack, 0
	.set _ZL23rocblas_gemvt_sn_kernelILb0ELi256ELi4EiPK19rocblas_complex_numIdES1_S1_EviiT4_lPKT3_lilS7_lilPT5_i.has_recursion, 0
	.set _ZL23rocblas_gemvt_sn_kernelILb0ELi256ELi4EiPK19rocblas_complex_numIdES1_S1_EviiT4_lPKT3_lilS7_lilPT5_i.has_indirect_call, 0
	.section	.AMDGPU.csdata,"",@progbits
; Kernel info:
; codeLenInByte = 7856
; TotalNumSgprs: 54
; NumVgprs: 76
; ScratchSize: 80
; MemoryBound: 0
; FloatMode: 240
; IeeeMode: 1
; LDSByteSize: 512 bytes/workgroup (compile time only)
; SGPRBlocks: 0
; VGPRBlocks: 9
; NumSGPRsForWavesPerEU: 54
; NumVGPRsForWavesPerEU: 76
; Occupancy: 12
; WaveLimiterHint : 0
; COMPUTE_PGM_RSRC2:SCRATCH_EN: 1
; COMPUTE_PGM_RSRC2:USER_SGPR: 6
; COMPUTE_PGM_RSRC2:TRAP_HANDLER: 0
; COMPUTE_PGM_RSRC2:TGID_X_EN: 1
; COMPUTE_PGM_RSRC2:TGID_Y_EN: 0
; COMPUTE_PGM_RSRC2:TGID_Z_EN: 1
; COMPUTE_PGM_RSRC2:TIDIG_COMP_CNT: 0
	.section	.text._ZL23rocblas_gemvt_sn_kernelILb0ELi256ELi4ElPK19rocblas_complex_numIdES1_S1_EviiT4_lPKT3_lilS7_lilPT5_i,"axG",@progbits,_ZL23rocblas_gemvt_sn_kernelILb0ELi256ELi4ElPK19rocblas_complex_numIdES1_S1_EviiT4_lPKT3_lilS7_lilPT5_i,comdat
	.globl	_ZL23rocblas_gemvt_sn_kernelILb0ELi256ELi4ElPK19rocblas_complex_numIdES1_S1_EviiT4_lPKT3_lilS7_lilPT5_i ; -- Begin function _ZL23rocblas_gemvt_sn_kernelILb0ELi256ELi4ElPK19rocblas_complex_numIdES1_S1_EviiT4_lPKT3_lilS7_lilPT5_i
	.p2align	8
	.type	_ZL23rocblas_gemvt_sn_kernelILb0ELi256ELi4ElPK19rocblas_complex_numIdES1_S1_EviiT4_lPKT3_lilS7_lilPT5_i,@function
_ZL23rocblas_gemvt_sn_kernelILb0ELi256ELi4ElPK19rocblas_complex_numIdES1_S1_EviiT4_lPKT3_lilS7_lilPT5_i: ; @_ZL23rocblas_gemvt_sn_kernelILb0ELi256ELi4ElPK19rocblas_complex_numIdES1_S1_EviiT4_lPKT3_lilS7_lilPT5_i
; %bb.0:
	s_load_dwordx4 s[12:15], s[4:5], 0x8
	s_add_u32 s0, s0, s8
	s_mov_b32 s10, s7
	s_addc_u32 s1, s1, 0
	s_mov_b64 s[22:23], 0
	s_mov_b32 s11, 0
	s_waitcnt lgkmcnt(0)
	v_cmp_neq_f64_e64 s7, s[12:13], 0
	v_cmp_neq_f64_e64 s8, s[14:15], 0
	s_or_b32 s7, s7, s8
	s_mov_b32 s8, -1
	s_and_b32 vcc_lo, exec_lo, s7
	s_cbranch_vccnz .LBB356_2
; %bb.1:
	s_mov_b32 s8, s11
.LBB356_2:
	s_andn2_b32 vcc_lo, exec_lo, s8
	s_cbranch_vccnz .LBB356_4
; %bb.3:
	s_load_dwordx4 s[16:19], s[4:5], 0x20
	s_lshl_b64 s[8:9], s[10:11], 3
	s_waitcnt lgkmcnt(0)
	s_add_u32 s8, s16, s8
	s_addc_u32 s9, s17, s9
	s_lshl_b64 s[16:17], s[18:19], 4
	s_load_dwordx2 s[8:9], s[8:9], 0x0
	s_waitcnt lgkmcnt(0)
	s_add_u32 s22, s8, s16
	s_addc_u32 s23, s9, s17
.LBB356_4:
	v_cndmask_b32_e64 v1, 0, 1, s7
	s_xor_b32 s20, s7, -1
	s_mov_b64 s[24:25], 0
	v_cmp_ne_u32_e32 vcc_lo, 1, v1
	s_cbranch_vccnz .LBB356_6
; %bb.5:
	s_load_dwordx4 s[16:19], s[4:5], 0x40
	s_lshl_b64 s[8:9], s[10:11], 3
	s_waitcnt lgkmcnt(0)
	s_add_u32 s8, s16, s8
	s_addc_u32 s9, s17, s9
	s_lshl_b64 s[16:17], s[18:19], 4
	s_load_dwordx2 s[8:9], s[8:9], 0x0
	s_waitcnt lgkmcnt(0)
	s_add_u32 s24, s8, s16
	s_addc_u32 s25, s9, s17
.LBB356_6:
	s_clause 0x2
	s_load_dwordx2 s[16:17], s[4:5], 0x0
	s_load_dword s18, s[4:5], 0x70
	s_load_dwordx2 s[8:9], s[4:5], 0x60
	s_andn2_b32 vcc_lo, exec_lo, s20
	v_cmp_eq_u32_e64 s7, 0, v0
	s_mov_b32 s19, 0
	s_waitcnt lgkmcnt(0)
	s_ashr_i32 s28, s17, 31
	s_mul_hi_u32 s11, s10, s17
	s_mul_i32 s20, s10, s28
	s_mul_i32 s10, s10, s17
	s_add_i32 s11, s11, s20
	s_mul_hi_u32 s20, s10, s18
	s_mul_i32 s11, s11, s18
	s_mul_i32 s10, s10, s18
	s_add_i32 s11, s20, s11
	s_mov_b32 s20, -1
	s_cbranch_vccnz .LBB356_11
; %bb.7:
	s_cmp_gt_i32 s17, 0
	s_cselect_b32 s20, -1, 0
	s_and_b32 s7, s7, s20
	s_and_saveexec_b32 s29, s7
	s_cbranch_execz .LBB356_10
; %bb.8:
	s_mov_b32 s7, 0
	v_mov_b32_e32 v1, 0
	s_lshl_b64 s[20:21], s[10:11], 4
	s_lshl_b64 s[26:27], s[6:7], 4
	s_add_u32 s7, s20, s26
	s_addc_u32 s20, s21, s27
	s_add_u32 s7, s8, s7
	v_mov_b32_e32 v2, v1
	v_mov_b32_e32 v3, v1
	;; [unrolled: 1-line block ×3, first 2 shown]
	s_addc_u32 s21, s9, s20
	s_add_u32 s20, s7, 8
	s_addc_u32 s21, s21, 0
	s_lshl_b64 s[26:27], s[18:19], 4
	s_mov_b32 s7, s17
.LBB356_9:                              ; =>This Inner Loop Header: Depth=1
	s_add_i32 s7, s7, -1
	global_store_dwordx4 v1, v[1:4], s[20:21] offset:-8
	s_add_u32 s20, s20, s26
	s_addc_u32 s21, s21, s27
	s_cmp_eq_u32 s7, 0
	s_cbranch_scc0 .LBB356_9
.LBB356_10:
	s_or_b32 exec_lo, exec_lo, s29
	s_mov_b32 s20, 0
.LBB356_11:
	s_andn2_b32 vcc_lo, exec_lo, s20
	s_cbranch_vccnz .LBB356_83
; %bb.12:
	s_clause 0x1
	s_load_dword s20, s[4:5], 0x30
	s_load_dword s26, s[4:5], 0x50
	s_lshl_b64 s[10:11], s[10:11], 4
	v_and_b32_e32 v45, 31, v0
	v_cmp_gt_u32_e64 s4, 32, v0
	v_mbcnt_lo_u32_b32 v47, -1, 0
	v_cmp_gt_u32_e64 s5, 8, v0
	v_lshrrev_b32_e32 v46, 1, v0
	v_mov_b32_e32 v40, 16
	v_mov_b32_e32 v41, 32
	;; [unrolled: 1-line block ×3, first 2 shown]
	s_waitcnt lgkmcnt(0)
	s_ashr_i32 s21, s20, 31
	s_ashr_i32 s27, s26, 31
	s_add_u32 s33, s8, s10
	s_addc_u32 s36, s9, s11
	s_lshl_b32 s7, s6, 10
	s_ashr_i32 s8, s16, 31
	v_lshl_or_b32 v25, v0, 2, s7
	s_lshr_b32 s7, s28, 30
	s_lshr_b32 s8, s8, 30
	s_add_i32 s7, s17, s7
	s_add_i32 s8, s16, s8
	v_ashrrev_i32_e32 v26, 31, v25
	s_and_b32 s37, s7, -4
	s_and_b32 s7, s8, -4
	v_add_nc_u32_e32 v49, 4, v25
	s_sub_i32 s19, s16, s7
	v_lshlrev_b64 v[23:24], 4, v[25:26]
	v_or_b32_e32 v48, 1, v25
	v_or_b32_e32 v44, 2, v25
	;; [unrolled: 1-line block ×3, first 2 shown]
	v_add_nc_u32_e32 v50, s19, v25
	s_cmp_lt_i32 s37, 1
	v_add_co_u32 v21, vcc_lo, s22, v23
	v_add_co_ci_u32_e64 v22, null, s23, v24, vcc_lo
	s_cbranch_scc1 .LBB356_60
; %bb.13:
	v_cmp_gt_u32_e32 vcc_lo, 24, v47
	v_mad_i64_i32 v[5:6], null, s26, v44, 0
	v_mad_i64_i32 v[7:8], null, s26, v43, 0
	v_cndmask_b32_e64 v1, 0, 8, vcc_lo
	v_cmp_gt_u32_e32 vcc_lo, 28, v47
	s_cmp_gt_i32 s19, 0
	s_mov_b32 s7, 0
	v_mov_b32_e32 v35, v22
	v_add_lshl_u32 v52, v1, v47, 2
	v_cndmask_b32_e64 v2, 0, 4, vcc_lo
	v_cmp_gt_u32_e32 vcc_lo, 30, v47
	v_cmp_ge_i32_e64 s8, s16, v49
	v_cmp_ge_i32_e64 s9, s16, v50
	s_cselect_b32 s38, -1, 0
	v_add_lshl_u32 v53, v2, v47, 2
	v_cndmask_b32_e64 v3, 0, 2, vcc_lo
	v_cmp_ne_u32_e32 vcc_lo, 31, v47
	v_mad_i64_i32 v[1:2], null, s26, v25, 0
	v_lshl_or_b32 v51, v47, 2, 64
	v_add_lshl_u32 v54, v3, v47, 2
	v_add_co_ci_u32_e64 v4, null, 0, v47, vcc_lo
	v_cmp_eq_u32_e64 s10, 0, v45
	v_lshlrev_b32_e32 v56, 4, v45
	v_lshlrev_b64 v[1:2], 4, v[1:2]
	v_lshlrev_b32_e32 v55, 2, v4
	v_mad_i64_i32 v[3:4], null, s26, v48, 0
	v_and_b32_e32 v57, 0x70, v46
	s_lshl_b64 s[28:29], s[6:7], 4
	v_add_co_u32 v26, vcc_lo, s24, v1
	v_add_co_ci_u32_e64 v27, null, s25, v2, vcc_lo
	v_lshlrev_b64 v[3:4], 4, v[3:4]
	v_lshlrev_b64 v[1:2], 4, v[5:6]
	v_cmp_eq_u32_e64 s11, 0, v0
	v_mov_b32_e32 v34, v21
	s_add_u32 s39, s33, s28
	s_addc_u32 s40, s36, s29
	v_add_co_u32 v28, vcc_lo, s24, v3
	v_add_co_ci_u32_e64 v29, null, s25, v4, vcc_lo
	v_lshlrev_b64 v[3:4], 4, v[7:8]
	v_add_co_u32 v30, vcc_lo, s24, v1
	v_add_co_ci_u32_e64 v31, null, s25, v2, vcc_lo
	v_mov_b32_e32 v1, 0
	v_add_co_u32 v32, vcc_lo, s24, v3
	v_add_co_ci_u32_e64 v33, null, s25, v4, vcc_lo
	s_lshl_b64 s[28:29], s[26:27], 4
	s_lshl_b64 s[30:31], s[20:21], 6
	;; [unrolled: 1-line block ×3, first 2 shown]
	s_branch .LBB356_15
.LBB356_14:                             ;   in Loop: Header=BB356_15 Depth=1
	s_or_b32 exec_lo, exec_lo, s41
	v_add_co_u32 v34, vcc_lo, v34, s30
	v_add_co_ci_u32_e64 v35, null, s31, v35, vcc_lo
	s_add_i32 s7, s7, 4
	s_cmp_ge_i32 s7, s37
	s_cbranch_scc1 .LBB356_61
.LBB356_15:                             ; =>This Loop Header: Depth=1
                                        ;     Child Loop BB356_46 Depth 2
                                        ;     Child Loop BB356_48 Depth 2
                                        ; implicit-def: $vgpr17_vgpr18
                                        ; implicit-def: $vgpr19_vgpr20
                                        ; implicit-def: $vgpr13_vgpr14
                                        ; implicit-def: $vgpr15_vgpr16
                                        ; implicit-def: $vgpr9_vgpr10
                                        ; implicit-def: $vgpr11_vgpr12
                                        ; implicit-def: $vgpr38_vgpr39
                                        ; implicit-def: $vgpr36_vgpr37
	s_and_saveexec_b32 s41, s8
	s_xor_b32 s41, exec_lo, s41
	s_cbranch_execnz .LBB356_42
; %bb.16:                               ;   in Loop: Header=BB356_15 Depth=1
	s_andn2_saveexec_b32 s41, s41
	s_cbranch_execnz .LBB356_43
.LBB356_17:                             ;   in Loop: Header=BB356_15 Depth=1
	s_or_b32 exec_lo, exec_lo, s41
	s_and_saveexec_b32 s41, s4
	s_cbranch_execz .LBB356_19
.LBB356_18:                             ;   in Loop: Header=BB356_15 Depth=1
	v_mov_b32_e32 v2, v1
	v_mov_b32_e32 v3, v1
	;; [unrolled: 1-line block ×3, first 2 shown]
	ds_write_b128 v56, v[1:4]
.LBB356_19:                             ;   in Loop: Header=BB356_15 Depth=1
	s_or_b32 exec_lo, exec_lo, s41
	ds_bpermute_b32 v2, v51, v38
	ds_bpermute_b32 v3, v51, v39
	;; [unrolled: 1-line block ×4, first 2 shown]
	s_waitcnt lgkmcnt(0)
	s_waitcnt_vscnt null, 0x0
	s_barrier
	buffer_gl0_inv
	v_add_f64 v[2:3], v[38:39], v[2:3]
	v_add_f64 v[4:5], v[36:37], v[4:5]
	ds_bpermute_b32 v6, v52, v2
	ds_bpermute_b32 v7, v52, v3
	ds_bpermute_b32 v36, v52, v4
	ds_bpermute_b32 v37, v52, v5
	s_waitcnt lgkmcnt(2)
	v_add_f64 v[2:3], v[2:3], v[6:7]
	s_waitcnt lgkmcnt(0)
	v_add_f64 v[4:5], v[4:5], v[36:37]
	ds_bpermute_b32 v6, v53, v2
	ds_bpermute_b32 v7, v53, v3
	ds_bpermute_b32 v36, v53, v4
	ds_bpermute_b32 v37, v53, v5
	s_waitcnt lgkmcnt(2)
	v_add_f64 v[2:3], v[2:3], v[6:7]
	s_waitcnt lgkmcnt(0)
	;; [unrolled: 8-line block ×3, first 2 shown]
	v_add_f64 v[6:7], v[4:5], v[36:37]
	ds_bpermute_b32 v4, v55, v2
	ds_bpermute_b32 v5, v55, v3
	;; [unrolled: 1-line block ×4, first 2 shown]
	s_and_saveexec_b32 s41, s10
	s_cbranch_execz .LBB356_21
; %bb.20:                               ;   in Loop: Header=BB356_15 Depth=1
	s_waitcnt lgkmcnt(0)
	v_add_f64 v[6:7], v[6:7], v[36:37]
	v_add_f64 v[4:5], v[2:3], v[4:5]
	ds_write_b128 v57, v[4:7]
.LBB356_21:                             ;   in Loop: Header=BB356_15 Depth=1
	s_or_b32 exec_lo, exec_lo, s41
	v_mov_b32_e32 v7, 0
	s_waitcnt lgkmcnt(2)
	v_mov_b32_e32 v5, 0
	v_mov_b32_e32 v8, 0
	;; [unrolled: 1-line block ×3, first 2 shown]
	s_waitcnt lgkmcnt(0)
	s_barrier
	buffer_gl0_inv
	s_and_saveexec_b32 s41, s5
	s_cbranch_execnz .LBB356_49
; %bb.22:                               ;   in Loop: Header=BB356_15 Depth=1
	s_or_b32 exec_lo, exec_lo, s41
	s_and_saveexec_b32 s41, s4
	s_cbranch_execnz .LBB356_50
.LBB356_23:                             ;   in Loop: Header=BB356_15 Depth=1
	s_or_b32 exec_lo, exec_lo, s41
	s_and_saveexec_b32 s41, s4
	s_cbranch_execz .LBB356_25
.LBB356_24:                             ;   in Loop: Header=BB356_15 Depth=1
	v_mov_b32_e32 v2, v1
	v_mov_b32_e32 v3, v1
	;; [unrolled: 1-line block ×3, first 2 shown]
	ds_write_b128 v56, v[1:4]
.LBB356_25:                             ;   in Loop: Header=BB356_15 Depth=1
	s_or_b32 exec_lo, exec_lo, s41
	ds_bpermute_b32 v2, v51, v9
	ds_bpermute_b32 v3, v51, v10
	;; [unrolled: 1-line block ×4, first 2 shown]
	s_waitcnt lgkmcnt(0)
	s_barrier
	buffer_gl0_inv
	v_add_f64 v[2:3], v[9:10], v[2:3]
	v_add_f64 v[9:10], v[11:12], v[36:37]
	ds_bpermute_b32 v11, v52, v2
	ds_bpermute_b32 v12, v52, v3
	ds_bpermute_b32 v36, v52, v9
	ds_bpermute_b32 v37, v52, v10
	s_waitcnt lgkmcnt(2)
	v_add_f64 v[2:3], v[2:3], v[11:12]
	s_waitcnt lgkmcnt(0)
	v_add_f64 v[9:10], v[9:10], v[36:37]
	ds_bpermute_b32 v11, v53, v2
	ds_bpermute_b32 v12, v53, v3
	ds_bpermute_b32 v36, v53, v9
	ds_bpermute_b32 v37, v53, v10
	s_waitcnt lgkmcnt(2)
	v_add_f64 v[2:3], v[2:3], v[11:12]
	s_waitcnt lgkmcnt(0)
	;; [unrolled: 8-line block ×3, first 2 shown]
	v_add_f64 v[11:12], v[9:10], v[36:37]
	ds_bpermute_b32 v9, v55, v2
	ds_bpermute_b32 v10, v55, v3
	;; [unrolled: 1-line block ×4, first 2 shown]
	s_and_saveexec_b32 s41, s10
	s_cbranch_execz .LBB356_27
; %bb.26:                               ;   in Loop: Header=BB356_15 Depth=1
	s_waitcnt lgkmcnt(0)
	v_add_f64 v[11:12], v[11:12], v[36:37]
	v_add_f64 v[9:10], v[2:3], v[9:10]
	ds_write_b128 v57, v[9:12]
.LBB356_27:                             ;   in Loop: Header=BB356_15 Depth=1
	s_or_b32 exec_lo, exec_lo, s41
	v_mov_b32_e32 v11, 0
	s_waitcnt lgkmcnt(2)
	v_mov_b32_e32 v9, 0
	v_mov_b32_e32 v12, 0
	;; [unrolled: 1-line block ×3, first 2 shown]
	s_waitcnt lgkmcnt(0)
	s_barrier
	buffer_gl0_inv
	s_and_saveexec_b32 s41, s5
	s_cbranch_execnz .LBB356_51
; %bb.28:                               ;   in Loop: Header=BB356_15 Depth=1
	s_or_b32 exec_lo, exec_lo, s41
	s_and_saveexec_b32 s41, s4
	s_cbranch_execnz .LBB356_52
.LBB356_29:                             ;   in Loop: Header=BB356_15 Depth=1
	s_or_b32 exec_lo, exec_lo, s41
	s_and_saveexec_b32 s41, s4
	s_cbranch_execz .LBB356_31
.LBB356_30:                             ;   in Loop: Header=BB356_15 Depth=1
	v_mov_b32_e32 v2, v1
	v_mov_b32_e32 v3, v1
	;; [unrolled: 1-line block ×3, first 2 shown]
	ds_write_b128 v56, v[1:4]
.LBB356_31:                             ;   in Loop: Header=BB356_15 Depth=1
	s_or_b32 exec_lo, exec_lo, s41
	ds_bpermute_b32 v2, v51, v13
	ds_bpermute_b32 v3, v51, v14
	;; [unrolled: 1-line block ×4, first 2 shown]
	s_waitcnt lgkmcnt(0)
	s_barrier
	buffer_gl0_inv
	v_add_f64 v[2:3], v[13:14], v[2:3]
	v_add_f64 v[13:14], v[15:16], v[36:37]
	ds_bpermute_b32 v15, v52, v2
	ds_bpermute_b32 v16, v52, v3
	ds_bpermute_b32 v36, v52, v13
	ds_bpermute_b32 v37, v52, v14
	s_waitcnt lgkmcnt(2)
	v_add_f64 v[2:3], v[2:3], v[15:16]
	s_waitcnt lgkmcnt(0)
	v_add_f64 v[13:14], v[13:14], v[36:37]
	ds_bpermute_b32 v15, v53, v2
	ds_bpermute_b32 v16, v53, v3
	ds_bpermute_b32 v36, v53, v13
	ds_bpermute_b32 v37, v53, v14
	s_waitcnt lgkmcnt(2)
	v_add_f64 v[2:3], v[2:3], v[15:16]
	s_waitcnt lgkmcnt(0)
	v_add_f64 v[13:14], v[13:14], v[36:37]
	ds_bpermute_b32 v15, v54, v2
	ds_bpermute_b32 v16, v54, v3
	ds_bpermute_b32 v36, v54, v13
	ds_bpermute_b32 v37, v54, v14
	s_waitcnt lgkmcnt(2)
	v_add_f64 v[2:3], v[2:3], v[15:16]
	s_waitcnt lgkmcnt(0)
	v_add_f64 v[15:16], v[13:14], v[36:37]
	ds_bpermute_b32 v13, v55, v2
	ds_bpermute_b32 v14, v55, v3
	ds_bpermute_b32 v36, v55, v15
	ds_bpermute_b32 v37, v55, v16
	s_and_saveexec_b32 s41, s10
	s_cbranch_execz .LBB356_33
; %bb.32:                               ;   in Loop: Header=BB356_15 Depth=1
	s_waitcnt lgkmcnt(0)
	v_add_f64 v[15:16], v[15:16], v[36:37]
	v_add_f64 v[13:14], v[2:3], v[13:14]
	ds_write_b128 v57, v[13:16]
.LBB356_33:                             ;   in Loop: Header=BB356_15 Depth=1
	s_or_b32 exec_lo, exec_lo, s41
	v_mov_b32_e32 v15, 0
	s_waitcnt lgkmcnt(2)
	v_mov_b32_e32 v13, 0
	v_mov_b32_e32 v16, 0
	;; [unrolled: 1-line block ×3, first 2 shown]
	s_waitcnt lgkmcnt(0)
	s_barrier
	buffer_gl0_inv
	s_and_saveexec_b32 s41, s5
	s_cbranch_execnz .LBB356_53
; %bb.34:                               ;   in Loop: Header=BB356_15 Depth=1
	s_or_b32 exec_lo, exec_lo, s41
	s_and_saveexec_b32 s41, s4
	s_cbranch_execnz .LBB356_54
.LBB356_35:                             ;   in Loop: Header=BB356_15 Depth=1
	s_or_b32 exec_lo, exec_lo, s41
	s_and_saveexec_b32 s41, s4
	s_cbranch_execz .LBB356_37
.LBB356_36:                             ;   in Loop: Header=BB356_15 Depth=1
	v_mov_b32_e32 v2, v1
	v_mov_b32_e32 v3, v1
	;; [unrolled: 1-line block ×3, first 2 shown]
	ds_write_b128 v56, v[1:4]
.LBB356_37:                             ;   in Loop: Header=BB356_15 Depth=1
	s_or_b32 exec_lo, exec_lo, s41
	ds_bpermute_b32 v2, v51, v17
	ds_bpermute_b32 v3, v51, v18
	;; [unrolled: 1-line block ×4, first 2 shown]
	s_waitcnt lgkmcnt(0)
	s_barrier
	buffer_gl0_inv
	v_add_f64 v[2:3], v[17:18], v[2:3]
	v_add_f64 v[17:18], v[19:20], v[36:37]
	ds_bpermute_b32 v19, v52, v2
	ds_bpermute_b32 v20, v52, v3
	ds_bpermute_b32 v36, v52, v17
	ds_bpermute_b32 v37, v52, v18
	s_waitcnt lgkmcnt(2)
	v_add_f64 v[2:3], v[2:3], v[19:20]
	s_waitcnt lgkmcnt(0)
	v_add_f64 v[17:18], v[17:18], v[36:37]
	ds_bpermute_b32 v19, v53, v2
	ds_bpermute_b32 v20, v53, v3
	ds_bpermute_b32 v36, v53, v17
	ds_bpermute_b32 v37, v53, v18
	s_waitcnt lgkmcnt(2)
	v_add_f64 v[2:3], v[2:3], v[19:20]
	s_waitcnt lgkmcnt(0)
	;; [unrolled: 8-line block ×3, first 2 shown]
	v_add_f64 v[19:20], v[17:18], v[36:37]
	ds_bpermute_b32 v17, v55, v2
	ds_bpermute_b32 v18, v55, v3
	;; [unrolled: 1-line block ×4, first 2 shown]
	s_and_saveexec_b32 s41, s10
	s_cbranch_execz .LBB356_39
; %bb.38:                               ;   in Loop: Header=BB356_15 Depth=1
	s_waitcnt lgkmcnt(0)
	v_add_f64 v[19:20], v[19:20], v[36:37]
	v_add_f64 v[17:18], v[2:3], v[17:18]
	ds_write_b128 v57, v[17:20]
.LBB356_39:                             ;   in Loop: Header=BB356_15 Depth=1
	s_or_b32 exec_lo, exec_lo, s41
	v_mov_b32_e32 v19, 0
	s_waitcnt lgkmcnt(2)
	v_mov_b32_e32 v17, 0
	v_mov_b32_e32 v20, 0
	v_mov_b32_e32 v18, 0
	s_waitcnt lgkmcnt(0)
	s_barrier
	buffer_gl0_inv
	s_and_saveexec_b32 s41, s5
	s_cbranch_execnz .LBB356_55
; %bb.40:                               ;   in Loop: Header=BB356_15 Depth=1
	s_or_b32 exec_lo, exec_lo, s41
	s_and_saveexec_b32 s41, s4
	s_cbranch_execnz .LBB356_56
.LBB356_41:                             ;   in Loop: Header=BB356_15 Depth=1
	s_or_b32 exec_lo, exec_lo, s41
	s_and_saveexec_b32 s41, s11
	s_cbranch_execz .LBB356_14
	s_branch .LBB356_57
.LBB356_42:                             ;   in Loop: Header=BB356_15 Depth=1
	flat_load_dwordx4 v[8:11], v[26:27]
	s_mul_i32 s42, s7, s21
	s_mul_hi_u32 s43, s7, s20
	s_waitcnt vmcnt(0) lgkmcnt(0)
	buffer_store_dword v11, off, s[0:3], 0 offset:12
	buffer_store_dword v10, off, s[0:3], 0 offset:8
	;; [unrolled: 1-line block ×3, first 2 shown]
	buffer_store_dword v8, off, s[0:3], 0
	flat_load_dwordx4 v[2:5], v[28:29]
	s_add_i32 s43, s43, s42
	s_mul_i32 s42, s7, s20
	s_waitcnt vmcnt(0) lgkmcnt(0)
	buffer_store_dword v5, v40, s[0:3], 0 offen offset:12
	buffer_store_dword v4, v40, s[0:3], 0 offen offset:8
	;; [unrolled: 1-line block ×3, first 2 shown]
	buffer_store_dword v2, v40, s[0:3], 0 offen
	flat_load_dwordx4 v[2:5], v[30:31]
	s_lshl_b64 s[42:43], s[42:43], 4
	s_waitcnt vmcnt(0) lgkmcnt(0)
	buffer_store_dword v5, v41, s[0:3], 0 offen offset:12
	buffer_store_dword v4, v41, s[0:3], 0 offen offset:8
	;; [unrolled: 1-line block ×3, first 2 shown]
	buffer_store_dword v2, v41, s[0:3], 0 offen
	flat_load_dwordx4 v[2:5], v[32:33]
	s_waitcnt vmcnt(0) lgkmcnt(0)
	buffer_store_dword v5, v42, s[0:3], 0 offen offset:12
	buffer_store_dword v4, v42, s[0:3], 0 offen offset:8
	;; [unrolled: 1-line block ×3, first 2 shown]
	buffer_store_dword v2, v42, s[0:3], 0 offen
	v_add_co_u32 v2, vcc_lo, v21, s42
	v_add_co_ci_u32_e64 v3, null, s43, v22, vcc_lo
	s_or_b32 s42, s7, 1
	s_mul_i32 s43, s42, s21
	flat_load_dwordx4 v[4:7], v[2:3]
	s_mul_hi_u32 s44, s42, s20
	s_mul_i32 s42, s42, s20
	s_add_i32 s43, s44, s43
	s_lshl_b64 s[42:43], s[42:43], 4
	s_waitcnt vmcnt(0) lgkmcnt(0)
	v_mul_f64 v[12:13], v[10:11], v[6:7]
	v_mul_f64 v[6:7], v[8:9], v[6:7]
	v_fma_f64 v[12:13], v[8:9], v[4:5], -v[12:13]
	v_fma_f64 v[4:5], v[10:11], v[4:5], v[6:7]
	v_add_f64 v[19:20], v[12:13], 0
	v_add_f64 v[36:37], v[4:5], 0
	v_add_co_u32 v4, vcc_lo, v21, s42
	v_add_co_ci_u32_e64 v5, null, s43, v22, vcc_lo
	s_or_b32 s42, s7, 2
	s_mul_i32 s43, s42, s21
	flat_load_dwordx4 v[12:15], v[4:5]
	s_mul_hi_u32 s44, s42, s20
	s_mul_i32 s42, s42, s20
	s_add_i32 s43, s44, s43
	s_lshl_b64 s[42:43], s[42:43], 4
	s_waitcnt vmcnt(0) lgkmcnt(0)
	v_mul_f64 v[6:7], v[10:11], v[14:15]
	v_mul_f64 v[14:15], v[8:9], v[14:15]
	v_fma_f64 v[6:7], v[8:9], v[12:13], -v[6:7]
	v_fma_f64 v[12:13], v[10:11], v[12:13], v[14:15]
	v_add_f64 v[38:39], v[6:7], 0
	v_add_co_u32 v6, vcc_lo, v21, s42
	v_add_co_ci_u32_e64 v7, null, s43, v22, vcc_lo
	v_add_f64 v[58:59], v[12:13], 0
	s_or_b32 s42, s7, 3
	flat_load_dwordx4 v[12:15], v[6:7]
	s_mul_i32 s43, s42, s21
	s_mul_hi_u32 s44, s42, s20
	s_mul_i32 s42, s42, s20
	s_add_i32 s43, s44, s43
	s_lshl_b64 s[42:43], s[42:43], 4
	s_waitcnt vmcnt(0) lgkmcnt(0)
	v_mul_f64 v[16:17], v[10:11], v[14:15]
	v_mul_f64 v[14:15], v[8:9], v[14:15]
	v_fma_f64 v[16:17], v[8:9], v[12:13], -v[16:17]
	v_fma_f64 v[12:13], v[10:11], v[12:13], v[14:15]
	v_add_f64 v[60:61], v[16:17], 0
	v_add_co_u32 v17, vcc_lo, v21, s42
	v_add_co_ci_u32_e64 v18, null, s43, v22, vcc_lo
	v_add_f64 v[62:63], v[12:13], 0
	flat_load_dwordx4 v[12:15], v[17:18]
	s_waitcnt vmcnt(0) lgkmcnt(0)
	v_mul_f64 v[64:65], v[10:11], v[14:15]
	v_fma_f64 v[64:65], v[8:9], v[12:13], -v[64:65]
	v_mul_f64 v[8:9], v[8:9], v[14:15]
	v_fma_f64 v[8:9], v[10:11], v[12:13], v[8:9]
	v_add_f64 v[12:13], v[64:65], 0
	s_clause 0x3
	buffer_load_dword v64, off, s[0:3], 0 offset:16
	buffer_load_dword v65, off, s[0:3], 0 offset:20
	;; [unrolled: 1-line block ×4, first 2 shown]
	v_add_f64 v[14:15], v[8:9], 0
	flat_load_dwordx4 v[8:11], v[2:3] offset:16
	s_waitcnt vmcnt(0) lgkmcnt(0)
	v_mul_f64 v[68:69], v[66:67], v[10:11]
	v_mul_f64 v[10:11], v[64:65], v[10:11]
	v_fma_f64 v[68:69], v[64:65], v[8:9], -v[68:69]
	v_fma_f64 v[8:9], v[66:67], v[8:9], v[10:11]
	v_add_f64 v[19:20], v[19:20], v[68:69]
	v_add_f64 v[36:37], v[36:37], v[8:9]
	flat_load_dwordx4 v[8:11], v[4:5] offset:16
	s_waitcnt vmcnt(0) lgkmcnt(0)
	v_mul_f64 v[68:69], v[66:67], v[10:11]
	v_mul_f64 v[10:11], v[64:65], v[10:11]
	v_fma_f64 v[68:69], v[64:65], v[8:9], -v[68:69]
	v_fma_f64 v[8:9], v[66:67], v[8:9], v[10:11]
	v_add_f64 v[38:39], v[38:39], v[68:69]
	;; [unrolled: 8-line block ×3, first 2 shown]
	v_add_f64 v[62:63], v[62:63], v[8:9]
	flat_load_dwordx4 v[8:11], v[17:18] offset:16
	s_waitcnt vmcnt(0) lgkmcnt(0)
	v_mul_f64 v[68:69], v[66:67], v[10:11]
	v_mul_f64 v[10:11], v[64:65], v[10:11]
	v_fma_f64 v[68:69], v[64:65], v[8:9], -v[68:69]
	v_fma_f64 v[8:9], v[66:67], v[8:9], v[10:11]
	s_clause 0x3
	buffer_load_dword v64, off, s[0:3], 0 offset:32
	buffer_load_dword v65, off, s[0:3], 0 offset:36
	;; [unrolled: 1-line block ×4, first 2 shown]
	v_add_f64 v[12:13], v[12:13], v[68:69]
	v_add_f64 v[14:15], v[14:15], v[8:9]
	flat_load_dwordx4 v[8:11], v[2:3] offset:32
	s_waitcnt vmcnt(0) lgkmcnt(0)
	v_mul_f64 v[68:69], v[66:67], v[10:11]
	v_mul_f64 v[10:11], v[64:65], v[10:11]
	v_fma_f64 v[68:69], v[64:65], v[8:9], -v[68:69]
	v_fma_f64 v[8:9], v[66:67], v[8:9], v[10:11]
	v_add_f64 v[19:20], v[19:20], v[68:69]
	v_add_f64 v[36:37], v[36:37], v[8:9]
	flat_load_dwordx4 v[8:11], v[4:5] offset:32
	s_waitcnt vmcnt(0) lgkmcnt(0)
	v_mul_f64 v[68:69], v[66:67], v[10:11]
	v_mul_f64 v[10:11], v[64:65], v[10:11]
	v_fma_f64 v[68:69], v[64:65], v[8:9], -v[68:69]
	v_fma_f64 v[8:9], v[66:67], v[8:9], v[10:11]
	;; [unrolled: 8-line block ×3, first 2 shown]
	v_add_f64 v[60:61], v[60:61], v[38:39]
	v_add_f64 v[62:63], v[62:63], v[8:9]
	flat_load_dwordx4 v[8:11], v[17:18] offset:32
	s_clause 0x3
	buffer_load_dword v70, off, s[0:3], 0 offset:48
	buffer_load_dword v71, off, s[0:3], 0 offset:52
	;; [unrolled: 1-line block ×4, first 2 shown]
	s_waitcnt vmcnt(4) lgkmcnt(0)
	v_mul_f64 v[38:39], v[66:67], v[10:11]
	v_mul_f64 v[10:11], v[64:65], v[10:11]
	v_fma_f64 v[38:39], v[64:65], v[8:9], -v[38:39]
	v_fma_f64 v[8:9], v[66:67], v[8:9], v[10:11]
	v_add_f64 v[64:65], v[12:13], v[38:39]
	v_add_f64 v[66:67], v[14:15], v[8:9]
	flat_load_dwordx4 v[8:11], v[2:3] offset:48
	s_waitcnt vmcnt(0) lgkmcnt(0)
	v_mul_f64 v[2:3], v[72:73], v[10:11]
	v_mul_f64 v[10:11], v[70:71], v[10:11]
	v_fma_f64 v[2:3], v[70:71], v[8:9], -v[2:3]
	v_fma_f64 v[8:9], v[72:73], v[8:9], v[10:11]
	v_add_f64 v[38:39], v[19:20], v[2:3]
	flat_load_dwordx4 v[2:5], v[4:5] offset:48
	v_add_f64 v[36:37], v[36:37], v[8:9]
	s_waitcnt vmcnt(0) lgkmcnt(0)
	v_mul_f64 v[8:9], v[72:73], v[4:5]
	v_mul_f64 v[4:5], v[70:71], v[4:5]
	v_fma_f64 v[8:9], v[70:71], v[2:3], -v[8:9]
	v_fma_f64 v[2:3], v[72:73], v[2:3], v[4:5]
	v_add_f64 v[9:10], v[68:69], v[8:9]
	v_add_f64 v[11:12], v[58:59], v[2:3]
	flat_load_dwordx4 v[2:5], v[6:7] offset:48
	s_waitcnt vmcnt(0) lgkmcnt(0)
	v_mul_f64 v[6:7], v[72:73], v[4:5]
	v_mul_f64 v[4:5], v[70:71], v[4:5]
	v_fma_f64 v[6:7], v[70:71], v[2:3], -v[6:7]
	v_fma_f64 v[2:3], v[72:73], v[2:3], v[4:5]
	v_add_f64 v[13:14], v[60:61], v[6:7]
	v_add_f64 v[15:16], v[62:63], v[2:3]
	flat_load_dwordx4 v[2:5], v[17:18] offset:48
	s_waitcnt vmcnt(0) lgkmcnt(0)
	v_mul_f64 v[6:7], v[72:73], v[4:5]
	v_mul_f64 v[4:5], v[70:71], v[4:5]
	v_fma_f64 v[6:7], v[70:71], v[2:3], -v[6:7]
	v_fma_f64 v[2:3], v[72:73], v[2:3], v[4:5]
	v_add_f64 v[17:18], v[64:65], v[6:7]
	v_add_f64 v[19:20], v[66:67], v[2:3]
	s_andn2_saveexec_b32 s41, s41
	s_cbranch_execz .LBB356_17
.LBB356_43:                             ;   in Loop: Header=BB356_15 Depth=1
	s_waitcnt lgkmcnt(0)
	v_mov_b32_e32 v17, 0
	v_mov_b32_e32 v19, 0
	;; [unrolled: 1-line block ×16, first 2 shown]
	s_and_saveexec_b32 s42, s9
	s_cbranch_execz .LBB356_59
; %bb.44:                               ;   in Loop: Header=BB356_15 Depth=1
	s_andn2_b32 vcc_lo, exec_lo, s38
	s_cbranch_vccnz .LBB356_58
; %bb.45:                               ;   in Loop: Header=BB356_15 Depth=1
	v_mov_b32_e32 v2, v26
	v_mov_b32_e32 v3, v27
	s_mov_b32 s43, 0
	s_mov_b32 s44, s19
	.p2align	6
.LBB356_46:                             ;   Parent Loop BB356_15 Depth=1
                                        ; =>  This Inner Loop Header: Depth=2
	flat_load_dwordx4 v[4:7], v[2:3]
	v_add_co_u32 v2, vcc_lo, v2, s28
	v_mov_b32_e32 v8, s43
	v_add_co_ci_u32_e64 v3, null, s29, v3, vcc_lo
	s_add_i32 s44, s44, -1
	s_add_i32 s43, s43, 16
	s_cmp_eq_u32 s44, 0
	s_waitcnt vmcnt(0) lgkmcnt(0)
	buffer_store_dword v7, v8, s[0:3], 0 offen offset:12
	buffer_store_dword v6, v8, s[0:3], 0 offen offset:8
	;; [unrolled: 1-line block ×3, first 2 shown]
	buffer_store_dword v4, v8, s[0:3], 0 offen
	s_cbranch_scc0 .LBB356_46
; %bb.47:                               ;   in Loop: Header=BB356_15 Depth=1
	v_mov_b32_e32 v36, 0
	v_mov_b32_e32 v38, 0
	;; [unrolled: 1-line block ×18, first 2 shown]
	s_mov_b32 s43, 0
	s_mov_b32 s44, s19
.LBB356_48:                             ;   Parent Loop BB356_15 Depth=1
                                        ; =>  This Inner Loop Header: Depth=2
	v_mov_b32_e32 v4, s43
	s_add_i32 s44, s44, -1
	s_add_i32 s43, s43, 16
	s_cmp_lg_u32 s44, 0
	s_clause 0x3
	buffer_load_dword v58, v4, s[0:3], 0 offen
	buffer_load_dword v59, v4, s[0:3], 0 offen offset:4
	buffer_load_dword v60, v4, s[0:3], 0 offen offset:8
	;; [unrolled: 1-line block ×3, first 2 shown]
	flat_load_dwordx4 v[4:7], v[2:3]
	s_waitcnt vmcnt(0) lgkmcnt(0)
	v_mul_f64 v[62:63], v[60:61], v[6:7]
	v_mul_f64 v[6:7], v[58:59], v[6:7]
	v_fma_f64 v[62:63], v[58:59], v[4:5], -v[62:63]
	v_fma_f64 v[4:5], v[60:61], v[4:5], v[6:7]
	v_add_f64 v[38:39], v[38:39], v[62:63]
	v_add_co_u32 v62, vcc_lo, v2, s34
	v_add_co_ci_u32_e64 v63, null, s35, v3, vcc_lo
	v_add_f64 v[36:37], v[36:37], v[4:5]
	flat_load_dwordx4 v[4:7], v[62:63]
	v_add_co_u32 v62, vcc_lo, v62, s34
	v_add_co_ci_u32_e64 v63, null, s35, v63, vcc_lo
	s_waitcnt vmcnt(0) lgkmcnt(0)
	v_mul_f64 v[64:65], v[60:61], v[6:7]
	v_mul_f64 v[6:7], v[58:59], v[6:7]
	v_fma_f64 v[64:65], v[58:59], v[4:5], -v[64:65]
	v_fma_f64 v[4:5], v[60:61], v[4:5], v[6:7]
	v_add_f64 v[9:10], v[9:10], v[64:65]
	v_add_f64 v[11:12], v[11:12], v[4:5]
	flat_load_dwordx4 v[4:7], v[62:63]
	s_waitcnt vmcnt(0) lgkmcnt(0)
	v_mul_f64 v[64:65], v[60:61], v[6:7]
	v_mul_f64 v[6:7], v[58:59], v[6:7]
	v_fma_f64 v[64:65], v[58:59], v[4:5], -v[64:65]
	v_fma_f64 v[4:5], v[60:61], v[4:5], v[6:7]
	v_add_f64 v[13:14], v[13:14], v[64:65]
	v_add_f64 v[15:16], v[15:16], v[4:5]
	v_add_co_u32 v4, vcc_lo, v62, s34
	v_add_co_ci_u32_e64 v5, null, s35, v63, vcc_lo
	v_add_co_u32 v2, vcc_lo, v2, 16
	v_add_co_ci_u32_e64 v3, null, 0, v3, vcc_lo
	flat_load_dwordx4 v[4:7], v[4:5]
	s_waitcnt vmcnt(0) lgkmcnt(0)
	v_mul_f64 v[62:63], v[60:61], v[6:7]
	v_mul_f64 v[6:7], v[58:59], v[6:7]
	v_fma_f64 v[62:63], v[58:59], v[4:5], -v[62:63]
	v_fma_f64 v[4:5], v[60:61], v[4:5], v[6:7]
	v_add_f64 v[17:18], v[17:18], v[62:63]
	v_add_f64 v[19:20], v[19:20], v[4:5]
	s_cbranch_scc1 .LBB356_48
	s_branch .LBB356_59
.LBB356_49:                             ;   in Loop: Header=BB356_15 Depth=1
	ds_read_b128 v[5:8], v56
	s_or_b32 exec_lo, exec_lo, s41
	s_and_saveexec_b32 s41, s4
	s_cbranch_execz .LBB356_23
.LBB356_50:                             ;   in Loop: Header=BB356_15 Depth=1
	s_waitcnt lgkmcnt(0)
	ds_bpermute_b32 v2, v53, v5
	ds_bpermute_b32 v3, v53, v6
	ds_bpermute_b32 v36, v53, v7
	ds_bpermute_b32 v37, v53, v8
	s_waitcnt lgkmcnt(2)
	v_add_f64 v[2:3], v[5:6], v[2:3]
	s_waitcnt lgkmcnt(0)
	v_add_f64 v[4:5], v[7:8], v[36:37]
	ds_bpermute_b32 v6, v54, v2
	ds_bpermute_b32 v7, v54, v3
	ds_bpermute_b32 v36, v54, v4
	ds_bpermute_b32 v37, v54, v5
	s_waitcnt lgkmcnt(2)
	v_add_f64 v[2:3], v[2:3], v[6:7]
	s_waitcnt lgkmcnt(0)
	v_add_f64 v[7:8], v[4:5], v[36:37]
	;; [unrolled: 8-line block ×3, first 2 shown]
	s_or_b32 exec_lo, exec_lo, s41
	s_and_saveexec_b32 s41, s4
	s_cbranch_execnz .LBB356_24
	s_branch .LBB356_25
.LBB356_51:                             ;   in Loop: Header=BB356_15 Depth=1
	ds_read_b128 v[9:12], v56
	s_or_b32 exec_lo, exec_lo, s41
	s_and_saveexec_b32 s41, s4
	s_cbranch_execz .LBB356_29
.LBB356_52:                             ;   in Loop: Header=BB356_15 Depth=1
	s_waitcnt lgkmcnt(0)
	ds_bpermute_b32 v2, v53, v9
	ds_bpermute_b32 v3, v53, v10
	ds_bpermute_b32 v36, v53, v11
	ds_bpermute_b32 v37, v53, v12
	s_waitcnt lgkmcnt(2)
	v_add_f64 v[2:3], v[9:10], v[2:3]
	s_waitcnt lgkmcnt(0)
	v_add_f64 v[9:10], v[11:12], v[36:37]
	ds_bpermute_b32 v11, v54, v2
	ds_bpermute_b32 v12, v54, v3
	ds_bpermute_b32 v36, v54, v9
	ds_bpermute_b32 v37, v54, v10
	s_waitcnt lgkmcnt(2)
	v_add_f64 v[2:3], v[2:3], v[11:12]
	s_waitcnt lgkmcnt(0)
	v_add_f64 v[11:12], v[9:10], v[36:37]
	;; [unrolled: 8-line block ×3, first 2 shown]
	s_or_b32 exec_lo, exec_lo, s41
	s_and_saveexec_b32 s41, s4
	s_cbranch_execnz .LBB356_30
	s_branch .LBB356_31
.LBB356_53:                             ;   in Loop: Header=BB356_15 Depth=1
	ds_read_b128 v[13:16], v56
	s_or_b32 exec_lo, exec_lo, s41
	s_and_saveexec_b32 s41, s4
	s_cbranch_execz .LBB356_35
.LBB356_54:                             ;   in Loop: Header=BB356_15 Depth=1
	s_waitcnt lgkmcnt(0)
	ds_bpermute_b32 v2, v53, v13
	ds_bpermute_b32 v3, v53, v14
	ds_bpermute_b32 v36, v53, v15
	ds_bpermute_b32 v37, v53, v16
	s_waitcnt lgkmcnt(2)
	v_add_f64 v[2:3], v[13:14], v[2:3]
	s_waitcnt lgkmcnt(0)
	v_add_f64 v[13:14], v[15:16], v[36:37]
	ds_bpermute_b32 v15, v54, v2
	ds_bpermute_b32 v16, v54, v3
	ds_bpermute_b32 v36, v54, v13
	ds_bpermute_b32 v37, v54, v14
	s_waitcnt lgkmcnt(2)
	v_add_f64 v[2:3], v[2:3], v[15:16]
	s_waitcnt lgkmcnt(0)
	v_add_f64 v[15:16], v[13:14], v[36:37]
	;; [unrolled: 8-line block ×3, first 2 shown]
	s_or_b32 exec_lo, exec_lo, s41
	s_and_saveexec_b32 s41, s4
	s_cbranch_execnz .LBB356_36
	s_branch .LBB356_37
.LBB356_55:                             ;   in Loop: Header=BB356_15 Depth=1
	ds_read_b128 v[17:20], v56
	s_or_b32 exec_lo, exec_lo, s41
	s_and_saveexec_b32 s41, s4
	s_cbranch_execz .LBB356_41
.LBB356_56:                             ;   in Loop: Header=BB356_15 Depth=1
	s_waitcnt lgkmcnt(0)
	ds_bpermute_b32 v2, v53, v17
	ds_bpermute_b32 v3, v53, v18
	ds_bpermute_b32 v36, v53, v19
	ds_bpermute_b32 v37, v53, v20
	s_waitcnt lgkmcnt(2)
	v_add_f64 v[2:3], v[17:18], v[2:3]
	s_waitcnt lgkmcnt(0)
	v_add_f64 v[17:18], v[19:20], v[36:37]
	ds_bpermute_b32 v19, v54, v2
	ds_bpermute_b32 v20, v54, v3
	ds_bpermute_b32 v36, v54, v17
	ds_bpermute_b32 v37, v54, v18
	s_waitcnt lgkmcnt(2)
	v_add_f64 v[2:3], v[2:3], v[19:20]
	s_waitcnt lgkmcnt(0)
	v_add_f64 v[19:20], v[17:18], v[36:37]
	;; [unrolled: 8-line block ×3, first 2 shown]
	s_or_b32 exec_lo, exec_lo, s41
	s_and_saveexec_b32 s41, s11
	s_cbranch_execz .LBB356_14
.LBB356_57:                             ;   in Loop: Header=BB356_15 Depth=1
	v_mul_f64 v[2:3], s[14:15], v[7:8]
	v_mul_f64 v[7:8], s[12:13], v[7:8]
	;; [unrolled: 1-line block ×6, first 2 shown]
	s_waitcnt lgkmcnt(0)
	v_mul_f64 v[58:59], s[14:15], v[19:20]
	v_mul_f64 v[19:20], s[12:13], v[19:20]
	s_mul_hi_u32 s43, s7, s18
	s_mul_i32 s42, s7, s18
	s_lshl_b64 s[42:43], s[42:43], 4
	s_add_u32 s42, s39, s42
	s_addc_u32 s43, s40, s43
	s_or_b32 s44, s7, 1
	s_mul_hi_u32 s45, s44, s18
	s_mul_i32 s44, s44, s18
	s_lshl_b64 s[44:45], s[44:45], 4
	s_add_u32 s44, s39, s44
	v_fma_f64 v[2:3], s[12:13], v[5:6], -v[2:3]
	v_fma_f64 v[4:5], s[14:15], v[5:6], v[7:8]
	v_fma_f64 v[6:7], s[12:13], v[9:10], -v[36:37]
	v_fma_f64 v[8:9], s[14:15], v[9:10], v[11:12]
	;; [unrolled: 2-line block ×4, first 2 shown]
	s_addc_u32 s45, s40, s45
	s_or_b32 s46, s7, 2
	s_mul_hi_u32 s47, s46, s18
	s_mul_i32 s46, s46, s18
	s_lshl_b64 s[46:47], s[46:47], 4
	s_add_u32 s46, s39, s46
	s_addc_u32 s47, s40, s47
	s_or_b32 s48, s7, 3
	s_mul_hi_u32 s49, s48, s18
	s_mul_i32 s48, s48, s18
	s_lshl_b64 s[48:49], s[48:49], 4
	s_add_u32 s48, s39, s48
	s_addc_u32 s49, s40, s49
	global_store_dwordx4 v1, v[2:5], s[42:43]
	global_store_dwordx4 v1, v[6:9], s[44:45]
	global_store_dwordx4 v1, v[10:13], s[46:47]
	global_store_dwordx4 v1, v[14:17], s[48:49]
	s_branch .LBB356_14
.LBB356_58:                             ;   in Loop: Header=BB356_15 Depth=1
	v_mov_b32_e32 v17, 0
	v_mov_b32_e32 v19, 0
	;; [unrolled: 1-line block ×16, first 2 shown]
.LBB356_59:                             ;   in Loop: Header=BB356_15 Depth=1
	s_or_b32 exec_lo, exec_lo, s42
	s_or_b32 exec_lo, exec_lo, s41
	s_and_saveexec_b32 s41, s4
	s_cbranch_execnz .LBB356_18
	s_branch .LBB356_19
.LBB356_60:
	s_mov_b32 s7, 0
.LBB356_61:
	s_cmp_ge_i32 s7, s17
	s_cbranch_scc1 .LBB356_83
; %bb.62:
	v_cmp_gt_u32_e64 s5, 24, v47
	v_cmp_gt_u32_e64 s4, 32, v0
	;; [unrolled: 1-line block ×3, first 2 shown]
	s_mov_b32 s10, s6
	v_cmp_eq_u32_e64 s6, 0, v0
	v_cndmask_b32_e64 v1, 0, 8, s5
	v_cmp_gt_u32_e64 s5, 28, v47
	v_mad_i64_i32 v[7:8], null, s26, v44, 0
	s_cmp_gt_i32 s19, 0
	v_add_lshl_u32 v26, v1, v47, 2
	v_cndmask_b32_e64 v2, 0, 4, s5
	v_cmp_gt_u32_e64 s5, 30, v47
	s_mov_b32 s11, 0
	v_mad_i64_i32 v[9:10], null, s26, v43, 0
	v_add_lshl_u32 v27, v2, v47, 2
	v_cndmask_b32_e64 v3, 0, 2, s5
	v_cmp_ne_u32_e64 s5, 31, v47
	v_mad_i64_i32 v[1:2], null, s26, v25, 0
	s_cselect_b32 s29, -1, 0
	v_add_lshl_u32 v28, v3, v47, 2
	v_add_co_ci_u32_e64 v4, null, 0, v47, s5
	s_lshl_b64 s[10:11], s[10:11], 4
	v_cmp_ge_i32_e32 vcc_lo, s16, v49
	v_lshlrev_b64 v[0:1], 4, v[1:2]
	v_lshlrev_b32_e32 v29, 2, v4
	v_mad_i64_i32 v[3:4], null, s26, v48, 0
	v_cmp_ge_i32_e64 s9, s16, v50
	s_add_u32 s16, s33, s10
	v_add_co_u32 v5, s10, s24, v0
	v_add_co_ci_u32_e64 v6, null, s25, v1, s10
	v_lshlrev_b64 v[2:3], 4, v[3:4]
	v_lshlrev_b64 v[0:1], 4, v[7:8]
	s_addc_u32 s28, s36, s11
	s_mul_i32 s11, s21, s7
	s_mul_hi_u32 s30, s20, s7
	s_waitcnt lgkmcnt(0)
	v_lshlrev_b32_e32 v19, 4, v45
	v_add_co_u32 v7, s10, s24, v2
	v_add_co_ci_u32_e64 v8, null, s25, v3, s10
	v_lshlrev_b64 v[2:3], 4, v[9:10]
	v_add_co_u32 v9, s10, s24, v0
	v_add_co_ci_u32_e64 v10, null, s25, v1, s10
	s_add_i32 s11, s30, s11
	v_add_co_u32 v11, s10, s24, v2
	v_add_co_ci_u32_e64 v12, null, s25, v3, s10
	s_mul_i32 s10, s20, s7
	s_and_b32 s24, s29, s9
	s_lshl_b64 s[30:31], s[10:11], 4
	s_lshl_b64 s[10:11], s[26:27], 4
	s_add_u32 s9, s22, s30
	s_addc_u32 s22, s23, s31
	v_add_co_u32 v13, s9, s9, v23
	v_lshl_or_b32 v20, v47, 2, 64
	v_cmp_eq_u32_e64 s5, 0, v45
	v_and_b32_e32 v30, 0x70, v46
	v_add_co_ci_u32_e64 v14, null, s22, v24, s9
	v_mov_b32_e32 v0, 0
	s_lshl_b64 s[22:23], s[20:21], 4
	s_branch .LBB356_64
.LBB356_63:                             ;   in Loop: Header=BB356_64 Depth=1
	s_or_b32 exec_lo, exec_lo, s9
	v_add_co_u32 v13, s9, v13, s22
	v_add_co_ci_u32_e64 v14, null, s23, v14, s9
	s_add_i32 s7, s7, 1
	s_cmp_lt_i32 s7, s17
	s_cbranch_scc0 .LBB356_83
.LBB356_64:                             ; =>This Loop Header: Depth=1
                                        ;     Child Loop BB356_76 Depth 2
                                        ;     Child Loop BB356_78 Depth 2
                                        ; implicit-def: $vgpr15_vgpr16
                                        ; implicit-def: $vgpr17_vgpr18
	s_and_saveexec_b32 s9, vcc_lo
	s_xor_b32 s25, exec_lo, s9
	s_cbranch_execnz .LBB356_73
; %bb.65:                               ;   in Loop: Header=BB356_64 Depth=1
	s_andn2_saveexec_b32 s25, s25
	s_cbranch_execnz .LBB356_74
.LBB356_66:                             ;   in Loop: Header=BB356_64 Depth=1
	s_or_b32 exec_lo, exec_lo, s25
	s_and_saveexec_b32 s9, s4
	s_cbranch_execz .LBB356_68
.LBB356_67:                             ;   in Loop: Header=BB356_64 Depth=1
	s_waitcnt lgkmcnt(0)
	v_mov_b32_e32 v1, v0
	v_mov_b32_e32 v2, v0
	;; [unrolled: 1-line block ×3, first 2 shown]
	ds_write_b128 v19, v[0:3]
.LBB356_68:                             ;   in Loop: Header=BB356_64 Depth=1
	s_or_b32 exec_lo, exec_lo, s9
	s_waitcnt lgkmcnt(0)
	ds_bpermute_b32 v1, v20, v15
	ds_bpermute_b32 v2, v20, v16
	;; [unrolled: 1-line block ×4, first 2 shown]
	s_waitcnt lgkmcnt(0)
	s_waitcnt_vscnt null, 0x0
	s_barrier
	buffer_gl0_inv
	v_add_f64 v[1:2], v[15:16], v[1:2]
	v_add_f64 v[3:4], v[17:18], v[3:4]
	ds_bpermute_b32 v15, v26, v1
	ds_bpermute_b32 v16, v26, v2
	ds_bpermute_b32 v17, v26, v3
	ds_bpermute_b32 v18, v26, v4
	s_waitcnt lgkmcnt(2)
	v_add_f64 v[1:2], v[1:2], v[15:16]
	s_waitcnt lgkmcnt(0)
	v_add_f64 v[3:4], v[3:4], v[17:18]
	ds_bpermute_b32 v15, v27, v1
	ds_bpermute_b32 v16, v27, v2
	ds_bpermute_b32 v17, v27, v3
	ds_bpermute_b32 v18, v27, v4
	s_waitcnt lgkmcnt(2)
	v_add_f64 v[1:2], v[1:2], v[15:16]
	s_waitcnt lgkmcnt(0)
	;; [unrolled: 8-line block ×3, first 2 shown]
	v_add_f64 v[15:16], v[3:4], v[17:18]
	ds_bpermute_b32 v3, v29, v1
	ds_bpermute_b32 v4, v29, v2
	;; [unrolled: 1-line block ×4, first 2 shown]
	s_and_saveexec_b32 s9, s5
	s_cbranch_execz .LBB356_70
; %bb.69:                               ;   in Loop: Header=BB356_64 Depth=1
	s_waitcnt lgkmcnt(0)
	v_add_f64 v[17:18], v[15:16], v[17:18]
	v_add_f64 v[15:16], v[1:2], v[3:4]
	ds_write_b128 v30, v[15:18]
.LBB356_70:                             ;   in Loop: Header=BB356_64 Depth=1
	s_or_b32 exec_lo, exec_lo, s9
	s_waitcnt lgkmcnt(2)
	v_mov_b32_e32 v3, 0
	v_mov_b32_e32 v1, 0
	;; [unrolled: 1-line block ×4, first 2 shown]
	s_waitcnt lgkmcnt(0)
	s_barrier
	buffer_gl0_inv
	s_and_saveexec_b32 s9, s8
	s_cbranch_execnz .LBB356_80
; %bb.71:                               ;   in Loop: Header=BB356_64 Depth=1
	s_or_b32 exec_lo, exec_lo, s9
	s_and_saveexec_b32 s9, s4
	s_cbranch_execnz .LBB356_81
.LBB356_72:                             ;   in Loop: Header=BB356_64 Depth=1
	s_or_b32 exec_lo, exec_lo, s9
	s_and_saveexec_b32 s9, s6
	s_cbranch_execz .LBB356_63
	s_branch .LBB356_82
.LBB356_73:                             ;   in Loop: Header=BB356_64 Depth=1
	s_waitcnt lgkmcnt(0)
	s_clause 0x2
	flat_load_dwordx4 v[1:4], v[7:8]
	flat_load_dwordx4 v[15:18], v[9:10]
	;; [unrolled: 1-line block ×3, first 2 shown]
	s_mul_i32 s9, s7, s21
	s_mul_hi_u32 s27, s7, s20
	s_mul_i32 s26, s7, s20
	s_add_i32 s27, s27, s9
	s_lshl_b64 s[26:27], s[26:27], 4
	v_add_co_u32 v23, s9, v21, s26
	v_add_co_ci_u32_e64 v24, null, s27, v22, s9
	flat_load_dwordx4 v[35:38], v[5:6]
	s_clause 0x1
	flat_load_dwordx4 v[43:46], v[23:24]
	flat_load_dwordx4 v[47:50], v[23:24] offset:16
	s_waitcnt vmcnt(5) lgkmcnt(5)
	buffer_store_dword v4, v40, s[0:3], 0 offen offset:12
	buffer_store_dword v3, v40, s[0:3], 0 offen offset:8
	s_waitcnt vmcnt(4) lgkmcnt(4)
	buffer_store_dword v18, v41, s[0:3], 0 offen offset:12
	buffer_store_dword v17, v41, s[0:3], 0 offen offset:8
	;; [unrolled: 1-line block ×3, first 2 shown]
	buffer_store_dword v15, v41, s[0:3], 0 offen
	s_clause 0x4
	buffer_load_dword v52, off, s[0:3], 0 offset:28
	buffer_load_dword v53, off, s[0:3], 0 offset:32
	;; [unrolled: 1-line block ×5, first 2 shown]
	buffer_store_dword v2, v40, s[0:3], 0 offen offset:4
	buffer_store_dword v1, v40, s[0:3], 0 offen
	flat_load_dwordx4 v[1:4], v[23:24] offset:32
	s_clause 0x2
	buffer_load_dword v56, off, s[0:3], 0 offset:44
	buffer_load_dword v57, off, s[0:3], 0 offset:16
	;; [unrolled: 1-line block ×3, first 2 shown]
	flat_load_dwordx4 v[15:18], v[23:24] offset:48
	s_waitcnt vmcnt(13) lgkmcnt(5)
	buffer_store_dword v34, v42, s[0:3], 0 offen offset:12
	buffer_store_dword v33, v42, s[0:3], 0 offen offset:8
	s_clause 0x1
	buffer_load_dword v24, off, s[0:3], 0 offset:60
	buffer_load_dword v23, off, s[0:3], 0 offset:56
	buffer_store_dword v32, v42, s[0:3], 0 offen offset:4
	buffer_store_dword v31, v42, s[0:3], 0 offen
	s_clause 0x1
	buffer_load_dword v31, off, s[0:3], 0 offset:48
	buffer_load_dword v32, off, s[0:3], 0 offset:52
	s_waitcnt vmcnt(16) lgkmcnt(4)
	buffer_store_dword v38, off, s[0:3], 0 offset:12
	buffer_store_dword v37, off, s[0:3], 0 offset:8
	;; [unrolled: 1-line block ×3, first 2 shown]
	buffer_store_dword v35, off, s[0:3], 0
	s_waitcnt vmcnt(15) lgkmcnt(3)
	v_mul_f64 v[33:34], v[45:46], v[37:38]
	v_mul_f64 v[59:60], v[43:44], v[37:38]
	v_fma_f64 v[33:34], v[43:44], v[35:36], -v[33:34]
	v_fma_f64 v[43:44], v[45:46], v[35:36], v[59:60]
	v_add_f64 v[33:34], v[33:34], 0
	v_add_f64 v[43:44], v[43:44], 0
	s_waitcnt vmcnt(9) lgkmcnt(2)
	v_mul_f64 v[45:46], v[49:50], v[51:52]
	v_mul_f64 v[51:52], v[47:48], v[51:52]
	s_waitcnt vmcnt(7) lgkmcnt(1)
	v_mul_f64 v[59:60], v[3:4], v[55:56]
	v_mul_f64 v[55:56], v[1:2], v[55:56]
	s_waitcnt vmcnt(5)
	v_fma_f64 v[45:46], v[47:48], v[57:58], -v[45:46]
	v_fma_f64 v[47:48], v[49:50], v[57:58], v[51:52]
	s_waitcnt vmcnt(2) lgkmcnt(0)
	v_mul_f64 v[49:50], v[17:18], v[23:24]
	v_mul_f64 v[23:24], v[15:16], v[23:24]
	v_fma_f64 v[1:2], v[1:2], v[53:54], -v[59:60]
	v_fma_f64 v[3:4], v[3:4], v[53:54], v[55:56]
	v_add_f64 v[33:34], v[33:34], v[45:46]
	v_add_f64 v[43:44], v[43:44], v[47:48]
	s_waitcnt vmcnt(0)
	v_fma_f64 v[15:16], v[15:16], v[31:32], -v[49:50]
	v_fma_f64 v[17:18], v[17:18], v[31:32], v[23:24]
	v_add_f64 v[1:2], v[33:34], v[1:2]
	v_add_f64 v[3:4], v[43:44], v[3:4]
	;; [unrolled: 1-line block ×4, first 2 shown]
	s_andn2_saveexec_b32 s25, s25
	s_cbranch_execz .LBB356_66
.LBB356_74:                             ;   in Loop: Header=BB356_64 Depth=1
	v_mov_b32_e32 v15, 0
	v_mov_b32_e32 v17, 0
	;; [unrolled: 1-line block ×4, first 2 shown]
	s_and_saveexec_b32 s26, s24
	s_cbranch_execz .LBB356_79
; %bb.75:                               ;   in Loop: Header=BB356_64 Depth=1
	s_waitcnt lgkmcnt(0)
	v_mov_b32_e32 v1, v5
	v_mov_b32_e32 v2, v6
	s_mov_b32 s27, 0
	s_mov_b32 s29, s19
	.p2align	6
.LBB356_76:                             ;   Parent Loop BB356_64 Depth=1
                                        ; =>  This Inner Loop Header: Depth=2
	flat_load_dwordx4 v[15:18], v[1:2]
	v_add_co_u32 v1, s9, v1, s10
	v_mov_b32_e32 v3, s27
	v_add_co_ci_u32_e64 v2, null, s11, v2, s9
	s_add_i32 s29, s29, -1
	s_add_i32 s27, s27, 16
	s_cmp_eq_u32 s29, 0
	s_waitcnt vmcnt(0) lgkmcnt(0)
	buffer_store_dword v18, v3, s[0:3], 0 offen offset:12
	buffer_store_dword v17, v3, s[0:3], 0 offen offset:8
	;; [unrolled: 1-line block ×3, first 2 shown]
	buffer_store_dword v15, v3, s[0:3], 0 offen
	s_cbranch_scc0 .LBB356_76
; %bb.77:                               ;   in Loop: Header=BB356_64 Depth=1
	v_mov_b32_e32 v15, 0
	v_mov_b32_e32 v17, 0
	;; [unrolled: 1-line block ×6, first 2 shown]
	s_mov_b32 s27, 0
	s_mov_b32 s29, s19
	.p2align	6
.LBB356_78:                             ;   Parent Loop BB356_64 Depth=1
                                        ; =>  This Inner Loop Header: Depth=2
	v_mov_b32_e32 v24, s27
	flat_load_dwordx4 v[31:34], v[1:2]
	v_add_co_u32 v1, s9, v1, 16
	v_add_co_ci_u32_e64 v2, null, 0, v2, s9
	s_clause 0x3
	buffer_load_dword v3, v24, s[0:3], 0 offen offset:8
	buffer_load_dword v4, v24, s[0:3], 0 offen offset:12
	buffer_load_dword v23, v24, s[0:3], 0 offen
	buffer_load_dword v24, v24, s[0:3], 0 offen offset:4
	s_add_i32 s29, s29, -1
	s_add_i32 s27, s27, 16
	s_cmp_lg_u32 s29, 0
	s_waitcnt vmcnt(2) lgkmcnt(0)
	v_mul_f64 v[35:36], v[33:34], v[3:4]
	v_mul_f64 v[3:4], v[31:32], v[3:4]
	s_waitcnt vmcnt(0)
	v_fma_f64 v[31:32], v[31:32], v[23:24], -v[35:36]
	v_fma_f64 v[3:4], v[33:34], v[23:24], v[3:4]
	v_add_f64 v[15:16], v[15:16], v[31:32]
	v_add_f64 v[17:18], v[17:18], v[3:4]
	s_cbranch_scc1 .LBB356_78
.LBB356_79:                             ;   in Loop: Header=BB356_64 Depth=1
	s_or_b32 exec_lo, exec_lo, s26
	s_or_b32 exec_lo, exec_lo, s25
	s_and_saveexec_b32 s9, s4
	s_cbranch_execnz .LBB356_67
	s_branch .LBB356_68
.LBB356_80:                             ;   in Loop: Header=BB356_64 Depth=1
	ds_read_b128 v[1:4], v19
	s_or_b32 exec_lo, exec_lo, s9
	s_and_saveexec_b32 s9, s4
	s_cbranch_execz .LBB356_72
.LBB356_81:                             ;   in Loop: Header=BB356_64 Depth=1
	s_waitcnt lgkmcnt(0)
	ds_bpermute_b32 v15, v27, v1
	ds_bpermute_b32 v16, v27, v2
	ds_bpermute_b32 v17, v27, v3
	ds_bpermute_b32 v18, v27, v4
	s_waitcnt lgkmcnt(2)
	v_add_f64 v[1:2], v[1:2], v[15:16]
	s_waitcnt lgkmcnt(0)
	v_add_f64 v[3:4], v[3:4], v[17:18]
	ds_bpermute_b32 v15, v28, v1
	ds_bpermute_b32 v16, v28, v2
	ds_bpermute_b32 v17, v28, v3
	ds_bpermute_b32 v18, v28, v4
	s_waitcnt lgkmcnt(2)
	v_add_f64 v[1:2], v[1:2], v[15:16]
	s_waitcnt lgkmcnt(0)
	v_add_f64 v[3:4], v[3:4], v[17:18]
	;; [unrolled: 8-line block ×3, first 2 shown]
	s_or_b32 exec_lo, exec_lo, s9
	s_and_saveexec_b32 s9, s6
	s_cbranch_execz .LBB356_63
.LBB356_82:                             ;   in Loop: Header=BB356_64 Depth=1
	s_waitcnt lgkmcnt(0)
	v_mul_f64 v[15:16], s[14:15], v[3:4]
	v_mul_f64 v[3:4], s[12:13], v[3:4]
	s_mul_hi_u32 s27, s7, s18
	s_mul_i32 s26, s7, s18
	s_lshl_b64 s[26:27], s[26:27], 4
	s_add_u32 s26, s16, s26
	s_addc_u32 s27, s28, s27
	v_fma_f64 v[15:16], s[12:13], v[1:2], -v[15:16]
	v_fma_f64 v[17:18], s[14:15], v[1:2], v[3:4]
	global_store_dwordx4 v0, v[15:18], s[26:27]
	s_branch .LBB356_63
.LBB356_83:
	s_endpgm
	.section	.rodata,"a",@progbits
	.p2align	6, 0x0
	.amdhsa_kernel _ZL23rocblas_gemvt_sn_kernelILb0ELi256ELi4ElPK19rocblas_complex_numIdES1_S1_EviiT4_lPKT3_lilS7_lilPT5_i
		.amdhsa_group_segment_fixed_size 512
		.amdhsa_private_segment_fixed_size 80
		.amdhsa_kernarg_size 368
		.amdhsa_user_sgpr_count 6
		.amdhsa_user_sgpr_private_segment_buffer 1
		.amdhsa_user_sgpr_dispatch_ptr 0
		.amdhsa_user_sgpr_queue_ptr 0
		.amdhsa_user_sgpr_kernarg_segment_ptr 1
		.amdhsa_user_sgpr_dispatch_id 0
		.amdhsa_user_sgpr_flat_scratch_init 0
		.amdhsa_user_sgpr_private_segment_size 0
		.amdhsa_wavefront_size32 1
		.amdhsa_uses_dynamic_stack 0
		.amdhsa_system_sgpr_private_segment_wavefront_offset 1
		.amdhsa_system_sgpr_workgroup_id_x 1
		.amdhsa_system_sgpr_workgroup_id_y 0
		.amdhsa_system_sgpr_workgroup_id_z 1
		.amdhsa_system_sgpr_workgroup_info 0
		.amdhsa_system_vgpr_workitem_id 0
		.amdhsa_next_free_vgpr 74
		.amdhsa_next_free_sgpr 50
		.amdhsa_reserve_vcc 1
		.amdhsa_reserve_flat_scratch 1
		.amdhsa_float_round_mode_32 0
		.amdhsa_float_round_mode_16_64 0
		.amdhsa_float_denorm_mode_32 3
		.amdhsa_float_denorm_mode_16_64 3
		.amdhsa_dx10_clamp 1
		.amdhsa_ieee_mode 1
		.amdhsa_fp16_overflow 0
		.amdhsa_workgroup_processor_mode 1
		.amdhsa_memory_ordered 1
		.amdhsa_forward_progress 1
		.amdhsa_shared_vgpr_count 0
		.amdhsa_exception_fp_ieee_invalid_op 0
		.amdhsa_exception_fp_denorm_src 0
		.amdhsa_exception_fp_ieee_div_zero 0
		.amdhsa_exception_fp_ieee_overflow 0
		.amdhsa_exception_fp_ieee_underflow 0
		.amdhsa_exception_fp_ieee_inexact 0
		.amdhsa_exception_int_div_zero 0
	.end_amdhsa_kernel
	.section	.text._ZL23rocblas_gemvt_sn_kernelILb0ELi256ELi4ElPK19rocblas_complex_numIdES1_S1_EviiT4_lPKT3_lilS7_lilPT5_i,"axG",@progbits,_ZL23rocblas_gemvt_sn_kernelILb0ELi256ELi4ElPK19rocblas_complex_numIdES1_S1_EviiT4_lPKT3_lilS7_lilPT5_i,comdat
.Lfunc_end356:
	.size	_ZL23rocblas_gemvt_sn_kernelILb0ELi256ELi4ElPK19rocblas_complex_numIdES1_S1_EviiT4_lPKT3_lilS7_lilPT5_i, .Lfunc_end356-_ZL23rocblas_gemvt_sn_kernelILb0ELi256ELi4ElPK19rocblas_complex_numIdES1_S1_EviiT4_lPKT3_lilS7_lilPT5_i
                                        ; -- End function
	.set _ZL23rocblas_gemvt_sn_kernelILb0ELi256ELi4ElPK19rocblas_complex_numIdES1_S1_EviiT4_lPKT3_lilS7_lilPT5_i.num_vgpr, 74
	.set _ZL23rocblas_gemvt_sn_kernelILb0ELi256ELi4ElPK19rocblas_complex_numIdES1_S1_EviiT4_lPKT3_lilS7_lilPT5_i.num_agpr, 0
	.set _ZL23rocblas_gemvt_sn_kernelILb0ELi256ELi4ElPK19rocblas_complex_numIdES1_S1_EviiT4_lPKT3_lilS7_lilPT5_i.numbered_sgpr, 50
	.set _ZL23rocblas_gemvt_sn_kernelILb0ELi256ELi4ElPK19rocblas_complex_numIdES1_S1_EviiT4_lPKT3_lilS7_lilPT5_i.num_named_barrier, 0
	.set _ZL23rocblas_gemvt_sn_kernelILb0ELi256ELi4ElPK19rocblas_complex_numIdES1_S1_EviiT4_lPKT3_lilS7_lilPT5_i.private_seg_size, 80
	.set _ZL23rocblas_gemvt_sn_kernelILb0ELi256ELi4ElPK19rocblas_complex_numIdES1_S1_EviiT4_lPKT3_lilS7_lilPT5_i.uses_vcc, 1
	.set _ZL23rocblas_gemvt_sn_kernelILb0ELi256ELi4ElPK19rocblas_complex_numIdES1_S1_EviiT4_lPKT3_lilS7_lilPT5_i.uses_flat_scratch, 1
	.set _ZL23rocblas_gemvt_sn_kernelILb0ELi256ELi4ElPK19rocblas_complex_numIdES1_S1_EviiT4_lPKT3_lilS7_lilPT5_i.has_dyn_sized_stack, 0
	.set _ZL23rocblas_gemvt_sn_kernelILb0ELi256ELi4ElPK19rocblas_complex_numIdES1_S1_EviiT4_lPKT3_lilS7_lilPT5_i.has_recursion, 0
	.set _ZL23rocblas_gemvt_sn_kernelILb0ELi256ELi4ElPK19rocblas_complex_numIdES1_S1_EviiT4_lPKT3_lilS7_lilPT5_i.has_indirect_call, 0
	.section	.AMDGPU.csdata,"",@progbits
; Kernel info:
; codeLenInByte = 7856
; TotalNumSgprs: 52
; NumVgprs: 74
; ScratchSize: 80
; MemoryBound: 0
; FloatMode: 240
; IeeeMode: 1
; LDSByteSize: 512 bytes/workgroup (compile time only)
; SGPRBlocks: 0
; VGPRBlocks: 9
; NumSGPRsForWavesPerEU: 52
; NumVGPRsForWavesPerEU: 74
; Occupancy: 12
; WaveLimiterHint : 0
; COMPUTE_PGM_RSRC2:SCRATCH_EN: 1
; COMPUTE_PGM_RSRC2:USER_SGPR: 6
; COMPUTE_PGM_RSRC2:TRAP_HANDLER: 0
; COMPUTE_PGM_RSRC2:TGID_X_EN: 1
; COMPUTE_PGM_RSRC2:TGID_Y_EN: 0
; COMPUTE_PGM_RSRC2:TGID_Z_EN: 1
; COMPUTE_PGM_RSRC2:TIDIG_COMP_CNT: 0
	.section	.text._ZL23rocblas_gemvt_sn_reduceILi256ELi8E19rocblas_complex_numIdES1_KPS1_EviT2_lPT3_lilPT1_i,"axG",@progbits,_ZL23rocblas_gemvt_sn_reduceILi256ELi8E19rocblas_complex_numIdES1_KPS1_EviT2_lPT3_lilPT1_i,comdat
	.globl	_ZL23rocblas_gemvt_sn_reduceILi256ELi8E19rocblas_complex_numIdES1_KPS1_EviT2_lPT3_lilPT1_i ; -- Begin function _ZL23rocblas_gemvt_sn_reduceILi256ELi8E19rocblas_complex_numIdES1_KPS1_EviT2_lPT3_lilPT1_i
	.p2align	8
	.type	_ZL23rocblas_gemvt_sn_reduceILi256ELi8E19rocblas_complex_numIdES1_KPS1_EviT2_lPT3_lilPT1_i,@function
_ZL23rocblas_gemvt_sn_reduceILi256ELi8E19rocblas_complex_numIdES1_KPS1_EviT2_lPT3_lilPT1_i: ; @_ZL23rocblas_gemvt_sn_reduceILi256ELi8E19rocblas_complex_numIdES1_KPS1_EviT2_lPT3_lilPT1_i
; %bb.0:
	s_clause 0x2
	s_load_dword s6, s[4:5], 0x0
	s_load_dwordx4 s[0:3], s[4:5], 0x20
	s_load_dword s16, s[4:5], 0x54
	s_mov_b32 s9, 0
	v_mov_b32_e32 v1, 0
	s_lshl_b64 s[10:11], s[8:9], 3
	v_mov_b32_e32 v3, 0
	v_lshlrev_b32_e32 v7, 3, v0
	v_mov_b32_e32 v2, 0
	v_mov_b32_e32 v4, 0
	s_waitcnt lgkmcnt(0)
	s_ashr_i32 s17, s6, 31
	s_add_u32 s0, s0, s10
	s_addc_u32 s1, s1, s11
	s_load_dwordx2 s[14:15], s[4:5], 0x40
	s_load_dwordx2 s[12:13], s[0:1], 0x0
	s_mul_i32 s8, s16, s8
	s_add_u32 s0, s4, 0x50
	s_addc_u32 s1, s5, 0
	s_add_i32 s8, s8, s7
	s_lshr_b32 s11, s17, 29
	s_mul_i32 s10, s8, s17
	s_add_i32 s11, s6, s11
	s_mul_hi_u32 s16, s8, s6
	s_and_b32 s18, s11, -8
	s_add_i32 s17, s16, s10
	s_mul_i32 s16, s8, s6
	s_mov_b32 s8, exec_lo
	v_cmpx_gt_i32_e64 s18, v7
	s_cbranch_execz .LBB357_4
; %bb.1:
	s_load_dword s0, s[0:1], 0xc
	v_lshlrev_b32_e32 v3, 7, v0
	s_lshl_b64 s[10:11], s[16:17], 4
	v_mov_b32_e32 v1, 0
	v_mov_b32_e32 v2, 0
	s_waitcnt lgkmcnt(0)
	s_and_b32 s0, s0, 0xffff
	s_lshl_b32 s1, s0, 3
	s_add_u32 s10, s14, s10
	s_addc_u32 s11, s15, s11
	v_add_co_u32 v5, s10, s10, v3
	v_add_co_ci_u32_e64 v6, null, s11, 0, s10
	v_mov_b32_e32 v3, 0
	v_add_co_u32 v5, vcc_lo, 0x78, v5
	v_mov_b32_e32 v4, 0
	v_add_co_ci_u32_e64 v6, null, 0, v6, vcc_lo
	s_lshl_b32 s10, s0, 7
.LBB357_2:                              ; =>This Inner Loop Header: Depth=1
	s_clause 0x7
	global_load_dwordx4 v[8:11], v[5:6], off offset:-120
	global_load_dwordx4 v[12:15], v[5:6], off offset:-104
	;; [unrolled: 1-line block ×8, first 2 shown]
	v_add_nc_u32_e32 v7, s1, v7
	v_add_co_u32 v5, s0, v5, s10
	v_add_co_ci_u32_e64 v6, null, 0, v6, s0
	v_cmp_le_i32_e32 vcc_lo, s18, v7
	s_or_b32 s9, vcc_lo, s9
	s_waitcnt vmcnt(7)
	v_add_f64 v[3:4], v[3:4], v[8:9]
	v_add_f64 v[1:2], v[1:2], v[10:11]
	s_waitcnt vmcnt(6)
	v_add_f64 v[3:4], v[3:4], v[12:13]
	v_add_f64 v[1:2], v[1:2], v[14:15]
	;; [unrolled: 3-line block ×8, first 2 shown]
	s_andn2_b32 exec_lo, exec_lo, s9
	s_cbranch_execnz .LBB357_2
; %bb.3:
	s_or_b32 exec_lo, exec_lo, s9
.LBB357_4:
	s_or_b32 exec_lo, exec_lo, s8
	s_load_dwordx4 s[8:11], s[4:5], 0x8
	s_sub_i32 s0, s6, s18
	v_cmp_gt_u32_e32 vcc_lo, s0, v0
	s_and_saveexec_b32 s0, vcc_lo
	s_cbranch_execz .LBB357_6
; %bb.5:
	v_xad_u32 v5, v0, -1, s6
	v_mov_b32_e32 v6, 0
	s_lshl_b64 s[16:17], s[16:17], 4
	s_waitcnt lgkmcnt(0)
	s_add_u32 s1, s14, s16
	s_addc_u32 s6, s15, s17
	v_lshlrev_b64 v[5:6], 4, v[5:6]
	v_add_co_u32 v5, vcc_lo, s1, v5
	v_add_co_ci_u32_e64 v6, null, s6, v6, vcc_lo
	global_load_dwordx4 v[5:8], v[5:6], off
	s_waitcnt vmcnt(0)
	v_add_f64 v[3:4], v[3:4], v[5:6]
	v_add_f64 v[1:2], v[1:2], v[7:8]
.LBB357_6:
	s_or_b32 exec_lo, exec_lo, s0
	v_and_b32_e32 v13, 31, v0
	v_cmp_gt_u32_e32 vcc_lo, 32, v0
	v_lshlrev_b32_e32 v9, 4, v13
	s_and_saveexec_b32 s0, vcc_lo
	s_cbranch_execz .LBB357_8
; %bb.7:
	v_mov_b32_e32 v5, 0
	v_mov_b32_e32 v6, v5
	v_mov_b32_e32 v7, v5
	v_mov_b32_e32 v8, v5
	ds_write_b128 v9, v[5:8]
.LBB357_8:
	s_or_b32 exec_lo, exec_lo, s0
	v_mbcnt_lo_u32_b32 v12, -1, 0
	s_mov_b32 s1, exec_lo
	s_waitcnt lgkmcnt(0)
	s_barrier
	buffer_gl0_inv
	v_lshl_or_b32 v8, v12, 2, 64
	v_cmp_gt_u32_e64 s0, 24, v12
	ds_bpermute_b32 v5, v8, v3
	ds_bpermute_b32 v6, v8, v4
	;; [unrolled: 1-line block ×4, first 2 shown]
	s_waitcnt lgkmcnt(2)
	v_add_f64 v[3:4], v[3:4], v[5:6]
	v_cndmask_b32_e64 v5, 0, 8, s0
	s_waitcnt lgkmcnt(0)
	v_add_f64 v[1:2], v[1:2], v[7:8]
	v_cmp_gt_u32_e64 s0, 28, v12
	v_add_lshl_u32 v8, v5, v12, 2
	ds_bpermute_b32 v5, v8, v3
	ds_bpermute_b32 v6, v8, v4
	;; [unrolled: 1-line block ×4, first 2 shown]
	s_waitcnt lgkmcnt(2)
	v_add_f64 v[3:4], v[3:4], v[5:6]
	v_cndmask_b32_e64 v5, 0, 4, s0
	s_waitcnt lgkmcnt(0)
	v_add_f64 v[1:2], v[1:2], v[7:8]
	v_cmp_gt_u32_e64 s0, 30, v12
	v_add_lshl_u32 v10, v5, v12, 2
	ds_bpermute_b32 v5, v10, v3
	ds_bpermute_b32 v6, v10, v4
	;; [unrolled: 1-line block ×4, first 2 shown]
	s_waitcnt lgkmcnt(2)
	v_add_f64 v[3:4], v[3:4], v[5:6]
	s_waitcnt lgkmcnt(0)
	v_add_f64 v[5:6], v[1:2], v[7:8]
	v_cndmask_b32_e64 v1, 0, 2, s0
	v_cmp_ne_u32_e64 s0, 31, v12
	v_add_lshl_u32 v11, v1, v12, 2
	ds_bpermute_b32 v1, v11, v3
	ds_bpermute_b32 v2, v11, v4
	;; [unrolled: 1-line block ×4, first 2 shown]
	s_waitcnt lgkmcnt(2)
	v_add_f64 v[1:2], v[3:4], v[1:2]
	s_waitcnt lgkmcnt(0)
	v_add_f64 v[3:4], v[5:6], v[7:8]
	v_add_co_ci_u32_e64 v5, null, 0, v12, s0
	v_lshlrev_b32_e32 v12, 2, v5
	ds_bpermute_b32 v5, v12, v1
	ds_bpermute_b32 v6, v12, v2
	;; [unrolled: 1-line block ×4, first 2 shown]
	v_cmpx_eq_u32_e32 0, v13
	s_cbranch_execz .LBB357_10
; %bb.9:
	s_waitcnt lgkmcnt(0)
	v_add_f64 v[3:4], v[3:4], v[7:8]
	v_add_f64 v[1:2], v[1:2], v[5:6]
	v_lshrrev_b32_e32 v5, 1, v0
	v_and_b32_e32 v5, 0x70, v5
	ds_write_b128 v5, v[1:4]
.LBB357_10:
	s_or_b32 exec_lo, exec_lo, s1
	v_mov_b32_e32 v3, 0
	v_mov_b32_e32 v1, 0
	;; [unrolled: 1-line block ×4, first 2 shown]
	s_mov_b32 s1, exec_lo
	s_waitcnt lgkmcnt(0)
	s_barrier
	buffer_gl0_inv
	v_cmpx_gt_u32_e32 8, v0
; %bb.11:
	ds_read_b128 v[1:4], v9
; %bb.12:
	s_or_b32 exec_lo, exec_lo, s1
	s_and_saveexec_b32 s0, vcc_lo
	s_cbranch_execz .LBB357_14
; %bb.13:
	s_waitcnt lgkmcnt(0)
	ds_bpermute_b32 v5, v10, v1
	ds_bpermute_b32 v6, v10, v2
	ds_bpermute_b32 v7, v10, v3
	ds_bpermute_b32 v8, v10, v4
	s_waitcnt lgkmcnt(2)
	v_add_f64 v[1:2], v[1:2], v[5:6]
	s_waitcnt lgkmcnt(0)
	v_add_f64 v[3:4], v[3:4], v[7:8]
	ds_bpermute_b32 v5, v11, v1
	ds_bpermute_b32 v6, v11, v2
	ds_bpermute_b32 v7, v11, v3
	ds_bpermute_b32 v8, v11, v4
	s_waitcnt lgkmcnt(2)
	v_add_f64 v[1:2], v[1:2], v[5:6]
	s_waitcnt lgkmcnt(0)
	v_add_f64 v[3:4], v[3:4], v[7:8]
	;; [unrolled: 8-line block ×3, first 2 shown]
.LBB357_14:
	s_or_b32 exec_lo, exec_lo, s0
	s_mov_b32 s0, exec_lo
	v_cmpx_eq_u32_e32 0, v0
	s_cbranch_execz .LBB357_18
; %bb.15:
	s_load_dword s4, s[4:5], 0x30
	v_cmp_neq_f64_e64 s5, s[8:9], 0
	v_cmp_neq_f64_e64 s6, s[10:11], 0
	s_lshl_b64 s[0:1], s[2:3], 4
	s_waitcnt lgkmcnt(0)
	s_ashr_i32 s14, s4, 31
	s_add_u32 s2, s12, s0
	s_addc_u32 s3, s13, s1
	s_mul_hi_u32 s1, s4, s7
	s_or_b32 s0, s5, s6
	s_mul_i32 s14, s14, s7
	s_andn2_b32 vcc_lo, exec_lo, s0
	s_add_i32 s1, s1, s14
	s_mul_i32 s0, s4, s7
	s_cbranch_vccnz .LBB357_17
; %bb.16:
	s_lshl_b64 s[4:5], s[0:1], 4
	s_add_u32 s4, s2, s4
	s_addc_u32 s5, s3, s5
	v_mov_b32_e32 v6, s5
	v_mov_b32_e32 v5, s4
	flat_load_dwordx4 v[5:8], v[5:6]
	s_waitcnt vmcnt(0) lgkmcnt(0)
	v_mul_f64 v[9:10], s[10:11], v[7:8]
	v_mul_f64 v[7:8], s[8:9], v[7:8]
	v_fma_f64 v[9:10], s[8:9], v[5:6], -v[9:10]
	v_fma_f64 v[5:6], s[10:11], v[5:6], v[7:8]
	v_add_f64 v[1:2], v[1:2], v[9:10]
	v_add_f64 v[3:4], v[3:4], v[5:6]
.LBB357_17:
	s_lshl_b64 s[0:1], s[0:1], 4
	s_add_u32 s0, s2, s0
	s_addc_u32 s1, s3, s1
	v_mov_b32_e32 v6, s1
	v_mov_b32_e32 v5, s0
	flat_store_dwordx4 v[5:6], v[1:4]
.LBB357_18:
	s_endpgm
	.section	.rodata,"a",@progbits
	.p2align	6, 0x0
	.amdhsa_kernel _ZL23rocblas_gemvt_sn_reduceILi256ELi8E19rocblas_complex_numIdES1_KPS1_EviT2_lPT3_lilPT1_i
		.amdhsa_group_segment_fixed_size 512
		.amdhsa_private_segment_fixed_size 0
		.amdhsa_kernarg_size 336
		.amdhsa_user_sgpr_count 6
		.amdhsa_user_sgpr_private_segment_buffer 1
		.amdhsa_user_sgpr_dispatch_ptr 0
		.amdhsa_user_sgpr_queue_ptr 0
		.amdhsa_user_sgpr_kernarg_segment_ptr 1
		.amdhsa_user_sgpr_dispatch_id 0
		.amdhsa_user_sgpr_flat_scratch_init 0
		.amdhsa_user_sgpr_private_segment_size 0
		.amdhsa_wavefront_size32 1
		.amdhsa_uses_dynamic_stack 0
		.amdhsa_system_sgpr_private_segment_wavefront_offset 0
		.amdhsa_system_sgpr_workgroup_id_x 1
		.amdhsa_system_sgpr_workgroup_id_y 1
		.amdhsa_system_sgpr_workgroup_id_z 1
		.amdhsa_system_sgpr_workgroup_info 0
		.amdhsa_system_vgpr_workitem_id 0
		.amdhsa_next_free_vgpr 40
		.amdhsa_next_free_sgpr 19
		.amdhsa_reserve_vcc 1
		.amdhsa_reserve_flat_scratch 0
		.amdhsa_float_round_mode_32 0
		.amdhsa_float_round_mode_16_64 0
		.amdhsa_float_denorm_mode_32 3
		.amdhsa_float_denorm_mode_16_64 3
		.amdhsa_dx10_clamp 1
		.amdhsa_ieee_mode 1
		.amdhsa_fp16_overflow 0
		.amdhsa_workgroup_processor_mode 1
		.amdhsa_memory_ordered 1
		.amdhsa_forward_progress 1
		.amdhsa_shared_vgpr_count 0
		.amdhsa_exception_fp_ieee_invalid_op 0
		.amdhsa_exception_fp_denorm_src 0
		.amdhsa_exception_fp_ieee_div_zero 0
		.amdhsa_exception_fp_ieee_overflow 0
		.amdhsa_exception_fp_ieee_underflow 0
		.amdhsa_exception_fp_ieee_inexact 0
		.amdhsa_exception_int_div_zero 0
	.end_amdhsa_kernel
	.section	.text._ZL23rocblas_gemvt_sn_reduceILi256ELi8E19rocblas_complex_numIdES1_KPS1_EviT2_lPT3_lilPT1_i,"axG",@progbits,_ZL23rocblas_gemvt_sn_reduceILi256ELi8E19rocblas_complex_numIdES1_KPS1_EviT2_lPT3_lilPT1_i,comdat
.Lfunc_end357:
	.size	_ZL23rocblas_gemvt_sn_reduceILi256ELi8E19rocblas_complex_numIdES1_KPS1_EviT2_lPT3_lilPT1_i, .Lfunc_end357-_ZL23rocblas_gemvt_sn_reduceILi256ELi8E19rocblas_complex_numIdES1_KPS1_EviT2_lPT3_lilPT1_i
                                        ; -- End function
	.set _ZL23rocblas_gemvt_sn_reduceILi256ELi8E19rocblas_complex_numIdES1_KPS1_EviT2_lPT3_lilPT1_i.num_vgpr, 40
	.set _ZL23rocblas_gemvt_sn_reduceILi256ELi8E19rocblas_complex_numIdES1_KPS1_EviT2_lPT3_lilPT1_i.num_agpr, 0
	.set _ZL23rocblas_gemvt_sn_reduceILi256ELi8E19rocblas_complex_numIdES1_KPS1_EviT2_lPT3_lilPT1_i.numbered_sgpr, 19
	.set _ZL23rocblas_gemvt_sn_reduceILi256ELi8E19rocblas_complex_numIdES1_KPS1_EviT2_lPT3_lilPT1_i.num_named_barrier, 0
	.set _ZL23rocblas_gemvt_sn_reduceILi256ELi8E19rocblas_complex_numIdES1_KPS1_EviT2_lPT3_lilPT1_i.private_seg_size, 0
	.set _ZL23rocblas_gemvt_sn_reduceILi256ELi8E19rocblas_complex_numIdES1_KPS1_EviT2_lPT3_lilPT1_i.uses_vcc, 1
	.set _ZL23rocblas_gemvt_sn_reduceILi256ELi8E19rocblas_complex_numIdES1_KPS1_EviT2_lPT3_lilPT1_i.uses_flat_scratch, 0
	.set _ZL23rocblas_gemvt_sn_reduceILi256ELi8E19rocblas_complex_numIdES1_KPS1_EviT2_lPT3_lilPT1_i.has_dyn_sized_stack, 0
	.set _ZL23rocblas_gemvt_sn_reduceILi256ELi8E19rocblas_complex_numIdES1_KPS1_EviT2_lPT3_lilPT1_i.has_recursion, 0
	.set _ZL23rocblas_gemvt_sn_reduceILi256ELi8E19rocblas_complex_numIdES1_KPS1_EviT2_lPT3_lilPT1_i.has_indirect_call, 0
	.section	.AMDGPU.csdata,"",@progbits
; Kernel info:
; codeLenInByte = 1544
; TotalNumSgprs: 21
; NumVgprs: 40
; ScratchSize: 0
; MemoryBound: 1
; FloatMode: 240
; IeeeMode: 1
; LDSByteSize: 512 bytes/workgroup (compile time only)
; SGPRBlocks: 0
; VGPRBlocks: 4
; NumSGPRsForWavesPerEU: 21
; NumVGPRsForWavesPerEU: 40
; Occupancy: 16
; WaveLimiterHint : 1
; COMPUTE_PGM_RSRC2:SCRATCH_EN: 0
; COMPUTE_PGM_RSRC2:USER_SGPR: 6
; COMPUTE_PGM_RSRC2:TRAP_HANDLER: 0
; COMPUTE_PGM_RSRC2:TGID_X_EN: 1
; COMPUTE_PGM_RSRC2:TGID_Y_EN: 1
; COMPUTE_PGM_RSRC2:TGID_Z_EN: 1
; COMPUTE_PGM_RSRC2:TIDIG_COMP_CNT: 0
	.section	.text._ZL32rocblas_gemvt_warp_reduce_kernelILb0ELi256EiPK19rocblas_complex_numIdES3_KPS1_EviiT3_lPKT2_lT1_lS9_lSA_lS6_lPT4_lSA_li,"axG",@progbits,_ZL32rocblas_gemvt_warp_reduce_kernelILb0ELi256EiPK19rocblas_complex_numIdES3_KPS1_EviiT3_lPKT2_lT1_lS9_lSA_lS6_lPT4_lSA_li,comdat
	.globl	_ZL32rocblas_gemvt_warp_reduce_kernelILb0ELi256EiPK19rocblas_complex_numIdES3_KPS1_EviiT3_lPKT2_lT1_lS9_lSA_lS6_lPT4_lSA_li ; -- Begin function _ZL32rocblas_gemvt_warp_reduce_kernelILb0ELi256EiPK19rocblas_complex_numIdES3_KPS1_EviiT3_lPKT2_lT1_lS9_lSA_lS6_lPT4_lSA_li
	.p2align	8
	.type	_ZL32rocblas_gemvt_warp_reduce_kernelILb0ELi256EiPK19rocblas_complex_numIdES3_KPS1_EviiT3_lPKT2_lT1_lS9_lSA_lS6_lPT4_lSA_li,@function
_ZL32rocblas_gemvt_warp_reduce_kernelILb0ELi256EiPK19rocblas_complex_numIdES3_KPS1_EviiT3_lPKT2_lT1_lS9_lSA_lS6_lPT4_lSA_li: ; @_ZL32rocblas_gemvt_warp_reduce_kernelILb0ELi256EiPK19rocblas_complex_numIdES3_KPS1_EviiT3_lPKT2_lT1_lS9_lSA_lS6_lPT4_lSA_li
; %bb.0:
	s_clause 0x1
	s_load_dwordx8 s[16:23], s[4:5], 0x8
	s_load_dwordx8 s[8:15], s[4:5], 0x58
	s_mov_b32 s0, s7
	s_mov_b64 s[24:25], 0
	s_waitcnt lgkmcnt(0)
	s_mul_i32 s1, s19, s7
	s_mul_hi_u32 s3, s18, s7
	s_mul_i32 s2, s18, s7
	s_add_i32 s3, s3, s1
	s_mul_i32 s1, s11, s7
	s_lshl_b64 s[2:3], s[2:3], 4
	s_add_u32 s2, s16, s2
	s_addc_u32 s3, s17, s3
	s_load_dwordx4 s[16:19], s[2:3], 0x0
	s_mul_hi_u32 s2, s10, s7
	s_add_i32 s3, s2, s1
	s_mul_i32 s2, s10, s0
	s_mov_b32 s1, 0
	s_lshl_b64 s[2:3], s[2:3], 4
	s_add_u32 s2, s8, s2
	s_addc_u32 s3, s9, s3
	s_load_dwordx4 s[8:11], s[2:3], 0x0
	s_mov_b32 s3, s1
	s_waitcnt lgkmcnt(0)
	v_cmp_neq_f64_e64 s7, s[16:17], 0
	v_cmp_neq_f64_e64 s26, s[18:19], 0
	s_or_b32 s2, s7, s26
	s_mov_b32 s7, -1
	s_and_b32 vcc_lo, exec_lo, s2
	s_cbranch_vccz .LBB358_4
; %bb.1:
	s_andn2_b32 vcc_lo, exec_lo, s7
	s_cbranch_vccz .LBB358_5
.LBB358_2:
	s_andn2_b32 vcc_lo, exec_lo, s3
	s_cbranch_vccz .LBB358_6
.LBB358_3:
	s_endpgm
.LBB358_4:
	v_cmp_neq_f64_e64 s3, s[8:9], 1.0
	v_cmp_neq_f64_e64 s7, s[10:11], 0
	s_or_b32 s3, s3, s7
	s_cbranch_execnz .LBB358_2
.LBB358_5:
	s_lshl_b64 s[24:25], s[0:1], 3
	s_add_u32 s20, s20, s24
	s_addc_u32 s21, s21, s25
	s_lshl_b64 s[22:23], s[22:23], 4
	s_load_dwordx2 s[20:21], s[20:21], 0x0
	s_waitcnt lgkmcnt(0)
	s_add_u32 s24, s20, s22
	s_addc_u32 s25, s21, s23
.LBB358_6:
	v_cndmask_b32_e64 v1, 0, 1, s2
	s_xor_b32 s21, s2, -1
	s_mov_b64 s[2:3], 0
	v_cmp_ne_u32_e32 vcc_lo, 1, v1
	s_cbranch_vccnz .LBB358_8
; %bb.7:
	s_load_dwordx4 s[28:31], s[4:5], 0x38
	s_lshl_b64 s[2:3], s[0:1], 3
	s_waitcnt lgkmcnt(0)
	s_add_u32 s2, s28, s2
	s_addc_u32 s3, s29, s3
	s_lshl_b64 s[22:23], s[30:31], 4
	s_load_dwordx2 s[2:3], s[2:3], 0x0
	s_waitcnt lgkmcnt(0)
	s_add_u32 s2, s2, s22
	s_addc_u32 s3, s3, s23
.LBB358_8:
	s_lshl_b64 s[0:1], s[0:1], 3
	s_add_u32 s0, s12, s0
	s_addc_u32 s1, s13, s1
	s_lshl_b64 s[14:15], s[14:15], 4
	s_load_dwordx2 s[12:13], s[0:1], 0x0
	s_load_dword s20, s[4:5], 0x78
	v_cmp_eq_u32_e64 s0, 0, v0
	s_waitcnt lgkmcnt(0)
	s_add_u32 s1, s12, s14
	s_addc_u32 s7, s13, s15
	s_andn2_b32 vcc_lo, exec_lo, s21
	s_cbranch_vccnz .LBB358_13
; %bb.9:
	s_mov_b32 s15, 0
	s_mov_b32 s14, 0
                                        ; implicit-def: $vgpr3_vgpr4
                                        ; implicit-def: $sgpr12_sgpr13
	s_and_saveexec_b32 s21, s0
	s_cbranch_execz .LBB358_14
; %bb.10:
	v_cmp_neq_f64_e64 s0, s[8:9], 0
	v_cmp_neq_f64_e64 s12, s[10:11], 0
	v_mov_b32_e32 v3, 0
	v_mov_b32_e32 v1, 0
	;; [unrolled: 1-line block ×4, first 2 shown]
	s_or_b32 s0, s0, s12
	s_mul_i32 s12, s20, s6
	s_andn2_b32 vcc_lo, exec_lo, s0
	s_ashr_i32 s13, s12, 31
	s_cbranch_vccnz .LBB358_12
; %bb.11:
	s_lshl_b64 s[22:23], s[12:13], 4
	s_add_u32 s22, s1, s22
	s_addc_u32 s23, s7, s23
	v_mov_b32_e32 v1, s22
	v_mov_b32_e32 v2, s23
	flat_load_dwordx4 v[3:6], v[1:2]
	s_waitcnt vmcnt(0) lgkmcnt(0)
	v_mul_f64 v[1:2], s[10:11], v[5:6]
	v_mul_f64 v[5:6], s[8:9], v[5:6]
	v_fma_f64 v[1:2], s[8:9], v[3:4], -v[1:2]
	v_fma_f64 v[3:4], s[10:11], v[3:4], v[5:6]
.LBB358_12:
	s_mov_b32 s14, exec_lo
	s_or_b32 exec_lo, exec_lo, s21
	s_and_b32 vcc_lo, exec_lo, s15
	s_cbranch_vccnz .LBB358_15
	s_branch .LBB358_34
.LBB358_13:
	s_mov_b32 s14, 0
                                        ; implicit-def: $vgpr3_vgpr4
                                        ; implicit-def: $sgpr12_sgpr13
	s_cbranch_execnz .LBB358_15
	s_branch .LBB358_34
.LBB358_14:
	s_or_b32 exec_lo, exec_lo, s21
	s_and_b32 vcc_lo, exec_lo, s15
	s_cbranch_vccz .LBB358_34
.LBB358_15:
	s_clause 0x2
	s_load_dword s12, s[4:5], 0x0
	s_load_dword s0, s[4:5], 0x28
	;; [unrolled: 1-line block ×3, first 2 shown]
	v_mov_b32_e32 v1, 0
	v_mov_b32_e32 v3, 0
	;; [unrolled: 1-line block ×4, first 2 shown]
	s_mov_b32 s15, 0
	s_mov_b32 s13, exec_lo
	s_waitcnt lgkmcnt(0)
	v_cmp_gt_i32_e32 vcc_lo, s12, v0
	s_mul_i32 s22, s0, s6
	s_ashr_i32 s0, s12, 31
	s_ashr_i32 s23, s22, 31
	s_lshr_b32 s0, s0, 24
	v_cndmask_b32_e32 v5, 0, v0, vcc_lo
	s_lshl_b64 s[22:23], s[22:23], 4
	s_add_i32 s0, s12, s0
	v_lshlrev_b32_e32 v5, 4, v5
	v_add_co_u32 v5, s4, s24, v5
	v_add_co_ci_u32_e64 v6, null, s25, 0, s4
	s_and_b32 s4, s0, 0xffffff00
	v_add_co_u32 v5, vcc_lo, v5, s22
	v_add_co_ci_u32_e64 v6, null, s23, v6, vcc_lo
	v_cmpx_gt_i32_e64 s4, v0
	s_cbranch_execz .LBB358_19
; %bb.16:
	v_mul_lo_u32 v7, v0, s5
	v_mov_b32_e32 v1, 0
	v_mov_b32_e32 v10, v6
	;; [unrolled: 1-line block ×7, first 2 shown]
	s_lshl_b32 s21, s5, 8
	s_inst_prefetch 0x1
	.p2align	6
.LBB358_17:                             ; =>This Inner Loop Header: Depth=1
	v_ashrrev_i32_e32 v8, 31, v7
	v_add_nc_u32_e32 v11, 0x100, v11
	v_lshlrev_b64 v[12:13], 4, v[7:8]
	v_cmp_le_i32_e64 s0, s4, v11
	v_add_nc_u32_e32 v7, s21, v7
	s_or_b32 s15, s0, s15
	v_add_co_u32 v16, vcc_lo, s2, v12
	v_add_co_ci_u32_e64 v17, null, s3, v13, vcc_lo
	flat_load_dwordx4 v[12:15], v[9:10]
	flat_load_dwordx4 v[16:19], v[16:17]
	v_add_co_u32 v9, vcc_lo, 0x1000, v9
	v_add_co_ci_u32_e64 v10, null, 0, v10, vcc_lo
	s_waitcnt vmcnt(0) lgkmcnt(0)
	v_mul_f64 v[20:21], v[14:15], v[18:19]
	v_mul_f64 v[18:19], v[12:13], v[18:19]
	v_fma_f64 v[12:13], v[12:13], v[16:17], -v[20:21]
	v_fma_f64 v[14:15], v[14:15], v[16:17], v[18:19]
	v_add_f64 v[3:4], v[3:4], v[12:13]
	v_add_f64 v[1:2], v[1:2], v[14:15]
	s_andn2_b32 exec_lo, exec_lo, s15
	s_cbranch_execnz .LBB358_17
; %bb.18:
	s_inst_prefetch 0x2
	s_or_b32 exec_lo, exec_lo, s15
.LBB358_19:
	s_or_b32 exec_lo, exec_lo, s13
	v_add_nc_u32_e32 v7, s4, v0
	s_mov_b32 s0, exec_lo
	v_cmpx_gt_i32_e64 s12, v7
	s_cbranch_execz .LBB358_21
; %bb.20:
	v_mul_lo_u32 v7, s5, v7
	s_ashr_i32 s5, s4, 31
	s_lshl_b64 s[4:5], s[4:5], 4
	v_add_co_u32 v5, vcc_lo, v5, s4
	v_add_co_ci_u32_e64 v6, null, s5, v6, vcc_lo
	v_ashrrev_i32_e32 v8, 31, v7
	v_lshlrev_b64 v[7:8], 4, v[7:8]
	v_add_co_u32 v9, vcc_lo, s2, v7
	v_add_co_ci_u32_e64 v10, null, s3, v8, vcc_lo
	flat_load_dwordx4 v[5:8], v[5:6]
	flat_load_dwordx4 v[9:12], v[9:10]
	s_waitcnt vmcnt(0) lgkmcnt(0)
	v_mul_f64 v[13:14], v[7:8], v[11:12]
	v_mul_f64 v[11:12], v[5:6], v[11:12]
	v_fma_f64 v[5:6], v[5:6], v[9:10], -v[13:14]
	v_fma_f64 v[7:8], v[7:8], v[9:10], v[11:12]
	v_add_f64 v[3:4], v[3:4], v[5:6]
	v_add_f64 v[1:2], v[1:2], v[7:8]
.LBB358_21:
	s_or_b32 exec_lo, exec_lo, s0
	v_and_b32_e32 v13, 31, v0
	v_cmp_gt_u32_e32 vcc_lo, 32, v0
	v_lshlrev_b32_e32 v9, 4, v13
	s_and_saveexec_b32 s0, vcc_lo
	s_cbranch_execz .LBB358_23
; %bb.22:
	v_mov_b32_e32 v5, 0
	v_mov_b32_e32 v6, v5
	;; [unrolled: 1-line block ×4, first 2 shown]
	ds_write_b128 v9, v[5:8]
.LBB358_23:
	s_or_b32 exec_lo, exec_lo, s0
	v_mbcnt_lo_u32_b32 v12, -1, 0
	s_mov_b32 s2, exec_lo
	s_waitcnt lgkmcnt(0)
	s_barrier
	buffer_gl0_inv
	v_lshl_or_b32 v8, v12, 2, 64
	v_cmp_gt_u32_e64 s0, 24, v12
	ds_bpermute_b32 v5, v8, v3
	ds_bpermute_b32 v6, v8, v4
	;; [unrolled: 1-line block ×4, first 2 shown]
	s_waitcnt lgkmcnt(2)
	v_add_f64 v[3:4], v[3:4], v[5:6]
	v_cndmask_b32_e64 v5, 0, 8, s0
	s_waitcnt lgkmcnt(0)
	v_add_f64 v[1:2], v[1:2], v[7:8]
	v_cmp_gt_u32_e64 s0, 28, v12
	v_add_lshl_u32 v8, v5, v12, 2
	ds_bpermute_b32 v5, v8, v3
	ds_bpermute_b32 v6, v8, v4
	;; [unrolled: 1-line block ×4, first 2 shown]
	s_waitcnt lgkmcnt(2)
	v_add_f64 v[3:4], v[3:4], v[5:6]
	v_cndmask_b32_e64 v5, 0, 4, s0
	s_waitcnt lgkmcnt(0)
	v_add_f64 v[1:2], v[1:2], v[7:8]
	v_cmp_gt_u32_e64 s0, 30, v12
	v_add_lshl_u32 v10, v5, v12, 2
	ds_bpermute_b32 v5, v10, v3
	ds_bpermute_b32 v6, v10, v4
	;; [unrolled: 1-line block ×4, first 2 shown]
	s_waitcnt lgkmcnt(2)
	v_add_f64 v[3:4], v[3:4], v[5:6]
	s_waitcnt lgkmcnt(0)
	v_add_f64 v[5:6], v[1:2], v[7:8]
	v_cndmask_b32_e64 v1, 0, 2, s0
	v_cmp_ne_u32_e64 s0, 31, v12
	v_add_lshl_u32 v11, v1, v12, 2
	ds_bpermute_b32 v1, v11, v3
	ds_bpermute_b32 v2, v11, v4
	;; [unrolled: 1-line block ×4, first 2 shown]
	s_waitcnt lgkmcnt(2)
	v_add_f64 v[1:2], v[3:4], v[1:2]
	s_waitcnt lgkmcnt(0)
	v_add_f64 v[3:4], v[5:6], v[7:8]
	v_add_co_ci_u32_e64 v5, null, 0, v12, s0
	v_lshlrev_b32_e32 v12, 2, v5
	ds_bpermute_b32 v5, v12, v1
	ds_bpermute_b32 v6, v12, v2
	;; [unrolled: 1-line block ×4, first 2 shown]
	v_cmpx_eq_u32_e32 0, v13
	s_cbranch_execz .LBB358_25
; %bb.24:
	s_waitcnt lgkmcnt(0)
	v_add_f64 v[3:4], v[3:4], v[7:8]
	v_add_f64 v[1:2], v[1:2], v[5:6]
	v_lshrrev_b32_e32 v5, 1, v0
	v_and_b32_e32 v5, 0x70, v5
	ds_write_b128 v5, v[1:4]
.LBB358_25:
	s_or_b32 exec_lo, exec_lo, s2
	s_waitcnt lgkmcnt(0)
	v_mov_b32_e32 v7, 0
	v_mov_b32_e32 v5, 0
	;; [unrolled: 1-line block ×4, first 2 shown]
	s_mov_b32 s2, exec_lo
	s_barrier
	buffer_gl0_inv
	v_cmpx_gt_u32_e32 8, v0
; %bb.26:
	ds_read_b128 v[5:8], v9
; %bb.27:
	s_or_b32 exec_lo, exec_lo, s2
	s_and_saveexec_b32 s0, vcc_lo
	s_cbranch_execz .LBB358_29
; %bb.28:
	s_waitcnt lgkmcnt(0)
	ds_bpermute_b32 v1, v10, v5
	ds_bpermute_b32 v2, v10, v6
	ds_bpermute_b32 v3, v10, v7
	ds_bpermute_b32 v4, v10, v8
	s_waitcnt lgkmcnt(2)
	v_add_f64 v[1:2], v[5:6], v[1:2]
	s_waitcnt lgkmcnt(0)
	v_add_f64 v[3:4], v[7:8], v[3:4]
	ds_bpermute_b32 v5, v11, v1
	ds_bpermute_b32 v6, v11, v2
	ds_bpermute_b32 v7, v11, v3
	ds_bpermute_b32 v8, v11, v4
	s_waitcnt lgkmcnt(2)
	v_add_f64 v[1:2], v[1:2], v[5:6]
	s_waitcnt lgkmcnt(0)
	v_add_f64 v[3:4], v[3:4], v[7:8]
	;; [unrolled: 8-line block ×3, first 2 shown]
.LBB358_29:
	s_or_b32 exec_lo, exec_lo, s0
	s_mov_b32 s0, exec_lo
                                        ; implicit-def: $vgpr3_vgpr4
                                        ; implicit-def: $sgpr12_sgpr13
	v_cmpx_eq_u32_e32 0, v0
	s_cbranch_execz .LBB358_33
; %bb.30:
	s_waitcnt lgkmcnt(0)
	v_mul_f64 v[0:1], s[18:19], v[7:8]
	v_mul_f64 v[3:4], s[16:17], v[7:8]
	v_cmp_neq_f64_e64 s2, s[8:9], 0
	v_cmp_neq_f64_e64 s3, s[10:11], 0
	s_mul_i32 s12, s20, s6
	s_ashr_i32 s13, s12, 31
	v_fma_f64 v[1:2], s[16:17], v[5:6], -v[0:1]
	v_fma_f64 v[3:4], s[18:19], v[5:6], v[3:4]
	s_or_b32 s2, s2, s3
	s_andn2_b32 vcc_lo, exec_lo, s2
	s_cbranch_vccnz .LBB358_32
; %bb.31:
	s_lshl_b64 s[2:3], s[12:13], 4
	s_add_u32 s2, s1, s2
	s_addc_u32 s3, s7, s3
	v_mov_b32_e32 v6, s3
	v_mov_b32_e32 v5, s2
	flat_load_dwordx4 v[5:8], v[5:6]
	s_waitcnt vmcnt(0) lgkmcnt(0)
	v_mul_f64 v[9:10], s[10:11], v[7:8]
	v_mul_f64 v[7:8], s[8:9], v[7:8]
	v_fma_f64 v[9:10], s[8:9], v[5:6], -v[9:10]
	v_fma_f64 v[5:6], s[10:11], v[5:6], v[7:8]
	v_add_f64 v[1:2], v[1:2], v[9:10]
	v_add_f64 v[3:4], v[3:4], v[5:6]
.LBB358_32:
	s_or_b32 s14, s14, exec_lo
.LBB358_33:
	s_or_b32 exec_lo, exec_lo, s0
.LBB358_34:
	s_and_saveexec_b32 s0, s14
	s_cbranch_execz .LBB358_3
; %bb.35:
	s_lshl_b64 s[2:3], s[12:13], 4
	s_add_u32 s0, s1, s2
	s_addc_u32 s1, s7, s3
	s_waitcnt lgkmcnt(0)
	v_mov_b32_e32 v6, s1
	v_mov_b32_e32 v5, s0
	flat_store_dwordx4 v[5:6], v[1:4]
	s_endpgm
	.section	.rodata,"a",@progbits
	.p2align	6, 0x0
	.amdhsa_kernel _ZL32rocblas_gemvt_warp_reduce_kernelILb0ELi256EiPK19rocblas_complex_numIdES3_KPS1_EviiT3_lPKT2_lT1_lS9_lSA_lS6_lPT4_lSA_li
		.amdhsa_group_segment_fixed_size 512
		.amdhsa_private_segment_fixed_size 0
		.amdhsa_kernarg_size 140
		.amdhsa_user_sgpr_count 6
		.amdhsa_user_sgpr_private_segment_buffer 1
		.amdhsa_user_sgpr_dispatch_ptr 0
		.amdhsa_user_sgpr_queue_ptr 0
		.amdhsa_user_sgpr_kernarg_segment_ptr 1
		.amdhsa_user_sgpr_dispatch_id 0
		.amdhsa_user_sgpr_flat_scratch_init 0
		.amdhsa_user_sgpr_private_segment_size 0
		.amdhsa_wavefront_size32 1
		.amdhsa_uses_dynamic_stack 0
		.amdhsa_system_sgpr_private_segment_wavefront_offset 0
		.amdhsa_system_sgpr_workgroup_id_x 1
		.amdhsa_system_sgpr_workgroup_id_y 0
		.amdhsa_system_sgpr_workgroup_id_z 1
		.amdhsa_system_sgpr_workgroup_info 0
		.amdhsa_system_vgpr_workitem_id 0
		.amdhsa_next_free_vgpr 22
		.amdhsa_next_free_sgpr 32
		.amdhsa_reserve_vcc 1
		.amdhsa_reserve_flat_scratch 0
		.amdhsa_float_round_mode_32 0
		.amdhsa_float_round_mode_16_64 0
		.amdhsa_float_denorm_mode_32 3
		.amdhsa_float_denorm_mode_16_64 3
		.amdhsa_dx10_clamp 1
		.amdhsa_ieee_mode 1
		.amdhsa_fp16_overflow 0
		.amdhsa_workgroup_processor_mode 1
		.amdhsa_memory_ordered 1
		.amdhsa_forward_progress 1
		.amdhsa_shared_vgpr_count 0
		.amdhsa_exception_fp_ieee_invalid_op 0
		.amdhsa_exception_fp_denorm_src 0
		.amdhsa_exception_fp_ieee_div_zero 0
		.amdhsa_exception_fp_ieee_overflow 0
		.amdhsa_exception_fp_ieee_underflow 0
		.amdhsa_exception_fp_ieee_inexact 0
		.amdhsa_exception_int_div_zero 0
	.end_amdhsa_kernel
	.section	.text._ZL32rocblas_gemvt_warp_reduce_kernelILb0ELi256EiPK19rocblas_complex_numIdES3_KPS1_EviiT3_lPKT2_lT1_lS9_lSA_lS6_lPT4_lSA_li,"axG",@progbits,_ZL32rocblas_gemvt_warp_reduce_kernelILb0ELi256EiPK19rocblas_complex_numIdES3_KPS1_EviiT3_lPKT2_lT1_lS9_lSA_lS6_lPT4_lSA_li,comdat
.Lfunc_end358:
	.size	_ZL32rocblas_gemvt_warp_reduce_kernelILb0ELi256EiPK19rocblas_complex_numIdES3_KPS1_EviiT3_lPKT2_lT1_lS9_lSA_lS6_lPT4_lSA_li, .Lfunc_end358-_ZL32rocblas_gemvt_warp_reduce_kernelILb0ELi256EiPK19rocblas_complex_numIdES3_KPS1_EviiT3_lPKT2_lT1_lS9_lSA_lS6_lPT4_lSA_li
                                        ; -- End function
	.set _ZL32rocblas_gemvt_warp_reduce_kernelILb0ELi256EiPK19rocblas_complex_numIdES3_KPS1_EviiT3_lPKT2_lT1_lS9_lSA_lS6_lPT4_lSA_li.num_vgpr, 22
	.set _ZL32rocblas_gemvt_warp_reduce_kernelILb0ELi256EiPK19rocblas_complex_numIdES3_KPS1_EviiT3_lPKT2_lT1_lS9_lSA_lS6_lPT4_lSA_li.num_agpr, 0
	.set _ZL32rocblas_gemvt_warp_reduce_kernelILb0ELi256EiPK19rocblas_complex_numIdES3_KPS1_EviiT3_lPKT2_lT1_lS9_lSA_lS6_lPT4_lSA_li.numbered_sgpr, 32
	.set _ZL32rocblas_gemvt_warp_reduce_kernelILb0ELi256EiPK19rocblas_complex_numIdES3_KPS1_EviiT3_lPKT2_lT1_lS9_lSA_lS6_lPT4_lSA_li.num_named_barrier, 0
	.set _ZL32rocblas_gemvt_warp_reduce_kernelILb0ELi256EiPK19rocblas_complex_numIdES3_KPS1_EviiT3_lPKT2_lT1_lS9_lSA_lS6_lPT4_lSA_li.private_seg_size, 0
	.set _ZL32rocblas_gemvt_warp_reduce_kernelILb0ELi256EiPK19rocblas_complex_numIdES3_KPS1_EviiT3_lPKT2_lT1_lS9_lSA_lS6_lPT4_lSA_li.uses_vcc, 1
	.set _ZL32rocblas_gemvt_warp_reduce_kernelILb0ELi256EiPK19rocblas_complex_numIdES3_KPS1_EviiT3_lPKT2_lT1_lS9_lSA_lS6_lPT4_lSA_li.uses_flat_scratch, 0
	.set _ZL32rocblas_gemvt_warp_reduce_kernelILb0ELi256EiPK19rocblas_complex_numIdES3_KPS1_EviiT3_lPKT2_lT1_lS9_lSA_lS6_lPT4_lSA_li.has_dyn_sized_stack, 0
	.set _ZL32rocblas_gemvt_warp_reduce_kernelILb0ELi256EiPK19rocblas_complex_numIdES3_KPS1_EviiT3_lPKT2_lT1_lS9_lSA_lS6_lPT4_lSA_li.has_recursion, 0
	.set _ZL32rocblas_gemvt_warp_reduce_kernelILb0ELi256EiPK19rocblas_complex_numIdES3_KPS1_EviiT3_lPKT2_lT1_lS9_lSA_lS6_lPT4_lSA_li.has_indirect_call, 0
	.section	.AMDGPU.csdata,"",@progbits
; Kernel info:
; codeLenInByte = 2016
; TotalNumSgprs: 34
; NumVgprs: 22
; ScratchSize: 0
; MemoryBound: 0
; FloatMode: 240
; IeeeMode: 1
; LDSByteSize: 512 bytes/workgroup (compile time only)
; SGPRBlocks: 0
; VGPRBlocks: 2
; NumSGPRsForWavesPerEU: 34
; NumVGPRsForWavesPerEU: 22
; Occupancy: 16
; WaveLimiterHint : 1
; COMPUTE_PGM_RSRC2:SCRATCH_EN: 0
; COMPUTE_PGM_RSRC2:USER_SGPR: 6
; COMPUTE_PGM_RSRC2:TRAP_HANDLER: 0
; COMPUTE_PGM_RSRC2:TGID_X_EN: 1
; COMPUTE_PGM_RSRC2:TGID_Y_EN: 0
; COMPUTE_PGM_RSRC2:TGID_Z_EN: 1
; COMPUTE_PGM_RSRC2:TIDIG_COMP_CNT: 0
	.section	.text._ZL32rocblas_gemvt_warp_reduce_kernelILb0ELi256ElPK19rocblas_complex_numIdES3_KPS1_EviiT3_lPKT2_lT1_lS9_lSA_lS6_lPT4_lSA_li,"axG",@progbits,_ZL32rocblas_gemvt_warp_reduce_kernelILb0ELi256ElPK19rocblas_complex_numIdES3_KPS1_EviiT3_lPKT2_lT1_lS9_lSA_lS6_lPT4_lSA_li,comdat
	.globl	_ZL32rocblas_gemvt_warp_reduce_kernelILb0ELi256ElPK19rocblas_complex_numIdES3_KPS1_EviiT3_lPKT2_lT1_lS9_lSA_lS6_lPT4_lSA_li ; -- Begin function _ZL32rocblas_gemvt_warp_reduce_kernelILb0ELi256ElPK19rocblas_complex_numIdES3_KPS1_EviiT3_lPKT2_lT1_lS9_lSA_lS6_lPT4_lSA_li
	.p2align	8
	.type	_ZL32rocblas_gemvt_warp_reduce_kernelILb0ELi256ElPK19rocblas_complex_numIdES3_KPS1_EviiT3_lPKT2_lT1_lS9_lSA_lS6_lPT4_lSA_li,@function
_ZL32rocblas_gemvt_warp_reduce_kernelILb0ELi256ElPK19rocblas_complex_numIdES3_KPS1_EviiT3_lPKT2_lT1_lS9_lSA_lS6_lPT4_lSA_li: ; @_ZL32rocblas_gemvt_warp_reduce_kernelILb0ELi256ElPK19rocblas_complex_numIdES3_KPS1_EviiT3_lPKT2_lT1_lS9_lSA_lS6_lPT4_lSA_li
; %bb.0:
	s_clause 0x1
	s_load_dwordx8 s[16:23], s[4:5], 0x8
	s_load_dwordx8 s[8:15], s[4:5], 0x58
	s_mov_b32 s30, s7
	s_mov_b32 s31, 0
	s_mov_b64 s[28:29], 0
	s_waitcnt lgkmcnt(0)
	s_mul_i32 s1, s19, s7
	s_mul_hi_u32 s2, s18, s7
	s_mul_i32 s0, s18, s7
	s_add_i32 s1, s2, s1
	s_lshl_b64 s[0:1], s[0:1], 4
	s_add_u32 s0, s16, s0
	s_addc_u32 s1, s17, s1
	s_load_dwordx4 s[16:19], s[0:1], 0x0
	s_mul_i32 s0, s11, s7
	s_mul_hi_u32 s1, s10, s7
	s_add_i32 s1, s1, s0
	s_mul_i32 s0, s10, s7
	s_lshl_b64 s[0:1], s[0:1], 4
	s_add_u32 s0, s8, s0
	s_addc_u32 s1, s9, s1
	s_load_dwordx2 s[26:27], s[4:5], 0x28
	s_load_dwordx4 s[8:11], s[0:1], 0x0
	s_mov_b32 s1, -1
	s_mov_b32 s0, s31
	s_waitcnt lgkmcnt(0)
	v_cmp_neq_f64_e64 s2, s[16:17], 0
	v_cmp_neq_f64_e64 s3, s[18:19], 0
	s_or_b32 s7, s2, s3
	s_and_b32 vcc_lo, exec_lo, s7
	s_cbranch_vccz .LBB359_4
; %bb.1:
	s_andn2_b32 vcc_lo, exec_lo, s1
	s_cbranch_vccz .LBB359_5
.LBB359_2:
	s_andn2_b32 vcc_lo, exec_lo, s0
	s_cbranch_vccz .LBB359_6
.LBB359_3:
	s_endpgm
.LBB359_4:
	v_cmp_neq_f64_e64 s0, s[8:9], 1.0
	v_cmp_neq_f64_e64 s1, s[10:11], 0
	s_or_b32 s0, s0, s1
	s_cbranch_execnz .LBB359_2
.LBB359_5:
	s_lshl_b64 s[0:1], s[30:31], 3
	s_add_u32 s0, s20, s0
	s_addc_u32 s1, s21, s1
	s_lshl_b64 s[2:3], s[22:23], 4
	s_load_dwordx2 s[0:1], s[0:1], 0x0
	s_waitcnt lgkmcnt(0)
	s_add_u32 s28, s0, s2
	s_addc_u32 s29, s1, s3
.LBB359_6:
	s_clause 0x2
	s_load_dwordx2 s[20:21], s[4:5], 0x78
	s_load_dwordx4 s[0:3], s[4:5], 0x38
	s_load_dwordx2 s[22:23], s[4:5], 0x48
	v_cndmask_b32_e64 v1, 0, 1, s7
	s_xor_b32 s33, s7, -1
	s_mov_b64 s[24:25], 0
	v_cmp_ne_u32_e32 vcc_lo, 1, v1
	s_cbranch_vccnz .LBB359_8
; %bb.7:
	s_lshl_b64 s[24:25], s[30:31], 3
	s_waitcnt lgkmcnt(0)
	s_add_u32 s0, s0, s24
	s_addc_u32 s1, s1, s25
	s_lshl_b64 s[2:3], s[2:3], 4
	s_load_dwordx2 s[0:1], s[0:1], 0x0
	s_waitcnt lgkmcnt(0)
	s_add_u32 s24, s0, s2
	s_addc_u32 s25, s1, s3
.LBB359_8:
	s_waitcnt lgkmcnt(0)
	s_lshl_b64 s[0:1], s[30:31], 3
	s_add_u32 s0, s12, s0
	s_addc_u32 s1, s13, s1
	s_lshl_b64 s[12:13], s[14:15], 4
	s_load_dwordx2 s[2:3], s[0:1], 0x0
	v_cmp_eq_u32_e64 s0, 0, v0
	s_waitcnt lgkmcnt(0)
	s_add_u32 s1, s2, s12
	s_addc_u32 s7, s3, s13
	s_andn2_b32 vcc_lo, exec_lo, s33
	s_cbranch_vccnz .LBB359_13
; %bb.9:
	s_mov_b32 s13, 0
	s_mov_b32 s12, 0
                                        ; implicit-def: $vgpr3_vgpr4
                                        ; implicit-def: $sgpr2_sgpr3
	s_and_saveexec_b32 s14, s0
	s_cbranch_execz .LBB359_14
; %bb.10:
	v_cmp_neq_f64_e64 s0, s[8:9], 0
	v_cmp_neq_f64_e64 s2, s[10:11], 0
	s_ashr_i32 s3, s6, 31
	v_mov_b32_e32 v3, 0
	s_mul_i32 s3, s20, s3
	v_mov_b32_e32 v1, 0
	v_mov_b32_e32 v4, 0
	;; [unrolled: 1-line block ×3, first 2 shown]
	s_or_b32 s0, s0, s2
	s_mul_hi_u32 s2, s20, s6
	s_andn2_b32 vcc_lo, exec_lo, s0
	s_add_i32 s2, s2, s3
	s_mul_i32 s3, s21, s6
	s_add_i32 s3, s2, s3
	s_mul_i32 s2, s20, s6
	s_cbranch_vccnz .LBB359_12
; %bb.11:
	s_lshl_b64 s[30:31], s[2:3], 4
	s_add_u32 s30, s1, s30
	s_addc_u32 s31, s7, s31
	v_mov_b32_e32 v1, s30
	v_mov_b32_e32 v2, s31
	flat_load_dwordx4 v[3:6], v[1:2]
	s_waitcnt vmcnt(0) lgkmcnt(0)
	v_mul_f64 v[1:2], s[10:11], v[5:6]
	v_mul_f64 v[5:6], s[8:9], v[5:6]
	v_fma_f64 v[1:2], s[8:9], v[3:4], -v[1:2]
	v_fma_f64 v[3:4], s[10:11], v[3:4], v[5:6]
.LBB359_12:
	s_mov_b32 s12, exec_lo
	s_or_b32 exec_lo, exec_lo, s14
	s_and_b32 vcc_lo, exec_lo, s13
	s_cbranch_vccnz .LBB359_15
	s_branch .LBB359_34
.LBB359_13:
	s_mov_b32 s12, 0
                                        ; implicit-def: $vgpr3_vgpr4
                                        ; implicit-def: $sgpr2_sgpr3
	s_cbranch_execnz .LBB359_15
	s_branch .LBB359_34
.LBB359_14:
	s_or_b32 exec_lo, exec_lo, s14
	s_and_b32 vcc_lo, exec_lo, s13
	s_cbranch_vccz .LBB359_34
.LBB359_15:
	s_load_dword s3, s[4:5], 0x0
	s_ashr_i32 s13, s6, 31
	s_mul_hi_u32 s0, s26, s6
	s_mul_i32 s5, s26, s13
	s_mul_i32 s2, s27, s6
	s_add_i32 s0, s0, s5
	s_mul_i32 s4, s26, s6
	s_add_i32 s5, s0, s2
	v_mov_b32_e32 v1, 0
	s_lshl_b64 s[4:5], s[4:5], 4
	v_mov_b32_e32 v3, 0
	v_mov_b32_e32 v2, 0
	;; [unrolled: 1-line block ×3, first 2 shown]
	s_mov_b32 s15, 0
	s_mov_b32 s14, exec_lo
	s_waitcnt lgkmcnt(0)
	v_cmp_gt_i32_e32 vcc_lo, s3, v0
	s_ashr_i32 s0, s3, 31
	s_lshr_b32 s0, s0, 24
	s_add_i32 s0, s3, s0
	v_cndmask_b32_e32 v5, 0, v0, vcc_lo
	v_lshlrev_b32_e32 v5, 4, v5
	v_add_co_u32 v5, s2, s28, v5
	v_add_co_ci_u32_e64 v6, null, s29, 0, s2
	s_and_b32 s2, s0, 0xffffff00
	v_add_co_u32 v5, vcc_lo, v5, s4
	v_add_co_ci_u32_e64 v6, null, s5, v6, vcc_lo
	v_cmpx_gt_i32_e64 s2, v0
	s_cbranch_execz .LBB359_19
; %bb.16:
	v_mad_u64_u32 v[1:2], null, s22, v0, 0
	v_mov_b32_e32 v8, v6
	v_mov_b32_e32 v7, v5
	;; [unrolled: 1-line block ×3, first 2 shown]
	s_lshl_b64 s[4:5], s[22:23], 12
	v_mad_u64_u32 v[2:3], null, s23, v0, v[2:3]
	v_mov_b32_e32 v3, 0
	v_mov_b32_e32 v4, 0
	v_lshlrev_b64 v[9:10], 4, v[1:2]
	v_mov_b32_e32 v1, 0
	v_mov_b32_e32 v2, 0
	v_add_co_u32 v9, vcc_lo, s24, v9
	v_add_co_ci_u32_e64 v10, null, s25, v10, vcc_lo
	.p2align	6
.LBB359_17:                             ; =>This Inner Loop Header: Depth=1
	flat_load_dwordx4 v[12:15], v[7:8]
	flat_load_dwordx4 v[16:19], v[9:10]
	v_add_nc_u32_e32 v11, 0x100, v11
	v_add_co_u32 v7, vcc_lo, 0x1000, v7
	v_add_co_ci_u32_e64 v8, null, 0, v8, vcc_lo
	v_cmp_le_i32_e32 vcc_lo, s2, v11
	v_add_co_u32 v9, s0, v9, s4
	v_add_co_ci_u32_e64 v10, null, s5, v10, s0
	s_or_b32 s15, vcc_lo, s15
	s_waitcnt vmcnt(0) lgkmcnt(0)
	v_mul_f64 v[20:21], v[14:15], v[18:19]
	v_mul_f64 v[18:19], v[12:13], v[18:19]
	v_fma_f64 v[12:13], v[12:13], v[16:17], -v[20:21]
	v_fma_f64 v[14:15], v[14:15], v[16:17], v[18:19]
	v_add_f64 v[3:4], v[3:4], v[12:13]
	v_add_f64 v[1:2], v[1:2], v[14:15]
	s_andn2_b32 exec_lo, exec_lo, s15
	s_cbranch_execnz .LBB359_17
; %bb.18:
	s_or_b32 exec_lo, exec_lo, s15
.LBB359_19:
	s_or_b32 exec_lo, exec_lo, s14
	v_add_nc_u32_e32 v7, s2, v0
	s_mov_b32 s0, exec_lo
	v_cmpx_gt_i32_e64 s3, v7
	s_cbranch_execz .LBB359_21
; %bb.20:
	v_ashrrev_i32_e32 v9, 31, v7
	v_mul_lo_u32 v10, s23, v7
	v_mad_u64_u32 v[7:8], null, s22, v7, 0
	s_ashr_i32 s3, s2, 31
	v_mul_lo_u32 v9, s22, v9
	s_lshl_b64 s[2:3], s[2:3], 4
	v_add_co_u32 v5, vcc_lo, v5, s2
	v_add_co_ci_u32_e64 v6, null, s3, v6, vcc_lo
	v_add3_u32 v8, v8, v9, v10
	v_lshlrev_b64 v[7:8], 4, v[7:8]
	v_add_co_u32 v9, vcc_lo, s24, v7
	v_add_co_ci_u32_e64 v10, null, s25, v8, vcc_lo
	flat_load_dwordx4 v[5:8], v[5:6]
	flat_load_dwordx4 v[9:12], v[9:10]
	s_waitcnt vmcnt(0) lgkmcnt(0)
	v_mul_f64 v[13:14], v[7:8], v[11:12]
	v_mul_f64 v[11:12], v[5:6], v[11:12]
	v_fma_f64 v[5:6], v[5:6], v[9:10], -v[13:14]
	v_fma_f64 v[7:8], v[7:8], v[9:10], v[11:12]
	v_add_f64 v[3:4], v[3:4], v[5:6]
	v_add_f64 v[1:2], v[1:2], v[7:8]
.LBB359_21:
	s_or_b32 exec_lo, exec_lo, s0
	v_and_b32_e32 v13, 31, v0
	v_cmp_gt_u32_e32 vcc_lo, 32, v0
	v_lshlrev_b32_e32 v9, 4, v13
	s_and_saveexec_b32 s0, vcc_lo
	s_cbranch_execz .LBB359_23
; %bb.22:
	v_mov_b32_e32 v5, 0
	v_mov_b32_e32 v6, v5
	;; [unrolled: 1-line block ×4, first 2 shown]
	ds_write_b128 v9, v[5:8]
.LBB359_23:
	s_or_b32 exec_lo, exec_lo, s0
	v_mbcnt_lo_u32_b32 v12, -1, 0
	s_mov_b32 s2, exec_lo
	s_waitcnt lgkmcnt(0)
	s_barrier
	buffer_gl0_inv
	v_lshl_or_b32 v8, v12, 2, 64
	v_cmp_gt_u32_e64 s0, 24, v12
	ds_bpermute_b32 v5, v8, v3
	ds_bpermute_b32 v6, v8, v4
	;; [unrolled: 1-line block ×4, first 2 shown]
	s_waitcnt lgkmcnt(2)
	v_add_f64 v[3:4], v[3:4], v[5:6]
	v_cndmask_b32_e64 v5, 0, 8, s0
	s_waitcnt lgkmcnt(0)
	v_add_f64 v[1:2], v[1:2], v[7:8]
	v_cmp_gt_u32_e64 s0, 28, v12
	v_add_lshl_u32 v8, v5, v12, 2
	ds_bpermute_b32 v5, v8, v3
	ds_bpermute_b32 v6, v8, v4
	;; [unrolled: 1-line block ×4, first 2 shown]
	s_waitcnt lgkmcnt(2)
	v_add_f64 v[3:4], v[3:4], v[5:6]
	v_cndmask_b32_e64 v5, 0, 4, s0
	s_waitcnt lgkmcnt(0)
	v_add_f64 v[1:2], v[1:2], v[7:8]
	v_cmp_gt_u32_e64 s0, 30, v12
	v_add_lshl_u32 v10, v5, v12, 2
	ds_bpermute_b32 v5, v10, v3
	ds_bpermute_b32 v6, v10, v4
	ds_bpermute_b32 v7, v10, v1
	ds_bpermute_b32 v8, v10, v2
	s_waitcnt lgkmcnt(2)
	v_add_f64 v[3:4], v[3:4], v[5:6]
	s_waitcnt lgkmcnt(0)
	v_add_f64 v[5:6], v[1:2], v[7:8]
	v_cndmask_b32_e64 v1, 0, 2, s0
	v_cmp_ne_u32_e64 s0, 31, v12
	v_add_lshl_u32 v11, v1, v12, 2
	ds_bpermute_b32 v1, v11, v3
	ds_bpermute_b32 v2, v11, v4
	;; [unrolled: 1-line block ×4, first 2 shown]
	s_waitcnt lgkmcnt(2)
	v_add_f64 v[1:2], v[3:4], v[1:2]
	s_waitcnt lgkmcnt(0)
	v_add_f64 v[3:4], v[5:6], v[7:8]
	v_add_co_ci_u32_e64 v5, null, 0, v12, s0
	v_lshlrev_b32_e32 v12, 2, v5
	ds_bpermute_b32 v5, v12, v1
	ds_bpermute_b32 v6, v12, v2
	;; [unrolled: 1-line block ×4, first 2 shown]
	v_cmpx_eq_u32_e32 0, v13
	s_cbranch_execz .LBB359_25
; %bb.24:
	s_waitcnt lgkmcnt(0)
	v_add_f64 v[3:4], v[3:4], v[7:8]
	v_add_f64 v[1:2], v[1:2], v[5:6]
	v_lshrrev_b32_e32 v5, 1, v0
	v_and_b32_e32 v5, 0x70, v5
	ds_write_b128 v5, v[1:4]
.LBB359_25:
	s_or_b32 exec_lo, exec_lo, s2
	s_waitcnt lgkmcnt(0)
	v_mov_b32_e32 v7, 0
	v_mov_b32_e32 v5, 0
	;; [unrolled: 1-line block ×4, first 2 shown]
	s_mov_b32 s2, exec_lo
	s_barrier
	buffer_gl0_inv
	v_cmpx_gt_u32_e32 8, v0
; %bb.26:
	ds_read_b128 v[5:8], v9
; %bb.27:
	s_or_b32 exec_lo, exec_lo, s2
	s_and_saveexec_b32 s0, vcc_lo
	s_cbranch_execz .LBB359_29
; %bb.28:
	s_waitcnt lgkmcnt(0)
	ds_bpermute_b32 v1, v10, v5
	ds_bpermute_b32 v2, v10, v6
	ds_bpermute_b32 v3, v10, v7
	ds_bpermute_b32 v4, v10, v8
	s_waitcnt lgkmcnt(2)
	v_add_f64 v[1:2], v[5:6], v[1:2]
	s_waitcnt lgkmcnt(0)
	v_add_f64 v[3:4], v[7:8], v[3:4]
	ds_bpermute_b32 v5, v11, v1
	ds_bpermute_b32 v6, v11, v2
	ds_bpermute_b32 v7, v11, v3
	ds_bpermute_b32 v8, v11, v4
	s_waitcnt lgkmcnt(2)
	v_add_f64 v[1:2], v[1:2], v[5:6]
	s_waitcnt lgkmcnt(0)
	v_add_f64 v[3:4], v[3:4], v[7:8]
	;; [unrolled: 8-line block ×3, first 2 shown]
.LBB359_29:
	s_or_b32 exec_lo, exec_lo, s0
	s_mov_b32 s0, exec_lo
                                        ; implicit-def: $vgpr3_vgpr4
                                        ; implicit-def: $sgpr2_sgpr3
	v_cmpx_eq_u32_e32 0, v0
	s_cbranch_execz .LBB359_33
; %bb.30:
	s_waitcnt lgkmcnt(0)
	v_mul_f64 v[0:1], s[18:19], v[7:8]
	v_mul_f64 v[3:4], s[16:17], v[7:8]
	v_cmp_neq_f64_e64 s2, s[8:9], 0
	v_cmp_neq_f64_e64 s3, s[10:11], 0
	s_mul_hi_u32 s4, s20, s6
	v_fma_f64 v[1:2], s[16:17], v[5:6], -v[0:1]
	v_fma_f64 v[3:4], s[18:19], v[5:6], v[3:4]
	s_or_b32 s2, s2, s3
	s_mul_i32 s3, s20, s13
	s_andn2_b32 vcc_lo, exec_lo, s2
	s_add_i32 s3, s4, s3
	s_mul_i32 s4, s21, s6
	s_mul_i32 s2, s20, s6
	s_add_i32 s3, s3, s4
	s_cbranch_vccnz .LBB359_32
; %bb.31:
	s_lshl_b64 s[4:5], s[2:3], 4
	s_add_u32 s4, s1, s4
	s_addc_u32 s5, s7, s5
	v_mov_b32_e32 v6, s5
	v_mov_b32_e32 v5, s4
	flat_load_dwordx4 v[5:8], v[5:6]
	s_waitcnt vmcnt(0) lgkmcnt(0)
	v_mul_f64 v[9:10], s[10:11], v[7:8]
	v_mul_f64 v[7:8], s[8:9], v[7:8]
	v_fma_f64 v[9:10], s[8:9], v[5:6], -v[9:10]
	v_fma_f64 v[5:6], s[10:11], v[5:6], v[7:8]
	v_add_f64 v[1:2], v[1:2], v[9:10]
	v_add_f64 v[3:4], v[3:4], v[5:6]
.LBB359_32:
	s_or_b32 s12, s12, exec_lo
.LBB359_33:
	s_or_b32 exec_lo, exec_lo, s0
.LBB359_34:
	s_and_saveexec_b32 s0, s12
	s_cbranch_execz .LBB359_3
; %bb.35:
	s_lshl_b64 s[2:3], s[2:3], 4
	s_add_u32 s0, s1, s2
	s_addc_u32 s1, s7, s3
	s_waitcnt lgkmcnt(0)
	v_mov_b32_e32 v6, s1
	v_mov_b32_e32 v5, s0
	flat_store_dwordx4 v[5:6], v[1:4]
	s_endpgm
	.section	.rodata,"a",@progbits
	.p2align	6, 0x0
	.amdhsa_kernel _ZL32rocblas_gemvt_warp_reduce_kernelILb0ELi256ElPK19rocblas_complex_numIdES3_KPS1_EviiT3_lPKT2_lT1_lS9_lSA_lS6_lPT4_lSA_li
		.amdhsa_group_segment_fixed_size 512
		.amdhsa_private_segment_fixed_size 0
		.amdhsa_kernarg_size 140
		.amdhsa_user_sgpr_count 6
		.amdhsa_user_sgpr_private_segment_buffer 1
		.amdhsa_user_sgpr_dispatch_ptr 0
		.amdhsa_user_sgpr_queue_ptr 0
		.amdhsa_user_sgpr_kernarg_segment_ptr 1
		.amdhsa_user_sgpr_dispatch_id 0
		.amdhsa_user_sgpr_flat_scratch_init 0
		.amdhsa_user_sgpr_private_segment_size 0
		.amdhsa_wavefront_size32 1
		.amdhsa_uses_dynamic_stack 0
		.amdhsa_system_sgpr_private_segment_wavefront_offset 0
		.amdhsa_system_sgpr_workgroup_id_x 1
		.amdhsa_system_sgpr_workgroup_id_y 0
		.amdhsa_system_sgpr_workgroup_id_z 1
		.amdhsa_system_sgpr_workgroup_info 0
		.amdhsa_system_vgpr_workitem_id 0
		.amdhsa_next_free_vgpr 22
		.amdhsa_next_free_sgpr 34
		.amdhsa_reserve_vcc 1
		.amdhsa_reserve_flat_scratch 0
		.amdhsa_float_round_mode_32 0
		.amdhsa_float_round_mode_16_64 0
		.amdhsa_float_denorm_mode_32 3
		.amdhsa_float_denorm_mode_16_64 3
		.amdhsa_dx10_clamp 1
		.amdhsa_ieee_mode 1
		.amdhsa_fp16_overflow 0
		.amdhsa_workgroup_processor_mode 1
		.amdhsa_memory_ordered 1
		.amdhsa_forward_progress 1
		.amdhsa_shared_vgpr_count 0
		.amdhsa_exception_fp_ieee_invalid_op 0
		.amdhsa_exception_fp_denorm_src 0
		.amdhsa_exception_fp_ieee_div_zero 0
		.amdhsa_exception_fp_ieee_overflow 0
		.amdhsa_exception_fp_ieee_underflow 0
		.amdhsa_exception_fp_ieee_inexact 0
		.amdhsa_exception_int_div_zero 0
	.end_amdhsa_kernel
	.section	.text._ZL32rocblas_gemvt_warp_reduce_kernelILb0ELi256ElPK19rocblas_complex_numIdES3_KPS1_EviiT3_lPKT2_lT1_lS9_lSA_lS6_lPT4_lSA_li,"axG",@progbits,_ZL32rocblas_gemvt_warp_reduce_kernelILb0ELi256ElPK19rocblas_complex_numIdES3_KPS1_EviiT3_lPKT2_lT1_lS9_lSA_lS6_lPT4_lSA_li,comdat
.Lfunc_end359:
	.size	_ZL32rocblas_gemvt_warp_reduce_kernelILb0ELi256ElPK19rocblas_complex_numIdES3_KPS1_EviiT3_lPKT2_lT1_lS9_lSA_lS6_lPT4_lSA_li, .Lfunc_end359-_ZL32rocblas_gemvt_warp_reduce_kernelILb0ELi256ElPK19rocblas_complex_numIdES3_KPS1_EviiT3_lPKT2_lT1_lS9_lSA_lS6_lPT4_lSA_li
                                        ; -- End function
	.set _ZL32rocblas_gemvt_warp_reduce_kernelILb0ELi256ElPK19rocblas_complex_numIdES3_KPS1_EviiT3_lPKT2_lT1_lS9_lSA_lS6_lPT4_lSA_li.num_vgpr, 22
	.set _ZL32rocblas_gemvt_warp_reduce_kernelILb0ELi256ElPK19rocblas_complex_numIdES3_KPS1_EviiT3_lPKT2_lT1_lS9_lSA_lS6_lPT4_lSA_li.num_agpr, 0
	.set _ZL32rocblas_gemvt_warp_reduce_kernelILb0ELi256ElPK19rocblas_complex_numIdES3_KPS1_EviiT3_lPKT2_lT1_lS9_lSA_lS6_lPT4_lSA_li.numbered_sgpr, 34
	.set _ZL32rocblas_gemvt_warp_reduce_kernelILb0ELi256ElPK19rocblas_complex_numIdES3_KPS1_EviiT3_lPKT2_lT1_lS9_lSA_lS6_lPT4_lSA_li.num_named_barrier, 0
	.set _ZL32rocblas_gemvt_warp_reduce_kernelILb0ELi256ElPK19rocblas_complex_numIdES3_KPS1_EviiT3_lPKT2_lT1_lS9_lSA_lS6_lPT4_lSA_li.private_seg_size, 0
	.set _ZL32rocblas_gemvt_warp_reduce_kernelILb0ELi256ElPK19rocblas_complex_numIdES3_KPS1_EviiT3_lPKT2_lT1_lS9_lSA_lS6_lPT4_lSA_li.uses_vcc, 1
	.set _ZL32rocblas_gemvt_warp_reduce_kernelILb0ELi256ElPK19rocblas_complex_numIdES3_KPS1_EviiT3_lPKT2_lT1_lS9_lSA_lS6_lPT4_lSA_li.uses_flat_scratch, 0
	.set _ZL32rocblas_gemvt_warp_reduce_kernelILb0ELi256ElPK19rocblas_complex_numIdES3_KPS1_EviiT3_lPKT2_lT1_lS9_lSA_lS6_lPT4_lSA_li.has_dyn_sized_stack, 0
	.set _ZL32rocblas_gemvt_warp_reduce_kernelILb0ELi256ElPK19rocblas_complex_numIdES3_KPS1_EviiT3_lPKT2_lT1_lS9_lSA_lS6_lPT4_lSA_li.has_recursion, 0
	.set _ZL32rocblas_gemvt_warp_reduce_kernelILb0ELi256ElPK19rocblas_complex_numIdES3_KPS1_EviiT3_lPKT2_lT1_lS9_lSA_lS6_lPT4_lSA_li.has_indirect_call, 0
	.section	.AMDGPU.csdata,"",@progbits
; Kernel info:
; codeLenInByte = 2096
; TotalNumSgprs: 36
; NumVgprs: 22
; ScratchSize: 0
; MemoryBound: 0
; FloatMode: 240
; IeeeMode: 1
; LDSByteSize: 512 bytes/workgroup (compile time only)
; SGPRBlocks: 0
; VGPRBlocks: 2
; NumSGPRsForWavesPerEU: 36
; NumVGPRsForWavesPerEU: 22
; Occupancy: 16
; WaveLimiterHint : 1
; COMPUTE_PGM_RSRC2:SCRATCH_EN: 0
; COMPUTE_PGM_RSRC2:USER_SGPR: 6
; COMPUTE_PGM_RSRC2:TRAP_HANDLER: 0
; COMPUTE_PGM_RSRC2:TGID_X_EN: 1
; COMPUTE_PGM_RSRC2:TGID_Y_EN: 0
; COMPUTE_PGM_RSRC2:TGID_Z_EN: 1
; COMPUTE_PGM_RSRC2:TIDIG_COMP_CNT: 0
	.section	.text._ZL32rocblas_gemvt_warp_reduce_kernelILb0ELi256EiPK19rocblas_complex_numIdES1_KPS1_EviiT3_lPKT2_lT1_lS9_lSA_lS6_lPT4_lSA_li,"axG",@progbits,_ZL32rocblas_gemvt_warp_reduce_kernelILb0ELi256EiPK19rocblas_complex_numIdES1_KPS1_EviiT3_lPKT2_lT1_lS9_lSA_lS6_lPT4_lSA_li,comdat
	.globl	_ZL32rocblas_gemvt_warp_reduce_kernelILb0ELi256EiPK19rocblas_complex_numIdES1_KPS1_EviiT3_lPKT2_lT1_lS9_lSA_lS6_lPT4_lSA_li ; -- Begin function _ZL32rocblas_gemvt_warp_reduce_kernelILb0ELi256EiPK19rocblas_complex_numIdES1_KPS1_EviiT3_lPKT2_lT1_lS9_lSA_lS6_lPT4_lSA_li
	.p2align	8
	.type	_ZL32rocblas_gemvt_warp_reduce_kernelILb0ELi256EiPK19rocblas_complex_numIdES1_KPS1_EviiT3_lPKT2_lT1_lS9_lSA_lS6_lPT4_lSA_li,@function
_ZL32rocblas_gemvt_warp_reduce_kernelILb0ELi256EiPK19rocblas_complex_numIdES1_KPS1_EviiT3_lPKT2_lT1_lS9_lSA_lS6_lPT4_lSA_li: ; @_ZL32rocblas_gemvt_warp_reduce_kernelILb0ELi256EiPK19rocblas_complex_numIdES1_KPS1_EviiT3_lPKT2_lT1_lS9_lSA_lS6_lPT4_lSA_li
; %bb.0:
	s_clause 0x1
	s_load_dwordx4 s[12:15], s[4:5], 0x8
	s_load_dwordx4 s[8:11], s[4:5], 0x60
	s_mov_b32 s2, s7
	s_mov_b32 s3, 0
	s_mov_b64 s[16:17], 0
	s_mov_b32 s18, -1
	s_mov_b32 s19, s3
	s_waitcnt lgkmcnt(0)
	v_cmp_neq_f64_e64 s0, s[12:13], 0
	v_cmp_neq_f64_e64 s1, s[14:15], 0
	s_or_b32 s7, s0, s1
	s_mov_b64 s[0:1], s[2:3]
	s_and_b32 vcc_lo, exec_lo, s7
	s_cbranch_vccnz .LBB360_3
; %bb.1:
	v_cmp_eq_f64_e64 s0, s[8:9], 1.0
	v_cmp_eq_f64_e64 s1, s[10:11], 0
	s_mov_b32 s18, 0
	s_mov_b32 s19, 0
	s_and_b32 s0, s0, s1
	s_andn2_b32 vcc_lo, exec_lo, s0
                                        ; implicit-def: $sgpr0_sgpr1
	s_cbranch_vccz .LBB360_3
; %bb.2:
	s_mov_b32 s1, 0
	s_mov_b32 s0, s2
	s_mov_b32 s19, -1
.LBB360_3:
	s_and_b32 vcc_lo, exec_lo, s18
	s_cbranch_vccz .LBB360_5
; %bb.4:
	s_load_dwordx4 s[16:19], s[4:5], 0x20
	s_lshl_b64 s[2:3], s[2:3], 3
	s_waitcnt lgkmcnt(0)
	s_add_u32 s2, s16, s2
	s_addc_u32 s3, s17, s3
	s_lshl_b64 s[16:17], s[18:19], 4
	s_load_dwordx2 s[2:3], s[2:3], 0x0
	s_mov_b32 s19, -1
	s_waitcnt lgkmcnt(0)
	s_add_u32 s16, s2, s16
	s_addc_u32 s17, s3, s17
.LBB360_5:
	s_andn2_b32 vcc_lo, exec_lo, s19
	s_cbranch_vccnz .LBB360_36
; %bb.6:
	v_cndmask_b32_e64 v1, 0, 1, s7
	s_xor_b32 s18, s7, -1
	s_mov_b64 s[2:3], 0
	v_cmp_ne_u32_e32 vcc_lo, 1, v1
	s_cbranch_vccnz .LBB360_8
; %bb.7:
	s_load_dwordx4 s[20:23], s[4:5], 0x40
	s_lshl_b64 s[2:3], s[0:1], 3
	s_waitcnt lgkmcnt(0)
	s_add_u32 s2, s20, s2
	s_addc_u32 s3, s21, s3
	s_lshl_b64 s[20:21], s[22:23], 4
	s_load_dwordx2 s[2:3], s[2:3], 0x0
	s_waitcnt lgkmcnt(0)
	s_add_u32 s2, s2, s20
	s_addc_u32 s3, s3, s21
.LBB360_8:
	s_clause 0x1
	s_load_dwordx4 s[24:27], s[4:5], 0x78
	s_load_dword s20, s[4:5], 0x88
	s_lshl_b64 s[0:1], s[0:1], 3
	s_waitcnt lgkmcnt(0)
	s_add_u32 s0, s24, s0
	s_addc_u32 s1, s25, s1
	s_lshl_b64 s[24:25], s[26:27], 4
	s_load_dwordx2 s[22:23], s[0:1], 0x0
	v_cmp_eq_u32_e64 s0, 0, v0
	s_waitcnt lgkmcnt(0)
	s_add_u32 s1, s22, s24
	s_addc_u32 s7, s23, s25
	s_andn2_b32 vcc_lo, exec_lo, s18
	s_cbranch_vccnz .LBB360_13
; %bb.9:
	s_mov_b32 s22, 0
	s_mov_b32 s21, 0
                                        ; implicit-def: $vgpr3_vgpr4
                                        ; implicit-def: $sgpr18_sgpr19
	s_and_saveexec_b32 s23, s0
	s_cbranch_execz .LBB360_14
; %bb.10:
	v_cmp_neq_f64_e64 s0, s[8:9], 0
	v_cmp_neq_f64_e64 s18, s[10:11], 0
	v_mov_b32_e32 v3, 0
	v_mov_b32_e32 v1, 0
	;; [unrolled: 1-line block ×4, first 2 shown]
	s_or_b32 s0, s0, s18
	s_mul_i32 s18, s20, s6
	s_andn2_b32 vcc_lo, exec_lo, s0
	s_ashr_i32 s19, s18, 31
	s_cbranch_vccnz .LBB360_12
; %bb.11:
	s_lshl_b64 s[24:25], s[18:19], 4
	s_add_u32 s24, s1, s24
	s_addc_u32 s25, s7, s25
	v_mov_b32_e32 v1, s24
	v_mov_b32_e32 v2, s25
	flat_load_dwordx4 v[3:6], v[1:2]
	s_waitcnt vmcnt(0) lgkmcnt(0)
	v_mul_f64 v[1:2], s[10:11], v[5:6]
	v_mul_f64 v[5:6], s[8:9], v[5:6]
	v_fma_f64 v[1:2], s[8:9], v[3:4], -v[1:2]
	v_fma_f64 v[3:4], s[10:11], v[3:4], v[5:6]
.LBB360_12:
	s_mov_b32 s21, exec_lo
	s_or_b32 exec_lo, exec_lo, s23
	s_and_b32 vcc_lo, exec_lo, s22
	s_cbranch_vccnz .LBB360_15
	s_branch .LBB360_34
.LBB360_13:
	s_mov_b32 s21, 0
                                        ; implicit-def: $vgpr3_vgpr4
                                        ; implicit-def: $sgpr18_sgpr19
	s_cbranch_execnz .LBB360_15
	s_branch .LBB360_34
.LBB360_14:
	s_or_b32 exec_lo, exec_lo, s23
	s_and_b32 vcc_lo, exec_lo, s22
	s_cbranch_vccz .LBB360_34
.LBB360_15:
	s_clause 0x2
	s_load_dword s18, s[4:5], 0x0
	s_load_dword s0, s[4:5], 0x30
	;; [unrolled: 1-line block ×3, first 2 shown]
	v_mov_b32_e32 v1, 0
	v_mov_b32_e32 v3, 0
	v_mov_b32_e32 v2, 0
	v_mov_b32_e32 v4, 0
	s_waitcnt lgkmcnt(0)
	v_cmp_gt_i32_e32 vcc_lo, s18, v0
	s_mul_i32 s22, s0, s6
	s_ashr_i32 s0, s18, 31
	s_ashr_i32 s23, s22, 31
	s_lshr_b32 s0, s0, 24
	v_cndmask_b32_e32 v5, 0, v0, vcc_lo
	s_lshl_b64 s[22:23], s[22:23], 4
	s_add_i32 s0, s18, s0
	v_lshlrev_b32_e32 v5, 4, v5
	v_add_co_u32 v5, s4, s16, v5
	v_add_co_ci_u32_e64 v6, null, s17, 0, s4
	s_and_b32 s4, s0, 0xffffff00
	v_add_co_u32 v5, vcc_lo, v5, s22
	v_add_co_ci_u32_e64 v6, null, s23, v6, vcc_lo
	s_mov_b32 s17, 0
	s_mov_b32 s16, exec_lo
	v_cmpx_gt_i32_e64 s4, v0
	s_cbranch_execz .LBB360_19
; %bb.16:
	v_mul_lo_u32 v7, v0, s5
	v_mov_b32_e32 v1, 0
	v_mov_b32_e32 v10, v6
	;; [unrolled: 1-line block ×7, first 2 shown]
	s_lshl_b32 s19, s5, 8
	s_inst_prefetch 0x1
	.p2align	6
.LBB360_17:                             ; =>This Inner Loop Header: Depth=1
	v_ashrrev_i32_e32 v8, 31, v7
	v_add_nc_u32_e32 v11, 0x100, v11
	v_lshlrev_b64 v[12:13], 4, v[7:8]
	v_cmp_le_i32_e64 s0, s4, v11
	v_add_nc_u32_e32 v7, s19, v7
	s_or_b32 s17, s0, s17
	v_add_co_u32 v16, vcc_lo, s2, v12
	v_add_co_ci_u32_e64 v17, null, s3, v13, vcc_lo
	flat_load_dwordx4 v[12:15], v[9:10]
	flat_load_dwordx4 v[16:19], v[16:17]
	v_add_co_u32 v9, vcc_lo, 0x1000, v9
	v_add_co_ci_u32_e64 v10, null, 0, v10, vcc_lo
	s_waitcnt vmcnt(0) lgkmcnt(0)
	v_mul_f64 v[20:21], v[14:15], v[18:19]
	v_mul_f64 v[18:19], v[12:13], v[18:19]
	v_fma_f64 v[12:13], v[12:13], v[16:17], -v[20:21]
	v_fma_f64 v[14:15], v[14:15], v[16:17], v[18:19]
	v_add_f64 v[3:4], v[3:4], v[12:13]
	v_add_f64 v[1:2], v[1:2], v[14:15]
	s_andn2_b32 exec_lo, exec_lo, s17
	s_cbranch_execnz .LBB360_17
; %bb.18:
	s_inst_prefetch 0x2
	s_or_b32 exec_lo, exec_lo, s17
.LBB360_19:
	s_or_b32 exec_lo, exec_lo, s16
	v_add_nc_u32_e32 v7, s4, v0
	s_mov_b32 s0, exec_lo
	v_cmpx_gt_i32_e64 s18, v7
	s_cbranch_execz .LBB360_21
; %bb.20:
	v_mul_lo_u32 v7, s5, v7
	s_ashr_i32 s5, s4, 31
	s_lshl_b64 s[4:5], s[4:5], 4
	v_add_co_u32 v5, vcc_lo, v5, s4
	v_add_co_ci_u32_e64 v6, null, s5, v6, vcc_lo
	v_ashrrev_i32_e32 v8, 31, v7
	v_lshlrev_b64 v[7:8], 4, v[7:8]
	v_add_co_u32 v9, vcc_lo, s2, v7
	v_add_co_ci_u32_e64 v10, null, s3, v8, vcc_lo
	flat_load_dwordx4 v[5:8], v[5:6]
	flat_load_dwordx4 v[9:12], v[9:10]
	s_waitcnt vmcnt(0) lgkmcnt(0)
	v_mul_f64 v[13:14], v[7:8], v[11:12]
	v_mul_f64 v[11:12], v[5:6], v[11:12]
	v_fma_f64 v[5:6], v[5:6], v[9:10], -v[13:14]
	v_fma_f64 v[7:8], v[7:8], v[9:10], v[11:12]
	v_add_f64 v[3:4], v[3:4], v[5:6]
	v_add_f64 v[1:2], v[1:2], v[7:8]
.LBB360_21:
	s_or_b32 exec_lo, exec_lo, s0
	v_and_b32_e32 v13, 31, v0
	v_cmp_gt_u32_e32 vcc_lo, 32, v0
	v_lshlrev_b32_e32 v9, 4, v13
	s_and_saveexec_b32 s0, vcc_lo
	s_cbranch_execz .LBB360_23
; %bb.22:
	v_mov_b32_e32 v5, 0
	v_mov_b32_e32 v6, v5
	;; [unrolled: 1-line block ×4, first 2 shown]
	ds_write_b128 v9, v[5:8]
.LBB360_23:
	s_or_b32 exec_lo, exec_lo, s0
	v_mbcnt_lo_u32_b32 v12, -1, 0
	s_mov_b32 s2, exec_lo
	s_waitcnt lgkmcnt(0)
	s_barrier
	buffer_gl0_inv
	v_lshl_or_b32 v8, v12, 2, 64
	v_cmp_gt_u32_e64 s0, 24, v12
	ds_bpermute_b32 v5, v8, v3
	ds_bpermute_b32 v6, v8, v4
	;; [unrolled: 1-line block ×4, first 2 shown]
	s_waitcnt lgkmcnt(2)
	v_add_f64 v[3:4], v[3:4], v[5:6]
	v_cndmask_b32_e64 v5, 0, 8, s0
	s_waitcnt lgkmcnt(0)
	v_add_f64 v[1:2], v[1:2], v[7:8]
	v_cmp_gt_u32_e64 s0, 28, v12
	v_add_lshl_u32 v8, v5, v12, 2
	ds_bpermute_b32 v5, v8, v3
	ds_bpermute_b32 v6, v8, v4
	ds_bpermute_b32 v7, v8, v1
	ds_bpermute_b32 v8, v8, v2
	s_waitcnt lgkmcnt(2)
	v_add_f64 v[3:4], v[3:4], v[5:6]
	v_cndmask_b32_e64 v5, 0, 4, s0
	s_waitcnt lgkmcnt(0)
	v_add_f64 v[1:2], v[1:2], v[7:8]
	v_cmp_gt_u32_e64 s0, 30, v12
	v_add_lshl_u32 v10, v5, v12, 2
	ds_bpermute_b32 v5, v10, v3
	ds_bpermute_b32 v6, v10, v4
	;; [unrolled: 1-line block ×4, first 2 shown]
	s_waitcnt lgkmcnt(2)
	v_add_f64 v[3:4], v[3:4], v[5:6]
	s_waitcnt lgkmcnt(0)
	v_add_f64 v[5:6], v[1:2], v[7:8]
	v_cndmask_b32_e64 v1, 0, 2, s0
	v_cmp_ne_u32_e64 s0, 31, v12
	v_add_lshl_u32 v11, v1, v12, 2
	ds_bpermute_b32 v1, v11, v3
	ds_bpermute_b32 v2, v11, v4
	;; [unrolled: 1-line block ×4, first 2 shown]
	s_waitcnt lgkmcnt(2)
	v_add_f64 v[1:2], v[3:4], v[1:2]
	s_waitcnt lgkmcnt(0)
	v_add_f64 v[3:4], v[5:6], v[7:8]
	v_add_co_ci_u32_e64 v5, null, 0, v12, s0
	v_lshlrev_b32_e32 v12, 2, v5
	ds_bpermute_b32 v5, v12, v1
	ds_bpermute_b32 v6, v12, v2
	;; [unrolled: 1-line block ×4, first 2 shown]
	v_cmpx_eq_u32_e32 0, v13
	s_cbranch_execz .LBB360_25
; %bb.24:
	s_waitcnt lgkmcnt(0)
	v_add_f64 v[3:4], v[3:4], v[7:8]
	v_add_f64 v[1:2], v[1:2], v[5:6]
	v_lshrrev_b32_e32 v5, 1, v0
	v_and_b32_e32 v5, 0x70, v5
	ds_write_b128 v5, v[1:4]
.LBB360_25:
	s_or_b32 exec_lo, exec_lo, s2
	s_waitcnt lgkmcnt(0)
	v_mov_b32_e32 v7, 0
	v_mov_b32_e32 v5, 0
	;; [unrolled: 1-line block ×4, first 2 shown]
	s_mov_b32 s2, exec_lo
	s_barrier
	buffer_gl0_inv
	v_cmpx_gt_u32_e32 8, v0
; %bb.26:
	ds_read_b128 v[5:8], v9
; %bb.27:
	s_or_b32 exec_lo, exec_lo, s2
	s_and_saveexec_b32 s0, vcc_lo
	s_cbranch_execz .LBB360_29
; %bb.28:
	s_waitcnt lgkmcnt(0)
	ds_bpermute_b32 v1, v10, v5
	ds_bpermute_b32 v2, v10, v6
	ds_bpermute_b32 v3, v10, v7
	ds_bpermute_b32 v4, v10, v8
	s_waitcnt lgkmcnt(2)
	v_add_f64 v[1:2], v[5:6], v[1:2]
	s_waitcnt lgkmcnt(0)
	v_add_f64 v[3:4], v[7:8], v[3:4]
	ds_bpermute_b32 v5, v11, v1
	ds_bpermute_b32 v6, v11, v2
	ds_bpermute_b32 v7, v11, v3
	ds_bpermute_b32 v8, v11, v4
	s_waitcnt lgkmcnt(2)
	v_add_f64 v[1:2], v[1:2], v[5:6]
	s_waitcnt lgkmcnt(0)
	v_add_f64 v[3:4], v[3:4], v[7:8]
	;; [unrolled: 8-line block ×3, first 2 shown]
.LBB360_29:
	s_or_b32 exec_lo, exec_lo, s0
	s_mov_b32 s0, exec_lo
                                        ; implicit-def: $vgpr3_vgpr4
                                        ; implicit-def: $sgpr18_sgpr19
	v_cmpx_eq_u32_e32 0, v0
	s_cbranch_execz .LBB360_33
; %bb.30:
	s_waitcnt lgkmcnt(0)
	v_mul_f64 v[0:1], s[14:15], v[7:8]
	v_mul_f64 v[3:4], s[12:13], v[7:8]
	v_cmp_neq_f64_e64 s2, s[8:9], 0
	v_cmp_neq_f64_e64 s3, s[10:11], 0
	s_mul_i32 s18, s20, s6
	s_ashr_i32 s19, s18, 31
	v_fma_f64 v[1:2], s[12:13], v[5:6], -v[0:1]
	v_fma_f64 v[3:4], s[14:15], v[5:6], v[3:4]
	s_or_b32 s2, s2, s3
	s_andn2_b32 vcc_lo, exec_lo, s2
	s_cbranch_vccnz .LBB360_32
; %bb.31:
	s_lshl_b64 s[2:3], s[18:19], 4
	s_add_u32 s2, s1, s2
	s_addc_u32 s3, s7, s3
	v_mov_b32_e32 v6, s3
	v_mov_b32_e32 v5, s2
	flat_load_dwordx4 v[5:8], v[5:6]
	s_waitcnt vmcnt(0) lgkmcnt(0)
	v_mul_f64 v[9:10], s[10:11], v[7:8]
	v_mul_f64 v[7:8], s[8:9], v[7:8]
	v_fma_f64 v[9:10], s[8:9], v[5:6], -v[9:10]
	v_fma_f64 v[5:6], s[10:11], v[5:6], v[7:8]
	v_add_f64 v[1:2], v[1:2], v[9:10]
	v_add_f64 v[3:4], v[3:4], v[5:6]
.LBB360_32:
	s_or_b32 s21, s21, exec_lo
.LBB360_33:
	s_or_b32 exec_lo, exec_lo, s0
.LBB360_34:
	s_and_saveexec_b32 s0, s21
	s_cbranch_execz .LBB360_36
; %bb.35:
	s_lshl_b64 s[2:3], s[18:19], 4
	s_add_u32 s0, s1, s2
	s_addc_u32 s1, s7, s3
	s_waitcnt lgkmcnt(0)
	v_mov_b32_e32 v6, s1
	v_mov_b32_e32 v5, s0
	flat_store_dwordx4 v[5:6], v[1:4]
.LBB360_36:
	s_endpgm
	.section	.rodata,"a",@progbits
	.p2align	6, 0x0
	.amdhsa_kernel _ZL32rocblas_gemvt_warp_reduce_kernelILb0ELi256EiPK19rocblas_complex_numIdES1_KPS1_EviiT3_lPKT2_lT1_lS9_lSA_lS6_lPT4_lSA_li
		.amdhsa_group_segment_fixed_size 512
		.amdhsa_private_segment_fixed_size 0
		.amdhsa_kernarg_size 156
		.amdhsa_user_sgpr_count 6
		.amdhsa_user_sgpr_private_segment_buffer 1
		.amdhsa_user_sgpr_dispatch_ptr 0
		.amdhsa_user_sgpr_queue_ptr 0
		.amdhsa_user_sgpr_kernarg_segment_ptr 1
		.amdhsa_user_sgpr_dispatch_id 0
		.amdhsa_user_sgpr_flat_scratch_init 0
		.amdhsa_user_sgpr_private_segment_size 0
		.amdhsa_wavefront_size32 1
		.amdhsa_uses_dynamic_stack 0
		.amdhsa_system_sgpr_private_segment_wavefront_offset 0
		.amdhsa_system_sgpr_workgroup_id_x 1
		.amdhsa_system_sgpr_workgroup_id_y 0
		.amdhsa_system_sgpr_workgroup_id_z 1
		.amdhsa_system_sgpr_workgroup_info 0
		.amdhsa_system_vgpr_workitem_id 0
		.amdhsa_next_free_vgpr 22
		.amdhsa_next_free_sgpr 28
		.amdhsa_reserve_vcc 1
		.amdhsa_reserve_flat_scratch 0
		.amdhsa_float_round_mode_32 0
		.amdhsa_float_round_mode_16_64 0
		.amdhsa_float_denorm_mode_32 3
		.amdhsa_float_denorm_mode_16_64 3
		.amdhsa_dx10_clamp 1
		.amdhsa_ieee_mode 1
		.amdhsa_fp16_overflow 0
		.amdhsa_workgroup_processor_mode 1
		.amdhsa_memory_ordered 1
		.amdhsa_forward_progress 1
		.amdhsa_shared_vgpr_count 0
		.amdhsa_exception_fp_ieee_invalid_op 0
		.amdhsa_exception_fp_denorm_src 0
		.amdhsa_exception_fp_ieee_div_zero 0
		.amdhsa_exception_fp_ieee_overflow 0
		.amdhsa_exception_fp_ieee_underflow 0
		.amdhsa_exception_fp_ieee_inexact 0
		.amdhsa_exception_int_div_zero 0
	.end_amdhsa_kernel
	.section	.text._ZL32rocblas_gemvt_warp_reduce_kernelILb0ELi256EiPK19rocblas_complex_numIdES1_KPS1_EviiT3_lPKT2_lT1_lS9_lSA_lS6_lPT4_lSA_li,"axG",@progbits,_ZL32rocblas_gemvt_warp_reduce_kernelILb0ELi256EiPK19rocblas_complex_numIdES1_KPS1_EviiT3_lPKT2_lT1_lS9_lSA_lS6_lPT4_lSA_li,comdat
.Lfunc_end360:
	.size	_ZL32rocblas_gemvt_warp_reduce_kernelILb0ELi256EiPK19rocblas_complex_numIdES1_KPS1_EviiT3_lPKT2_lT1_lS9_lSA_lS6_lPT4_lSA_li, .Lfunc_end360-_ZL32rocblas_gemvt_warp_reduce_kernelILb0ELi256EiPK19rocblas_complex_numIdES1_KPS1_EviiT3_lPKT2_lT1_lS9_lSA_lS6_lPT4_lSA_li
                                        ; -- End function
	.set _ZL32rocblas_gemvt_warp_reduce_kernelILb0ELi256EiPK19rocblas_complex_numIdES1_KPS1_EviiT3_lPKT2_lT1_lS9_lSA_lS6_lPT4_lSA_li.num_vgpr, 22
	.set _ZL32rocblas_gemvt_warp_reduce_kernelILb0ELi256EiPK19rocblas_complex_numIdES1_KPS1_EviiT3_lPKT2_lT1_lS9_lSA_lS6_lPT4_lSA_li.num_agpr, 0
	.set _ZL32rocblas_gemvt_warp_reduce_kernelILb0ELi256EiPK19rocblas_complex_numIdES1_KPS1_EviiT3_lPKT2_lT1_lS9_lSA_lS6_lPT4_lSA_li.numbered_sgpr, 28
	.set _ZL32rocblas_gemvt_warp_reduce_kernelILb0ELi256EiPK19rocblas_complex_numIdES1_KPS1_EviiT3_lPKT2_lT1_lS9_lSA_lS6_lPT4_lSA_li.num_named_barrier, 0
	.set _ZL32rocblas_gemvt_warp_reduce_kernelILb0ELi256EiPK19rocblas_complex_numIdES1_KPS1_EviiT3_lPKT2_lT1_lS9_lSA_lS6_lPT4_lSA_li.private_seg_size, 0
	.set _ZL32rocblas_gemvt_warp_reduce_kernelILb0ELi256EiPK19rocblas_complex_numIdES1_KPS1_EviiT3_lPKT2_lT1_lS9_lSA_lS6_lPT4_lSA_li.uses_vcc, 1
	.set _ZL32rocblas_gemvt_warp_reduce_kernelILb0ELi256EiPK19rocblas_complex_numIdES1_KPS1_EviiT3_lPKT2_lT1_lS9_lSA_lS6_lPT4_lSA_li.uses_flat_scratch, 0
	.set _ZL32rocblas_gemvt_warp_reduce_kernelILb0ELi256EiPK19rocblas_complex_numIdES1_KPS1_EviiT3_lPKT2_lT1_lS9_lSA_lS6_lPT4_lSA_li.has_dyn_sized_stack, 0
	.set _ZL32rocblas_gemvt_warp_reduce_kernelILb0ELi256EiPK19rocblas_complex_numIdES1_KPS1_EviiT3_lPKT2_lT1_lS9_lSA_lS6_lPT4_lSA_li.has_recursion, 0
	.set _ZL32rocblas_gemvt_warp_reduce_kernelILb0ELi256EiPK19rocblas_complex_numIdES1_KPS1_EviiT3_lPKT2_lT1_lS9_lSA_lS6_lPT4_lSA_li.has_indirect_call, 0
	.section	.AMDGPU.csdata,"",@progbits
; Kernel info:
; codeLenInByte = 1952
; TotalNumSgprs: 30
; NumVgprs: 22
; ScratchSize: 0
; MemoryBound: 0
; FloatMode: 240
; IeeeMode: 1
; LDSByteSize: 512 bytes/workgroup (compile time only)
; SGPRBlocks: 0
; VGPRBlocks: 2
; NumSGPRsForWavesPerEU: 30
; NumVGPRsForWavesPerEU: 22
; Occupancy: 16
; WaveLimiterHint : 1
; COMPUTE_PGM_RSRC2:SCRATCH_EN: 0
; COMPUTE_PGM_RSRC2:USER_SGPR: 6
; COMPUTE_PGM_RSRC2:TRAP_HANDLER: 0
; COMPUTE_PGM_RSRC2:TGID_X_EN: 1
; COMPUTE_PGM_RSRC2:TGID_Y_EN: 0
; COMPUTE_PGM_RSRC2:TGID_Z_EN: 1
; COMPUTE_PGM_RSRC2:TIDIG_COMP_CNT: 0
	.section	.text._ZL32rocblas_gemvt_warp_reduce_kernelILb0ELi256ElPK19rocblas_complex_numIdES1_KPS1_EviiT3_lPKT2_lT1_lS9_lSA_lS6_lPT4_lSA_li,"axG",@progbits,_ZL32rocblas_gemvt_warp_reduce_kernelILb0ELi256ElPK19rocblas_complex_numIdES1_KPS1_EviiT3_lPKT2_lT1_lS9_lSA_lS6_lPT4_lSA_li,comdat
	.globl	_ZL32rocblas_gemvt_warp_reduce_kernelILb0ELi256ElPK19rocblas_complex_numIdES1_KPS1_EviiT3_lPKT2_lT1_lS9_lSA_lS6_lPT4_lSA_li ; -- Begin function _ZL32rocblas_gemvt_warp_reduce_kernelILb0ELi256ElPK19rocblas_complex_numIdES1_KPS1_EviiT3_lPKT2_lT1_lS9_lSA_lS6_lPT4_lSA_li
	.p2align	8
	.type	_ZL32rocblas_gemvt_warp_reduce_kernelILb0ELi256ElPK19rocblas_complex_numIdES1_KPS1_EviiT3_lPKT2_lT1_lS9_lSA_lS6_lPT4_lSA_li,@function
_ZL32rocblas_gemvt_warp_reduce_kernelILb0ELi256ElPK19rocblas_complex_numIdES1_KPS1_EviiT3_lPKT2_lT1_lS9_lSA_lS6_lPT4_lSA_li: ; @_ZL32rocblas_gemvt_warp_reduce_kernelILb0ELi256ElPK19rocblas_complex_numIdES1_KPS1_EviiT3_lPKT2_lT1_lS9_lSA_lS6_lPT4_lSA_li
; %bb.0:
	s_clause 0x1
	s_load_dwordx4 s[12:15], s[4:5], 0x8
	s_load_dwordx4 s[0:3], s[4:5], 0x20
	s_mov_b32 s16, s7
	s_clause 0x1
	s_load_dwordx2 s[22:23], s[4:5], 0x30
	s_load_dwordx4 s[8:11], s[4:5], 0x60
	s_mov_b64 s[20:21], 0
	s_mov_b32 s18, -1
	s_waitcnt lgkmcnt(0)
	v_cmp_neq_f64_e64 s7, s[12:13], 0
	v_cmp_neq_f64_e64 s17, s[14:15], 0
	s_or_b32 s7, s7, s17
	s_mov_b32 s17, 0
	s_and_b32 vcc_lo, exec_lo, s7
	s_mov_b64 s[24:25], s[16:17]
	s_mov_b32 s19, s17
	s_cbranch_vccnz .LBB361_3
; %bb.1:
	v_cmp_eq_f64_e64 s18, s[8:9], 1.0
	v_cmp_eq_f64_e64 s19, s[10:11], 0
                                        ; implicit-def: $sgpr24_sgpr25
	s_and_b32 s19, s18, s19
	s_mov_b32 s18, 0
	s_andn2_b32 vcc_lo, exec_lo, s19
	s_mov_b32 s19, 0
	s_cbranch_vccz .LBB361_3
; %bb.2:
	s_mov_b32 s25, 0
	s_mov_b32 s24, s16
	s_mov_b32 s19, -1
.LBB361_3:
	s_and_b32 vcc_lo, exec_lo, s18
	s_cbranch_vccz .LBB361_5
; %bb.4:
	s_lshl_b64 s[16:17], s[16:17], 3
	s_mov_b32 s19, -1
	s_add_u32 s0, s0, s16
	s_addc_u32 s1, s1, s17
	s_lshl_b64 s[2:3], s[2:3], 4
	s_load_dwordx2 s[0:1], s[0:1], 0x0
	s_waitcnt lgkmcnt(0)
	s_add_u32 s20, s0, s2
	s_addc_u32 s21, s1, s3
.LBB361_5:
	s_andn2_b32 vcc_lo, exec_lo, s19
	s_cbranch_vccnz .LBB361_36
; %bb.6:
	s_clause 0x1
	s_load_dwordx4 s[0:3], s[4:5], 0x40
	s_load_dwordx2 s[16:17], s[4:5], 0x50
	v_cndmask_b32_e64 v1, 0, 1, s7
	s_xor_b32 s26, s7, -1
	s_mov_b64 s[18:19], 0
	v_cmp_ne_u32_e32 vcc_lo, 1, v1
	s_cbranch_vccnz .LBB361_8
; %bb.7:
	s_lshl_b64 s[18:19], s[24:25], 3
	s_waitcnt lgkmcnt(0)
	s_add_u32 s0, s0, s18
	s_addc_u32 s1, s1, s19
	s_lshl_b64 s[2:3], s[2:3], 4
	s_load_dwordx2 s[0:1], s[0:1], 0x0
	s_waitcnt lgkmcnt(0)
	s_add_u32 s18, s0, s2
	s_addc_u32 s19, s1, s3
.LBB361_8:
	s_load_dwordx4 s[28:31], s[4:5], 0x78
	s_waitcnt lgkmcnt(0)
	s_load_dwordx2 s[2:3], s[4:5], 0x88
	s_lshl_b64 s[0:1], s[24:25], 3
	s_add_u32 s0, s28, s0
	s_addc_u32 s1, s29, s1
	s_lshl_b64 s[28:29], s[30:31], 4
	s_load_dwordx2 s[24:25], s[0:1], 0x0
	v_cmp_eq_u32_e64 s0, 0, v0
	s_waitcnt lgkmcnt(0)
	s_add_u32 s1, s24, s28
	s_addc_u32 s7, s25, s29
	s_andn2_b32 vcc_lo, exec_lo, s26
	s_cbranch_vccnz .LBB361_13
; %bb.9:
	s_mov_b32 s27, 0
	s_mov_b32 s26, 0
                                        ; implicit-def: $vgpr3_vgpr4
                                        ; implicit-def: $sgpr24_sgpr25
	s_and_saveexec_b32 s28, s0
	s_cbranch_execz .LBB361_14
; %bb.10:
	v_cmp_neq_f64_e64 s0, s[8:9], 0
	v_cmp_neq_f64_e64 s24, s[10:11], 0
	s_ashr_i32 s25, s6, 31
	v_mov_b32_e32 v3, 0
	s_mul_i32 s25, s2, s25
	v_mov_b32_e32 v1, 0
	v_mov_b32_e32 v4, 0
	;; [unrolled: 1-line block ×3, first 2 shown]
	s_or_b32 s0, s0, s24
	s_mul_hi_u32 s24, s2, s6
	s_andn2_b32 vcc_lo, exec_lo, s0
	s_add_i32 s24, s24, s25
	s_mul_i32 s25, s3, s6
	s_add_i32 s25, s24, s25
	s_mul_i32 s24, s2, s6
	s_cbranch_vccnz .LBB361_12
; %bb.11:
	s_lshl_b64 s[30:31], s[24:25], 4
	s_add_u32 s30, s1, s30
	s_addc_u32 s31, s7, s31
	v_mov_b32_e32 v1, s30
	v_mov_b32_e32 v2, s31
	flat_load_dwordx4 v[3:6], v[1:2]
	s_waitcnt vmcnt(0) lgkmcnt(0)
	v_mul_f64 v[1:2], s[10:11], v[5:6]
	v_mul_f64 v[5:6], s[8:9], v[5:6]
	v_fma_f64 v[1:2], s[8:9], v[3:4], -v[1:2]
	v_fma_f64 v[3:4], s[10:11], v[3:4], v[5:6]
.LBB361_12:
	s_mov_b32 s26, exec_lo
	s_or_b32 exec_lo, exec_lo, s28
	s_and_b32 vcc_lo, exec_lo, s27
	s_cbranch_vccnz .LBB361_15
	s_branch .LBB361_34
.LBB361_13:
	s_mov_b32 s26, 0
                                        ; implicit-def: $vgpr3_vgpr4
                                        ; implicit-def: $sgpr24_sgpr25
	s_cbranch_execnz .LBB361_15
	s_branch .LBB361_34
.LBB361_14:
	s_or_b32 exec_lo, exec_lo, s28
	s_and_b32 vcc_lo, exec_lo, s27
	s_cbranch_vccz .LBB361_34
.LBB361_15:
	s_load_dword s5, s[4:5], 0x0
	s_ashr_i32 s27, s6, 31
	s_mul_hi_u32 s0, s22, s6
	s_mul_i32 s24, s22, s6
	s_mul_i32 s22, s22, s27
	;; [unrolled: 1-line block ×3, first 2 shown]
	s_add_i32 s0, s0, s22
	v_mov_b32_e32 v1, 0
	s_add_i32 s25, s0, s4
	v_mov_b32_e32 v3, 0
	s_lshl_b64 s[22:23], s[24:25], 4
	v_mov_b32_e32 v2, 0
	v_mov_b32_e32 v4, 0
	s_waitcnt lgkmcnt(0)
	v_cmp_gt_i32_e32 vcc_lo, s5, v0
	s_ashr_i32 s0, s5, 31
	s_lshr_b32 s0, s0, 24
	s_add_i32 s0, s5, s0
	v_cndmask_b32_e32 v5, 0, v0, vcc_lo
	v_lshlrev_b32_e32 v5, 4, v5
	v_add_co_u32 v5, s4, s20, v5
	v_add_co_ci_u32_e64 v6, null, s21, 0, s4
	s_and_b32 s4, s0, 0xffffff00
	v_add_co_u32 v5, vcc_lo, v5, s22
	v_add_co_ci_u32_e64 v6, null, s23, v6, vcc_lo
	s_mov_b32 s23, 0
	s_mov_b32 s22, exec_lo
	v_cmpx_gt_i32_e64 s4, v0
	s_cbranch_execz .LBB361_19
; %bb.16:
	v_mad_u64_u32 v[1:2], null, s16, v0, 0
	v_mov_b32_e32 v8, v6
	v_mov_b32_e32 v7, v5
	v_mov_b32_e32 v11, v0
	s_lshl_b64 s[20:21], s[16:17], 12
	v_mad_u64_u32 v[2:3], null, s17, v0, v[2:3]
	v_mov_b32_e32 v3, 0
	v_mov_b32_e32 v4, 0
	v_lshlrev_b64 v[9:10], 4, v[1:2]
	v_mov_b32_e32 v1, 0
	v_mov_b32_e32 v2, 0
	v_add_co_u32 v9, vcc_lo, s18, v9
	v_add_co_ci_u32_e64 v10, null, s19, v10, vcc_lo
	.p2align	6
.LBB361_17:                             ; =>This Inner Loop Header: Depth=1
	flat_load_dwordx4 v[12:15], v[7:8]
	flat_load_dwordx4 v[16:19], v[9:10]
	v_add_nc_u32_e32 v11, 0x100, v11
	v_add_co_u32 v7, vcc_lo, 0x1000, v7
	v_add_co_ci_u32_e64 v8, null, 0, v8, vcc_lo
	v_cmp_le_i32_e32 vcc_lo, s4, v11
	v_add_co_u32 v9, s0, v9, s20
	v_add_co_ci_u32_e64 v10, null, s21, v10, s0
	s_or_b32 s23, vcc_lo, s23
	s_waitcnt vmcnt(0) lgkmcnt(0)
	v_mul_f64 v[20:21], v[14:15], v[18:19]
	v_mul_f64 v[18:19], v[12:13], v[18:19]
	v_fma_f64 v[12:13], v[12:13], v[16:17], -v[20:21]
	v_fma_f64 v[14:15], v[14:15], v[16:17], v[18:19]
	v_add_f64 v[3:4], v[3:4], v[12:13]
	v_add_f64 v[1:2], v[1:2], v[14:15]
	s_andn2_b32 exec_lo, exec_lo, s23
	s_cbranch_execnz .LBB361_17
; %bb.18:
	s_or_b32 exec_lo, exec_lo, s23
.LBB361_19:
	s_or_b32 exec_lo, exec_lo, s22
	v_add_nc_u32_e32 v7, s4, v0
	s_mov_b32 s0, exec_lo
	v_cmpx_gt_i32_e64 s5, v7
	s_cbranch_execz .LBB361_21
; %bb.20:
	v_ashrrev_i32_e32 v9, 31, v7
	v_mul_lo_u32 v10, s17, v7
	v_mad_u64_u32 v[7:8], null, s16, v7, 0
	s_ashr_i32 s5, s4, 31
	v_mul_lo_u32 v9, s16, v9
	s_lshl_b64 s[4:5], s[4:5], 4
	v_add_co_u32 v5, vcc_lo, v5, s4
	v_add_co_ci_u32_e64 v6, null, s5, v6, vcc_lo
	v_add3_u32 v8, v8, v9, v10
	v_lshlrev_b64 v[7:8], 4, v[7:8]
	v_add_co_u32 v9, vcc_lo, s18, v7
	v_add_co_ci_u32_e64 v10, null, s19, v8, vcc_lo
	flat_load_dwordx4 v[5:8], v[5:6]
	flat_load_dwordx4 v[9:12], v[9:10]
	s_waitcnt vmcnt(0) lgkmcnt(0)
	v_mul_f64 v[13:14], v[7:8], v[11:12]
	v_mul_f64 v[11:12], v[5:6], v[11:12]
	v_fma_f64 v[5:6], v[5:6], v[9:10], -v[13:14]
	v_fma_f64 v[7:8], v[7:8], v[9:10], v[11:12]
	v_add_f64 v[3:4], v[3:4], v[5:6]
	v_add_f64 v[1:2], v[1:2], v[7:8]
.LBB361_21:
	s_or_b32 exec_lo, exec_lo, s0
	v_and_b32_e32 v13, 31, v0
	v_cmp_gt_u32_e32 vcc_lo, 32, v0
	v_lshlrev_b32_e32 v9, 4, v13
	s_and_saveexec_b32 s0, vcc_lo
	s_cbranch_execz .LBB361_23
; %bb.22:
	v_mov_b32_e32 v5, 0
	v_mov_b32_e32 v6, v5
	;; [unrolled: 1-line block ×4, first 2 shown]
	ds_write_b128 v9, v[5:8]
.LBB361_23:
	s_or_b32 exec_lo, exec_lo, s0
	v_mbcnt_lo_u32_b32 v12, -1, 0
	s_mov_b32 s4, exec_lo
	s_waitcnt lgkmcnt(0)
	s_barrier
	buffer_gl0_inv
	v_lshl_or_b32 v8, v12, 2, 64
	v_cmp_gt_u32_e64 s0, 24, v12
	ds_bpermute_b32 v5, v8, v3
	ds_bpermute_b32 v6, v8, v4
	;; [unrolled: 1-line block ×4, first 2 shown]
	s_waitcnt lgkmcnt(2)
	v_add_f64 v[3:4], v[3:4], v[5:6]
	v_cndmask_b32_e64 v5, 0, 8, s0
	s_waitcnt lgkmcnt(0)
	v_add_f64 v[1:2], v[1:2], v[7:8]
	v_cmp_gt_u32_e64 s0, 28, v12
	v_add_lshl_u32 v8, v5, v12, 2
	ds_bpermute_b32 v5, v8, v3
	ds_bpermute_b32 v6, v8, v4
	;; [unrolled: 1-line block ×4, first 2 shown]
	s_waitcnt lgkmcnt(2)
	v_add_f64 v[3:4], v[3:4], v[5:6]
	v_cndmask_b32_e64 v5, 0, 4, s0
	s_waitcnt lgkmcnt(0)
	v_add_f64 v[1:2], v[1:2], v[7:8]
	v_cmp_gt_u32_e64 s0, 30, v12
	v_add_lshl_u32 v10, v5, v12, 2
	ds_bpermute_b32 v5, v10, v3
	ds_bpermute_b32 v6, v10, v4
	;; [unrolled: 1-line block ×4, first 2 shown]
	s_waitcnt lgkmcnt(2)
	v_add_f64 v[3:4], v[3:4], v[5:6]
	s_waitcnt lgkmcnt(0)
	v_add_f64 v[5:6], v[1:2], v[7:8]
	v_cndmask_b32_e64 v1, 0, 2, s0
	v_cmp_ne_u32_e64 s0, 31, v12
	v_add_lshl_u32 v11, v1, v12, 2
	ds_bpermute_b32 v1, v11, v3
	ds_bpermute_b32 v2, v11, v4
	;; [unrolled: 1-line block ×4, first 2 shown]
	s_waitcnt lgkmcnt(2)
	v_add_f64 v[1:2], v[3:4], v[1:2]
	s_waitcnt lgkmcnt(0)
	v_add_f64 v[3:4], v[5:6], v[7:8]
	v_add_co_ci_u32_e64 v5, null, 0, v12, s0
	v_lshlrev_b32_e32 v12, 2, v5
	ds_bpermute_b32 v5, v12, v1
	ds_bpermute_b32 v6, v12, v2
	;; [unrolled: 1-line block ×4, first 2 shown]
	v_cmpx_eq_u32_e32 0, v13
	s_cbranch_execz .LBB361_25
; %bb.24:
	s_waitcnt lgkmcnt(0)
	v_add_f64 v[3:4], v[3:4], v[7:8]
	v_add_f64 v[1:2], v[1:2], v[5:6]
	v_lshrrev_b32_e32 v5, 1, v0
	v_and_b32_e32 v5, 0x70, v5
	ds_write_b128 v5, v[1:4]
.LBB361_25:
	s_or_b32 exec_lo, exec_lo, s4
	s_waitcnt lgkmcnt(0)
	v_mov_b32_e32 v7, 0
	v_mov_b32_e32 v5, 0
	;; [unrolled: 1-line block ×4, first 2 shown]
	s_mov_b32 s4, exec_lo
	s_barrier
	buffer_gl0_inv
	v_cmpx_gt_u32_e32 8, v0
; %bb.26:
	ds_read_b128 v[5:8], v9
; %bb.27:
	s_or_b32 exec_lo, exec_lo, s4
	s_and_saveexec_b32 s0, vcc_lo
	s_cbranch_execz .LBB361_29
; %bb.28:
	s_waitcnt lgkmcnt(0)
	ds_bpermute_b32 v1, v10, v5
	ds_bpermute_b32 v2, v10, v6
	ds_bpermute_b32 v3, v10, v7
	ds_bpermute_b32 v4, v10, v8
	s_waitcnt lgkmcnt(2)
	v_add_f64 v[1:2], v[5:6], v[1:2]
	s_waitcnt lgkmcnt(0)
	v_add_f64 v[3:4], v[7:8], v[3:4]
	ds_bpermute_b32 v5, v11, v1
	ds_bpermute_b32 v6, v11, v2
	ds_bpermute_b32 v7, v11, v3
	ds_bpermute_b32 v8, v11, v4
	s_waitcnt lgkmcnt(2)
	v_add_f64 v[1:2], v[1:2], v[5:6]
	s_waitcnt lgkmcnt(0)
	v_add_f64 v[3:4], v[3:4], v[7:8]
	;; [unrolled: 8-line block ×3, first 2 shown]
.LBB361_29:
	s_or_b32 exec_lo, exec_lo, s0
	s_mov_b32 s0, exec_lo
                                        ; implicit-def: $vgpr3_vgpr4
                                        ; implicit-def: $sgpr24_sgpr25
	v_cmpx_eq_u32_e32 0, v0
	s_cbranch_execz .LBB361_33
; %bb.30:
	s_waitcnt lgkmcnt(0)
	v_mul_f64 v[0:1], s[14:15], v[7:8]
	v_mul_f64 v[3:4], s[12:13], v[7:8]
	v_cmp_neq_f64_e64 s4, s[8:9], 0
	v_cmp_neq_f64_e64 s5, s[10:11], 0
	s_mul_i32 s3, s3, s6
	s_mul_i32 s24, s2, s6
	v_fma_f64 v[1:2], s[12:13], v[5:6], -v[0:1]
	v_fma_f64 v[3:4], s[14:15], v[5:6], v[3:4]
	s_mul_hi_u32 s12, s2, s6
	s_or_b32 s4, s4, s5
	s_mul_i32 s5, s2, s27
	s_andn2_b32 vcc_lo, exec_lo, s4
	s_add_i32 s5, s12, s5
	s_add_i32 s25, s5, s3
	s_cbranch_vccnz .LBB361_32
; %bb.31:
	s_lshl_b64 s[2:3], s[24:25], 4
	s_add_u32 s2, s1, s2
	s_addc_u32 s3, s7, s3
	v_mov_b32_e32 v6, s3
	v_mov_b32_e32 v5, s2
	flat_load_dwordx4 v[5:8], v[5:6]
	s_waitcnt vmcnt(0) lgkmcnt(0)
	v_mul_f64 v[9:10], s[10:11], v[7:8]
	v_mul_f64 v[7:8], s[8:9], v[7:8]
	v_fma_f64 v[9:10], s[8:9], v[5:6], -v[9:10]
	v_fma_f64 v[5:6], s[10:11], v[5:6], v[7:8]
	v_add_f64 v[1:2], v[1:2], v[9:10]
	v_add_f64 v[3:4], v[3:4], v[5:6]
.LBB361_32:
	s_or_b32 s26, s26, exec_lo
.LBB361_33:
	s_or_b32 exec_lo, exec_lo, s0
.LBB361_34:
	s_and_saveexec_b32 s0, s26
	s_cbranch_execz .LBB361_36
; %bb.35:
	s_lshl_b64 s[2:3], s[24:25], 4
	s_add_u32 s0, s1, s2
	s_addc_u32 s1, s7, s3
	s_waitcnt lgkmcnt(0)
	v_mov_b32_e32 v6, s1
	v_mov_b32_e32 v5, s0
	flat_store_dwordx4 v[5:6], v[1:4]
.LBB361_36:
	s_endpgm
	.section	.rodata,"a",@progbits
	.p2align	6, 0x0
	.amdhsa_kernel _ZL32rocblas_gemvt_warp_reduce_kernelILb0ELi256ElPK19rocblas_complex_numIdES1_KPS1_EviiT3_lPKT2_lT1_lS9_lSA_lS6_lPT4_lSA_li
		.amdhsa_group_segment_fixed_size 512
		.amdhsa_private_segment_fixed_size 0
		.amdhsa_kernarg_size 156
		.amdhsa_user_sgpr_count 6
		.amdhsa_user_sgpr_private_segment_buffer 1
		.amdhsa_user_sgpr_dispatch_ptr 0
		.amdhsa_user_sgpr_queue_ptr 0
		.amdhsa_user_sgpr_kernarg_segment_ptr 1
		.amdhsa_user_sgpr_dispatch_id 0
		.amdhsa_user_sgpr_flat_scratch_init 0
		.amdhsa_user_sgpr_private_segment_size 0
		.amdhsa_wavefront_size32 1
		.amdhsa_uses_dynamic_stack 0
		.amdhsa_system_sgpr_private_segment_wavefront_offset 0
		.amdhsa_system_sgpr_workgroup_id_x 1
		.amdhsa_system_sgpr_workgroup_id_y 0
		.amdhsa_system_sgpr_workgroup_id_z 1
		.amdhsa_system_sgpr_workgroup_info 0
		.amdhsa_system_vgpr_workitem_id 0
		.amdhsa_next_free_vgpr 22
		.amdhsa_next_free_sgpr 32
		.amdhsa_reserve_vcc 1
		.amdhsa_reserve_flat_scratch 0
		.amdhsa_float_round_mode_32 0
		.amdhsa_float_round_mode_16_64 0
		.amdhsa_float_denorm_mode_32 3
		.amdhsa_float_denorm_mode_16_64 3
		.amdhsa_dx10_clamp 1
		.amdhsa_ieee_mode 1
		.amdhsa_fp16_overflow 0
		.amdhsa_workgroup_processor_mode 1
		.amdhsa_memory_ordered 1
		.amdhsa_forward_progress 1
		.amdhsa_shared_vgpr_count 0
		.amdhsa_exception_fp_ieee_invalid_op 0
		.amdhsa_exception_fp_denorm_src 0
		.amdhsa_exception_fp_ieee_div_zero 0
		.amdhsa_exception_fp_ieee_overflow 0
		.amdhsa_exception_fp_ieee_underflow 0
		.amdhsa_exception_fp_ieee_inexact 0
		.amdhsa_exception_int_div_zero 0
	.end_amdhsa_kernel
	.section	.text._ZL32rocblas_gemvt_warp_reduce_kernelILb0ELi256ElPK19rocblas_complex_numIdES1_KPS1_EviiT3_lPKT2_lT1_lS9_lSA_lS6_lPT4_lSA_li,"axG",@progbits,_ZL32rocblas_gemvt_warp_reduce_kernelILb0ELi256ElPK19rocblas_complex_numIdES1_KPS1_EviiT3_lPKT2_lT1_lS9_lSA_lS6_lPT4_lSA_li,comdat
.Lfunc_end361:
	.size	_ZL32rocblas_gemvt_warp_reduce_kernelILb0ELi256ElPK19rocblas_complex_numIdES1_KPS1_EviiT3_lPKT2_lT1_lS9_lSA_lS6_lPT4_lSA_li, .Lfunc_end361-_ZL32rocblas_gemvt_warp_reduce_kernelILb0ELi256ElPK19rocblas_complex_numIdES1_KPS1_EviiT3_lPKT2_lT1_lS9_lSA_lS6_lPT4_lSA_li
                                        ; -- End function
	.set _ZL32rocblas_gemvt_warp_reduce_kernelILb0ELi256ElPK19rocblas_complex_numIdES1_KPS1_EviiT3_lPKT2_lT1_lS9_lSA_lS6_lPT4_lSA_li.num_vgpr, 22
	.set _ZL32rocblas_gemvt_warp_reduce_kernelILb0ELi256ElPK19rocblas_complex_numIdES1_KPS1_EviiT3_lPKT2_lT1_lS9_lSA_lS6_lPT4_lSA_li.num_agpr, 0
	.set _ZL32rocblas_gemvt_warp_reduce_kernelILb0ELi256ElPK19rocblas_complex_numIdES1_KPS1_EviiT3_lPKT2_lT1_lS9_lSA_lS6_lPT4_lSA_li.numbered_sgpr, 32
	.set _ZL32rocblas_gemvt_warp_reduce_kernelILb0ELi256ElPK19rocblas_complex_numIdES1_KPS1_EviiT3_lPKT2_lT1_lS9_lSA_lS6_lPT4_lSA_li.num_named_barrier, 0
	.set _ZL32rocblas_gemvt_warp_reduce_kernelILb0ELi256ElPK19rocblas_complex_numIdES1_KPS1_EviiT3_lPKT2_lT1_lS9_lSA_lS6_lPT4_lSA_li.private_seg_size, 0
	.set _ZL32rocblas_gemvt_warp_reduce_kernelILb0ELi256ElPK19rocblas_complex_numIdES1_KPS1_EviiT3_lPKT2_lT1_lS9_lSA_lS6_lPT4_lSA_li.uses_vcc, 1
	.set _ZL32rocblas_gemvt_warp_reduce_kernelILb0ELi256ElPK19rocblas_complex_numIdES1_KPS1_EviiT3_lPKT2_lT1_lS9_lSA_lS6_lPT4_lSA_li.uses_flat_scratch, 0
	.set _ZL32rocblas_gemvt_warp_reduce_kernelILb0ELi256ElPK19rocblas_complex_numIdES1_KPS1_EviiT3_lPKT2_lT1_lS9_lSA_lS6_lPT4_lSA_li.has_dyn_sized_stack, 0
	.set _ZL32rocblas_gemvt_warp_reduce_kernelILb0ELi256ElPK19rocblas_complex_numIdES1_KPS1_EviiT3_lPKT2_lT1_lS9_lSA_lS6_lPT4_lSA_li.has_recursion, 0
	.set _ZL32rocblas_gemvt_warp_reduce_kernelILb0ELi256ElPK19rocblas_complex_numIdES1_KPS1_EviiT3_lPKT2_lT1_lS9_lSA_lS6_lPT4_lSA_li.has_indirect_call, 0
	.section	.AMDGPU.csdata,"",@progbits
; Kernel info:
; codeLenInByte = 2032
; TotalNumSgprs: 34
; NumVgprs: 22
; ScratchSize: 0
; MemoryBound: 0
; FloatMode: 240
; IeeeMode: 1
; LDSByteSize: 512 bytes/workgroup (compile time only)
; SGPRBlocks: 0
; VGPRBlocks: 2
; NumSGPRsForWavesPerEU: 34
; NumVGPRsForWavesPerEU: 22
; Occupancy: 16
; WaveLimiterHint : 1
; COMPUTE_PGM_RSRC2:SCRATCH_EN: 0
; COMPUTE_PGM_RSRC2:USER_SGPR: 6
; COMPUTE_PGM_RSRC2:TRAP_HANDLER: 0
; COMPUTE_PGM_RSRC2:TGID_X_EN: 1
; COMPUTE_PGM_RSRC2:TGID_Y_EN: 0
; COMPUTE_PGM_RSRC2:TGID_Z_EN: 1
; COMPUTE_PGM_RSRC2:TIDIG_COMP_CNT: 0
	.section	.text._ZL20rocblas_gemvt_kernelILb0ELi256EPK19rocblas_complex_numIdES3_KPS1_EviiT2_lPKT1_lilS9_lilS6_lPT3_lili,"axG",@progbits,_ZL20rocblas_gemvt_kernelILb0ELi256EPK19rocblas_complex_numIdES3_KPS1_EviiT2_lPKT1_lilS9_lilS6_lPT3_lili,comdat
	.globl	_ZL20rocblas_gemvt_kernelILb0ELi256EPK19rocblas_complex_numIdES3_KPS1_EviiT2_lPKT1_lilS9_lilS6_lPT3_lili ; -- Begin function _ZL20rocblas_gemvt_kernelILb0ELi256EPK19rocblas_complex_numIdES3_KPS1_EviiT2_lPKT1_lilS9_lilS6_lPT3_lili
	.p2align	8
	.type	_ZL20rocblas_gemvt_kernelILb0ELi256EPK19rocblas_complex_numIdES3_KPS1_EviiT2_lPKT1_lilS9_lilS6_lPT3_lili,@function
_ZL20rocblas_gemvt_kernelILb0ELi256EPK19rocblas_complex_numIdES3_KPS1_EviiT2_lPKT1_lilS9_lilS6_lPT3_lili: ; @_ZL20rocblas_gemvt_kernelILb0ELi256EPK19rocblas_complex_numIdES3_KPS1_EviiT2_lPKT1_lilS9_lilS6_lPT3_lili
; %bb.0:
	s_clause 0x1
	s_load_dwordx8 s[16:23], s[4:5], 0x8
	s_load_dwordx8 s[8:15], s[4:5], 0x58
	s_mov_b32 s0, s7
	s_mov_b64 s[24:25], 0
	s_waitcnt lgkmcnt(0)
	s_mul_i32 s1, s19, s7
	s_mul_hi_u32 s3, s18, s7
	s_mul_i32 s2, s18, s7
	s_add_i32 s3, s3, s1
	s_mul_i32 s1, s11, s7
	s_lshl_b64 s[2:3], s[2:3], 4
	s_add_u32 s2, s16, s2
	s_addc_u32 s3, s17, s3
	s_load_dwordx4 s[16:19], s[2:3], 0x0
	s_mul_hi_u32 s2, s10, s7
	s_add_i32 s3, s2, s1
	s_mul_i32 s2, s10, s0
	s_mov_b32 s1, 0
	s_lshl_b64 s[2:3], s[2:3], 4
	s_add_u32 s2, s8, s2
	s_addc_u32 s3, s9, s3
	s_load_dwordx4 s[8:11], s[2:3], 0x0
	s_mov_b32 s3, s1
	s_waitcnt lgkmcnt(0)
	v_cmp_neq_f64_e64 s7, s[16:17], 0
	v_cmp_neq_f64_e64 s26, s[18:19], 0
	s_or_b32 s2, s7, s26
	s_mov_b32 s7, -1
	s_and_b32 vcc_lo, exec_lo, s2
	s_cbranch_vccz .LBB362_4
; %bb.1:
	s_andn2_b32 vcc_lo, exec_lo, s7
	s_cbranch_vccz .LBB362_5
.LBB362_2:
	s_andn2_b32 vcc_lo, exec_lo, s3
	s_cbranch_vccz .LBB362_6
.LBB362_3:
	s_endpgm
.LBB362_4:
	v_cmp_neq_f64_e64 s3, s[8:9], 1.0
	v_cmp_neq_f64_e64 s7, s[10:11], 0
	s_or_b32 s3, s3, s7
	s_cbranch_execnz .LBB362_2
.LBB362_5:
	s_lshl_b64 s[24:25], s[0:1], 3
	s_add_u32 s20, s20, s24
	s_addc_u32 s21, s21, s25
	s_lshl_b64 s[22:23], s[22:23], 4
	s_load_dwordx2 s[20:21], s[20:21], 0x0
	s_waitcnt lgkmcnt(0)
	s_add_u32 s24, s20, s22
	s_addc_u32 s25, s21, s23
.LBB362_6:
	v_cndmask_b32_e64 v1, 0, 1, s2
	s_xor_b32 s21, s2, -1
	s_mov_b64 s[2:3], 0
	v_cmp_ne_u32_e32 vcc_lo, 1, v1
	s_cbranch_vccnz .LBB362_8
; %bb.7:
	s_load_dwordx4 s[28:31], s[4:5], 0x38
	s_lshl_b64 s[2:3], s[0:1], 3
	s_waitcnt lgkmcnt(0)
	s_add_u32 s2, s28, s2
	s_addc_u32 s3, s29, s3
	s_lshl_b64 s[22:23], s[30:31], 4
	s_load_dwordx2 s[2:3], s[2:3], 0x0
	s_waitcnt lgkmcnt(0)
	s_add_u32 s2, s2, s22
	s_addc_u32 s3, s3, s23
.LBB362_8:
	s_lshl_b64 s[0:1], s[0:1], 3
	s_add_u32 s0, s12, s0
	s_addc_u32 s1, s13, s1
	s_lshl_b64 s[14:15], s[14:15], 4
	s_load_dwordx2 s[12:13], s[0:1], 0x0
	s_load_dword s20, s[4:5], 0x78
	v_cmp_eq_u32_e64 s0, 0, v0
	s_waitcnt lgkmcnt(0)
	s_add_u32 s7, s12, s14
	s_addc_u32 s14, s13, s15
	s_andn2_b32 vcc_lo, exec_lo, s21
	s_cbranch_vccnz .LBB362_13
; %bb.9:
	s_mov_b32 s1, 0
	s_mov_b32 s15, 0
                                        ; implicit-def: $vgpr3_vgpr4
                                        ; implicit-def: $sgpr12_sgpr13
	s_and_saveexec_b32 s21, s0
	s_cbranch_execz .LBB362_14
; %bb.10:
	v_cmp_neq_f64_e64 s0, s[8:9], 0
	v_cmp_neq_f64_e64 s12, s[10:11], 0
	v_mov_b32_e32 v3, 0
	v_mov_b32_e32 v1, 0
	;; [unrolled: 1-line block ×4, first 2 shown]
	s_mul_hi_i32 s13, s20, s6
	s_or_b32 s0, s0, s12
	s_mul_i32 s12, s20, s6
	s_andn2_b32 vcc_lo, exec_lo, s0
	s_cbranch_vccnz .LBB362_12
; %bb.11:
	s_lshl_b64 s[22:23], s[12:13], 4
	s_add_u32 s22, s7, s22
	s_addc_u32 s23, s14, s23
	v_mov_b32_e32 v1, s22
	v_mov_b32_e32 v2, s23
	flat_load_dwordx4 v[3:6], v[1:2]
	s_waitcnt vmcnt(0) lgkmcnt(0)
	v_mul_f64 v[1:2], s[10:11], v[5:6]
	v_mul_f64 v[5:6], s[8:9], v[5:6]
	v_fma_f64 v[1:2], s[8:9], v[3:4], -v[1:2]
	v_fma_f64 v[3:4], s[10:11], v[3:4], v[5:6]
.LBB362_12:
	s_mov_b32 s15, exec_lo
	s_or_b32 exec_lo, exec_lo, s21
	s_and_b32 vcc_lo, exec_lo, s1
	s_cbranch_vccnz .LBB362_15
	s_branch .LBB362_41
.LBB362_13:
	s_mov_b32 s15, 0
                                        ; implicit-def: $vgpr3_vgpr4
                                        ; implicit-def: $sgpr12_sgpr13
	s_cbranch_execnz .LBB362_15
	s_branch .LBB362_41
.LBB362_14:
	s_or_b32 exec_lo, exec_lo, s21
	s_and_b32 vcc_lo, exec_lo, s1
	s_cbranch_vccz .LBB362_41
.LBB362_15:
	s_clause 0x2
	s_load_dword s21, s[4:5], 0x0
	s_load_dword s1, s[4:5], 0x28
	;; [unrolled: 1-line block ×3, first 2 shown]
	v_mov_b32_e32 v3, 0
	v_mov_b32_e32 v4, 0
	s_waitcnt lgkmcnt(0)
	v_cmp_gt_i32_e32 vcc_lo, s21, v0
	s_mul_hi_i32 s5, s1, s6
	s_mul_i32 s4, s1, s6
	s_ashr_i32 s1, s21, 31
	s_lshl_b64 s[4:5], s[4:5], 4
	v_cndmask_b32_e32 v1, 0, v0, vcc_lo
	s_lshr_b32 s1, s1, 24
	s_add_i32 s1, s21, s1
	v_lshlrev_b32_e32 v1, 4, v1
	v_add_co_u32 v1, s12, s24, v1
	v_add_co_ci_u32_e64 v2, null, s25, 0, s12
	v_add_co_u32 v5, vcc_lo, v1, s4
	v_add_co_ci_u32_e64 v6, null, s5, v2, vcc_lo
	v_mov_b32_e32 v1, v3
	v_mov_b32_e32 v2, v4
	s_and_b32 s4, s1, 0xffffff00
	s_cmpk_lt_i32 s21, 0x100
	s_mov_b32 s5, 0
	s_cbranch_scc1 .LBB362_18
; %bb.16:
	v_mad_i64_i32 v[1:2], null, s0, v0, 0
	v_mov_b32_e32 v3, 0
	v_mov_b32_e32 v4, 0
	;; [unrolled: 1-line block ×4, first 2 shown]
	s_ashr_i32 s1, s0, 31
	s_lshl_b64 s[12:13], s[0:1], 12
	v_lshlrev_b64 v[1:2], 4, v[1:2]
	v_add_co_u32 v9, vcc_lo, s2, v1
	v_add_co_ci_u32_e64 v10, null, s3, v2, vcc_lo
	v_mov_b32_e32 v1, v3
	v_mov_b32_e32 v2, v4
	.p2align	6
.LBB362_17:                             ; =>This Inner Loop Header: Depth=1
	flat_load_dwordx4 v[11:14], v[7:8]
	flat_load_dwordx4 v[15:18], v[9:10]
	v_add_co_u32 v9, vcc_lo, v9, s12
	v_add_co_ci_u32_e64 v10, null, s13, v10, vcc_lo
	v_add_co_u32 v7, vcc_lo, 0x1000, v7
	v_add_co_ci_u32_e64 v8, null, 0, v8, vcc_lo
	s_addk_i32 s5, 0x100
	s_cmp_ge_i32 s5, s4
	s_waitcnt vmcnt(0) lgkmcnt(0)
	v_mul_f64 v[19:20], v[13:14], v[17:18]
	v_mul_f64 v[17:18], v[11:12], v[17:18]
	v_fma_f64 v[11:12], v[11:12], v[15:16], -v[19:20]
	v_fma_f64 v[13:14], v[13:14], v[15:16], v[17:18]
	v_add_f64 v[1:2], v[1:2], v[11:12]
	v_add_f64 v[3:4], v[3:4], v[13:14]
	s_cbranch_scc0 .LBB362_17
.LBB362_18:
	v_add_nc_u32_e32 v7, s4, v0
	s_mov_b32 s1, exec_lo
	v_cmpx_gt_i32_e64 s21, v7
	s_cbranch_execz .LBB362_20
; %bb.19:
	v_mad_i64_i32 v[7:8], null, s0, v7, 0
	s_ashr_i32 s5, s4, 31
	s_lshl_b64 s[4:5], s[4:5], 4
	v_add_co_u32 v5, vcc_lo, v5, s4
	v_lshlrev_b64 v[7:8], 4, v[7:8]
	v_add_co_ci_u32_e64 v6, null, s5, v6, vcc_lo
	v_add_co_u32 v9, vcc_lo, s2, v7
	v_add_co_ci_u32_e64 v10, null, s3, v8, vcc_lo
	flat_load_dwordx4 v[5:8], v[5:6]
	flat_load_dwordx4 v[9:12], v[9:10]
	s_waitcnt vmcnt(0) lgkmcnt(0)
	v_mul_f64 v[13:14], v[7:8], v[11:12]
	v_mul_f64 v[11:12], v[5:6], v[11:12]
	v_fma_f64 v[5:6], v[5:6], v[9:10], -v[13:14]
	v_fma_f64 v[7:8], v[7:8], v[9:10], v[11:12]
	v_add_f64 v[1:2], v[1:2], v[5:6]
	v_add_f64 v[3:4], v[3:4], v[7:8]
.LBB362_20:
	s_or_b32 exec_lo, exec_lo, s1
	v_lshlrev_b32_e32 v5, 4, v0
	s_mov_b32 s0, exec_lo
	ds_write_b128 v5, v[1:4]
	s_waitcnt lgkmcnt(0)
	s_barrier
	buffer_gl0_inv
	v_cmpx_gt_u32_e32 0x80, v0
	s_cbranch_execz .LBB362_22
; %bb.21:
	ds_read_b128 v[1:4], v5 offset:2048
	ds_read_b128 v[6:9], v5
	s_waitcnt lgkmcnt(0)
	v_add_f64 v[1:2], v[1:2], v[6:7]
	v_add_f64 v[3:4], v[3:4], v[8:9]
	ds_write_b128 v5, v[1:4]
.LBB362_22:
	s_or_b32 exec_lo, exec_lo, s0
	s_mov_b32 s0, exec_lo
	s_waitcnt lgkmcnt(0)
	s_barrier
	buffer_gl0_inv
	v_cmpx_gt_u32_e32 64, v0
	s_cbranch_execz .LBB362_24
; %bb.23:
	ds_read_b128 v[1:4], v5 offset:1024
	ds_read_b128 v[6:9], v5
	s_waitcnt lgkmcnt(0)
	v_add_f64 v[1:2], v[1:2], v[6:7]
	v_add_f64 v[3:4], v[3:4], v[8:9]
	ds_write_b128 v5, v[1:4]
.LBB362_24:
	s_or_b32 exec_lo, exec_lo, s0
	s_mov_b32 s0, exec_lo
	s_waitcnt lgkmcnt(0)
	s_barrier
	buffer_gl0_inv
	v_cmpx_gt_u32_e32 32, v0
	s_cbranch_execz .LBB362_26
; %bb.25:
	ds_read_b128 v[1:4], v5 offset:512
	ds_read_b128 v[6:9], v5
	s_waitcnt lgkmcnt(0)
	v_add_f64 v[1:2], v[1:2], v[6:7]
	v_add_f64 v[3:4], v[3:4], v[8:9]
	ds_write_b128 v5, v[1:4]
.LBB362_26:
	s_or_b32 exec_lo, exec_lo, s0
	s_mov_b32 s0, exec_lo
	s_waitcnt lgkmcnt(0)
	s_barrier
	buffer_gl0_inv
	v_cmpx_gt_u32_e32 16, v0
	s_cbranch_execz .LBB362_28
; %bb.27:
	ds_read_b128 v[1:4], v5 offset:256
	ds_read_b128 v[6:9], v5
	s_waitcnt lgkmcnt(0)
	v_add_f64 v[1:2], v[1:2], v[6:7]
	v_add_f64 v[3:4], v[3:4], v[8:9]
	ds_write_b128 v5, v[1:4]
.LBB362_28:
	s_or_b32 exec_lo, exec_lo, s0
	s_mov_b32 s0, exec_lo
	s_waitcnt lgkmcnt(0)
	s_barrier
	buffer_gl0_inv
	v_cmpx_gt_u32_e32 8, v0
	s_cbranch_execz .LBB362_30
; %bb.29:
	ds_read_b128 v[1:4], v5 offset:128
	ds_read_b128 v[6:9], v5
	s_waitcnt lgkmcnt(0)
	v_add_f64 v[1:2], v[1:2], v[6:7]
	v_add_f64 v[3:4], v[3:4], v[8:9]
	ds_write_b128 v5, v[1:4]
.LBB362_30:
	s_or_b32 exec_lo, exec_lo, s0
	s_mov_b32 s0, exec_lo
	s_waitcnt lgkmcnt(0)
	s_barrier
	buffer_gl0_inv
	v_cmpx_gt_u32_e32 4, v0
	s_cbranch_execz .LBB362_32
; %bb.31:
	ds_read_b128 v[1:4], v5 offset:64
	ds_read_b128 v[6:9], v5
	s_waitcnt lgkmcnt(0)
	v_add_f64 v[1:2], v[1:2], v[6:7]
	v_add_f64 v[3:4], v[3:4], v[8:9]
	ds_write_b128 v5, v[1:4]
.LBB362_32:
	s_or_b32 exec_lo, exec_lo, s0
	s_mov_b32 s0, exec_lo
	s_waitcnt lgkmcnt(0)
	s_barrier
	buffer_gl0_inv
	v_cmpx_gt_u32_e32 2, v0
	s_cbranch_execz .LBB362_34
; %bb.33:
	ds_read_b128 v[1:4], v5
	ds_read_b128 v[6:9], v5 offset:32
	s_waitcnt lgkmcnt(0)
	v_add_f64 v[1:2], v[6:7], v[1:2]
	v_add_f64 v[3:4], v[8:9], v[3:4]
	ds_write_b128 v5, v[1:4]
.LBB362_34:
	s_or_b32 exec_lo, exec_lo, s0
	v_cmp_eq_u32_e32 vcc_lo, 0, v0
	s_waitcnt lgkmcnt(0)
	s_barrier
	buffer_gl0_inv
	s_and_saveexec_b32 s0, vcc_lo
	s_cbranch_execz .LBB362_36
; %bb.35:
	v_mov_b32_e32 v8, 0
	ds_read_b128 v[0:3], v8
	ds_read_b128 v[4:7], v8 offset:16
	s_waitcnt lgkmcnt(0)
	v_add_f64 v[0:1], v[4:5], v[0:1]
	v_add_f64 v[2:3], v[6:7], v[2:3]
	ds_write_b128 v8, v[0:3]
.LBB362_36:
	s_or_b32 exec_lo, exec_lo, s0
	s_waitcnt lgkmcnt(0)
	s_barrier
	buffer_gl0_inv
                                        ; implicit-def: $vgpr3_vgpr4
                                        ; implicit-def: $sgpr12_sgpr13
	s_and_saveexec_b32 s0, vcc_lo
	s_cbranch_execz .LBB362_40
; %bb.37:
	v_mov_b32_e32 v0, 0
	v_cmp_neq_f64_e64 s1, s[8:9], 0
	v_cmp_neq_f64_e64 s2, s[10:11], 0
	s_mul_hi_i32 s13, s20, s6
	s_mul_i32 s12, s20, s6
	ds_read_b128 v[3:6], v0
	s_or_b32 s1, s1, s2
	s_waitcnt lgkmcnt(0)
	v_mul_f64 v[0:1], s[18:19], v[5:6]
	v_mul_f64 v[5:6], s[16:17], v[5:6]
	s_andn2_b32 vcc_lo, exec_lo, s1
	v_fma_f64 v[1:2], s[16:17], v[3:4], -v[0:1]
	v_fma_f64 v[3:4], s[18:19], v[3:4], v[5:6]
	s_cbranch_vccnz .LBB362_39
; %bb.38:
	s_lshl_b64 s[2:3], s[12:13], 4
	s_add_u32 s2, s7, s2
	s_addc_u32 s3, s14, s3
	v_mov_b32_e32 v6, s3
	v_mov_b32_e32 v5, s2
	flat_load_dwordx4 v[5:8], v[5:6]
	s_waitcnt vmcnt(0) lgkmcnt(0)
	v_mul_f64 v[9:10], s[10:11], v[7:8]
	v_mul_f64 v[7:8], s[8:9], v[7:8]
	v_fma_f64 v[9:10], s[8:9], v[5:6], -v[9:10]
	v_fma_f64 v[5:6], s[10:11], v[5:6], v[7:8]
	v_add_f64 v[1:2], v[1:2], v[9:10]
	v_add_f64 v[3:4], v[3:4], v[5:6]
.LBB362_39:
	s_or_b32 s15, s15, exec_lo
.LBB362_40:
	s_or_b32 exec_lo, exec_lo, s0
.LBB362_41:
	s_and_saveexec_b32 s0, s15
	s_cbranch_execz .LBB362_3
; %bb.42:
	s_lshl_b64 s[0:1], s[12:13], 4
	s_add_u32 s0, s7, s0
	s_addc_u32 s1, s14, s1
	v_mov_b32_e32 v6, s1
	v_mov_b32_e32 v5, s0
	flat_store_dwordx4 v[5:6], v[1:4]
	s_endpgm
	.section	.rodata,"a",@progbits
	.p2align	6, 0x0
	.amdhsa_kernel _ZL20rocblas_gemvt_kernelILb0ELi256EPK19rocblas_complex_numIdES3_KPS1_EviiT2_lPKT1_lilS9_lilS6_lPT3_lili
		.amdhsa_group_segment_fixed_size 4096
		.amdhsa_private_segment_fixed_size 0
		.amdhsa_kernarg_size 140
		.amdhsa_user_sgpr_count 6
		.amdhsa_user_sgpr_private_segment_buffer 1
		.amdhsa_user_sgpr_dispatch_ptr 0
		.amdhsa_user_sgpr_queue_ptr 0
		.amdhsa_user_sgpr_kernarg_segment_ptr 1
		.amdhsa_user_sgpr_dispatch_id 0
		.amdhsa_user_sgpr_flat_scratch_init 0
		.amdhsa_user_sgpr_private_segment_size 0
		.amdhsa_wavefront_size32 1
		.amdhsa_uses_dynamic_stack 0
		.amdhsa_system_sgpr_private_segment_wavefront_offset 0
		.amdhsa_system_sgpr_workgroup_id_x 1
		.amdhsa_system_sgpr_workgroup_id_y 0
		.amdhsa_system_sgpr_workgroup_id_z 1
		.amdhsa_system_sgpr_workgroup_info 0
		.amdhsa_system_vgpr_workitem_id 0
		.amdhsa_next_free_vgpr 21
		.amdhsa_next_free_sgpr 32
		.amdhsa_reserve_vcc 1
		.amdhsa_reserve_flat_scratch 0
		.amdhsa_float_round_mode_32 0
		.amdhsa_float_round_mode_16_64 0
		.amdhsa_float_denorm_mode_32 3
		.amdhsa_float_denorm_mode_16_64 3
		.amdhsa_dx10_clamp 1
		.amdhsa_ieee_mode 1
		.amdhsa_fp16_overflow 0
		.amdhsa_workgroup_processor_mode 1
		.amdhsa_memory_ordered 1
		.amdhsa_forward_progress 1
		.amdhsa_shared_vgpr_count 0
		.amdhsa_exception_fp_ieee_invalid_op 0
		.amdhsa_exception_fp_denorm_src 0
		.amdhsa_exception_fp_ieee_div_zero 0
		.amdhsa_exception_fp_ieee_overflow 0
		.amdhsa_exception_fp_ieee_underflow 0
		.amdhsa_exception_fp_ieee_inexact 0
		.amdhsa_exception_int_div_zero 0
	.end_amdhsa_kernel
	.section	.text._ZL20rocblas_gemvt_kernelILb0ELi256EPK19rocblas_complex_numIdES3_KPS1_EviiT2_lPKT1_lilS9_lilS6_lPT3_lili,"axG",@progbits,_ZL20rocblas_gemvt_kernelILb0ELi256EPK19rocblas_complex_numIdES3_KPS1_EviiT2_lPKT1_lilS9_lilS6_lPT3_lili,comdat
.Lfunc_end362:
	.size	_ZL20rocblas_gemvt_kernelILb0ELi256EPK19rocblas_complex_numIdES3_KPS1_EviiT2_lPKT1_lilS9_lilS6_lPT3_lili, .Lfunc_end362-_ZL20rocblas_gemvt_kernelILb0ELi256EPK19rocblas_complex_numIdES3_KPS1_EviiT2_lPKT1_lilS9_lilS6_lPT3_lili
                                        ; -- End function
	.set _ZL20rocblas_gemvt_kernelILb0ELi256EPK19rocblas_complex_numIdES3_KPS1_EviiT2_lPKT1_lilS9_lilS6_lPT3_lili.num_vgpr, 21
	.set _ZL20rocblas_gemvt_kernelILb0ELi256EPK19rocblas_complex_numIdES3_KPS1_EviiT2_lPKT1_lilS9_lilS6_lPT3_lili.num_agpr, 0
	.set _ZL20rocblas_gemvt_kernelILb0ELi256EPK19rocblas_complex_numIdES3_KPS1_EviiT2_lPKT1_lilS9_lilS6_lPT3_lili.numbered_sgpr, 32
	.set _ZL20rocblas_gemvt_kernelILb0ELi256EPK19rocblas_complex_numIdES3_KPS1_EviiT2_lPKT1_lilS9_lilS6_lPT3_lili.num_named_barrier, 0
	.set _ZL20rocblas_gemvt_kernelILb0ELi256EPK19rocblas_complex_numIdES3_KPS1_EviiT2_lPKT1_lilS9_lilS6_lPT3_lili.private_seg_size, 0
	.set _ZL20rocblas_gemvt_kernelILb0ELi256EPK19rocblas_complex_numIdES3_KPS1_EviiT2_lPKT1_lilS9_lilS6_lPT3_lili.uses_vcc, 1
	.set _ZL20rocblas_gemvt_kernelILb0ELi256EPK19rocblas_complex_numIdES3_KPS1_EviiT2_lPKT1_lilS9_lilS6_lPT3_lili.uses_flat_scratch, 0
	.set _ZL20rocblas_gemvt_kernelILb0ELi256EPK19rocblas_complex_numIdES3_KPS1_EviiT2_lPKT1_lilS9_lilS6_lPT3_lili.has_dyn_sized_stack, 0
	.set _ZL20rocblas_gemvt_kernelILb0ELi256EPK19rocblas_complex_numIdES3_KPS1_EviiT2_lPKT1_lilS9_lilS6_lPT3_lili.has_recursion, 0
	.set _ZL20rocblas_gemvt_kernelILb0ELi256EPK19rocblas_complex_numIdES3_KPS1_EviiT2_lPKT1_lilS9_lilS6_lPT3_lili.has_indirect_call, 0
	.section	.AMDGPU.csdata,"",@progbits
; Kernel info:
; codeLenInByte = 1896
; TotalNumSgprs: 34
; NumVgprs: 21
; ScratchSize: 0
; MemoryBound: 0
; FloatMode: 240
; IeeeMode: 1
; LDSByteSize: 4096 bytes/workgroup (compile time only)
; SGPRBlocks: 0
; VGPRBlocks: 2
; NumSGPRsForWavesPerEU: 34
; NumVGPRsForWavesPerEU: 21
; Occupancy: 16
; WaveLimiterHint : 1
; COMPUTE_PGM_RSRC2:SCRATCH_EN: 0
; COMPUTE_PGM_RSRC2:USER_SGPR: 6
; COMPUTE_PGM_RSRC2:TRAP_HANDLER: 0
; COMPUTE_PGM_RSRC2:TGID_X_EN: 1
; COMPUTE_PGM_RSRC2:TGID_Y_EN: 0
; COMPUTE_PGM_RSRC2:TGID_Z_EN: 1
; COMPUTE_PGM_RSRC2:TIDIG_COMP_CNT: 0
	.section	.text._ZL20rocblas_gemvt_kernelILb0ELi256EPK19rocblas_complex_numIdES1_KPS1_EviiT2_lPKT1_lilS9_lilS6_lPT3_lili,"axG",@progbits,_ZL20rocblas_gemvt_kernelILb0ELi256EPK19rocblas_complex_numIdES1_KPS1_EviiT2_lPKT1_lilS9_lilS6_lPT3_lili,comdat
	.globl	_ZL20rocblas_gemvt_kernelILb0ELi256EPK19rocblas_complex_numIdES1_KPS1_EviiT2_lPKT1_lilS9_lilS6_lPT3_lili ; -- Begin function _ZL20rocblas_gemvt_kernelILb0ELi256EPK19rocblas_complex_numIdES1_KPS1_EviiT2_lPKT1_lilS9_lilS6_lPT3_lili
	.p2align	8
	.type	_ZL20rocblas_gemvt_kernelILb0ELi256EPK19rocblas_complex_numIdES1_KPS1_EviiT2_lPKT1_lilS9_lilS6_lPT3_lili,@function
_ZL20rocblas_gemvt_kernelILb0ELi256EPK19rocblas_complex_numIdES1_KPS1_EviiT2_lPKT1_lilS9_lilS6_lPT3_lili: ; @_ZL20rocblas_gemvt_kernelILb0ELi256EPK19rocblas_complex_numIdES1_KPS1_EviiT2_lPKT1_lilS9_lilS6_lPT3_lili
; %bb.0:
	s_clause 0x1
	s_load_dwordx4 s[12:15], s[4:5], 0x8
	s_load_dwordx4 s[8:11], s[4:5], 0x60
	s_mov_b32 s2, s7
	s_mov_b32 s3, 0
	s_mov_b64 s[16:17], 0
	s_mov_b32 s18, -1
	s_mov_b32 s19, s3
	s_waitcnt lgkmcnt(0)
	v_cmp_neq_f64_e64 s0, s[12:13], 0
	v_cmp_neq_f64_e64 s1, s[14:15], 0
	s_or_b32 s7, s0, s1
	s_mov_b64 s[0:1], s[2:3]
	s_and_b32 vcc_lo, exec_lo, s7
	s_cbranch_vccnz .LBB363_3
; %bb.1:
	v_cmp_eq_f64_e64 s0, s[8:9], 1.0
	v_cmp_eq_f64_e64 s1, s[10:11], 0
	s_mov_b32 s18, 0
	s_mov_b32 s19, 0
	s_and_b32 s0, s0, s1
	s_andn2_b32 vcc_lo, exec_lo, s0
                                        ; implicit-def: $sgpr0_sgpr1
	s_cbranch_vccz .LBB363_3
; %bb.2:
	s_mov_b32 s1, 0
	s_mov_b32 s0, s2
	s_mov_b32 s19, -1
.LBB363_3:
	s_and_b32 vcc_lo, exec_lo, s18
	s_cbranch_vccz .LBB363_5
; %bb.4:
	s_load_dwordx4 s[16:19], s[4:5], 0x20
	s_lshl_b64 s[2:3], s[2:3], 3
	s_waitcnt lgkmcnt(0)
	s_add_u32 s2, s16, s2
	s_addc_u32 s3, s17, s3
	s_lshl_b64 s[16:17], s[18:19], 4
	s_load_dwordx2 s[2:3], s[2:3], 0x0
	s_mov_b32 s19, -1
	s_waitcnt lgkmcnt(0)
	s_add_u32 s16, s2, s16
	s_addc_u32 s17, s3, s17
.LBB363_5:
	s_andn2_b32 vcc_lo, exec_lo, s19
	s_cbranch_vccnz .LBB363_43
; %bb.6:
	v_cndmask_b32_e64 v1, 0, 1, s7
	s_xor_b32 s18, s7, -1
	s_mov_b64 s[2:3], 0
	v_cmp_ne_u32_e32 vcc_lo, 1, v1
	s_cbranch_vccnz .LBB363_8
; %bb.7:
	s_load_dwordx4 s[20:23], s[4:5], 0x40
	s_lshl_b64 s[2:3], s[0:1], 3
	s_waitcnt lgkmcnt(0)
	s_add_u32 s2, s20, s2
	s_addc_u32 s3, s21, s3
	s_lshl_b64 s[20:21], s[22:23], 4
	s_load_dwordx2 s[2:3], s[2:3], 0x0
	s_waitcnt lgkmcnt(0)
	s_add_u32 s2, s2, s20
	s_addc_u32 s3, s3, s21
.LBB363_8:
	s_clause 0x1
	s_load_dwordx4 s[24:27], s[4:5], 0x78
	s_load_dword s21, s[4:5], 0x88
	s_lshl_b64 s[0:1], s[0:1], 3
	s_waitcnt lgkmcnt(0)
	s_add_u32 s0, s24, s0
	s_addc_u32 s1, s25, s1
	s_lshl_b64 s[24:25], s[26:27], 4
	s_load_dwordx2 s[22:23], s[0:1], 0x0
	v_cmp_eq_u32_e64 s0, 0, v0
	s_waitcnt lgkmcnt(0)
	s_add_u32 s7, s22, s24
	s_addc_u32 s20, s23, s25
	s_andn2_b32 vcc_lo, exec_lo, s18
	s_cbranch_vccnz .LBB363_13
; %bb.9:
	s_mov_b32 s1, 0
	s_mov_b32 s22, 0
                                        ; implicit-def: $vgpr3_vgpr4
                                        ; implicit-def: $sgpr18_sgpr19
	s_and_saveexec_b32 s23, s0
	s_cbranch_execz .LBB363_14
; %bb.10:
	v_cmp_neq_f64_e64 s0, s[8:9], 0
	v_cmp_neq_f64_e64 s18, s[10:11], 0
	v_mov_b32_e32 v3, 0
	v_mov_b32_e32 v1, 0
	;; [unrolled: 1-line block ×4, first 2 shown]
	s_mul_hi_i32 s19, s21, s6
	s_or_b32 s0, s0, s18
	s_mul_i32 s18, s21, s6
	s_andn2_b32 vcc_lo, exec_lo, s0
	s_cbranch_vccnz .LBB363_12
; %bb.11:
	s_lshl_b64 s[24:25], s[18:19], 4
	s_add_u32 s24, s7, s24
	s_addc_u32 s25, s20, s25
	v_mov_b32_e32 v1, s24
	v_mov_b32_e32 v2, s25
	flat_load_dwordx4 v[3:6], v[1:2]
	s_waitcnt vmcnt(0) lgkmcnt(0)
	v_mul_f64 v[1:2], s[10:11], v[5:6]
	v_mul_f64 v[5:6], s[8:9], v[5:6]
	v_fma_f64 v[1:2], s[8:9], v[3:4], -v[1:2]
	v_fma_f64 v[3:4], s[10:11], v[3:4], v[5:6]
.LBB363_12:
	s_mov_b32 s22, exec_lo
	s_or_b32 exec_lo, exec_lo, s23
	s_and_b32 vcc_lo, exec_lo, s1
	s_cbranch_vccnz .LBB363_15
	s_branch .LBB363_41
.LBB363_13:
	s_mov_b32 s22, 0
                                        ; implicit-def: $vgpr3_vgpr4
                                        ; implicit-def: $sgpr18_sgpr19
	s_cbranch_execnz .LBB363_15
	s_branch .LBB363_41
.LBB363_14:
	s_or_b32 exec_lo, exec_lo, s23
	s_and_b32 vcc_lo, exec_lo, s1
	s_cbranch_vccz .LBB363_41
.LBB363_15:
	s_clause 0x2
	s_load_dword s18, s[4:5], 0x0
	s_load_dword s1, s[4:5], 0x30
	s_load_dword s0, s[4:5], 0x50
	v_mov_b32_e32 v3, 0
	v_mov_b32_e32 v4, 0
	s_waitcnt lgkmcnt(0)
	v_cmp_gt_i32_e32 vcc_lo, s18, v0
	s_mul_hi_i32 s5, s1, s6
	s_mul_i32 s4, s1, s6
	s_ashr_i32 s1, s18, 31
	s_lshl_b64 s[4:5], s[4:5], 4
	v_cndmask_b32_e32 v1, 0, v0, vcc_lo
	s_lshr_b32 s1, s1, 24
	s_add_i32 s1, s18, s1
	v_lshlrev_b32_e32 v1, 4, v1
	v_add_co_u32 v1, s16, s16, v1
	v_add_co_ci_u32_e64 v2, null, s17, 0, s16
	v_add_co_u32 v5, vcc_lo, v1, s4
	v_add_co_ci_u32_e64 v6, null, s5, v2, vcc_lo
	v_mov_b32_e32 v1, v3
	v_mov_b32_e32 v2, v4
	s_and_b32 s4, s1, 0xffffff00
	s_cmpk_lt_i32 s18, 0x100
	s_mov_b32 s5, 0
	s_cbranch_scc1 .LBB363_18
; %bb.16:
	v_mad_i64_i32 v[1:2], null, s0, v0, 0
	v_mov_b32_e32 v3, 0
	v_mov_b32_e32 v4, 0
	;; [unrolled: 1-line block ×4, first 2 shown]
	s_ashr_i32 s1, s0, 31
	s_lshl_b64 s[16:17], s[0:1], 12
	v_lshlrev_b64 v[1:2], 4, v[1:2]
	v_add_co_u32 v9, vcc_lo, s2, v1
	v_add_co_ci_u32_e64 v10, null, s3, v2, vcc_lo
	v_mov_b32_e32 v1, v3
	v_mov_b32_e32 v2, v4
	.p2align	6
.LBB363_17:                             ; =>This Inner Loop Header: Depth=1
	flat_load_dwordx4 v[11:14], v[7:8]
	flat_load_dwordx4 v[15:18], v[9:10]
	v_add_co_u32 v9, vcc_lo, v9, s16
	v_add_co_ci_u32_e64 v10, null, s17, v10, vcc_lo
	v_add_co_u32 v7, vcc_lo, 0x1000, v7
	v_add_co_ci_u32_e64 v8, null, 0, v8, vcc_lo
	s_addk_i32 s5, 0x100
	s_cmp_ge_i32 s5, s4
	s_waitcnt vmcnt(0) lgkmcnt(0)
	v_mul_f64 v[19:20], v[13:14], v[17:18]
	v_mul_f64 v[17:18], v[11:12], v[17:18]
	v_fma_f64 v[11:12], v[11:12], v[15:16], -v[19:20]
	v_fma_f64 v[13:14], v[13:14], v[15:16], v[17:18]
	v_add_f64 v[1:2], v[1:2], v[11:12]
	v_add_f64 v[3:4], v[3:4], v[13:14]
	s_cbranch_scc0 .LBB363_17
.LBB363_18:
	v_add_nc_u32_e32 v7, s4, v0
	s_mov_b32 s1, exec_lo
	v_cmpx_gt_i32_e64 s18, v7
	s_cbranch_execz .LBB363_20
; %bb.19:
	v_mad_i64_i32 v[7:8], null, s0, v7, 0
	s_ashr_i32 s5, s4, 31
	s_lshl_b64 s[4:5], s[4:5], 4
	v_add_co_u32 v5, vcc_lo, v5, s4
	v_lshlrev_b64 v[7:8], 4, v[7:8]
	v_add_co_ci_u32_e64 v6, null, s5, v6, vcc_lo
	v_add_co_u32 v9, vcc_lo, s2, v7
	v_add_co_ci_u32_e64 v10, null, s3, v8, vcc_lo
	flat_load_dwordx4 v[5:8], v[5:6]
	flat_load_dwordx4 v[9:12], v[9:10]
	s_waitcnt vmcnt(0) lgkmcnt(0)
	v_mul_f64 v[13:14], v[7:8], v[11:12]
	v_mul_f64 v[11:12], v[5:6], v[11:12]
	v_fma_f64 v[5:6], v[5:6], v[9:10], -v[13:14]
	v_fma_f64 v[7:8], v[7:8], v[9:10], v[11:12]
	v_add_f64 v[1:2], v[1:2], v[5:6]
	v_add_f64 v[3:4], v[3:4], v[7:8]
.LBB363_20:
	s_or_b32 exec_lo, exec_lo, s1
	v_lshlrev_b32_e32 v5, 4, v0
	s_mov_b32 s0, exec_lo
	ds_write_b128 v5, v[1:4]
	s_waitcnt lgkmcnt(0)
	s_barrier
	buffer_gl0_inv
	v_cmpx_gt_u32_e32 0x80, v0
	s_cbranch_execz .LBB363_22
; %bb.21:
	ds_read_b128 v[1:4], v5 offset:2048
	ds_read_b128 v[6:9], v5
	s_waitcnt lgkmcnt(0)
	v_add_f64 v[1:2], v[1:2], v[6:7]
	v_add_f64 v[3:4], v[3:4], v[8:9]
	ds_write_b128 v5, v[1:4]
.LBB363_22:
	s_or_b32 exec_lo, exec_lo, s0
	s_mov_b32 s0, exec_lo
	s_waitcnt lgkmcnt(0)
	s_barrier
	buffer_gl0_inv
	v_cmpx_gt_u32_e32 64, v0
	s_cbranch_execz .LBB363_24
; %bb.23:
	ds_read_b128 v[1:4], v5 offset:1024
	ds_read_b128 v[6:9], v5
	s_waitcnt lgkmcnt(0)
	v_add_f64 v[1:2], v[1:2], v[6:7]
	v_add_f64 v[3:4], v[3:4], v[8:9]
	ds_write_b128 v5, v[1:4]
.LBB363_24:
	s_or_b32 exec_lo, exec_lo, s0
	s_mov_b32 s0, exec_lo
	;; [unrolled: 15-line block ×6, first 2 shown]
	s_waitcnt lgkmcnt(0)
	s_barrier
	buffer_gl0_inv
	v_cmpx_gt_u32_e32 2, v0
	s_cbranch_execz .LBB363_34
; %bb.33:
	ds_read_b128 v[1:4], v5
	ds_read_b128 v[6:9], v5 offset:32
	s_waitcnt lgkmcnt(0)
	v_add_f64 v[1:2], v[6:7], v[1:2]
	v_add_f64 v[3:4], v[8:9], v[3:4]
	ds_write_b128 v5, v[1:4]
.LBB363_34:
	s_or_b32 exec_lo, exec_lo, s0
	v_cmp_eq_u32_e32 vcc_lo, 0, v0
	s_waitcnt lgkmcnt(0)
	s_barrier
	buffer_gl0_inv
	s_and_saveexec_b32 s0, vcc_lo
	s_cbranch_execz .LBB363_36
; %bb.35:
	v_mov_b32_e32 v8, 0
	ds_read_b128 v[0:3], v8
	ds_read_b128 v[4:7], v8 offset:16
	s_waitcnt lgkmcnt(0)
	v_add_f64 v[0:1], v[4:5], v[0:1]
	v_add_f64 v[2:3], v[6:7], v[2:3]
	ds_write_b128 v8, v[0:3]
.LBB363_36:
	s_or_b32 exec_lo, exec_lo, s0
	s_waitcnt lgkmcnt(0)
	s_barrier
	buffer_gl0_inv
                                        ; implicit-def: $vgpr3_vgpr4
                                        ; implicit-def: $sgpr18_sgpr19
	s_and_saveexec_b32 s0, vcc_lo
	s_cbranch_execz .LBB363_40
; %bb.37:
	v_mov_b32_e32 v0, 0
	v_cmp_neq_f64_e64 s1, s[8:9], 0
	v_cmp_neq_f64_e64 s2, s[10:11], 0
	s_mul_hi_i32 s19, s21, s6
	s_mul_i32 s18, s21, s6
	ds_read_b128 v[3:6], v0
	s_or_b32 s1, s1, s2
	s_waitcnt lgkmcnt(0)
	v_mul_f64 v[0:1], s[14:15], v[5:6]
	v_mul_f64 v[5:6], s[12:13], v[5:6]
	s_andn2_b32 vcc_lo, exec_lo, s1
	v_fma_f64 v[1:2], s[12:13], v[3:4], -v[0:1]
	v_fma_f64 v[3:4], s[14:15], v[3:4], v[5:6]
	s_cbranch_vccnz .LBB363_39
; %bb.38:
	s_lshl_b64 s[2:3], s[18:19], 4
	s_add_u32 s2, s7, s2
	s_addc_u32 s3, s20, s3
	v_mov_b32_e32 v6, s3
	v_mov_b32_e32 v5, s2
	flat_load_dwordx4 v[5:8], v[5:6]
	s_waitcnt vmcnt(0) lgkmcnt(0)
	v_mul_f64 v[9:10], s[10:11], v[7:8]
	v_mul_f64 v[7:8], s[8:9], v[7:8]
	v_fma_f64 v[9:10], s[8:9], v[5:6], -v[9:10]
	v_fma_f64 v[5:6], s[10:11], v[5:6], v[7:8]
	v_add_f64 v[1:2], v[1:2], v[9:10]
	v_add_f64 v[3:4], v[3:4], v[5:6]
.LBB363_39:
	s_or_b32 s22, s22, exec_lo
.LBB363_40:
	s_or_b32 exec_lo, exec_lo, s0
.LBB363_41:
	s_and_saveexec_b32 s0, s22
	s_cbranch_execz .LBB363_43
; %bb.42:
	s_lshl_b64 s[0:1], s[18:19], 4
	s_add_u32 s0, s7, s0
	s_addc_u32 s1, s20, s1
	v_mov_b32_e32 v6, s1
	v_mov_b32_e32 v5, s0
	flat_store_dwordx4 v[5:6], v[1:4]
.LBB363_43:
	s_endpgm
	.section	.rodata,"a",@progbits
	.p2align	6, 0x0
	.amdhsa_kernel _ZL20rocblas_gemvt_kernelILb0ELi256EPK19rocblas_complex_numIdES1_KPS1_EviiT2_lPKT1_lilS9_lilS6_lPT3_lili
		.amdhsa_group_segment_fixed_size 4096
		.amdhsa_private_segment_fixed_size 0
		.amdhsa_kernarg_size 156
		.amdhsa_user_sgpr_count 6
		.amdhsa_user_sgpr_private_segment_buffer 1
		.amdhsa_user_sgpr_dispatch_ptr 0
		.amdhsa_user_sgpr_queue_ptr 0
		.amdhsa_user_sgpr_kernarg_segment_ptr 1
		.amdhsa_user_sgpr_dispatch_id 0
		.amdhsa_user_sgpr_flat_scratch_init 0
		.amdhsa_user_sgpr_private_segment_size 0
		.amdhsa_wavefront_size32 1
		.amdhsa_uses_dynamic_stack 0
		.amdhsa_system_sgpr_private_segment_wavefront_offset 0
		.amdhsa_system_sgpr_workgroup_id_x 1
		.amdhsa_system_sgpr_workgroup_id_y 0
		.amdhsa_system_sgpr_workgroup_id_z 1
		.amdhsa_system_sgpr_workgroup_info 0
		.amdhsa_system_vgpr_workitem_id 0
		.amdhsa_next_free_vgpr 21
		.amdhsa_next_free_sgpr 28
		.amdhsa_reserve_vcc 1
		.amdhsa_reserve_flat_scratch 0
		.amdhsa_float_round_mode_32 0
		.amdhsa_float_round_mode_16_64 0
		.amdhsa_float_denorm_mode_32 3
		.amdhsa_float_denorm_mode_16_64 3
		.amdhsa_dx10_clamp 1
		.amdhsa_ieee_mode 1
		.amdhsa_fp16_overflow 0
		.amdhsa_workgroup_processor_mode 1
		.amdhsa_memory_ordered 1
		.amdhsa_forward_progress 1
		.amdhsa_shared_vgpr_count 0
		.amdhsa_exception_fp_ieee_invalid_op 0
		.amdhsa_exception_fp_denorm_src 0
		.amdhsa_exception_fp_ieee_div_zero 0
		.amdhsa_exception_fp_ieee_overflow 0
		.amdhsa_exception_fp_ieee_underflow 0
		.amdhsa_exception_fp_ieee_inexact 0
		.amdhsa_exception_int_div_zero 0
	.end_amdhsa_kernel
	.section	.text._ZL20rocblas_gemvt_kernelILb0ELi256EPK19rocblas_complex_numIdES1_KPS1_EviiT2_lPKT1_lilS9_lilS6_lPT3_lili,"axG",@progbits,_ZL20rocblas_gemvt_kernelILb0ELi256EPK19rocblas_complex_numIdES1_KPS1_EviiT2_lPKT1_lilS9_lilS6_lPT3_lili,comdat
.Lfunc_end363:
	.size	_ZL20rocblas_gemvt_kernelILb0ELi256EPK19rocblas_complex_numIdES1_KPS1_EviiT2_lPKT1_lilS9_lilS6_lPT3_lili, .Lfunc_end363-_ZL20rocblas_gemvt_kernelILb0ELi256EPK19rocblas_complex_numIdES1_KPS1_EviiT2_lPKT1_lilS9_lilS6_lPT3_lili
                                        ; -- End function
	.set _ZL20rocblas_gemvt_kernelILb0ELi256EPK19rocblas_complex_numIdES1_KPS1_EviiT2_lPKT1_lilS9_lilS6_lPT3_lili.num_vgpr, 21
	.set _ZL20rocblas_gemvt_kernelILb0ELi256EPK19rocblas_complex_numIdES1_KPS1_EviiT2_lPKT1_lilS9_lilS6_lPT3_lili.num_agpr, 0
	.set _ZL20rocblas_gemvt_kernelILb0ELi256EPK19rocblas_complex_numIdES1_KPS1_EviiT2_lPKT1_lilS9_lilS6_lPT3_lili.numbered_sgpr, 28
	.set _ZL20rocblas_gemvt_kernelILb0ELi256EPK19rocblas_complex_numIdES1_KPS1_EviiT2_lPKT1_lilS9_lilS6_lPT3_lili.num_named_barrier, 0
	.set _ZL20rocblas_gemvt_kernelILb0ELi256EPK19rocblas_complex_numIdES1_KPS1_EviiT2_lPKT1_lilS9_lilS6_lPT3_lili.private_seg_size, 0
	.set _ZL20rocblas_gemvt_kernelILb0ELi256EPK19rocblas_complex_numIdES1_KPS1_EviiT2_lPKT1_lilS9_lilS6_lPT3_lili.uses_vcc, 1
	.set _ZL20rocblas_gemvt_kernelILb0ELi256EPK19rocblas_complex_numIdES1_KPS1_EviiT2_lPKT1_lilS9_lilS6_lPT3_lili.uses_flat_scratch, 0
	.set _ZL20rocblas_gemvt_kernelILb0ELi256EPK19rocblas_complex_numIdES1_KPS1_EviiT2_lPKT1_lilS9_lilS6_lPT3_lili.has_dyn_sized_stack, 0
	.set _ZL20rocblas_gemvt_kernelILb0ELi256EPK19rocblas_complex_numIdES1_KPS1_EviiT2_lPKT1_lilS9_lilS6_lPT3_lili.has_recursion, 0
	.set _ZL20rocblas_gemvt_kernelILb0ELi256EPK19rocblas_complex_numIdES1_KPS1_EviiT2_lPKT1_lilS9_lilS6_lPT3_lili.has_indirect_call, 0
	.section	.AMDGPU.csdata,"",@progbits
; Kernel info:
; codeLenInByte = 1896
; TotalNumSgprs: 30
; NumVgprs: 21
; ScratchSize: 0
; MemoryBound: 0
; FloatMode: 240
; IeeeMode: 1
; LDSByteSize: 4096 bytes/workgroup (compile time only)
; SGPRBlocks: 0
; VGPRBlocks: 2
; NumSGPRsForWavesPerEU: 30
; NumVGPRsForWavesPerEU: 21
; Occupancy: 16
; WaveLimiterHint : 1
; COMPUTE_PGM_RSRC2:SCRATCH_EN: 0
; COMPUTE_PGM_RSRC2:USER_SGPR: 6
; COMPUTE_PGM_RSRC2:TRAP_HANDLER: 0
; COMPUTE_PGM_RSRC2:TGID_X_EN: 1
; COMPUTE_PGM_RSRC2:TGID_Y_EN: 0
; COMPUTE_PGM_RSRC2:TGID_Z_EN: 1
; COMPUTE_PGM_RSRC2:TIDIG_COMP_CNT: 0
	.section	.text._ZL32rocblas_gemvt_warp_reduce_kernelILb0ELi1024EiPK19rocblas_complex_numIdES3_KPS1_EviiT3_lPKT2_lT1_lS9_lSA_lS6_lPT4_lSA_li,"axG",@progbits,_ZL32rocblas_gemvt_warp_reduce_kernelILb0ELi1024EiPK19rocblas_complex_numIdES3_KPS1_EviiT3_lPKT2_lT1_lS9_lSA_lS6_lPT4_lSA_li,comdat
	.globl	_ZL32rocblas_gemvt_warp_reduce_kernelILb0ELi1024EiPK19rocblas_complex_numIdES3_KPS1_EviiT3_lPKT2_lT1_lS9_lSA_lS6_lPT4_lSA_li ; -- Begin function _ZL32rocblas_gemvt_warp_reduce_kernelILb0ELi1024EiPK19rocblas_complex_numIdES3_KPS1_EviiT3_lPKT2_lT1_lS9_lSA_lS6_lPT4_lSA_li
	.p2align	8
	.type	_ZL32rocblas_gemvt_warp_reduce_kernelILb0ELi1024EiPK19rocblas_complex_numIdES3_KPS1_EviiT3_lPKT2_lT1_lS9_lSA_lS6_lPT4_lSA_li,@function
_ZL32rocblas_gemvt_warp_reduce_kernelILb0ELi1024EiPK19rocblas_complex_numIdES3_KPS1_EviiT3_lPKT2_lT1_lS9_lSA_lS6_lPT4_lSA_li: ; @_ZL32rocblas_gemvt_warp_reduce_kernelILb0ELi1024EiPK19rocblas_complex_numIdES3_KPS1_EviiT3_lPKT2_lT1_lS9_lSA_lS6_lPT4_lSA_li
; %bb.0:
	s_clause 0x1
	s_load_dwordx8 s[16:23], s[4:5], 0x8
	s_load_dwordx8 s[8:15], s[4:5], 0x58
	s_mov_b32 s0, s7
	s_mov_b64 s[24:25], 0
	s_waitcnt lgkmcnt(0)
	s_mul_i32 s1, s19, s7
	s_mul_hi_u32 s3, s18, s7
	s_mul_i32 s2, s18, s7
	s_add_i32 s3, s3, s1
	s_mul_i32 s1, s11, s7
	s_lshl_b64 s[2:3], s[2:3], 4
	s_add_u32 s2, s16, s2
	s_addc_u32 s3, s17, s3
	s_load_dwordx4 s[16:19], s[2:3], 0x0
	s_mul_hi_u32 s2, s10, s7
	s_add_i32 s3, s2, s1
	s_mul_i32 s2, s10, s0
	s_mov_b32 s1, 0
	s_lshl_b64 s[2:3], s[2:3], 4
	s_add_u32 s2, s8, s2
	s_addc_u32 s3, s9, s3
	s_load_dwordx4 s[8:11], s[2:3], 0x0
	s_mov_b32 s3, s1
	s_waitcnt lgkmcnt(0)
	v_cmp_neq_f64_e64 s7, s[16:17], 0
	v_cmp_neq_f64_e64 s26, s[18:19], 0
	s_or_b32 s2, s7, s26
	s_mov_b32 s7, -1
	s_and_b32 vcc_lo, exec_lo, s2
	s_cbranch_vccz .LBB364_4
; %bb.1:
	s_andn2_b32 vcc_lo, exec_lo, s7
	s_cbranch_vccz .LBB364_5
.LBB364_2:
	s_andn2_b32 vcc_lo, exec_lo, s3
	s_cbranch_vccz .LBB364_6
.LBB364_3:
	s_endpgm
.LBB364_4:
	v_cmp_neq_f64_e64 s3, s[8:9], 1.0
	v_cmp_neq_f64_e64 s7, s[10:11], 0
	s_or_b32 s3, s3, s7
	s_cbranch_execnz .LBB364_2
.LBB364_5:
	s_lshl_b64 s[24:25], s[0:1], 3
	s_add_u32 s20, s20, s24
	s_addc_u32 s21, s21, s25
	s_lshl_b64 s[22:23], s[22:23], 4
	s_load_dwordx2 s[20:21], s[20:21], 0x0
	s_waitcnt lgkmcnt(0)
	s_add_u32 s24, s20, s22
	s_addc_u32 s25, s21, s23
.LBB364_6:
	v_cndmask_b32_e64 v1, 0, 1, s2
	s_xor_b32 s21, s2, -1
	s_mov_b64 s[2:3], 0
	v_cmp_ne_u32_e32 vcc_lo, 1, v1
	s_cbranch_vccnz .LBB364_8
; %bb.7:
	s_load_dwordx4 s[28:31], s[4:5], 0x38
	s_lshl_b64 s[2:3], s[0:1], 3
	s_waitcnt lgkmcnt(0)
	s_add_u32 s2, s28, s2
	s_addc_u32 s3, s29, s3
	s_lshl_b64 s[22:23], s[30:31], 4
	s_load_dwordx2 s[2:3], s[2:3], 0x0
	s_waitcnt lgkmcnt(0)
	s_add_u32 s2, s2, s22
	s_addc_u32 s3, s3, s23
.LBB364_8:
	s_lshl_b64 s[0:1], s[0:1], 3
	s_add_u32 s0, s12, s0
	s_addc_u32 s1, s13, s1
	s_lshl_b64 s[14:15], s[14:15], 4
	s_load_dwordx2 s[12:13], s[0:1], 0x0
	s_load_dword s20, s[4:5], 0x78
	v_cmp_eq_u32_e64 s0, 0, v0
	s_waitcnt lgkmcnt(0)
	s_add_u32 s1, s12, s14
	s_addc_u32 s7, s13, s15
	s_andn2_b32 vcc_lo, exec_lo, s21
	s_cbranch_vccnz .LBB364_13
; %bb.9:
	s_mov_b32 s15, 0
	s_mov_b32 s14, 0
                                        ; implicit-def: $vgpr3_vgpr4
                                        ; implicit-def: $sgpr12_sgpr13
	s_and_saveexec_b32 s21, s0
	s_cbranch_execz .LBB364_14
; %bb.10:
	v_cmp_neq_f64_e64 s0, s[8:9], 0
	v_cmp_neq_f64_e64 s12, s[10:11], 0
	v_mov_b32_e32 v3, 0
	v_mov_b32_e32 v1, 0
	;; [unrolled: 1-line block ×4, first 2 shown]
	s_or_b32 s0, s0, s12
	s_mul_i32 s12, s20, s6
	s_andn2_b32 vcc_lo, exec_lo, s0
	s_ashr_i32 s13, s12, 31
	s_cbranch_vccnz .LBB364_12
; %bb.11:
	s_lshl_b64 s[22:23], s[12:13], 4
	s_add_u32 s22, s1, s22
	s_addc_u32 s23, s7, s23
	v_mov_b32_e32 v1, s22
	v_mov_b32_e32 v2, s23
	flat_load_dwordx4 v[3:6], v[1:2]
	s_waitcnt vmcnt(0) lgkmcnt(0)
	v_mul_f64 v[1:2], s[10:11], v[5:6]
	v_mul_f64 v[5:6], s[8:9], v[5:6]
	v_fma_f64 v[1:2], s[8:9], v[3:4], -v[1:2]
	v_fma_f64 v[3:4], s[10:11], v[3:4], v[5:6]
.LBB364_12:
	s_mov_b32 s14, exec_lo
	s_or_b32 exec_lo, exec_lo, s21
	s_and_b32 vcc_lo, exec_lo, s15
	s_cbranch_vccnz .LBB364_15
	s_branch .LBB364_34
.LBB364_13:
	s_mov_b32 s14, 0
                                        ; implicit-def: $vgpr3_vgpr4
                                        ; implicit-def: $sgpr12_sgpr13
	s_cbranch_execnz .LBB364_15
	s_branch .LBB364_34
.LBB364_14:
	s_or_b32 exec_lo, exec_lo, s21
	s_and_b32 vcc_lo, exec_lo, s15
	s_cbranch_vccz .LBB364_34
.LBB364_15:
	s_clause 0x2
	s_load_dword s12, s[4:5], 0x0
	s_load_dword s0, s[4:5], 0x28
	;; [unrolled: 1-line block ×3, first 2 shown]
	v_mov_b32_e32 v1, 0
	v_mov_b32_e32 v3, 0
	;; [unrolled: 1-line block ×4, first 2 shown]
	s_mov_b32 s15, 0
	s_mov_b32 s13, exec_lo
	s_waitcnt lgkmcnt(0)
	v_cmp_gt_i32_e32 vcc_lo, s12, v0
	s_mul_i32 s22, s0, s6
	s_ashr_i32 s0, s12, 31
	s_ashr_i32 s23, s22, 31
	s_lshr_b32 s0, s0, 22
	v_cndmask_b32_e32 v5, 0, v0, vcc_lo
	s_lshl_b64 s[22:23], s[22:23], 4
	s_add_i32 s0, s12, s0
	v_lshlrev_b32_e32 v5, 4, v5
	v_add_co_u32 v5, s4, s24, v5
	v_add_co_ci_u32_e64 v6, null, s25, 0, s4
	s_and_b32 s4, s0, 0xfffffc00
	v_add_co_u32 v5, vcc_lo, v5, s22
	v_add_co_ci_u32_e64 v6, null, s23, v6, vcc_lo
	v_cmpx_gt_i32_e64 s4, v0
	s_cbranch_execz .LBB364_19
; %bb.16:
	v_mul_lo_u32 v7, v0, s5
	v_mov_b32_e32 v1, 0
	v_mov_b32_e32 v10, v6
	;; [unrolled: 1-line block ×7, first 2 shown]
	s_lshl_b32 s21, s5, 10
	s_inst_prefetch 0x1
	.p2align	6
.LBB364_17:                             ; =>This Inner Loop Header: Depth=1
	v_ashrrev_i32_e32 v8, 31, v7
	v_add_nc_u32_e32 v11, 0x400, v11
	v_lshlrev_b64 v[12:13], 4, v[7:8]
	v_cmp_le_i32_e64 s0, s4, v11
	v_add_nc_u32_e32 v7, s21, v7
	s_or_b32 s15, s0, s15
	v_add_co_u32 v16, vcc_lo, s2, v12
	v_add_co_ci_u32_e64 v17, null, s3, v13, vcc_lo
	flat_load_dwordx4 v[12:15], v[9:10]
	flat_load_dwordx4 v[16:19], v[16:17]
	v_add_co_u32 v9, vcc_lo, 0x4000, v9
	v_add_co_ci_u32_e64 v10, null, 0, v10, vcc_lo
	s_waitcnt vmcnt(0) lgkmcnt(0)
	v_mul_f64 v[20:21], v[14:15], v[18:19]
	v_mul_f64 v[18:19], v[12:13], v[18:19]
	v_fma_f64 v[12:13], v[12:13], v[16:17], -v[20:21]
	v_fma_f64 v[14:15], v[14:15], v[16:17], v[18:19]
	v_add_f64 v[3:4], v[3:4], v[12:13]
	v_add_f64 v[1:2], v[1:2], v[14:15]
	s_andn2_b32 exec_lo, exec_lo, s15
	s_cbranch_execnz .LBB364_17
; %bb.18:
	s_inst_prefetch 0x2
	s_or_b32 exec_lo, exec_lo, s15
.LBB364_19:
	s_or_b32 exec_lo, exec_lo, s13
	v_or_b32_e32 v7, s4, v0
	s_mov_b32 s0, exec_lo
	v_cmpx_gt_i32_e64 s12, v7
	s_cbranch_execz .LBB364_21
; %bb.20:
	v_mul_lo_u32 v7, s5, v7
	s_ashr_i32 s5, s4, 31
	s_lshl_b64 s[4:5], s[4:5], 4
	v_add_co_u32 v5, vcc_lo, v5, s4
	v_add_co_ci_u32_e64 v6, null, s5, v6, vcc_lo
	v_ashrrev_i32_e32 v8, 31, v7
	v_lshlrev_b64 v[7:8], 4, v[7:8]
	v_add_co_u32 v9, vcc_lo, s2, v7
	v_add_co_ci_u32_e64 v10, null, s3, v8, vcc_lo
	flat_load_dwordx4 v[5:8], v[5:6]
	flat_load_dwordx4 v[9:12], v[9:10]
	s_waitcnt vmcnt(0) lgkmcnt(0)
	v_mul_f64 v[13:14], v[7:8], v[11:12]
	v_mul_f64 v[11:12], v[5:6], v[11:12]
	v_fma_f64 v[5:6], v[5:6], v[9:10], -v[13:14]
	v_fma_f64 v[7:8], v[7:8], v[9:10], v[11:12]
	v_add_f64 v[3:4], v[3:4], v[5:6]
	v_add_f64 v[1:2], v[1:2], v[7:8]
.LBB364_21:
	s_or_b32 exec_lo, exec_lo, s0
	v_and_b32_e32 v15, 31, v0
	v_cmp_gt_u32_e32 vcc_lo, 32, v0
	v_lshlrev_b32_e32 v12, 4, v15
	s_and_saveexec_b32 s0, vcc_lo
	s_cbranch_execz .LBB364_23
; %bb.22:
	v_mov_b32_e32 v5, 0
	v_mov_b32_e32 v6, v5
	;; [unrolled: 1-line block ×4, first 2 shown]
	ds_write_b128 v12, v[5:8]
.LBB364_23:
	s_or_b32 exec_lo, exec_lo, s0
	v_mbcnt_lo_u32_b32 v14, -1, 0
	s_mov_b32 s2, exec_lo
	s_waitcnt lgkmcnt(0)
	s_barrier
	buffer_gl0_inv
	v_lshl_or_b32 v9, v14, 2, 64
	v_cmp_gt_u32_e64 s0, 24, v14
	ds_bpermute_b32 v5, v9, v3
	ds_bpermute_b32 v6, v9, v4
	;; [unrolled: 1-line block ×4, first 2 shown]
	s_waitcnt lgkmcnt(2)
	v_add_f64 v[3:4], v[3:4], v[5:6]
	v_cndmask_b32_e64 v5, 0, 8, s0
	s_waitcnt lgkmcnt(0)
	v_add_f64 v[1:2], v[1:2], v[7:8]
	v_cmp_gt_u32_e64 s0, 28, v14
	v_add_lshl_u32 v10, v5, v14, 2
	ds_bpermute_b32 v5, v10, v3
	ds_bpermute_b32 v6, v10, v4
	;; [unrolled: 1-line block ×4, first 2 shown]
	s_waitcnt lgkmcnt(2)
	v_add_f64 v[3:4], v[3:4], v[5:6]
	v_cndmask_b32_e64 v5, 0, 4, s0
	s_waitcnt lgkmcnt(0)
	v_add_f64 v[1:2], v[1:2], v[7:8]
	v_cmp_gt_u32_e64 s0, 30, v14
	v_add_lshl_u32 v11, v5, v14, 2
	ds_bpermute_b32 v5, v11, v3
	ds_bpermute_b32 v6, v11, v4
	;; [unrolled: 1-line block ×4, first 2 shown]
	s_waitcnt lgkmcnt(2)
	v_add_f64 v[3:4], v[3:4], v[5:6]
	s_waitcnt lgkmcnt(0)
	v_add_f64 v[5:6], v[1:2], v[7:8]
	v_cndmask_b32_e64 v1, 0, 2, s0
	v_cmp_ne_u32_e64 s0, 31, v14
	v_add_lshl_u32 v13, v1, v14, 2
	ds_bpermute_b32 v1, v13, v3
	ds_bpermute_b32 v2, v13, v4
	;; [unrolled: 1-line block ×4, first 2 shown]
	s_waitcnt lgkmcnt(2)
	v_add_f64 v[1:2], v[3:4], v[1:2]
	s_waitcnt lgkmcnt(0)
	v_add_f64 v[3:4], v[5:6], v[7:8]
	v_add_co_ci_u32_e64 v5, null, 0, v14, s0
	v_lshlrev_b32_e32 v14, 2, v5
	ds_bpermute_b32 v5, v14, v1
	ds_bpermute_b32 v6, v14, v2
	;; [unrolled: 1-line block ×4, first 2 shown]
	v_cmpx_eq_u32_e32 0, v15
	s_cbranch_execz .LBB364_25
; %bb.24:
	s_waitcnt lgkmcnt(0)
	v_add_f64 v[3:4], v[3:4], v[7:8]
	v_add_f64 v[1:2], v[1:2], v[5:6]
	v_lshrrev_b32_e32 v5, 1, v0
	v_and_b32_e32 v5, 0x1f0, v5
	ds_write_b128 v5, v[1:4]
.LBB364_25:
	s_or_b32 exec_lo, exec_lo, s2
	s_waitcnt lgkmcnt(0)
	v_mov_b32_e32 v7, 0
	v_mov_b32_e32 v5, 0
	;; [unrolled: 1-line block ×4, first 2 shown]
	s_barrier
	buffer_gl0_inv
	s_and_saveexec_b32 s0, vcc_lo
; %bb.26:
	ds_read_b128 v[5:8], v12
; %bb.27:
	s_or_b32 exec_lo, exec_lo, s0
	s_and_saveexec_b32 s0, vcc_lo
	s_cbranch_execz .LBB364_29
; %bb.28:
	s_waitcnt lgkmcnt(0)
	ds_bpermute_b32 v1, v9, v5
	ds_bpermute_b32 v2, v9, v6
	ds_bpermute_b32 v3, v9, v7
	ds_bpermute_b32 v4, v9, v8
	s_waitcnt lgkmcnt(2)
	v_add_f64 v[1:2], v[5:6], v[1:2]
	s_waitcnt lgkmcnt(0)
	v_add_f64 v[3:4], v[7:8], v[3:4]
	ds_bpermute_b32 v5, v10, v1
	ds_bpermute_b32 v6, v10, v2
	ds_bpermute_b32 v7, v10, v3
	ds_bpermute_b32 v8, v10, v4
	s_waitcnt lgkmcnt(2)
	v_add_f64 v[1:2], v[1:2], v[5:6]
	s_waitcnt lgkmcnt(0)
	v_add_f64 v[3:4], v[3:4], v[7:8]
	;; [unrolled: 8-line block ×5, first 2 shown]
.LBB364_29:
	s_or_b32 exec_lo, exec_lo, s0
	s_mov_b32 s0, exec_lo
                                        ; implicit-def: $vgpr3_vgpr4
                                        ; implicit-def: $sgpr12_sgpr13
	v_cmpx_eq_u32_e32 0, v0
	s_cbranch_execz .LBB364_33
; %bb.30:
	s_waitcnt lgkmcnt(0)
	v_mul_f64 v[0:1], s[18:19], v[7:8]
	v_mul_f64 v[3:4], s[16:17], v[7:8]
	v_cmp_neq_f64_e64 s2, s[8:9], 0
	v_cmp_neq_f64_e64 s3, s[10:11], 0
	s_mul_i32 s12, s20, s6
	s_ashr_i32 s13, s12, 31
	v_fma_f64 v[1:2], s[16:17], v[5:6], -v[0:1]
	v_fma_f64 v[3:4], s[18:19], v[5:6], v[3:4]
	s_or_b32 s2, s2, s3
	s_andn2_b32 vcc_lo, exec_lo, s2
	s_cbranch_vccnz .LBB364_32
; %bb.31:
	s_lshl_b64 s[2:3], s[12:13], 4
	s_add_u32 s2, s1, s2
	s_addc_u32 s3, s7, s3
	v_mov_b32_e32 v6, s3
	v_mov_b32_e32 v5, s2
	flat_load_dwordx4 v[5:8], v[5:6]
	s_waitcnt vmcnt(0) lgkmcnt(0)
	v_mul_f64 v[9:10], s[10:11], v[7:8]
	v_mul_f64 v[7:8], s[8:9], v[7:8]
	v_fma_f64 v[9:10], s[8:9], v[5:6], -v[9:10]
	v_fma_f64 v[5:6], s[10:11], v[5:6], v[7:8]
	v_add_f64 v[1:2], v[1:2], v[9:10]
	v_add_f64 v[3:4], v[3:4], v[5:6]
.LBB364_32:
	s_or_b32 s14, s14, exec_lo
.LBB364_33:
	s_or_b32 exec_lo, exec_lo, s0
.LBB364_34:
	s_and_saveexec_b32 s0, s14
	s_cbranch_execz .LBB364_3
; %bb.35:
	s_lshl_b64 s[2:3], s[12:13], 4
	s_add_u32 s0, s1, s2
	s_addc_u32 s1, s7, s3
	s_waitcnt lgkmcnt(0)
	v_mov_b32_e32 v6, s1
	v_mov_b32_e32 v5, s0
	flat_store_dwordx4 v[5:6], v[1:4]
	s_endpgm
	.section	.rodata,"a",@progbits
	.p2align	6, 0x0
	.amdhsa_kernel _ZL32rocblas_gemvt_warp_reduce_kernelILb0ELi1024EiPK19rocblas_complex_numIdES3_KPS1_EviiT3_lPKT2_lT1_lS9_lSA_lS6_lPT4_lSA_li
		.amdhsa_group_segment_fixed_size 512
		.amdhsa_private_segment_fixed_size 0
		.amdhsa_kernarg_size 140
		.amdhsa_user_sgpr_count 6
		.amdhsa_user_sgpr_private_segment_buffer 1
		.amdhsa_user_sgpr_dispatch_ptr 0
		.amdhsa_user_sgpr_queue_ptr 0
		.amdhsa_user_sgpr_kernarg_segment_ptr 1
		.amdhsa_user_sgpr_dispatch_id 0
		.amdhsa_user_sgpr_flat_scratch_init 0
		.amdhsa_user_sgpr_private_segment_size 0
		.amdhsa_wavefront_size32 1
		.amdhsa_uses_dynamic_stack 0
		.amdhsa_system_sgpr_private_segment_wavefront_offset 0
		.amdhsa_system_sgpr_workgroup_id_x 1
		.amdhsa_system_sgpr_workgroup_id_y 0
		.amdhsa_system_sgpr_workgroup_id_z 1
		.amdhsa_system_sgpr_workgroup_info 0
		.amdhsa_system_vgpr_workitem_id 0
		.amdhsa_next_free_vgpr 22
		.amdhsa_next_free_sgpr 32
		.amdhsa_reserve_vcc 1
		.amdhsa_reserve_flat_scratch 0
		.amdhsa_float_round_mode_32 0
		.amdhsa_float_round_mode_16_64 0
		.amdhsa_float_denorm_mode_32 3
		.amdhsa_float_denorm_mode_16_64 3
		.amdhsa_dx10_clamp 1
		.amdhsa_ieee_mode 1
		.amdhsa_fp16_overflow 0
		.amdhsa_workgroup_processor_mode 1
		.amdhsa_memory_ordered 1
		.amdhsa_forward_progress 1
		.amdhsa_shared_vgpr_count 0
		.amdhsa_exception_fp_ieee_invalid_op 0
		.amdhsa_exception_fp_denorm_src 0
		.amdhsa_exception_fp_ieee_div_zero 0
		.amdhsa_exception_fp_ieee_overflow 0
		.amdhsa_exception_fp_ieee_underflow 0
		.amdhsa_exception_fp_ieee_inexact 0
		.amdhsa_exception_int_div_zero 0
	.end_amdhsa_kernel
	.section	.text._ZL32rocblas_gemvt_warp_reduce_kernelILb0ELi1024EiPK19rocblas_complex_numIdES3_KPS1_EviiT3_lPKT2_lT1_lS9_lSA_lS6_lPT4_lSA_li,"axG",@progbits,_ZL32rocblas_gemvt_warp_reduce_kernelILb0ELi1024EiPK19rocblas_complex_numIdES3_KPS1_EviiT3_lPKT2_lT1_lS9_lSA_lS6_lPT4_lSA_li,comdat
.Lfunc_end364:
	.size	_ZL32rocblas_gemvt_warp_reduce_kernelILb0ELi1024EiPK19rocblas_complex_numIdES3_KPS1_EviiT3_lPKT2_lT1_lS9_lSA_lS6_lPT4_lSA_li, .Lfunc_end364-_ZL32rocblas_gemvt_warp_reduce_kernelILb0ELi1024EiPK19rocblas_complex_numIdES3_KPS1_EviiT3_lPKT2_lT1_lS9_lSA_lS6_lPT4_lSA_li
                                        ; -- End function
	.set _ZL32rocblas_gemvt_warp_reduce_kernelILb0ELi1024EiPK19rocblas_complex_numIdES3_KPS1_EviiT3_lPKT2_lT1_lS9_lSA_lS6_lPT4_lSA_li.num_vgpr, 22
	.set _ZL32rocblas_gemvt_warp_reduce_kernelILb0ELi1024EiPK19rocblas_complex_numIdES3_KPS1_EviiT3_lPKT2_lT1_lS9_lSA_lS6_lPT4_lSA_li.num_agpr, 0
	.set _ZL32rocblas_gemvt_warp_reduce_kernelILb0ELi1024EiPK19rocblas_complex_numIdES3_KPS1_EviiT3_lPKT2_lT1_lS9_lSA_lS6_lPT4_lSA_li.numbered_sgpr, 32
	.set _ZL32rocblas_gemvt_warp_reduce_kernelILb0ELi1024EiPK19rocblas_complex_numIdES3_KPS1_EviiT3_lPKT2_lT1_lS9_lSA_lS6_lPT4_lSA_li.num_named_barrier, 0
	.set _ZL32rocblas_gemvt_warp_reduce_kernelILb0ELi1024EiPK19rocblas_complex_numIdES3_KPS1_EviiT3_lPKT2_lT1_lS9_lSA_lS6_lPT4_lSA_li.private_seg_size, 0
	.set _ZL32rocblas_gemvt_warp_reduce_kernelILb0ELi1024EiPK19rocblas_complex_numIdES3_KPS1_EviiT3_lPKT2_lT1_lS9_lSA_lS6_lPT4_lSA_li.uses_vcc, 1
	.set _ZL32rocblas_gemvt_warp_reduce_kernelILb0ELi1024EiPK19rocblas_complex_numIdES3_KPS1_EviiT3_lPKT2_lT1_lS9_lSA_lS6_lPT4_lSA_li.uses_flat_scratch, 0
	.set _ZL32rocblas_gemvt_warp_reduce_kernelILb0ELi1024EiPK19rocblas_complex_numIdES3_KPS1_EviiT3_lPKT2_lT1_lS9_lSA_lS6_lPT4_lSA_li.has_dyn_sized_stack, 0
	.set _ZL32rocblas_gemvt_warp_reduce_kernelILb0ELi1024EiPK19rocblas_complex_numIdES3_KPS1_EviiT3_lPKT2_lT1_lS9_lSA_lS6_lPT4_lSA_li.has_recursion, 0
	.set _ZL32rocblas_gemvt_warp_reduce_kernelILb0ELi1024EiPK19rocblas_complex_numIdES3_KPS1_EviiT3_lPKT2_lT1_lS9_lSA_lS6_lPT4_lSA_li.has_indirect_call, 0
	.section	.AMDGPU.csdata,"",@progbits
; Kernel info:
; codeLenInByte = 2124
; TotalNumSgprs: 34
; NumVgprs: 22
; ScratchSize: 0
; MemoryBound: 0
; FloatMode: 240
; IeeeMode: 1
; LDSByteSize: 512 bytes/workgroup (compile time only)
; SGPRBlocks: 0
; VGPRBlocks: 2
; NumSGPRsForWavesPerEU: 34
; NumVGPRsForWavesPerEU: 22
; Occupancy: 16
; WaveLimiterHint : 1
; COMPUTE_PGM_RSRC2:SCRATCH_EN: 0
; COMPUTE_PGM_RSRC2:USER_SGPR: 6
; COMPUTE_PGM_RSRC2:TRAP_HANDLER: 0
; COMPUTE_PGM_RSRC2:TGID_X_EN: 1
; COMPUTE_PGM_RSRC2:TGID_Y_EN: 0
; COMPUTE_PGM_RSRC2:TGID_Z_EN: 1
; COMPUTE_PGM_RSRC2:TIDIG_COMP_CNT: 0
	.section	.text._ZL32rocblas_gemvt_warp_reduce_kernelILb0ELi1024ElPK19rocblas_complex_numIdES3_KPS1_EviiT3_lPKT2_lT1_lS9_lSA_lS6_lPT4_lSA_li,"axG",@progbits,_ZL32rocblas_gemvt_warp_reduce_kernelILb0ELi1024ElPK19rocblas_complex_numIdES3_KPS1_EviiT3_lPKT2_lT1_lS9_lSA_lS6_lPT4_lSA_li,comdat
	.globl	_ZL32rocblas_gemvt_warp_reduce_kernelILb0ELi1024ElPK19rocblas_complex_numIdES3_KPS1_EviiT3_lPKT2_lT1_lS9_lSA_lS6_lPT4_lSA_li ; -- Begin function _ZL32rocblas_gemvt_warp_reduce_kernelILb0ELi1024ElPK19rocblas_complex_numIdES3_KPS1_EviiT3_lPKT2_lT1_lS9_lSA_lS6_lPT4_lSA_li
	.p2align	8
	.type	_ZL32rocblas_gemvt_warp_reduce_kernelILb0ELi1024ElPK19rocblas_complex_numIdES3_KPS1_EviiT3_lPKT2_lT1_lS9_lSA_lS6_lPT4_lSA_li,@function
_ZL32rocblas_gemvt_warp_reduce_kernelILb0ELi1024ElPK19rocblas_complex_numIdES3_KPS1_EviiT3_lPKT2_lT1_lS9_lSA_lS6_lPT4_lSA_li: ; @_ZL32rocblas_gemvt_warp_reduce_kernelILb0ELi1024ElPK19rocblas_complex_numIdES3_KPS1_EviiT3_lPKT2_lT1_lS9_lSA_lS6_lPT4_lSA_li
; %bb.0:
	s_clause 0x1
	s_load_dwordx8 s[16:23], s[4:5], 0x8
	s_load_dwordx8 s[8:15], s[4:5], 0x58
	s_mov_b32 s30, s7
	s_mov_b32 s31, 0
	s_mov_b64 s[28:29], 0
	s_waitcnt lgkmcnt(0)
	s_mul_i32 s1, s19, s7
	s_mul_hi_u32 s2, s18, s7
	s_mul_i32 s0, s18, s7
	s_add_i32 s1, s2, s1
	s_lshl_b64 s[0:1], s[0:1], 4
	s_add_u32 s0, s16, s0
	s_addc_u32 s1, s17, s1
	s_load_dwordx4 s[16:19], s[0:1], 0x0
	s_mul_i32 s0, s11, s7
	s_mul_hi_u32 s1, s10, s7
	s_add_i32 s1, s1, s0
	s_mul_i32 s0, s10, s7
	s_lshl_b64 s[0:1], s[0:1], 4
	s_add_u32 s0, s8, s0
	s_addc_u32 s1, s9, s1
	s_load_dwordx2 s[26:27], s[4:5], 0x28
	s_load_dwordx4 s[8:11], s[0:1], 0x0
	s_mov_b32 s1, -1
	s_mov_b32 s0, s31
	s_waitcnt lgkmcnt(0)
	v_cmp_neq_f64_e64 s2, s[16:17], 0
	v_cmp_neq_f64_e64 s3, s[18:19], 0
	s_or_b32 s7, s2, s3
	s_and_b32 vcc_lo, exec_lo, s7
	s_cbranch_vccz .LBB365_4
; %bb.1:
	s_andn2_b32 vcc_lo, exec_lo, s1
	s_cbranch_vccz .LBB365_5
.LBB365_2:
	s_andn2_b32 vcc_lo, exec_lo, s0
	s_cbranch_vccz .LBB365_6
.LBB365_3:
	s_endpgm
.LBB365_4:
	v_cmp_neq_f64_e64 s0, s[8:9], 1.0
	v_cmp_neq_f64_e64 s1, s[10:11], 0
	s_or_b32 s0, s0, s1
	s_cbranch_execnz .LBB365_2
.LBB365_5:
	s_lshl_b64 s[0:1], s[30:31], 3
	s_add_u32 s0, s20, s0
	s_addc_u32 s1, s21, s1
	s_lshl_b64 s[2:3], s[22:23], 4
	s_load_dwordx2 s[0:1], s[0:1], 0x0
	s_waitcnt lgkmcnt(0)
	s_add_u32 s28, s0, s2
	s_addc_u32 s29, s1, s3
.LBB365_6:
	s_clause 0x2
	s_load_dwordx2 s[20:21], s[4:5], 0x78
	s_load_dwordx4 s[0:3], s[4:5], 0x38
	s_load_dwordx2 s[22:23], s[4:5], 0x48
	v_cndmask_b32_e64 v1, 0, 1, s7
	s_xor_b32 s33, s7, -1
	s_mov_b64 s[24:25], 0
	v_cmp_ne_u32_e32 vcc_lo, 1, v1
	s_cbranch_vccnz .LBB365_8
; %bb.7:
	s_lshl_b64 s[24:25], s[30:31], 3
	s_waitcnt lgkmcnt(0)
	s_add_u32 s0, s0, s24
	s_addc_u32 s1, s1, s25
	s_lshl_b64 s[2:3], s[2:3], 4
	s_load_dwordx2 s[0:1], s[0:1], 0x0
	s_waitcnt lgkmcnt(0)
	s_add_u32 s24, s0, s2
	s_addc_u32 s25, s1, s3
.LBB365_8:
	s_waitcnt lgkmcnt(0)
	s_lshl_b64 s[0:1], s[30:31], 3
	s_add_u32 s0, s12, s0
	s_addc_u32 s1, s13, s1
	s_lshl_b64 s[12:13], s[14:15], 4
	s_load_dwordx2 s[2:3], s[0:1], 0x0
	v_cmp_eq_u32_e64 s0, 0, v0
	s_waitcnt lgkmcnt(0)
	s_add_u32 s1, s2, s12
	s_addc_u32 s7, s3, s13
	s_andn2_b32 vcc_lo, exec_lo, s33
	s_cbranch_vccnz .LBB365_13
; %bb.9:
	s_mov_b32 s13, 0
	s_mov_b32 s12, 0
                                        ; implicit-def: $vgpr3_vgpr4
                                        ; implicit-def: $sgpr2_sgpr3
	s_and_saveexec_b32 s14, s0
	s_cbranch_execz .LBB365_14
; %bb.10:
	v_cmp_neq_f64_e64 s0, s[8:9], 0
	v_cmp_neq_f64_e64 s2, s[10:11], 0
	s_ashr_i32 s3, s6, 31
	v_mov_b32_e32 v3, 0
	s_mul_i32 s3, s20, s3
	v_mov_b32_e32 v1, 0
	v_mov_b32_e32 v4, 0
	;; [unrolled: 1-line block ×3, first 2 shown]
	s_or_b32 s0, s0, s2
	s_mul_hi_u32 s2, s20, s6
	s_andn2_b32 vcc_lo, exec_lo, s0
	s_add_i32 s2, s2, s3
	s_mul_i32 s3, s21, s6
	s_add_i32 s3, s2, s3
	s_mul_i32 s2, s20, s6
	s_cbranch_vccnz .LBB365_12
; %bb.11:
	s_lshl_b64 s[30:31], s[2:3], 4
	s_add_u32 s30, s1, s30
	s_addc_u32 s31, s7, s31
	v_mov_b32_e32 v1, s30
	v_mov_b32_e32 v2, s31
	flat_load_dwordx4 v[3:6], v[1:2]
	s_waitcnt vmcnt(0) lgkmcnt(0)
	v_mul_f64 v[1:2], s[10:11], v[5:6]
	v_mul_f64 v[5:6], s[8:9], v[5:6]
	v_fma_f64 v[1:2], s[8:9], v[3:4], -v[1:2]
	v_fma_f64 v[3:4], s[10:11], v[3:4], v[5:6]
.LBB365_12:
	s_mov_b32 s12, exec_lo
	s_or_b32 exec_lo, exec_lo, s14
	s_and_b32 vcc_lo, exec_lo, s13
	s_cbranch_vccnz .LBB365_15
	s_branch .LBB365_34
.LBB365_13:
	s_mov_b32 s12, 0
                                        ; implicit-def: $vgpr3_vgpr4
                                        ; implicit-def: $sgpr2_sgpr3
	s_cbranch_execnz .LBB365_15
	s_branch .LBB365_34
.LBB365_14:
	s_or_b32 exec_lo, exec_lo, s14
	s_and_b32 vcc_lo, exec_lo, s13
	s_cbranch_vccz .LBB365_34
.LBB365_15:
	s_load_dword s3, s[4:5], 0x0
	s_ashr_i32 s13, s6, 31
	s_mul_hi_u32 s0, s26, s6
	s_mul_i32 s5, s26, s13
	s_mul_i32 s2, s27, s6
	s_add_i32 s0, s0, s5
	s_mul_i32 s4, s26, s6
	s_add_i32 s5, s0, s2
	v_mov_b32_e32 v1, 0
	s_lshl_b64 s[4:5], s[4:5], 4
	v_mov_b32_e32 v3, 0
	v_mov_b32_e32 v2, 0
	;; [unrolled: 1-line block ×3, first 2 shown]
	s_mov_b32 s15, 0
	s_mov_b32 s14, exec_lo
	s_waitcnt lgkmcnt(0)
	v_cmp_gt_i32_e32 vcc_lo, s3, v0
	s_ashr_i32 s0, s3, 31
	s_lshr_b32 s0, s0, 22
	s_add_i32 s0, s3, s0
	v_cndmask_b32_e32 v5, 0, v0, vcc_lo
	v_lshlrev_b32_e32 v5, 4, v5
	v_add_co_u32 v5, s2, s28, v5
	v_add_co_ci_u32_e64 v6, null, s29, 0, s2
	s_and_b32 s2, s0, 0xfffffc00
	v_add_co_u32 v5, vcc_lo, v5, s4
	v_add_co_ci_u32_e64 v6, null, s5, v6, vcc_lo
	v_cmpx_gt_i32_e64 s2, v0
	s_cbranch_execz .LBB365_19
; %bb.16:
	v_mad_u64_u32 v[1:2], null, s22, v0, 0
	v_mov_b32_e32 v8, v6
	v_mov_b32_e32 v7, v5
	;; [unrolled: 1-line block ×3, first 2 shown]
	s_lshl_b64 s[4:5], s[22:23], 14
	v_mad_u64_u32 v[2:3], null, s23, v0, v[2:3]
	v_mov_b32_e32 v3, 0
	v_mov_b32_e32 v4, 0
	v_lshlrev_b64 v[9:10], 4, v[1:2]
	v_mov_b32_e32 v1, 0
	v_mov_b32_e32 v2, 0
	v_add_co_u32 v9, vcc_lo, s24, v9
	v_add_co_ci_u32_e64 v10, null, s25, v10, vcc_lo
	.p2align	6
.LBB365_17:                             ; =>This Inner Loop Header: Depth=1
	flat_load_dwordx4 v[12:15], v[7:8]
	flat_load_dwordx4 v[16:19], v[9:10]
	v_add_nc_u32_e32 v11, 0x400, v11
	v_add_co_u32 v7, vcc_lo, 0x4000, v7
	v_add_co_ci_u32_e64 v8, null, 0, v8, vcc_lo
	v_cmp_le_i32_e32 vcc_lo, s2, v11
	v_add_co_u32 v9, s0, v9, s4
	v_add_co_ci_u32_e64 v10, null, s5, v10, s0
	s_or_b32 s15, vcc_lo, s15
	s_waitcnt vmcnt(0) lgkmcnt(0)
	v_mul_f64 v[20:21], v[14:15], v[18:19]
	v_mul_f64 v[18:19], v[12:13], v[18:19]
	v_fma_f64 v[12:13], v[12:13], v[16:17], -v[20:21]
	v_fma_f64 v[14:15], v[14:15], v[16:17], v[18:19]
	v_add_f64 v[3:4], v[3:4], v[12:13]
	v_add_f64 v[1:2], v[1:2], v[14:15]
	s_andn2_b32 exec_lo, exec_lo, s15
	s_cbranch_execnz .LBB365_17
; %bb.18:
	s_or_b32 exec_lo, exec_lo, s15
.LBB365_19:
	s_or_b32 exec_lo, exec_lo, s14
	v_or_b32_e32 v7, s2, v0
	s_mov_b32 s0, exec_lo
	v_cmpx_gt_i32_e64 s3, v7
	s_cbranch_execz .LBB365_21
; %bb.20:
	v_ashrrev_i32_e32 v9, 31, v7
	v_mul_lo_u32 v10, s23, v7
	v_mad_u64_u32 v[7:8], null, s22, v7, 0
	s_ashr_i32 s3, s2, 31
	v_mul_lo_u32 v9, s22, v9
	s_lshl_b64 s[2:3], s[2:3], 4
	v_add_co_u32 v5, vcc_lo, v5, s2
	v_add_co_ci_u32_e64 v6, null, s3, v6, vcc_lo
	v_add3_u32 v8, v8, v9, v10
	v_lshlrev_b64 v[7:8], 4, v[7:8]
	v_add_co_u32 v9, vcc_lo, s24, v7
	v_add_co_ci_u32_e64 v10, null, s25, v8, vcc_lo
	flat_load_dwordx4 v[5:8], v[5:6]
	flat_load_dwordx4 v[9:12], v[9:10]
	s_waitcnt vmcnt(0) lgkmcnt(0)
	v_mul_f64 v[13:14], v[7:8], v[11:12]
	v_mul_f64 v[11:12], v[5:6], v[11:12]
	v_fma_f64 v[5:6], v[5:6], v[9:10], -v[13:14]
	v_fma_f64 v[7:8], v[7:8], v[9:10], v[11:12]
	v_add_f64 v[3:4], v[3:4], v[5:6]
	v_add_f64 v[1:2], v[1:2], v[7:8]
.LBB365_21:
	s_or_b32 exec_lo, exec_lo, s0
	v_and_b32_e32 v15, 31, v0
	v_cmp_gt_u32_e32 vcc_lo, 32, v0
	v_lshlrev_b32_e32 v12, 4, v15
	s_and_saveexec_b32 s0, vcc_lo
	s_cbranch_execz .LBB365_23
; %bb.22:
	v_mov_b32_e32 v5, 0
	v_mov_b32_e32 v6, v5
	;; [unrolled: 1-line block ×4, first 2 shown]
	ds_write_b128 v12, v[5:8]
.LBB365_23:
	s_or_b32 exec_lo, exec_lo, s0
	v_mbcnt_lo_u32_b32 v14, -1, 0
	s_mov_b32 s2, exec_lo
	s_waitcnt lgkmcnt(0)
	s_barrier
	buffer_gl0_inv
	v_lshl_or_b32 v9, v14, 2, 64
	v_cmp_gt_u32_e64 s0, 24, v14
	ds_bpermute_b32 v5, v9, v3
	ds_bpermute_b32 v6, v9, v4
	ds_bpermute_b32 v7, v9, v1
	ds_bpermute_b32 v8, v9, v2
	s_waitcnt lgkmcnt(2)
	v_add_f64 v[3:4], v[3:4], v[5:6]
	v_cndmask_b32_e64 v5, 0, 8, s0
	s_waitcnt lgkmcnt(0)
	v_add_f64 v[1:2], v[1:2], v[7:8]
	v_cmp_gt_u32_e64 s0, 28, v14
	v_add_lshl_u32 v10, v5, v14, 2
	ds_bpermute_b32 v5, v10, v3
	ds_bpermute_b32 v6, v10, v4
	;; [unrolled: 1-line block ×4, first 2 shown]
	s_waitcnt lgkmcnt(2)
	v_add_f64 v[3:4], v[3:4], v[5:6]
	v_cndmask_b32_e64 v5, 0, 4, s0
	s_waitcnt lgkmcnt(0)
	v_add_f64 v[1:2], v[1:2], v[7:8]
	v_cmp_gt_u32_e64 s0, 30, v14
	v_add_lshl_u32 v11, v5, v14, 2
	ds_bpermute_b32 v5, v11, v3
	ds_bpermute_b32 v6, v11, v4
	ds_bpermute_b32 v7, v11, v1
	ds_bpermute_b32 v8, v11, v2
	s_waitcnt lgkmcnt(2)
	v_add_f64 v[3:4], v[3:4], v[5:6]
	s_waitcnt lgkmcnt(0)
	v_add_f64 v[5:6], v[1:2], v[7:8]
	v_cndmask_b32_e64 v1, 0, 2, s0
	v_cmp_ne_u32_e64 s0, 31, v14
	v_add_lshl_u32 v13, v1, v14, 2
	ds_bpermute_b32 v1, v13, v3
	ds_bpermute_b32 v2, v13, v4
	;; [unrolled: 1-line block ×4, first 2 shown]
	s_waitcnt lgkmcnt(2)
	v_add_f64 v[1:2], v[3:4], v[1:2]
	s_waitcnt lgkmcnt(0)
	v_add_f64 v[3:4], v[5:6], v[7:8]
	v_add_co_ci_u32_e64 v5, null, 0, v14, s0
	v_lshlrev_b32_e32 v14, 2, v5
	ds_bpermute_b32 v5, v14, v1
	ds_bpermute_b32 v6, v14, v2
	;; [unrolled: 1-line block ×4, first 2 shown]
	v_cmpx_eq_u32_e32 0, v15
	s_cbranch_execz .LBB365_25
; %bb.24:
	s_waitcnt lgkmcnt(0)
	v_add_f64 v[3:4], v[3:4], v[7:8]
	v_add_f64 v[1:2], v[1:2], v[5:6]
	v_lshrrev_b32_e32 v5, 1, v0
	v_and_b32_e32 v5, 0x1f0, v5
	ds_write_b128 v5, v[1:4]
.LBB365_25:
	s_or_b32 exec_lo, exec_lo, s2
	s_waitcnt lgkmcnt(0)
	v_mov_b32_e32 v7, 0
	v_mov_b32_e32 v5, 0
	;; [unrolled: 1-line block ×4, first 2 shown]
	s_barrier
	buffer_gl0_inv
	s_and_saveexec_b32 s0, vcc_lo
; %bb.26:
	ds_read_b128 v[5:8], v12
; %bb.27:
	s_or_b32 exec_lo, exec_lo, s0
	s_and_saveexec_b32 s0, vcc_lo
	s_cbranch_execz .LBB365_29
; %bb.28:
	s_waitcnt lgkmcnt(0)
	ds_bpermute_b32 v1, v9, v5
	ds_bpermute_b32 v2, v9, v6
	ds_bpermute_b32 v3, v9, v7
	ds_bpermute_b32 v4, v9, v8
	s_waitcnt lgkmcnt(2)
	v_add_f64 v[1:2], v[5:6], v[1:2]
	s_waitcnt lgkmcnt(0)
	v_add_f64 v[3:4], v[7:8], v[3:4]
	ds_bpermute_b32 v5, v10, v1
	ds_bpermute_b32 v6, v10, v2
	ds_bpermute_b32 v7, v10, v3
	ds_bpermute_b32 v8, v10, v4
	s_waitcnt lgkmcnt(2)
	v_add_f64 v[1:2], v[1:2], v[5:6]
	s_waitcnt lgkmcnt(0)
	v_add_f64 v[3:4], v[3:4], v[7:8]
	;; [unrolled: 8-line block ×5, first 2 shown]
.LBB365_29:
	s_or_b32 exec_lo, exec_lo, s0
	s_mov_b32 s0, exec_lo
                                        ; implicit-def: $vgpr3_vgpr4
                                        ; implicit-def: $sgpr2_sgpr3
	v_cmpx_eq_u32_e32 0, v0
	s_cbranch_execz .LBB365_33
; %bb.30:
	s_waitcnt lgkmcnt(0)
	v_mul_f64 v[0:1], s[18:19], v[7:8]
	v_mul_f64 v[3:4], s[16:17], v[7:8]
	v_cmp_neq_f64_e64 s2, s[8:9], 0
	v_cmp_neq_f64_e64 s3, s[10:11], 0
	s_mul_hi_u32 s4, s20, s6
	v_fma_f64 v[1:2], s[16:17], v[5:6], -v[0:1]
	v_fma_f64 v[3:4], s[18:19], v[5:6], v[3:4]
	s_or_b32 s2, s2, s3
	s_mul_i32 s3, s20, s13
	s_andn2_b32 vcc_lo, exec_lo, s2
	s_add_i32 s3, s4, s3
	s_mul_i32 s4, s21, s6
	s_mul_i32 s2, s20, s6
	s_add_i32 s3, s3, s4
	s_cbranch_vccnz .LBB365_32
; %bb.31:
	s_lshl_b64 s[4:5], s[2:3], 4
	s_add_u32 s4, s1, s4
	s_addc_u32 s5, s7, s5
	v_mov_b32_e32 v6, s5
	v_mov_b32_e32 v5, s4
	flat_load_dwordx4 v[5:8], v[5:6]
	s_waitcnt vmcnt(0) lgkmcnt(0)
	v_mul_f64 v[9:10], s[10:11], v[7:8]
	v_mul_f64 v[7:8], s[8:9], v[7:8]
	v_fma_f64 v[9:10], s[8:9], v[5:6], -v[9:10]
	v_fma_f64 v[5:6], s[10:11], v[5:6], v[7:8]
	v_add_f64 v[1:2], v[1:2], v[9:10]
	v_add_f64 v[3:4], v[3:4], v[5:6]
.LBB365_32:
	s_or_b32 s12, s12, exec_lo
.LBB365_33:
	s_or_b32 exec_lo, exec_lo, s0
.LBB365_34:
	s_and_saveexec_b32 s0, s12
	s_cbranch_execz .LBB365_3
; %bb.35:
	s_lshl_b64 s[2:3], s[2:3], 4
	s_add_u32 s0, s1, s2
	s_addc_u32 s1, s7, s3
	s_waitcnt lgkmcnt(0)
	v_mov_b32_e32 v6, s1
	v_mov_b32_e32 v5, s0
	flat_store_dwordx4 v[5:6], v[1:4]
	s_endpgm
	.section	.rodata,"a",@progbits
	.p2align	6, 0x0
	.amdhsa_kernel _ZL32rocblas_gemvt_warp_reduce_kernelILb0ELi1024ElPK19rocblas_complex_numIdES3_KPS1_EviiT3_lPKT2_lT1_lS9_lSA_lS6_lPT4_lSA_li
		.amdhsa_group_segment_fixed_size 512
		.amdhsa_private_segment_fixed_size 0
		.amdhsa_kernarg_size 140
		.amdhsa_user_sgpr_count 6
		.amdhsa_user_sgpr_private_segment_buffer 1
		.amdhsa_user_sgpr_dispatch_ptr 0
		.amdhsa_user_sgpr_queue_ptr 0
		.amdhsa_user_sgpr_kernarg_segment_ptr 1
		.amdhsa_user_sgpr_dispatch_id 0
		.amdhsa_user_sgpr_flat_scratch_init 0
		.amdhsa_user_sgpr_private_segment_size 0
		.amdhsa_wavefront_size32 1
		.amdhsa_uses_dynamic_stack 0
		.amdhsa_system_sgpr_private_segment_wavefront_offset 0
		.amdhsa_system_sgpr_workgroup_id_x 1
		.amdhsa_system_sgpr_workgroup_id_y 0
		.amdhsa_system_sgpr_workgroup_id_z 1
		.amdhsa_system_sgpr_workgroup_info 0
		.amdhsa_system_vgpr_workitem_id 0
		.amdhsa_next_free_vgpr 22
		.amdhsa_next_free_sgpr 34
		.amdhsa_reserve_vcc 1
		.amdhsa_reserve_flat_scratch 0
		.amdhsa_float_round_mode_32 0
		.amdhsa_float_round_mode_16_64 0
		.amdhsa_float_denorm_mode_32 3
		.amdhsa_float_denorm_mode_16_64 3
		.amdhsa_dx10_clamp 1
		.amdhsa_ieee_mode 1
		.amdhsa_fp16_overflow 0
		.amdhsa_workgroup_processor_mode 1
		.amdhsa_memory_ordered 1
		.amdhsa_forward_progress 1
		.amdhsa_shared_vgpr_count 0
		.amdhsa_exception_fp_ieee_invalid_op 0
		.amdhsa_exception_fp_denorm_src 0
		.amdhsa_exception_fp_ieee_div_zero 0
		.amdhsa_exception_fp_ieee_overflow 0
		.amdhsa_exception_fp_ieee_underflow 0
		.amdhsa_exception_fp_ieee_inexact 0
		.amdhsa_exception_int_div_zero 0
	.end_amdhsa_kernel
	.section	.text._ZL32rocblas_gemvt_warp_reduce_kernelILb0ELi1024ElPK19rocblas_complex_numIdES3_KPS1_EviiT3_lPKT2_lT1_lS9_lSA_lS6_lPT4_lSA_li,"axG",@progbits,_ZL32rocblas_gemvt_warp_reduce_kernelILb0ELi1024ElPK19rocblas_complex_numIdES3_KPS1_EviiT3_lPKT2_lT1_lS9_lSA_lS6_lPT4_lSA_li,comdat
.Lfunc_end365:
	.size	_ZL32rocblas_gemvt_warp_reduce_kernelILb0ELi1024ElPK19rocblas_complex_numIdES3_KPS1_EviiT3_lPKT2_lT1_lS9_lSA_lS6_lPT4_lSA_li, .Lfunc_end365-_ZL32rocblas_gemvt_warp_reduce_kernelILb0ELi1024ElPK19rocblas_complex_numIdES3_KPS1_EviiT3_lPKT2_lT1_lS9_lSA_lS6_lPT4_lSA_li
                                        ; -- End function
	.set _ZL32rocblas_gemvt_warp_reduce_kernelILb0ELi1024ElPK19rocblas_complex_numIdES3_KPS1_EviiT3_lPKT2_lT1_lS9_lSA_lS6_lPT4_lSA_li.num_vgpr, 22
	.set _ZL32rocblas_gemvt_warp_reduce_kernelILb0ELi1024ElPK19rocblas_complex_numIdES3_KPS1_EviiT3_lPKT2_lT1_lS9_lSA_lS6_lPT4_lSA_li.num_agpr, 0
	.set _ZL32rocblas_gemvt_warp_reduce_kernelILb0ELi1024ElPK19rocblas_complex_numIdES3_KPS1_EviiT3_lPKT2_lT1_lS9_lSA_lS6_lPT4_lSA_li.numbered_sgpr, 34
	.set _ZL32rocblas_gemvt_warp_reduce_kernelILb0ELi1024ElPK19rocblas_complex_numIdES3_KPS1_EviiT3_lPKT2_lT1_lS9_lSA_lS6_lPT4_lSA_li.num_named_barrier, 0
	.set _ZL32rocblas_gemvt_warp_reduce_kernelILb0ELi1024ElPK19rocblas_complex_numIdES3_KPS1_EviiT3_lPKT2_lT1_lS9_lSA_lS6_lPT4_lSA_li.private_seg_size, 0
	.set _ZL32rocblas_gemvt_warp_reduce_kernelILb0ELi1024ElPK19rocblas_complex_numIdES3_KPS1_EviiT3_lPKT2_lT1_lS9_lSA_lS6_lPT4_lSA_li.uses_vcc, 1
	.set _ZL32rocblas_gemvt_warp_reduce_kernelILb0ELi1024ElPK19rocblas_complex_numIdES3_KPS1_EviiT3_lPKT2_lT1_lS9_lSA_lS6_lPT4_lSA_li.uses_flat_scratch, 0
	.set _ZL32rocblas_gemvt_warp_reduce_kernelILb0ELi1024ElPK19rocblas_complex_numIdES3_KPS1_EviiT3_lPKT2_lT1_lS9_lSA_lS6_lPT4_lSA_li.has_dyn_sized_stack, 0
	.set _ZL32rocblas_gemvt_warp_reduce_kernelILb0ELi1024ElPK19rocblas_complex_numIdES3_KPS1_EviiT3_lPKT2_lT1_lS9_lSA_lS6_lPT4_lSA_li.has_recursion, 0
	.set _ZL32rocblas_gemvt_warp_reduce_kernelILb0ELi1024ElPK19rocblas_complex_numIdES3_KPS1_EviiT3_lPKT2_lT1_lS9_lSA_lS6_lPT4_lSA_li.has_indirect_call, 0
	.section	.AMDGPU.csdata,"",@progbits
; Kernel info:
; codeLenInByte = 2204
; TotalNumSgprs: 36
; NumVgprs: 22
; ScratchSize: 0
; MemoryBound: 0
; FloatMode: 240
; IeeeMode: 1
; LDSByteSize: 512 bytes/workgroup (compile time only)
; SGPRBlocks: 0
; VGPRBlocks: 2
; NumSGPRsForWavesPerEU: 36
; NumVGPRsForWavesPerEU: 22
; Occupancy: 16
; WaveLimiterHint : 1
; COMPUTE_PGM_RSRC2:SCRATCH_EN: 0
; COMPUTE_PGM_RSRC2:USER_SGPR: 6
; COMPUTE_PGM_RSRC2:TRAP_HANDLER: 0
; COMPUTE_PGM_RSRC2:TGID_X_EN: 1
; COMPUTE_PGM_RSRC2:TGID_Y_EN: 0
; COMPUTE_PGM_RSRC2:TGID_Z_EN: 1
; COMPUTE_PGM_RSRC2:TIDIG_COMP_CNT: 0
	.section	.text._ZL32rocblas_gemvt_warp_reduce_kernelILb0ELi1024EiPK19rocblas_complex_numIdES1_KPS1_EviiT3_lPKT2_lT1_lS9_lSA_lS6_lPT4_lSA_li,"axG",@progbits,_ZL32rocblas_gemvt_warp_reduce_kernelILb0ELi1024EiPK19rocblas_complex_numIdES1_KPS1_EviiT3_lPKT2_lT1_lS9_lSA_lS6_lPT4_lSA_li,comdat
	.globl	_ZL32rocblas_gemvt_warp_reduce_kernelILb0ELi1024EiPK19rocblas_complex_numIdES1_KPS1_EviiT3_lPKT2_lT1_lS9_lSA_lS6_lPT4_lSA_li ; -- Begin function _ZL32rocblas_gemvt_warp_reduce_kernelILb0ELi1024EiPK19rocblas_complex_numIdES1_KPS1_EviiT3_lPKT2_lT1_lS9_lSA_lS6_lPT4_lSA_li
	.p2align	8
	.type	_ZL32rocblas_gemvt_warp_reduce_kernelILb0ELi1024EiPK19rocblas_complex_numIdES1_KPS1_EviiT3_lPKT2_lT1_lS9_lSA_lS6_lPT4_lSA_li,@function
_ZL32rocblas_gemvt_warp_reduce_kernelILb0ELi1024EiPK19rocblas_complex_numIdES1_KPS1_EviiT3_lPKT2_lT1_lS9_lSA_lS6_lPT4_lSA_li: ; @_ZL32rocblas_gemvt_warp_reduce_kernelILb0ELi1024EiPK19rocblas_complex_numIdES1_KPS1_EviiT3_lPKT2_lT1_lS9_lSA_lS6_lPT4_lSA_li
; %bb.0:
	s_clause 0x1
	s_load_dwordx4 s[12:15], s[4:5], 0x8
	s_load_dwordx4 s[8:11], s[4:5], 0x60
	s_mov_b32 s2, s7
	s_mov_b32 s3, 0
	s_mov_b64 s[16:17], 0
	s_mov_b32 s18, -1
	s_mov_b32 s19, s3
	s_waitcnt lgkmcnt(0)
	v_cmp_neq_f64_e64 s0, s[12:13], 0
	v_cmp_neq_f64_e64 s1, s[14:15], 0
	s_or_b32 s7, s0, s1
	s_mov_b64 s[0:1], s[2:3]
	s_and_b32 vcc_lo, exec_lo, s7
	s_cbranch_vccnz .LBB366_3
; %bb.1:
	v_cmp_eq_f64_e64 s0, s[8:9], 1.0
	v_cmp_eq_f64_e64 s1, s[10:11], 0
	s_mov_b32 s18, 0
	s_mov_b32 s19, 0
	s_and_b32 s0, s0, s1
	s_andn2_b32 vcc_lo, exec_lo, s0
                                        ; implicit-def: $sgpr0_sgpr1
	s_cbranch_vccz .LBB366_3
; %bb.2:
	s_mov_b32 s1, 0
	s_mov_b32 s0, s2
	s_mov_b32 s19, -1
.LBB366_3:
	s_and_b32 vcc_lo, exec_lo, s18
	s_cbranch_vccz .LBB366_5
; %bb.4:
	s_load_dwordx4 s[16:19], s[4:5], 0x20
	s_lshl_b64 s[2:3], s[2:3], 3
	s_waitcnt lgkmcnt(0)
	s_add_u32 s2, s16, s2
	s_addc_u32 s3, s17, s3
	s_lshl_b64 s[16:17], s[18:19], 4
	s_load_dwordx2 s[2:3], s[2:3], 0x0
	s_mov_b32 s19, -1
	s_waitcnt lgkmcnt(0)
	s_add_u32 s16, s2, s16
	s_addc_u32 s17, s3, s17
.LBB366_5:
	s_andn2_b32 vcc_lo, exec_lo, s19
	s_cbranch_vccnz .LBB366_36
; %bb.6:
	v_cndmask_b32_e64 v1, 0, 1, s7
	s_xor_b32 s18, s7, -1
	s_mov_b64 s[2:3], 0
	v_cmp_ne_u32_e32 vcc_lo, 1, v1
	s_cbranch_vccnz .LBB366_8
; %bb.7:
	s_load_dwordx4 s[20:23], s[4:5], 0x40
	s_lshl_b64 s[2:3], s[0:1], 3
	s_waitcnt lgkmcnt(0)
	s_add_u32 s2, s20, s2
	s_addc_u32 s3, s21, s3
	s_lshl_b64 s[20:21], s[22:23], 4
	s_load_dwordx2 s[2:3], s[2:3], 0x0
	s_waitcnt lgkmcnt(0)
	s_add_u32 s2, s2, s20
	s_addc_u32 s3, s3, s21
.LBB366_8:
	s_clause 0x1
	s_load_dwordx4 s[24:27], s[4:5], 0x78
	s_load_dword s20, s[4:5], 0x88
	s_lshl_b64 s[0:1], s[0:1], 3
	s_waitcnt lgkmcnt(0)
	s_add_u32 s0, s24, s0
	s_addc_u32 s1, s25, s1
	s_lshl_b64 s[24:25], s[26:27], 4
	s_load_dwordx2 s[22:23], s[0:1], 0x0
	v_cmp_eq_u32_e64 s0, 0, v0
	s_waitcnt lgkmcnt(0)
	s_add_u32 s1, s22, s24
	s_addc_u32 s7, s23, s25
	s_andn2_b32 vcc_lo, exec_lo, s18
	s_cbranch_vccnz .LBB366_13
; %bb.9:
	s_mov_b32 s22, 0
	s_mov_b32 s21, 0
                                        ; implicit-def: $vgpr3_vgpr4
                                        ; implicit-def: $sgpr18_sgpr19
	s_and_saveexec_b32 s23, s0
	s_cbranch_execz .LBB366_14
; %bb.10:
	v_cmp_neq_f64_e64 s0, s[8:9], 0
	v_cmp_neq_f64_e64 s18, s[10:11], 0
	v_mov_b32_e32 v3, 0
	v_mov_b32_e32 v1, 0
	;; [unrolled: 1-line block ×4, first 2 shown]
	s_or_b32 s0, s0, s18
	s_mul_i32 s18, s20, s6
	s_andn2_b32 vcc_lo, exec_lo, s0
	s_ashr_i32 s19, s18, 31
	s_cbranch_vccnz .LBB366_12
; %bb.11:
	s_lshl_b64 s[24:25], s[18:19], 4
	s_add_u32 s24, s1, s24
	s_addc_u32 s25, s7, s25
	v_mov_b32_e32 v1, s24
	v_mov_b32_e32 v2, s25
	flat_load_dwordx4 v[3:6], v[1:2]
	s_waitcnt vmcnt(0) lgkmcnt(0)
	v_mul_f64 v[1:2], s[10:11], v[5:6]
	v_mul_f64 v[5:6], s[8:9], v[5:6]
	v_fma_f64 v[1:2], s[8:9], v[3:4], -v[1:2]
	v_fma_f64 v[3:4], s[10:11], v[3:4], v[5:6]
.LBB366_12:
	s_mov_b32 s21, exec_lo
	s_or_b32 exec_lo, exec_lo, s23
	s_and_b32 vcc_lo, exec_lo, s22
	s_cbranch_vccnz .LBB366_15
	s_branch .LBB366_34
.LBB366_13:
	s_mov_b32 s21, 0
                                        ; implicit-def: $vgpr3_vgpr4
                                        ; implicit-def: $sgpr18_sgpr19
	s_cbranch_execnz .LBB366_15
	s_branch .LBB366_34
.LBB366_14:
	s_or_b32 exec_lo, exec_lo, s23
	s_and_b32 vcc_lo, exec_lo, s22
	s_cbranch_vccz .LBB366_34
.LBB366_15:
	s_clause 0x2
	s_load_dword s18, s[4:5], 0x0
	s_load_dword s0, s[4:5], 0x30
	;; [unrolled: 1-line block ×3, first 2 shown]
	v_mov_b32_e32 v1, 0
	v_mov_b32_e32 v3, 0
	;; [unrolled: 1-line block ×4, first 2 shown]
	s_waitcnt lgkmcnt(0)
	v_cmp_gt_i32_e32 vcc_lo, s18, v0
	s_mul_i32 s22, s0, s6
	s_ashr_i32 s0, s18, 31
	s_ashr_i32 s23, s22, 31
	s_lshr_b32 s0, s0, 22
	v_cndmask_b32_e32 v5, 0, v0, vcc_lo
	s_lshl_b64 s[22:23], s[22:23], 4
	s_add_i32 s0, s18, s0
	v_lshlrev_b32_e32 v5, 4, v5
	v_add_co_u32 v5, s4, s16, v5
	v_add_co_ci_u32_e64 v6, null, s17, 0, s4
	s_and_b32 s4, s0, 0xfffffc00
	v_add_co_u32 v5, vcc_lo, v5, s22
	v_add_co_ci_u32_e64 v6, null, s23, v6, vcc_lo
	s_mov_b32 s17, 0
	s_mov_b32 s16, exec_lo
	v_cmpx_gt_i32_e64 s4, v0
	s_cbranch_execz .LBB366_19
; %bb.16:
	v_mul_lo_u32 v7, v0, s5
	v_mov_b32_e32 v1, 0
	v_mov_b32_e32 v10, v6
	;; [unrolled: 1-line block ×7, first 2 shown]
	s_lshl_b32 s19, s5, 10
	s_inst_prefetch 0x1
	.p2align	6
.LBB366_17:                             ; =>This Inner Loop Header: Depth=1
	v_ashrrev_i32_e32 v8, 31, v7
	v_add_nc_u32_e32 v11, 0x400, v11
	v_lshlrev_b64 v[12:13], 4, v[7:8]
	v_cmp_le_i32_e64 s0, s4, v11
	v_add_nc_u32_e32 v7, s19, v7
	s_or_b32 s17, s0, s17
	v_add_co_u32 v16, vcc_lo, s2, v12
	v_add_co_ci_u32_e64 v17, null, s3, v13, vcc_lo
	flat_load_dwordx4 v[12:15], v[9:10]
	flat_load_dwordx4 v[16:19], v[16:17]
	v_add_co_u32 v9, vcc_lo, 0x4000, v9
	v_add_co_ci_u32_e64 v10, null, 0, v10, vcc_lo
	s_waitcnt vmcnt(0) lgkmcnt(0)
	v_mul_f64 v[20:21], v[14:15], v[18:19]
	v_mul_f64 v[18:19], v[12:13], v[18:19]
	v_fma_f64 v[12:13], v[12:13], v[16:17], -v[20:21]
	v_fma_f64 v[14:15], v[14:15], v[16:17], v[18:19]
	v_add_f64 v[3:4], v[3:4], v[12:13]
	v_add_f64 v[1:2], v[1:2], v[14:15]
	s_andn2_b32 exec_lo, exec_lo, s17
	s_cbranch_execnz .LBB366_17
; %bb.18:
	s_inst_prefetch 0x2
	s_or_b32 exec_lo, exec_lo, s17
.LBB366_19:
	s_or_b32 exec_lo, exec_lo, s16
	v_or_b32_e32 v7, s4, v0
	s_mov_b32 s0, exec_lo
	v_cmpx_gt_i32_e64 s18, v7
	s_cbranch_execz .LBB366_21
; %bb.20:
	v_mul_lo_u32 v7, s5, v7
	s_ashr_i32 s5, s4, 31
	s_lshl_b64 s[4:5], s[4:5], 4
	v_add_co_u32 v5, vcc_lo, v5, s4
	v_add_co_ci_u32_e64 v6, null, s5, v6, vcc_lo
	v_ashrrev_i32_e32 v8, 31, v7
	v_lshlrev_b64 v[7:8], 4, v[7:8]
	v_add_co_u32 v9, vcc_lo, s2, v7
	v_add_co_ci_u32_e64 v10, null, s3, v8, vcc_lo
	flat_load_dwordx4 v[5:8], v[5:6]
	flat_load_dwordx4 v[9:12], v[9:10]
	s_waitcnt vmcnt(0) lgkmcnt(0)
	v_mul_f64 v[13:14], v[7:8], v[11:12]
	v_mul_f64 v[11:12], v[5:6], v[11:12]
	v_fma_f64 v[5:6], v[5:6], v[9:10], -v[13:14]
	v_fma_f64 v[7:8], v[7:8], v[9:10], v[11:12]
	v_add_f64 v[3:4], v[3:4], v[5:6]
	v_add_f64 v[1:2], v[1:2], v[7:8]
.LBB366_21:
	s_or_b32 exec_lo, exec_lo, s0
	v_and_b32_e32 v15, 31, v0
	v_cmp_gt_u32_e32 vcc_lo, 32, v0
	v_lshlrev_b32_e32 v12, 4, v15
	s_and_saveexec_b32 s0, vcc_lo
	s_cbranch_execz .LBB366_23
; %bb.22:
	v_mov_b32_e32 v5, 0
	v_mov_b32_e32 v6, v5
	;; [unrolled: 1-line block ×4, first 2 shown]
	ds_write_b128 v12, v[5:8]
.LBB366_23:
	s_or_b32 exec_lo, exec_lo, s0
	v_mbcnt_lo_u32_b32 v14, -1, 0
	s_mov_b32 s2, exec_lo
	s_waitcnt lgkmcnt(0)
	s_barrier
	buffer_gl0_inv
	v_lshl_or_b32 v9, v14, 2, 64
	v_cmp_gt_u32_e64 s0, 24, v14
	ds_bpermute_b32 v5, v9, v3
	ds_bpermute_b32 v6, v9, v4
	;; [unrolled: 1-line block ×4, first 2 shown]
	s_waitcnt lgkmcnt(2)
	v_add_f64 v[3:4], v[3:4], v[5:6]
	v_cndmask_b32_e64 v5, 0, 8, s0
	s_waitcnt lgkmcnt(0)
	v_add_f64 v[1:2], v[1:2], v[7:8]
	v_cmp_gt_u32_e64 s0, 28, v14
	v_add_lshl_u32 v10, v5, v14, 2
	ds_bpermute_b32 v5, v10, v3
	ds_bpermute_b32 v6, v10, v4
	;; [unrolled: 1-line block ×4, first 2 shown]
	s_waitcnt lgkmcnt(2)
	v_add_f64 v[3:4], v[3:4], v[5:6]
	v_cndmask_b32_e64 v5, 0, 4, s0
	s_waitcnt lgkmcnt(0)
	v_add_f64 v[1:2], v[1:2], v[7:8]
	v_cmp_gt_u32_e64 s0, 30, v14
	v_add_lshl_u32 v11, v5, v14, 2
	ds_bpermute_b32 v5, v11, v3
	ds_bpermute_b32 v6, v11, v4
	;; [unrolled: 1-line block ×4, first 2 shown]
	s_waitcnt lgkmcnt(2)
	v_add_f64 v[3:4], v[3:4], v[5:6]
	s_waitcnt lgkmcnt(0)
	v_add_f64 v[5:6], v[1:2], v[7:8]
	v_cndmask_b32_e64 v1, 0, 2, s0
	v_cmp_ne_u32_e64 s0, 31, v14
	v_add_lshl_u32 v13, v1, v14, 2
	ds_bpermute_b32 v1, v13, v3
	ds_bpermute_b32 v2, v13, v4
	;; [unrolled: 1-line block ×4, first 2 shown]
	s_waitcnt lgkmcnt(2)
	v_add_f64 v[1:2], v[3:4], v[1:2]
	s_waitcnt lgkmcnt(0)
	v_add_f64 v[3:4], v[5:6], v[7:8]
	v_add_co_ci_u32_e64 v5, null, 0, v14, s0
	v_lshlrev_b32_e32 v14, 2, v5
	ds_bpermute_b32 v5, v14, v1
	ds_bpermute_b32 v6, v14, v2
	;; [unrolled: 1-line block ×4, first 2 shown]
	v_cmpx_eq_u32_e32 0, v15
	s_cbranch_execz .LBB366_25
; %bb.24:
	s_waitcnt lgkmcnt(0)
	v_add_f64 v[3:4], v[3:4], v[7:8]
	v_add_f64 v[1:2], v[1:2], v[5:6]
	v_lshrrev_b32_e32 v5, 1, v0
	v_and_b32_e32 v5, 0x1f0, v5
	ds_write_b128 v5, v[1:4]
.LBB366_25:
	s_or_b32 exec_lo, exec_lo, s2
	s_waitcnt lgkmcnt(0)
	v_mov_b32_e32 v7, 0
	v_mov_b32_e32 v5, 0
	;; [unrolled: 1-line block ×4, first 2 shown]
	s_barrier
	buffer_gl0_inv
	s_and_saveexec_b32 s0, vcc_lo
; %bb.26:
	ds_read_b128 v[5:8], v12
; %bb.27:
	s_or_b32 exec_lo, exec_lo, s0
	s_and_saveexec_b32 s0, vcc_lo
	s_cbranch_execz .LBB366_29
; %bb.28:
	s_waitcnt lgkmcnt(0)
	ds_bpermute_b32 v1, v9, v5
	ds_bpermute_b32 v2, v9, v6
	ds_bpermute_b32 v3, v9, v7
	ds_bpermute_b32 v4, v9, v8
	s_waitcnt lgkmcnt(2)
	v_add_f64 v[1:2], v[5:6], v[1:2]
	s_waitcnt lgkmcnt(0)
	v_add_f64 v[3:4], v[7:8], v[3:4]
	ds_bpermute_b32 v5, v10, v1
	ds_bpermute_b32 v6, v10, v2
	ds_bpermute_b32 v7, v10, v3
	ds_bpermute_b32 v8, v10, v4
	s_waitcnt lgkmcnt(2)
	v_add_f64 v[1:2], v[1:2], v[5:6]
	s_waitcnt lgkmcnt(0)
	v_add_f64 v[3:4], v[3:4], v[7:8]
	;; [unrolled: 8-line block ×5, first 2 shown]
.LBB366_29:
	s_or_b32 exec_lo, exec_lo, s0
	s_mov_b32 s0, exec_lo
                                        ; implicit-def: $vgpr3_vgpr4
                                        ; implicit-def: $sgpr18_sgpr19
	v_cmpx_eq_u32_e32 0, v0
	s_cbranch_execz .LBB366_33
; %bb.30:
	s_waitcnt lgkmcnt(0)
	v_mul_f64 v[0:1], s[14:15], v[7:8]
	v_mul_f64 v[3:4], s[12:13], v[7:8]
	v_cmp_neq_f64_e64 s2, s[8:9], 0
	v_cmp_neq_f64_e64 s3, s[10:11], 0
	s_mul_i32 s18, s20, s6
	s_ashr_i32 s19, s18, 31
	v_fma_f64 v[1:2], s[12:13], v[5:6], -v[0:1]
	v_fma_f64 v[3:4], s[14:15], v[5:6], v[3:4]
	s_or_b32 s2, s2, s3
	s_andn2_b32 vcc_lo, exec_lo, s2
	s_cbranch_vccnz .LBB366_32
; %bb.31:
	s_lshl_b64 s[2:3], s[18:19], 4
	s_add_u32 s2, s1, s2
	s_addc_u32 s3, s7, s3
	v_mov_b32_e32 v6, s3
	v_mov_b32_e32 v5, s2
	flat_load_dwordx4 v[5:8], v[5:6]
	s_waitcnt vmcnt(0) lgkmcnt(0)
	v_mul_f64 v[9:10], s[10:11], v[7:8]
	v_mul_f64 v[7:8], s[8:9], v[7:8]
	v_fma_f64 v[9:10], s[8:9], v[5:6], -v[9:10]
	v_fma_f64 v[5:6], s[10:11], v[5:6], v[7:8]
	v_add_f64 v[1:2], v[1:2], v[9:10]
	v_add_f64 v[3:4], v[3:4], v[5:6]
.LBB366_32:
	s_or_b32 s21, s21, exec_lo
.LBB366_33:
	s_or_b32 exec_lo, exec_lo, s0
.LBB366_34:
	s_and_saveexec_b32 s0, s21
	s_cbranch_execz .LBB366_36
; %bb.35:
	s_lshl_b64 s[2:3], s[18:19], 4
	s_add_u32 s0, s1, s2
	s_addc_u32 s1, s7, s3
	s_waitcnt lgkmcnt(0)
	v_mov_b32_e32 v6, s1
	v_mov_b32_e32 v5, s0
	flat_store_dwordx4 v[5:6], v[1:4]
.LBB366_36:
	s_endpgm
	.section	.rodata,"a",@progbits
	.p2align	6, 0x0
	.amdhsa_kernel _ZL32rocblas_gemvt_warp_reduce_kernelILb0ELi1024EiPK19rocblas_complex_numIdES1_KPS1_EviiT3_lPKT2_lT1_lS9_lSA_lS6_lPT4_lSA_li
		.amdhsa_group_segment_fixed_size 512
		.amdhsa_private_segment_fixed_size 0
		.amdhsa_kernarg_size 156
		.amdhsa_user_sgpr_count 6
		.amdhsa_user_sgpr_private_segment_buffer 1
		.amdhsa_user_sgpr_dispatch_ptr 0
		.amdhsa_user_sgpr_queue_ptr 0
		.amdhsa_user_sgpr_kernarg_segment_ptr 1
		.amdhsa_user_sgpr_dispatch_id 0
		.amdhsa_user_sgpr_flat_scratch_init 0
		.amdhsa_user_sgpr_private_segment_size 0
		.amdhsa_wavefront_size32 1
		.amdhsa_uses_dynamic_stack 0
		.amdhsa_system_sgpr_private_segment_wavefront_offset 0
		.amdhsa_system_sgpr_workgroup_id_x 1
		.amdhsa_system_sgpr_workgroup_id_y 0
		.amdhsa_system_sgpr_workgroup_id_z 1
		.amdhsa_system_sgpr_workgroup_info 0
		.amdhsa_system_vgpr_workitem_id 0
		.amdhsa_next_free_vgpr 22
		.amdhsa_next_free_sgpr 28
		.amdhsa_reserve_vcc 1
		.amdhsa_reserve_flat_scratch 0
		.amdhsa_float_round_mode_32 0
		.amdhsa_float_round_mode_16_64 0
		.amdhsa_float_denorm_mode_32 3
		.amdhsa_float_denorm_mode_16_64 3
		.amdhsa_dx10_clamp 1
		.amdhsa_ieee_mode 1
		.amdhsa_fp16_overflow 0
		.amdhsa_workgroup_processor_mode 1
		.amdhsa_memory_ordered 1
		.amdhsa_forward_progress 1
		.amdhsa_shared_vgpr_count 0
		.amdhsa_exception_fp_ieee_invalid_op 0
		.amdhsa_exception_fp_denorm_src 0
		.amdhsa_exception_fp_ieee_div_zero 0
		.amdhsa_exception_fp_ieee_overflow 0
		.amdhsa_exception_fp_ieee_underflow 0
		.amdhsa_exception_fp_ieee_inexact 0
		.amdhsa_exception_int_div_zero 0
	.end_amdhsa_kernel
	.section	.text._ZL32rocblas_gemvt_warp_reduce_kernelILb0ELi1024EiPK19rocblas_complex_numIdES1_KPS1_EviiT3_lPKT2_lT1_lS9_lSA_lS6_lPT4_lSA_li,"axG",@progbits,_ZL32rocblas_gemvt_warp_reduce_kernelILb0ELi1024EiPK19rocblas_complex_numIdES1_KPS1_EviiT3_lPKT2_lT1_lS9_lSA_lS6_lPT4_lSA_li,comdat
.Lfunc_end366:
	.size	_ZL32rocblas_gemvt_warp_reduce_kernelILb0ELi1024EiPK19rocblas_complex_numIdES1_KPS1_EviiT3_lPKT2_lT1_lS9_lSA_lS6_lPT4_lSA_li, .Lfunc_end366-_ZL32rocblas_gemvt_warp_reduce_kernelILb0ELi1024EiPK19rocblas_complex_numIdES1_KPS1_EviiT3_lPKT2_lT1_lS9_lSA_lS6_lPT4_lSA_li
                                        ; -- End function
	.set _ZL32rocblas_gemvt_warp_reduce_kernelILb0ELi1024EiPK19rocblas_complex_numIdES1_KPS1_EviiT3_lPKT2_lT1_lS9_lSA_lS6_lPT4_lSA_li.num_vgpr, 22
	.set _ZL32rocblas_gemvt_warp_reduce_kernelILb0ELi1024EiPK19rocblas_complex_numIdES1_KPS1_EviiT3_lPKT2_lT1_lS9_lSA_lS6_lPT4_lSA_li.num_agpr, 0
	.set _ZL32rocblas_gemvt_warp_reduce_kernelILb0ELi1024EiPK19rocblas_complex_numIdES1_KPS1_EviiT3_lPKT2_lT1_lS9_lSA_lS6_lPT4_lSA_li.numbered_sgpr, 28
	.set _ZL32rocblas_gemvt_warp_reduce_kernelILb0ELi1024EiPK19rocblas_complex_numIdES1_KPS1_EviiT3_lPKT2_lT1_lS9_lSA_lS6_lPT4_lSA_li.num_named_barrier, 0
	.set _ZL32rocblas_gemvt_warp_reduce_kernelILb0ELi1024EiPK19rocblas_complex_numIdES1_KPS1_EviiT3_lPKT2_lT1_lS9_lSA_lS6_lPT4_lSA_li.private_seg_size, 0
	.set _ZL32rocblas_gemvt_warp_reduce_kernelILb0ELi1024EiPK19rocblas_complex_numIdES1_KPS1_EviiT3_lPKT2_lT1_lS9_lSA_lS6_lPT4_lSA_li.uses_vcc, 1
	.set _ZL32rocblas_gemvt_warp_reduce_kernelILb0ELi1024EiPK19rocblas_complex_numIdES1_KPS1_EviiT3_lPKT2_lT1_lS9_lSA_lS6_lPT4_lSA_li.uses_flat_scratch, 0
	.set _ZL32rocblas_gemvt_warp_reduce_kernelILb0ELi1024EiPK19rocblas_complex_numIdES1_KPS1_EviiT3_lPKT2_lT1_lS9_lSA_lS6_lPT4_lSA_li.has_dyn_sized_stack, 0
	.set _ZL32rocblas_gemvt_warp_reduce_kernelILb0ELi1024EiPK19rocblas_complex_numIdES1_KPS1_EviiT3_lPKT2_lT1_lS9_lSA_lS6_lPT4_lSA_li.has_recursion, 0
	.set _ZL32rocblas_gemvt_warp_reduce_kernelILb0ELi1024EiPK19rocblas_complex_numIdES1_KPS1_EviiT3_lPKT2_lT1_lS9_lSA_lS6_lPT4_lSA_li.has_indirect_call, 0
	.section	.AMDGPU.csdata,"",@progbits
; Kernel info:
; codeLenInByte = 2060
; TotalNumSgprs: 30
; NumVgprs: 22
; ScratchSize: 0
; MemoryBound: 0
; FloatMode: 240
; IeeeMode: 1
; LDSByteSize: 512 bytes/workgroup (compile time only)
; SGPRBlocks: 0
; VGPRBlocks: 2
; NumSGPRsForWavesPerEU: 30
; NumVGPRsForWavesPerEU: 22
; Occupancy: 16
; WaveLimiterHint : 1
; COMPUTE_PGM_RSRC2:SCRATCH_EN: 0
; COMPUTE_PGM_RSRC2:USER_SGPR: 6
; COMPUTE_PGM_RSRC2:TRAP_HANDLER: 0
; COMPUTE_PGM_RSRC2:TGID_X_EN: 1
; COMPUTE_PGM_RSRC2:TGID_Y_EN: 0
; COMPUTE_PGM_RSRC2:TGID_Z_EN: 1
; COMPUTE_PGM_RSRC2:TIDIG_COMP_CNT: 0
	.section	.text._ZL32rocblas_gemvt_warp_reduce_kernelILb0ELi1024ElPK19rocblas_complex_numIdES1_KPS1_EviiT3_lPKT2_lT1_lS9_lSA_lS6_lPT4_lSA_li,"axG",@progbits,_ZL32rocblas_gemvt_warp_reduce_kernelILb0ELi1024ElPK19rocblas_complex_numIdES1_KPS1_EviiT3_lPKT2_lT1_lS9_lSA_lS6_lPT4_lSA_li,comdat
	.globl	_ZL32rocblas_gemvt_warp_reduce_kernelILb0ELi1024ElPK19rocblas_complex_numIdES1_KPS1_EviiT3_lPKT2_lT1_lS9_lSA_lS6_lPT4_lSA_li ; -- Begin function _ZL32rocblas_gemvt_warp_reduce_kernelILb0ELi1024ElPK19rocblas_complex_numIdES1_KPS1_EviiT3_lPKT2_lT1_lS9_lSA_lS6_lPT4_lSA_li
	.p2align	8
	.type	_ZL32rocblas_gemvt_warp_reduce_kernelILb0ELi1024ElPK19rocblas_complex_numIdES1_KPS1_EviiT3_lPKT2_lT1_lS9_lSA_lS6_lPT4_lSA_li,@function
_ZL32rocblas_gemvt_warp_reduce_kernelILb0ELi1024ElPK19rocblas_complex_numIdES1_KPS1_EviiT3_lPKT2_lT1_lS9_lSA_lS6_lPT4_lSA_li: ; @_ZL32rocblas_gemvt_warp_reduce_kernelILb0ELi1024ElPK19rocblas_complex_numIdES1_KPS1_EviiT3_lPKT2_lT1_lS9_lSA_lS6_lPT4_lSA_li
; %bb.0:
	s_clause 0x1
	s_load_dwordx4 s[12:15], s[4:5], 0x8
	s_load_dwordx4 s[0:3], s[4:5], 0x20
	s_mov_b32 s16, s7
	s_clause 0x1
	s_load_dwordx2 s[22:23], s[4:5], 0x30
	s_load_dwordx4 s[8:11], s[4:5], 0x60
	s_mov_b64 s[20:21], 0
	s_mov_b32 s18, -1
	s_waitcnt lgkmcnt(0)
	v_cmp_neq_f64_e64 s7, s[12:13], 0
	v_cmp_neq_f64_e64 s17, s[14:15], 0
	s_or_b32 s7, s7, s17
	s_mov_b32 s17, 0
	s_and_b32 vcc_lo, exec_lo, s7
	s_mov_b64 s[24:25], s[16:17]
	s_mov_b32 s19, s17
	s_cbranch_vccnz .LBB367_3
; %bb.1:
	v_cmp_eq_f64_e64 s18, s[8:9], 1.0
	v_cmp_eq_f64_e64 s19, s[10:11], 0
                                        ; implicit-def: $sgpr24_sgpr25
	s_and_b32 s19, s18, s19
	s_mov_b32 s18, 0
	s_andn2_b32 vcc_lo, exec_lo, s19
	s_mov_b32 s19, 0
	s_cbranch_vccz .LBB367_3
; %bb.2:
	s_mov_b32 s25, 0
	s_mov_b32 s24, s16
	s_mov_b32 s19, -1
.LBB367_3:
	s_and_b32 vcc_lo, exec_lo, s18
	s_cbranch_vccz .LBB367_5
; %bb.4:
	s_lshl_b64 s[16:17], s[16:17], 3
	s_mov_b32 s19, -1
	s_add_u32 s0, s0, s16
	s_addc_u32 s1, s1, s17
	s_lshl_b64 s[2:3], s[2:3], 4
	s_load_dwordx2 s[0:1], s[0:1], 0x0
	s_waitcnt lgkmcnt(0)
	s_add_u32 s20, s0, s2
	s_addc_u32 s21, s1, s3
.LBB367_5:
	s_andn2_b32 vcc_lo, exec_lo, s19
	s_cbranch_vccnz .LBB367_36
; %bb.6:
	s_clause 0x1
	s_load_dwordx4 s[0:3], s[4:5], 0x40
	s_load_dwordx2 s[16:17], s[4:5], 0x50
	v_cndmask_b32_e64 v1, 0, 1, s7
	s_xor_b32 s26, s7, -1
	s_mov_b64 s[18:19], 0
	v_cmp_ne_u32_e32 vcc_lo, 1, v1
	s_cbranch_vccnz .LBB367_8
; %bb.7:
	s_lshl_b64 s[18:19], s[24:25], 3
	s_waitcnt lgkmcnt(0)
	s_add_u32 s0, s0, s18
	s_addc_u32 s1, s1, s19
	s_lshl_b64 s[2:3], s[2:3], 4
	s_load_dwordx2 s[0:1], s[0:1], 0x0
	s_waitcnt lgkmcnt(0)
	s_add_u32 s18, s0, s2
	s_addc_u32 s19, s1, s3
.LBB367_8:
	s_load_dwordx4 s[28:31], s[4:5], 0x78
	s_waitcnt lgkmcnt(0)
	s_load_dwordx2 s[2:3], s[4:5], 0x88
	s_lshl_b64 s[0:1], s[24:25], 3
	s_add_u32 s0, s28, s0
	s_addc_u32 s1, s29, s1
	s_lshl_b64 s[28:29], s[30:31], 4
	s_load_dwordx2 s[24:25], s[0:1], 0x0
	v_cmp_eq_u32_e64 s0, 0, v0
	s_waitcnt lgkmcnt(0)
	s_add_u32 s1, s24, s28
	s_addc_u32 s7, s25, s29
	s_andn2_b32 vcc_lo, exec_lo, s26
	s_cbranch_vccnz .LBB367_13
; %bb.9:
	s_mov_b32 s27, 0
	s_mov_b32 s26, 0
                                        ; implicit-def: $vgpr3_vgpr4
                                        ; implicit-def: $sgpr24_sgpr25
	s_and_saveexec_b32 s28, s0
	s_cbranch_execz .LBB367_14
; %bb.10:
	v_cmp_neq_f64_e64 s0, s[8:9], 0
	v_cmp_neq_f64_e64 s24, s[10:11], 0
	s_ashr_i32 s25, s6, 31
	v_mov_b32_e32 v3, 0
	s_mul_i32 s25, s2, s25
	v_mov_b32_e32 v1, 0
	v_mov_b32_e32 v4, 0
	;; [unrolled: 1-line block ×3, first 2 shown]
	s_or_b32 s0, s0, s24
	s_mul_hi_u32 s24, s2, s6
	s_andn2_b32 vcc_lo, exec_lo, s0
	s_add_i32 s24, s24, s25
	s_mul_i32 s25, s3, s6
	s_add_i32 s25, s24, s25
	s_mul_i32 s24, s2, s6
	s_cbranch_vccnz .LBB367_12
; %bb.11:
	s_lshl_b64 s[30:31], s[24:25], 4
	s_add_u32 s30, s1, s30
	s_addc_u32 s31, s7, s31
	v_mov_b32_e32 v1, s30
	v_mov_b32_e32 v2, s31
	flat_load_dwordx4 v[3:6], v[1:2]
	s_waitcnt vmcnt(0) lgkmcnt(0)
	v_mul_f64 v[1:2], s[10:11], v[5:6]
	v_mul_f64 v[5:6], s[8:9], v[5:6]
	v_fma_f64 v[1:2], s[8:9], v[3:4], -v[1:2]
	v_fma_f64 v[3:4], s[10:11], v[3:4], v[5:6]
.LBB367_12:
	s_mov_b32 s26, exec_lo
	s_or_b32 exec_lo, exec_lo, s28
	s_and_b32 vcc_lo, exec_lo, s27
	s_cbranch_vccnz .LBB367_15
	s_branch .LBB367_34
.LBB367_13:
	s_mov_b32 s26, 0
                                        ; implicit-def: $vgpr3_vgpr4
                                        ; implicit-def: $sgpr24_sgpr25
	s_cbranch_execnz .LBB367_15
	s_branch .LBB367_34
.LBB367_14:
	s_or_b32 exec_lo, exec_lo, s28
	s_and_b32 vcc_lo, exec_lo, s27
	s_cbranch_vccz .LBB367_34
.LBB367_15:
	s_load_dword s5, s[4:5], 0x0
	s_ashr_i32 s27, s6, 31
	s_mul_hi_u32 s0, s22, s6
	s_mul_i32 s24, s22, s6
	s_mul_i32 s22, s22, s27
	;; [unrolled: 1-line block ×3, first 2 shown]
	s_add_i32 s0, s0, s22
	v_mov_b32_e32 v1, 0
	s_add_i32 s25, s0, s4
	v_mov_b32_e32 v3, 0
	s_lshl_b64 s[22:23], s[24:25], 4
	v_mov_b32_e32 v2, 0
	v_mov_b32_e32 v4, 0
	s_waitcnt lgkmcnt(0)
	v_cmp_gt_i32_e32 vcc_lo, s5, v0
	s_ashr_i32 s0, s5, 31
	s_lshr_b32 s0, s0, 22
	s_add_i32 s0, s5, s0
	v_cndmask_b32_e32 v5, 0, v0, vcc_lo
	v_lshlrev_b32_e32 v5, 4, v5
	v_add_co_u32 v5, s4, s20, v5
	v_add_co_ci_u32_e64 v6, null, s21, 0, s4
	s_and_b32 s4, s0, 0xfffffc00
	v_add_co_u32 v5, vcc_lo, v5, s22
	v_add_co_ci_u32_e64 v6, null, s23, v6, vcc_lo
	s_mov_b32 s23, 0
	s_mov_b32 s22, exec_lo
	v_cmpx_gt_i32_e64 s4, v0
	s_cbranch_execz .LBB367_19
; %bb.16:
	v_mad_u64_u32 v[1:2], null, s16, v0, 0
	v_mov_b32_e32 v8, v6
	v_mov_b32_e32 v7, v5
	;; [unrolled: 1-line block ×3, first 2 shown]
	s_lshl_b64 s[20:21], s[16:17], 14
	v_mad_u64_u32 v[2:3], null, s17, v0, v[2:3]
	v_mov_b32_e32 v3, 0
	v_mov_b32_e32 v4, 0
	v_lshlrev_b64 v[9:10], 4, v[1:2]
	v_mov_b32_e32 v1, 0
	v_mov_b32_e32 v2, 0
	v_add_co_u32 v9, vcc_lo, s18, v9
	v_add_co_ci_u32_e64 v10, null, s19, v10, vcc_lo
	.p2align	6
.LBB367_17:                             ; =>This Inner Loop Header: Depth=1
	flat_load_dwordx4 v[12:15], v[7:8]
	flat_load_dwordx4 v[16:19], v[9:10]
	v_add_nc_u32_e32 v11, 0x400, v11
	v_add_co_u32 v7, vcc_lo, 0x4000, v7
	v_add_co_ci_u32_e64 v8, null, 0, v8, vcc_lo
	v_cmp_le_i32_e32 vcc_lo, s4, v11
	v_add_co_u32 v9, s0, v9, s20
	v_add_co_ci_u32_e64 v10, null, s21, v10, s0
	s_or_b32 s23, vcc_lo, s23
	s_waitcnt vmcnt(0) lgkmcnt(0)
	v_mul_f64 v[20:21], v[14:15], v[18:19]
	v_mul_f64 v[18:19], v[12:13], v[18:19]
	v_fma_f64 v[12:13], v[12:13], v[16:17], -v[20:21]
	v_fma_f64 v[14:15], v[14:15], v[16:17], v[18:19]
	v_add_f64 v[3:4], v[3:4], v[12:13]
	v_add_f64 v[1:2], v[1:2], v[14:15]
	s_andn2_b32 exec_lo, exec_lo, s23
	s_cbranch_execnz .LBB367_17
; %bb.18:
	s_or_b32 exec_lo, exec_lo, s23
.LBB367_19:
	s_or_b32 exec_lo, exec_lo, s22
	v_or_b32_e32 v7, s4, v0
	s_mov_b32 s0, exec_lo
	v_cmpx_gt_i32_e64 s5, v7
	s_cbranch_execz .LBB367_21
; %bb.20:
	v_ashrrev_i32_e32 v9, 31, v7
	v_mul_lo_u32 v10, s17, v7
	v_mad_u64_u32 v[7:8], null, s16, v7, 0
	s_ashr_i32 s5, s4, 31
	v_mul_lo_u32 v9, s16, v9
	s_lshl_b64 s[4:5], s[4:5], 4
	v_add_co_u32 v5, vcc_lo, v5, s4
	v_add_co_ci_u32_e64 v6, null, s5, v6, vcc_lo
	v_add3_u32 v8, v8, v9, v10
	v_lshlrev_b64 v[7:8], 4, v[7:8]
	v_add_co_u32 v9, vcc_lo, s18, v7
	v_add_co_ci_u32_e64 v10, null, s19, v8, vcc_lo
	flat_load_dwordx4 v[5:8], v[5:6]
	flat_load_dwordx4 v[9:12], v[9:10]
	s_waitcnt vmcnt(0) lgkmcnt(0)
	v_mul_f64 v[13:14], v[7:8], v[11:12]
	v_mul_f64 v[11:12], v[5:6], v[11:12]
	v_fma_f64 v[5:6], v[5:6], v[9:10], -v[13:14]
	v_fma_f64 v[7:8], v[7:8], v[9:10], v[11:12]
	v_add_f64 v[3:4], v[3:4], v[5:6]
	v_add_f64 v[1:2], v[1:2], v[7:8]
.LBB367_21:
	s_or_b32 exec_lo, exec_lo, s0
	v_and_b32_e32 v15, 31, v0
	v_cmp_gt_u32_e32 vcc_lo, 32, v0
	v_lshlrev_b32_e32 v12, 4, v15
	s_and_saveexec_b32 s0, vcc_lo
	s_cbranch_execz .LBB367_23
; %bb.22:
	v_mov_b32_e32 v5, 0
	v_mov_b32_e32 v6, v5
	;; [unrolled: 1-line block ×4, first 2 shown]
	ds_write_b128 v12, v[5:8]
.LBB367_23:
	s_or_b32 exec_lo, exec_lo, s0
	v_mbcnt_lo_u32_b32 v14, -1, 0
	s_mov_b32 s4, exec_lo
	s_waitcnt lgkmcnt(0)
	s_barrier
	buffer_gl0_inv
	v_lshl_or_b32 v9, v14, 2, 64
	v_cmp_gt_u32_e64 s0, 24, v14
	ds_bpermute_b32 v5, v9, v3
	ds_bpermute_b32 v6, v9, v4
	;; [unrolled: 1-line block ×4, first 2 shown]
	s_waitcnt lgkmcnt(2)
	v_add_f64 v[3:4], v[3:4], v[5:6]
	v_cndmask_b32_e64 v5, 0, 8, s0
	s_waitcnt lgkmcnt(0)
	v_add_f64 v[1:2], v[1:2], v[7:8]
	v_cmp_gt_u32_e64 s0, 28, v14
	v_add_lshl_u32 v10, v5, v14, 2
	ds_bpermute_b32 v5, v10, v3
	ds_bpermute_b32 v6, v10, v4
	ds_bpermute_b32 v7, v10, v1
	ds_bpermute_b32 v8, v10, v2
	s_waitcnt lgkmcnt(2)
	v_add_f64 v[3:4], v[3:4], v[5:6]
	v_cndmask_b32_e64 v5, 0, 4, s0
	s_waitcnt lgkmcnt(0)
	v_add_f64 v[1:2], v[1:2], v[7:8]
	v_cmp_gt_u32_e64 s0, 30, v14
	v_add_lshl_u32 v11, v5, v14, 2
	ds_bpermute_b32 v5, v11, v3
	ds_bpermute_b32 v6, v11, v4
	;; [unrolled: 1-line block ×4, first 2 shown]
	s_waitcnt lgkmcnt(2)
	v_add_f64 v[3:4], v[3:4], v[5:6]
	s_waitcnt lgkmcnt(0)
	v_add_f64 v[5:6], v[1:2], v[7:8]
	v_cndmask_b32_e64 v1, 0, 2, s0
	v_cmp_ne_u32_e64 s0, 31, v14
	v_add_lshl_u32 v13, v1, v14, 2
	ds_bpermute_b32 v1, v13, v3
	ds_bpermute_b32 v2, v13, v4
	;; [unrolled: 1-line block ×4, first 2 shown]
	s_waitcnt lgkmcnt(2)
	v_add_f64 v[1:2], v[3:4], v[1:2]
	s_waitcnt lgkmcnt(0)
	v_add_f64 v[3:4], v[5:6], v[7:8]
	v_add_co_ci_u32_e64 v5, null, 0, v14, s0
	v_lshlrev_b32_e32 v14, 2, v5
	ds_bpermute_b32 v5, v14, v1
	ds_bpermute_b32 v6, v14, v2
	;; [unrolled: 1-line block ×4, first 2 shown]
	v_cmpx_eq_u32_e32 0, v15
	s_cbranch_execz .LBB367_25
; %bb.24:
	s_waitcnt lgkmcnt(0)
	v_add_f64 v[3:4], v[3:4], v[7:8]
	v_add_f64 v[1:2], v[1:2], v[5:6]
	v_lshrrev_b32_e32 v5, 1, v0
	v_and_b32_e32 v5, 0x1f0, v5
	ds_write_b128 v5, v[1:4]
.LBB367_25:
	s_or_b32 exec_lo, exec_lo, s4
	s_waitcnt lgkmcnt(0)
	v_mov_b32_e32 v7, 0
	v_mov_b32_e32 v5, 0
	;; [unrolled: 1-line block ×4, first 2 shown]
	s_barrier
	buffer_gl0_inv
	s_and_saveexec_b32 s0, vcc_lo
; %bb.26:
	ds_read_b128 v[5:8], v12
; %bb.27:
	s_or_b32 exec_lo, exec_lo, s0
	s_and_saveexec_b32 s0, vcc_lo
	s_cbranch_execz .LBB367_29
; %bb.28:
	s_waitcnt lgkmcnt(0)
	ds_bpermute_b32 v1, v9, v5
	ds_bpermute_b32 v2, v9, v6
	ds_bpermute_b32 v3, v9, v7
	ds_bpermute_b32 v4, v9, v8
	s_waitcnt lgkmcnt(2)
	v_add_f64 v[1:2], v[5:6], v[1:2]
	s_waitcnt lgkmcnt(0)
	v_add_f64 v[3:4], v[7:8], v[3:4]
	ds_bpermute_b32 v5, v10, v1
	ds_bpermute_b32 v6, v10, v2
	ds_bpermute_b32 v7, v10, v3
	ds_bpermute_b32 v8, v10, v4
	s_waitcnt lgkmcnt(2)
	v_add_f64 v[1:2], v[1:2], v[5:6]
	s_waitcnt lgkmcnt(0)
	v_add_f64 v[3:4], v[3:4], v[7:8]
	ds_bpermute_b32 v5, v11, v1
	ds_bpermute_b32 v6, v11, v2
	ds_bpermute_b32 v7, v11, v3
	ds_bpermute_b32 v8, v11, v4
	s_waitcnt lgkmcnt(2)
	v_add_f64 v[1:2], v[1:2], v[5:6]
	s_waitcnt lgkmcnt(0)
	v_add_f64 v[3:4], v[3:4], v[7:8]
	ds_bpermute_b32 v5, v13, v1
	ds_bpermute_b32 v6, v13, v2
	ds_bpermute_b32 v7, v13, v3
	ds_bpermute_b32 v8, v13, v4
	s_waitcnt lgkmcnt(2)
	v_add_f64 v[1:2], v[1:2], v[5:6]
	s_waitcnt lgkmcnt(0)
	v_add_f64 v[3:4], v[3:4], v[7:8]
	ds_bpermute_b32 v5, v14, v1
	ds_bpermute_b32 v6, v14, v2
	ds_bpermute_b32 v7, v14, v3
	ds_bpermute_b32 v8, v14, v4
	s_waitcnt lgkmcnt(2)
	v_add_f64 v[5:6], v[1:2], v[5:6]
	s_waitcnt lgkmcnt(0)
	v_add_f64 v[7:8], v[3:4], v[7:8]
.LBB367_29:
	s_or_b32 exec_lo, exec_lo, s0
	s_mov_b32 s0, exec_lo
                                        ; implicit-def: $vgpr3_vgpr4
                                        ; implicit-def: $sgpr24_sgpr25
	v_cmpx_eq_u32_e32 0, v0
	s_cbranch_execz .LBB367_33
; %bb.30:
	s_waitcnt lgkmcnt(0)
	v_mul_f64 v[0:1], s[14:15], v[7:8]
	v_mul_f64 v[3:4], s[12:13], v[7:8]
	v_cmp_neq_f64_e64 s4, s[8:9], 0
	v_cmp_neq_f64_e64 s5, s[10:11], 0
	s_mul_i32 s3, s3, s6
	s_mul_i32 s24, s2, s6
	v_fma_f64 v[1:2], s[12:13], v[5:6], -v[0:1]
	v_fma_f64 v[3:4], s[14:15], v[5:6], v[3:4]
	s_mul_hi_u32 s12, s2, s6
	s_or_b32 s4, s4, s5
	s_mul_i32 s5, s2, s27
	s_andn2_b32 vcc_lo, exec_lo, s4
	s_add_i32 s5, s12, s5
	s_add_i32 s25, s5, s3
	s_cbranch_vccnz .LBB367_32
; %bb.31:
	s_lshl_b64 s[2:3], s[24:25], 4
	s_add_u32 s2, s1, s2
	s_addc_u32 s3, s7, s3
	v_mov_b32_e32 v6, s3
	v_mov_b32_e32 v5, s2
	flat_load_dwordx4 v[5:8], v[5:6]
	s_waitcnt vmcnt(0) lgkmcnt(0)
	v_mul_f64 v[9:10], s[10:11], v[7:8]
	v_mul_f64 v[7:8], s[8:9], v[7:8]
	v_fma_f64 v[9:10], s[8:9], v[5:6], -v[9:10]
	v_fma_f64 v[5:6], s[10:11], v[5:6], v[7:8]
	v_add_f64 v[1:2], v[1:2], v[9:10]
	v_add_f64 v[3:4], v[3:4], v[5:6]
.LBB367_32:
	s_or_b32 s26, s26, exec_lo
.LBB367_33:
	s_or_b32 exec_lo, exec_lo, s0
.LBB367_34:
	s_and_saveexec_b32 s0, s26
	s_cbranch_execz .LBB367_36
; %bb.35:
	s_lshl_b64 s[2:3], s[24:25], 4
	s_add_u32 s0, s1, s2
	s_addc_u32 s1, s7, s3
	s_waitcnt lgkmcnt(0)
	v_mov_b32_e32 v6, s1
	v_mov_b32_e32 v5, s0
	flat_store_dwordx4 v[5:6], v[1:4]
.LBB367_36:
	s_endpgm
	.section	.rodata,"a",@progbits
	.p2align	6, 0x0
	.amdhsa_kernel _ZL32rocblas_gemvt_warp_reduce_kernelILb0ELi1024ElPK19rocblas_complex_numIdES1_KPS1_EviiT3_lPKT2_lT1_lS9_lSA_lS6_lPT4_lSA_li
		.amdhsa_group_segment_fixed_size 512
		.amdhsa_private_segment_fixed_size 0
		.amdhsa_kernarg_size 156
		.amdhsa_user_sgpr_count 6
		.amdhsa_user_sgpr_private_segment_buffer 1
		.amdhsa_user_sgpr_dispatch_ptr 0
		.amdhsa_user_sgpr_queue_ptr 0
		.amdhsa_user_sgpr_kernarg_segment_ptr 1
		.amdhsa_user_sgpr_dispatch_id 0
		.amdhsa_user_sgpr_flat_scratch_init 0
		.amdhsa_user_sgpr_private_segment_size 0
		.amdhsa_wavefront_size32 1
		.amdhsa_uses_dynamic_stack 0
		.amdhsa_system_sgpr_private_segment_wavefront_offset 0
		.amdhsa_system_sgpr_workgroup_id_x 1
		.amdhsa_system_sgpr_workgroup_id_y 0
		.amdhsa_system_sgpr_workgroup_id_z 1
		.amdhsa_system_sgpr_workgroup_info 0
		.amdhsa_system_vgpr_workitem_id 0
		.amdhsa_next_free_vgpr 22
		.amdhsa_next_free_sgpr 32
		.amdhsa_reserve_vcc 1
		.amdhsa_reserve_flat_scratch 0
		.amdhsa_float_round_mode_32 0
		.amdhsa_float_round_mode_16_64 0
		.amdhsa_float_denorm_mode_32 3
		.amdhsa_float_denorm_mode_16_64 3
		.amdhsa_dx10_clamp 1
		.amdhsa_ieee_mode 1
		.amdhsa_fp16_overflow 0
		.amdhsa_workgroup_processor_mode 1
		.amdhsa_memory_ordered 1
		.amdhsa_forward_progress 1
		.amdhsa_shared_vgpr_count 0
		.amdhsa_exception_fp_ieee_invalid_op 0
		.amdhsa_exception_fp_denorm_src 0
		.amdhsa_exception_fp_ieee_div_zero 0
		.amdhsa_exception_fp_ieee_overflow 0
		.amdhsa_exception_fp_ieee_underflow 0
		.amdhsa_exception_fp_ieee_inexact 0
		.amdhsa_exception_int_div_zero 0
	.end_amdhsa_kernel
	.section	.text._ZL32rocblas_gemvt_warp_reduce_kernelILb0ELi1024ElPK19rocblas_complex_numIdES1_KPS1_EviiT3_lPKT2_lT1_lS9_lSA_lS6_lPT4_lSA_li,"axG",@progbits,_ZL32rocblas_gemvt_warp_reduce_kernelILb0ELi1024ElPK19rocblas_complex_numIdES1_KPS1_EviiT3_lPKT2_lT1_lS9_lSA_lS6_lPT4_lSA_li,comdat
.Lfunc_end367:
	.size	_ZL32rocblas_gemvt_warp_reduce_kernelILb0ELi1024ElPK19rocblas_complex_numIdES1_KPS1_EviiT3_lPKT2_lT1_lS9_lSA_lS6_lPT4_lSA_li, .Lfunc_end367-_ZL32rocblas_gemvt_warp_reduce_kernelILb0ELi1024ElPK19rocblas_complex_numIdES1_KPS1_EviiT3_lPKT2_lT1_lS9_lSA_lS6_lPT4_lSA_li
                                        ; -- End function
	.set _ZL32rocblas_gemvt_warp_reduce_kernelILb0ELi1024ElPK19rocblas_complex_numIdES1_KPS1_EviiT3_lPKT2_lT1_lS9_lSA_lS6_lPT4_lSA_li.num_vgpr, 22
	.set _ZL32rocblas_gemvt_warp_reduce_kernelILb0ELi1024ElPK19rocblas_complex_numIdES1_KPS1_EviiT3_lPKT2_lT1_lS9_lSA_lS6_lPT4_lSA_li.num_agpr, 0
	.set _ZL32rocblas_gemvt_warp_reduce_kernelILb0ELi1024ElPK19rocblas_complex_numIdES1_KPS1_EviiT3_lPKT2_lT1_lS9_lSA_lS6_lPT4_lSA_li.numbered_sgpr, 32
	.set _ZL32rocblas_gemvt_warp_reduce_kernelILb0ELi1024ElPK19rocblas_complex_numIdES1_KPS1_EviiT3_lPKT2_lT1_lS9_lSA_lS6_lPT4_lSA_li.num_named_barrier, 0
	.set _ZL32rocblas_gemvt_warp_reduce_kernelILb0ELi1024ElPK19rocblas_complex_numIdES1_KPS1_EviiT3_lPKT2_lT1_lS9_lSA_lS6_lPT4_lSA_li.private_seg_size, 0
	.set _ZL32rocblas_gemvt_warp_reduce_kernelILb0ELi1024ElPK19rocblas_complex_numIdES1_KPS1_EviiT3_lPKT2_lT1_lS9_lSA_lS6_lPT4_lSA_li.uses_vcc, 1
	.set _ZL32rocblas_gemvt_warp_reduce_kernelILb0ELi1024ElPK19rocblas_complex_numIdES1_KPS1_EviiT3_lPKT2_lT1_lS9_lSA_lS6_lPT4_lSA_li.uses_flat_scratch, 0
	.set _ZL32rocblas_gemvt_warp_reduce_kernelILb0ELi1024ElPK19rocblas_complex_numIdES1_KPS1_EviiT3_lPKT2_lT1_lS9_lSA_lS6_lPT4_lSA_li.has_dyn_sized_stack, 0
	.set _ZL32rocblas_gemvt_warp_reduce_kernelILb0ELi1024ElPK19rocblas_complex_numIdES1_KPS1_EviiT3_lPKT2_lT1_lS9_lSA_lS6_lPT4_lSA_li.has_recursion, 0
	.set _ZL32rocblas_gemvt_warp_reduce_kernelILb0ELi1024ElPK19rocblas_complex_numIdES1_KPS1_EviiT3_lPKT2_lT1_lS9_lSA_lS6_lPT4_lSA_li.has_indirect_call, 0
	.section	.AMDGPU.csdata,"",@progbits
; Kernel info:
; codeLenInByte = 2140
; TotalNumSgprs: 34
; NumVgprs: 22
; ScratchSize: 0
; MemoryBound: 0
; FloatMode: 240
; IeeeMode: 1
; LDSByteSize: 512 bytes/workgroup (compile time only)
; SGPRBlocks: 0
; VGPRBlocks: 2
; NumSGPRsForWavesPerEU: 34
; NumVGPRsForWavesPerEU: 22
; Occupancy: 16
; WaveLimiterHint : 1
; COMPUTE_PGM_RSRC2:SCRATCH_EN: 0
; COMPUTE_PGM_RSRC2:USER_SGPR: 6
; COMPUTE_PGM_RSRC2:TRAP_HANDLER: 0
; COMPUTE_PGM_RSRC2:TGID_X_EN: 1
; COMPUTE_PGM_RSRC2:TGID_Y_EN: 0
; COMPUTE_PGM_RSRC2:TGID_Z_EN: 1
; COMPUTE_PGM_RSRC2:TIDIG_COMP_CNT: 0
	.section	.text._ZL22rocblas_gemvtsm_kernelILb1ELi256EPK19rocblas_complex_numIdES3_KPS1_EviiT2_lPKT1_lilS9_lilS6_lPT3_lil,"axG",@progbits,_ZL22rocblas_gemvtsm_kernelILb1ELi256EPK19rocblas_complex_numIdES3_KPS1_EviiT2_lPKT1_lilS9_lilS6_lPT3_lil,comdat
	.globl	_ZL22rocblas_gemvtsm_kernelILb1ELi256EPK19rocblas_complex_numIdES3_KPS1_EviiT2_lPKT1_lilS9_lilS6_lPT3_lil ; -- Begin function _ZL22rocblas_gemvtsm_kernelILb1ELi256EPK19rocblas_complex_numIdES3_KPS1_EviiT2_lPKT1_lilS9_lilS6_lPT3_lil
	.p2align	8
	.type	_ZL22rocblas_gemvtsm_kernelILb1ELi256EPK19rocblas_complex_numIdES3_KPS1_EviiT2_lPKT1_lilS9_lilS6_lPT3_lil,@function
_ZL22rocblas_gemvtsm_kernelILb1ELi256EPK19rocblas_complex_numIdES3_KPS1_EviiT2_lPKT1_lilS9_lilS6_lPT3_lil: ; @_ZL22rocblas_gemvtsm_kernelILb1ELi256EPK19rocblas_complex_numIdES3_KPS1_EviiT2_lPKT1_lilS9_lilS6_lPT3_lil
; %bb.0:
	s_clause 0x1
	s_load_dwordx8 s[16:23], s[4:5], 0x8
	s_load_dwordx8 s[8:15], s[4:5], 0x58
	s_mov_b32 s7, 0
	s_waitcnt lgkmcnt(0)
	s_mul_i32 s1, s19, s6
	s_mul_hi_u32 s2, s18, s6
	s_mul_i32 s0, s18, s6
	s_add_i32 s1, s2, s1
	s_lshl_b64 s[0:1], s[0:1], 4
	s_add_u32 s0, s16, s0
	s_addc_u32 s1, s17, s1
	s_load_dwordx4 s[16:19], s[0:1], 0x0
	s_mul_i32 s0, s11, s6
	s_mul_hi_u32 s1, s10, s6
	s_add_i32 s1, s1, s0
	s_mul_i32 s0, s10, s6
	s_mov_b64 s[10:11], 0
	s_lshl_b64 s[0:1], s[0:1], 4
	s_add_u32 s0, s8, s0
	s_addc_u32 s1, s9, s1
	s_mov_b32 s9, s7
	s_load_dwordx4 s[0:3], s[0:1], 0x0
	s_waitcnt lgkmcnt(0)
	v_cmp_neq_f64_e64 s24, s[16:17], 0
	v_cmp_neq_f64_e64 s25, s[18:19], 0
	s_or_b32 s8, s24, s25
	s_mov_b32 s24, -1
	s_and_b32 vcc_lo, exec_lo, s8
	s_cbranch_vccz .LBB368_3
; %bb.1:
	s_andn2_b32 vcc_lo, exec_lo, s24
	s_cbranch_vccz .LBB368_4
.LBB368_2:
	s_andn2_b32 vcc_lo, exec_lo, s9
	s_cbranch_vccz .LBB368_5
	s_branch .LBB368_40
.LBB368_3:
	v_cmp_neq_f64_e64 s9, s[0:1], 1.0
	v_cmp_neq_f64_e64 s24, s[2:3], 0
	s_or_b32 s9, s9, s24
	s_cbranch_execnz .LBB368_2
.LBB368_4:
	s_lshl_b64 s[10:11], s[6:7], 3
	s_add_u32 s10, s20, s10
	s_addc_u32 s11, s21, s11
	s_lshl_b64 s[20:21], s[22:23], 4
	s_load_dwordx2 s[10:11], s[10:11], 0x0
	s_waitcnt lgkmcnt(0)
	s_add_u32 s10, s10, s20
	s_addc_u32 s11, s11, s21
.LBB368_5:
	v_cndmask_b32_e64 v1, 0, 1, s8
	s_xor_b32 s9, s8, -1
	s_mov_b64 s[20:21], 0
	v_cmp_ne_u32_e32 vcc_lo, 1, v1
	s_cbranch_vccnz .LBB368_7
; %bb.6:
	s_load_dwordx4 s[20:23], s[4:5], 0x38
	s_lshl_b64 s[24:25], s[6:7], 3
	s_waitcnt lgkmcnt(0)
	s_add_u32 s20, s20, s24
	s_addc_u32 s21, s21, s25
	s_lshl_b64 s[22:23], s[22:23], 4
	s_load_dwordx2 s[20:21], s[20:21], 0x0
	s_waitcnt lgkmcnt(0)
	s_add_u32 s20, s20, s22
	s_addc_u32 s21, s21, s23
.LBB368_7:
	s_lshl_b64 s[6:7], s[6:7], 3
	s_add_u32 s12, s12, s6
	s_addc_u32 s13, s13, s7
	s_clause 0x1
	s_load_dwordx2 s[6:7], s[4:5], 0x0
	s_load_dword s8, s[4:5], 0x78
	s_load_dwordx2 s[12:13], s[12:13], 0x0
	s_andn2_b32 vcc_lo, exec_lo, s9
	s_mov_b32 s9, -1
	s_cbranch_vccnz .LBB368_22
; %bb.8:
	v_cmp_neq_f64_e64 s9, s[0:1], 0
	v_cmp_neq_f64_e64 s22, s[2:3], 0
	s_or_b32 s9, s9, s22
	s_waitcnt lgkmcnt(0)
	s_cmp_gt_i32 s7, 0
	s_cselect_b32 s24, -1, 0
	s_and_b32 vcc_lo, exec_lo, s9
	s_mov_b32 s9, -1
	s_cbranch_vccnz .LBB368_15
; %bb.9:
	s_andn2_b32 vcc_lo, exec_lo, s24
	s_cbranch_vccnz .LBB368_14
; %bb.10:
	v_mad_i64_i32 v[1:2], null, s8, v0, 0
	s_lshl_b64 s[22:23], s[14:15], 4
	s_ashr_i32 s9, s8, 31
	s_add_u32 s22, s12, s22
	s_addc_u32 s23, s13, s23
	v_lshlrev_b64 v[1:2], 4, v[1:2]
	v_add_co_u32 v5, vcc_lo, s22, v1
	v_add_co_ci_u32_e64 v6, null, s23, v2, vcc_lo
	v_mov_b32_e32 v1, 0
	s_lshl_b64 s[22:23], s[8:9], 12
	s_mov_b32 s9, 0
	s_branch .LBB368_12
	.p2align	6
.LBB368_11:                             ;   in Loop: Header=BB368_12 Depth=1
	s_or_b32 exec_lo, exec_lo, s25
	v_add_co_u32 v5, vcc_lo, v5, s22
	v_add_co_ci_u32_e64 v6, null, s23, v6, vcc_lo
	s_addk_i32 s9, 0x100
	s_cmp_ge_i32 s9, s7
	s_cbranch_scc1 .LBB368_14
.LBB368_12:                             ; =>This Inner Loop Header: Depth=1
	v_add_nc_u32_e32 v2, s9, v0
	s_mov_b32 s25, exec_lo
	v_cmpx_gt_i32_e64 s7, v2
	s_cbranch_execz .LBB368_11
; %bb.13:                               ;   in Loop: Header=BB368_12 Depth=1
	v_mov_b32_e32 v2, v1
	v_mov_b32_e32 v3, v1
	;; [unrolled: 1-line block ×3, first 2 shown]
	flat_store_dwordx4 v[5:6], v[1:4]
	s_branch .LBB368_11
.LBB368_14:
	s_mov_b32 s9, 0
.LBB368_15:
	s_andn2_b32 vcc_lo, exec_lo, s9
	s_cbranch_vccnz .LBB368_21
; %bb.16:
	s_andn2_b32 vcc_lo, exec_lo, s24
	s_cbranch_vccnz .LBB368_21
; %bb.17:
	v_mad_i64_i32 v[1:2], null, s8, v0, 0
	s_lshl_b64 s[22:23], s[14:15], 4
	s_ashr_i32 s9, s8, 31
	s_add_u32 s22, s12, s22
	s_addc_u32 s23, s13, s23
	v_lshlrev_b64 v[1:2], 4, v[1:2]
	v_add_co_u32 v1, vcc_lo, s22, v1
	v_add_co_ci_u32_e64 v2, null, s23, v2, vcc_lo
	s_lshl_b64 s[22:23], s[8:9], 12
	s_mov_b32 s9, 0
	s_inst_prefetch 0x1
	s_branch .LBB368_19
	.p2align	6
.LBB368_18:                             ;   in Loop: Header=BB368_19 Depth=1
	s_or_b32 exec_lo, exec_lo, s24
	v_add_co_u32 v1, vcc_lo, v1, s22
	v_add_co_ci_u32_e64 v2, null, s23, v2, vcc_lo
	s_addk_i32 s9, 0x100
	s_cmp_ge_i32 s9, s7
	s_cbranch_scc1 .LBB368_21
.LBB368_19:                             ; =>This Inner Loop Header: Depth=1
	v_add_nc_u32_e32 v3, s9, v0
	s_mov_b32 s24, exec_lo
	v_cmpx_gt_i32_e64 s7, v3
	s_cbranch_execz .LBB368_18
; %bb.20:                               ;   in Loop: Header=BB368_19 Depth=1
	flat_load_dwordx4 v[3:6], v[1:2]
	s_waitcnt vmcnt(0) lgkmcnt(0)
	v_mul_f64 v[7:8], s[2:3], v[5:6]
	v_mul_f64 v[9:10], s[0:1], v[5:6]
	v_fma_f64 v[5:6], s[0:1], v[3:4], -v[7:8]
	v_fma_f64 v[7:8], s[2:3], v[3:4], v[9:10]
	flat_store_dwordx4 v[1:2], v[5:8]
	s_branch .LBB368_18
.LBB368_21:
	s_inst_prefetch 0x2
	s_mov_b32 s9, 0
.LBB368_22:
	s_andn2_b32 vcc_lo, exec_lo, s9
	s_cbranch_vccnz .LBB368_40
; %bb.23:
	s_mov_b32 s9, exec_lo
	s_waitcnt lgkmcnt(0)
	v_cmpx_gt_i32_e64 s6, v0
	s_cbranch_execz .LBB368_25
; %bb.24:
	s_load_dword s22, s[4:5], 0x48
	s_waitcnt lgkmcnt(0)
	v_mad_i64_i32 v[1:2], null, s22, v0, 0
	v_lshlrev_b64 v[1:2], 4, v[1:2]
	v_add_co_u32 v1, vcc_lo, s20, v1
	v_add_co_ci_u32_e64 v2, null, s21, v2, vcc_lo
	flat_load_dwordx4 v[1:4], v[1:2]
	s_waitcnt vmcnt(0) lgkmcnt(0)
	v_mul_f64 v[5:6], s[18:19], v[3:4]
	v_mul_f64 v[7:8], s[16:17], v[3:4]
	v_fma_f64 v[3:4], s[16:17], v[1:2], -v[5:6]
	v_fma_f64 v[5:6], s[18:19], v[1:2], v[7:8]
	v_lshlrev_b32_e32 v1, 4, v0
	ds_write_b128 v1, v[3:6]
.LBB368_25:
	s_or_b32 exec_lo, exec_lo, s9
	s_cmp_lt_i32 s7, 1
	s_waitcnt lgkmcnt(0)
	s_waitcnt_vscnt null, 0x0
	s_barrier
	buffer_gl0_inv
	s_cbranch_scc1 .LBB368_40
; %bb.26:
	s_load_dword s22, s[4:5], 0x28
	v_cmp_neq_f64_e64 s4, s[0:1], 0
	v_cmp_neq_f64_e64 s16, s[2:3], 0
	s_lshl_b64 s[14:15], s[14:15], 4
	s_mov_b32 s5, 0
	s_add_u32 s9, s12, s14
	s_addc_u32 s14, s13, s15
	s_ashr_i32 s15, s8, 31
	s_mov_b32 s21, 0
	s_waitcnt lgkmcnt(0)
	v_mad_i64_i32 v[1:2], null, s22, v0, 0
	s_ashr_i32 s23, s22, 31
	s_or_b32 s16, s4, s16
	s_cmp_gt_i32 s6, 0
	s_cselect_b32 s17, -1, 0
	v_lshlrev_b64 v[1:2], 4, v[1:2]
	s_and_b32 s18, s6, 7
	s_cmp_gt_u32 s6, 7
	s_cselect_b32 s19, -1, 0
	s_and_b32 s6, s6, 0x7ffffff8
	v_add_co_u32 v5, vcc_lo, s10, v1
	v_add_co_ci_u32_e64 v6, null, s11, v2, vcc_lo
	s_cmp_lg_u32 s18, 0
	s_cselect_b32 s20, -1, 0
	s_lshl_b64 s[10:11], s[22:23], 12
	s_branch .LBB368_29
.LBB368_27:                             ;   in Loop: Header=BB368_29 Depth=1
	v_add_co_u32 v7, vcc_lo, s9, v7
	v_add_co_ci_u32_e64 v8, null, s14, v8, vcc_lo
	flat_store_dwordx4 v[7:8], v[1:4]
.LBB368_28:                             ;   in Loop: Header=BB368_29 Depth=1
	s_or_b32 exec_lo, exec_lo, s22
	v_add_co_u32 v5, vcc_lo, v5, s10
	v_add_co_ci_u32_e64 v6, null, s11, v6, vcc_lo
	s_addk_i32 s21, 0x100
	s_cmp_ge_i32 s21, s7
	s_cbranch_scc1 .LBB368_40
.LBB368_29:                             ; =>This Loop Header: Depth=1
                                        ;     Child Loop BB368_35 Depth 2
                                        ;     Child Loop BB368_39 Depth 2
	v_add_nc_u32_e32 v1, s21, v0
	s_mov_b32 s22, exec_lo
	v_cmpx_gt_i32_e64 s7, v1
	s_cbranch_execz .LBB368_28
; %bb.30:                               ;   in Loop: Header=BB368_29 Depth=1
	v_mad_u64_u32 v[3:4], null, v1, s8, 0
	s_andn2_b32 vcc_lo, exec_lo, s16
	v_mov_b32_e32 v2, v4
	v_mad_u64_u32 v[1:2], null, v1, s15, v[2:3]
	v_mov_b32_e32 v4, v1
	v_mov_b32_e32 v1, 0
	;; [unrolled: 1-line block ×3, first 2 shown]
	v_lshlrev_b64 v[7:8], 4, v[3:4]
	v_mov_b32_e32 v3, 0
	v_mov_b32_e32 v4, 0
	s_cbranch_vccnz .LBB368_32
; %bb.31:                               ;   in Loop: Header=BB368_29 Depth=1
	v_add_co_u32 v1, vcc_lo, s9, v7
	v_add_co_ci_u32_e64 v2, null, s14, v8, vcc_lo
	flat_load_dwordx4 v[9:12], v[1:2]
	s_waitcnt vmcnt(0) lgkmcnt(0)
	v_mul_f64 v[1:2], s[2:3], v[11:12]
	v_mul_f64 v[3:4], s[0:1], v[11:12]
	v_fma_f64 v[1:2], s[0:1], v[9:10], -v[1:2]
	v_fma_f64 v[3:4], s[2:3], v[9:10], v[3:4]
.LBB368_32:                             ;   in Loop: Header=BB368_29 Depth=1
	s_andn2_b32 vcc_lo, exec_lo, s17
	s_cbranch_vccnz .LBB368_27
; %bb.33:                               ;   in Loop: Header=BB368_29 Depth=1
	s_andn2_b32 vcc_lo, exec_lo, s19
	s_mov_b32 s4, 0
	s_cbranch_vccnz .LBB368_37
; %bb.34:                               ;   in Loop: Header=BB368_29 Depth=1
	v_mov_b32_e32 v10, v6
	v_mov_b32_e32 v9, v5
	s_mov_b32 s12, 0
.LBB368_35:                             ;   Parent Loop BB368_29 Depth=1
                                        ; =>  This Inner Loop Header: Depth=2
	s_clause 0x7
	flat_load_dwordx4 v[11:14], v[9:10]
	flat_load_dwordx4 v[15:18], v[9:10] offset:16
	flat_load_dwordx4 v[19:22], v[9:10] offset:32
	;; [unrolled: 1-line block ×7, first 2 shown]
	v_mov_b32_e32 v59, s4
	v_add_co_u32 v9, vcc_lo, 0x80, v9
	v_add_co_ci_u32_e64 v10, null, 0, v10, vcc_lo
	ds_read_b128 v[43:46], v59
	ds_read_b128 v[47:50], v59 offset:16
	s_add_i32 s12, s12, 8
	s_addk_i32 s4, 0x80
	s_cmp_eq_u32 s6, s12
	s_waitcnt vmcnt(7) lgkmcnt(1)
	v_mul_f64 v[51:52], v[13:14], v[45:46]
	v_mul_f64 v[13:14], v[13:14], v[43:44]
	s_waitcnt vmcnt(6) lgkmcnt(0)
	v_mul_f64 v[53:54], v[17:18], v[49:50]
	v_mul_f64 v[17:18], v[17:18], v[47:48]
	v_fma_f64 v[51:52], v[11:12], v[43:44], v[51:52]
	v_fma_f64 v[55:56], v[11:12], v[45:46], -v[13:14]
	ds_read_b128 v[11:14], v59 offset:32
	ds_read_b128 v[43:46], v59 offset:48
	v_fma_f64 v[47:48], v[15:16], v[47:48], v[53:54]
	v_fma_f64 v[15:16], v[15:16], v[49:50], -v[17:18]
	s_waitcnt vmcnt(5) lgkmcnt(1)
	v_mul_f64 v[57:58], v[21:22], v[13:14]
	v_mul_f64 v[21:22], v[21:22], v[11:12]
	v_add_f64 v[1:2], v[1:2], v[51:52]
	v_add_f64 v[3:4], v[3:4], v[55:56]
	s_waitcnt vmcnt(4) lgkmcnt(0)
	v_mul_f64 v[17:18], v[25:26], v[45:46]
	v_mul_f64 v[25:26], v[25:26], v[43:44]
	v_fma_f64 v[49:50], v[19:20], v[11:12], v[57:58]
	v_fma_f64 v[19:20], v[19:20], v[13:14], -v[21:22]
	v_add_f64 v[21:22], v[1:2], v[47:48]
	v_add_f64 v[15:16], v[3:4], v[15:16]
	ds_read_b128 v[1:4], v59 offset:64
	ds_read_b128 v[11:14], v59 offset:80
	v_fma_f64 v[17:18], v[23:24], v[43:44], v[17:18]
	v_fma_f64 v[23:24], v[23:24], v[45:46], -v[25:26]
	s_waitcnt vmcnt(3) lgkmcnt(1)
	v_mul_f64 v[47:48], v[29:30], v[3:4]
	v_mul_f64 v[29:30], v[29:30], v[1:2]
	v_add_f64 v[21:22], v[21:22], v[49:50]
	v_add_f64 v[15:16], v[15:16], v[19:20]
	s_waitcnt vmcnt(2) lgkmcnt(0)
	v_mul_f64 v[19:20], v[33:34], v[13:14]
	v_mul_f64 v[25:26], v[33:34], v[11:12]
	v_fma_f64 v[33:34], v[27:28], v[1:2], v[47:48]
	v_fma_f64 v[27:28], v[27:28], v[3:4], -v[29:30]
	v_add_f64 v[21:22], v[21:22], v[17:18]
	v_add_f64 v[23:24], v[15:16], v[23:24]
	;; [unrolled: 16-line block ×3, first 2 shown]
	v_fma_f64 v[15:16], v[39:40], v[15:16], v[23:24]
	v_fma_f64 v[17:18], v[39:40], v[17:18], -v[25:26]
	v_add_f64 v[1:2], v[11:12], v[1:2]
	v_add_f64 v[3:4], v[13:14], v[3:4]
	;; [unrolled: 1-line block ×4, first 2 shown]
	s_cbranch_scc0 .LBB368_35
; %bb.36:                               ;   in Loop: Header=BB368_29 Depth=1
	s_mov_b32 s4, s6
.LBB368_37:                             ;   in Loop: Header=BB368_29 Depth=1
	s_andn2_b32 vcc_lo, exec_lo, s20
	s_cbranch_vccnz .LBB368_27
; %bb.38:                               ;   in Loop: Header=BB368_29 Depth=1
	s_lshl_b32 s23, s4, 4
	s_lshl_b64 s[12:13], s[4:5], 4
	s_mov_b32 s4, s18
	.p2align	6
.LBB368_39:                             ;   Parent Loop BB368_29 Depth=1
                                        ; =>  This Inner Loop Header: Depth=2
	v_add_co_u32 v9, vcc_lo, v5, s12
	v_add_co_ci_u32_e64 v10, null, s13, v6, vcc_lo
	v_mov_b32_e32 v13, s23
	s_add_i32 s23, s23, 16
	s_add_u32 s12, s12, 16
	flat_load_dwordx4 v[9:12], v[9:10]
	s_addc_u32 s13, s13, 0
	ds_read_b128 v[13:16], v13
	s_add_i32 s4, s4, -1
	s_cmp_lg_u32 s4, 0
	s_waitcnt vmcnt(0) lgkmcnt(0)
	v_mul_f64 v[17:18], v[11:12], v[15:16]
	v_mul_f64 v[11:12], v[11:12], v[13:14]
	v_fma_f64 v[13:14], v[9:10], v[13:14], v[17:18]
	v_fma_f64 v[9:10], v[9:10], v[15:16], -v[11:12]
	v_add_f64 v[1:2], v[1:2], v[13:14]
	v_add_f64 v[3:4], v[3:4], v[9:10]
	s_cbranch_scc1 .LBB368_39
	s_branch .LBB368_27
.LBB368_40:
	s_endpgm
	.section	.rodata,"a",@progbits
	.p2align	6, 0x0
	.amdhsa_kernel _ZL22rocblas_gemvtsm_kernelILb1ELi256EPK19rocblas_complex_numIdES3_KPS1_EviiT2_lPKT1_lilS9_lilS6_lPT3_lil
		.amdhsa_group_segment_fixed_size 1024
		.amdhsa_private_segment_fixed_size 0
		.amdhsa_kernarg_size 136
		.amdhsa_user_sgpr_count 6
		.amdhsa_user_sgpr_private_segment_buffer 1
		.amdhsa_user_sgpr_dispatch_ptr 0
		.amdhsa_user_sgpr_queue_ptr 0
		.amdhsa_user_sgpr_kernarg_segment_ptr 1
		.amdhsa_user_sgpr_dispatch_id 0
		.amdhsa_user_sgpr_flat_scratch_init 0
		.amdhsa_user_sgpr_private_segment_size 0
		.amdhsa_wavefront_size32 1
		.amdhsa_uses_dynamic_stack 0
		.amdhsa_system_sgpr_private_segment_wavefront_offset 0
		.amdhsa_system_sgpr_workgroup_id_x 1
		.amdhsa_system_sgpr_workgroup_id_y 0
		.amdhsa_system_sgpr_workgroup_id_z 0
		.amdhsa_system_sgpr_workgroup_info 0
		.amdhsa_system_vgpr_workitem_id 0
		.amdhsa_next_free_vgpr 60
		.amdhsa_next_free_sgpr 26
		.amdhsa_reserve_vcc 1
		.amdhsa_reserve_flat_scratch 1
		.amdhsa_float_round_mode_32 0
		.amdhsa_float_round_mode_16_64 0
		.amdhsa_float_denorm_mode_32 3
		.amdhsa_float_denorm_mode_16_64 3
		.amdhsa_dx10_clamp 1
		.amdhsa_ieee_mode 1
		.amdhsa_fp16_overflow 0
		.amdhsa_workgroup_processor_mode 1
		.amdhsa_memory_ordered 1
		.amdhsa_forward_progress 1
		.amdhsa_shared_vgpr_count 0
		.amdhsa_exception_fp_ieee_invalid_op 0
		.amdhsa_exception_fp_denorm_src 0
		.amdhsa_exception_fp_ieee_div_zero 0
		.amdhsa_exception_fp_ieee_overflow 0
		.amdhsa_exception_fp_ieee_underflow 0
		.amdhsa_exception_fp_ieee_inexact 0
		.amdhsa_exception_int_div_zero 0
	.end_amdhsa_kernel
	.section	.text._ZL22rocblas_gemvtsm_kernelILb1ELi256EPK19rocblas_complex_numIdES3_KPS1_EviiT2_lPKT1_lilS9_lilS6_lPT3_lil,"axG",@progbits,_ZL22rocblas_gemvtsm_kernelILb1ELi256EPK19rocblas_complex_numIdES3_KPS1_EviiT2_lPKT1_lilS9_lilS6_lPT3_lil,comdat
.Lfunc_end368:
	.size	_ZL22rocblas_gemvtsm_kernelILb1ELi256EPK19rocblas_complex_numIdES3_KPS1_EviiT2_lPKT1_lilS9_lilS6_lPT3_lil, .Lfunc_end368-_ZL22rocblas_gemvtsm_kernelILb1ELi256EPK19rocblas_complex_numIdES3_KPS1_EviiT2_lPKT1_lilS9_lilS6_lPT3_lil
                                        ; -- End function
	.set _ZL22rocblas_gemvtsm_kernelILb1ELi256EPK19rocblas_complex_numIdES3_KPS1_EviiT2_lPKT1_lilS9_lilS6_lPT3_lil.num_vgpr, 60
	.set _ZL22rocblas_gemvtsm_kernelILb1ELi256EPK19rocblas_complex_numIdES3_KPS1_EviiT2_lPKT1_lilS9_lilS6_lPT3_lil.num_agpr, 0
	.set _ZL22rocblas_gemvtsm_kernelILb1ELi256EPK19rocblas_complex_numIdES3_KPS1_EviiT2_lPKT1_lilS9_lilS6_lPT3_lil.numbered_sgpr, 26
	.set _ZL22rocblas_gemvtsm_kernelILb1ELi256EPK19rocblas_complex_numIdES3_KPS1_EviiT2_lPKT1_lilS9_lilS6_lPT3_lil.num_named_barrier, 0
	.set _ZL22rocblas_gemvtsm_kernelILb1ELi256EPK19rocblas_complex_numIdES3_KPS1_EviiT2_lPKT1_lilS9_lilS6_lPT3_lil.private_seg_size, 0
	.set _ZL22rocblas_gemvtsm_kernelILb1ELi256EPK19rocblas_complex_numIdES3_KPS1_EviiT2_lPKT1_lilS9_lilS6_lPT3_lil.uses_vcc, 1
	.set _ZL22rocblas_gemvtsm_kernelILb1ELi256EPK19rocblas_complex_numIdES3_KPS1_EviiT2_lPKT1_lilS9_lilS6_lPT3_lil.uses_flat_scratch, 1
	.set _ZL22rocblas_gemvtsm_kernelILb1ELi256EPK19rocblas_complex_numIdES3_KPS1_EviiT2_lPKT1_lilS9_lilS6_lPT3_lil.has_dyn_sized_stack, 0
	.set _ZL22rocblas_gemvtsm_kernelILb1ELi256EPK19rocblas_complex_numIdES3_KPS1_EviiT2_lPKT1_lilS9_lilS6_lPT3_lil.has_recursion, 0
	.set _ZL22rocblas_gemvtsm_kernelILb1ELi256EPK19rocblas_complex_numIdES3_KPS1_EviiT2_lPKT1_lilS9_lilS6_lPT3_lil.has_indirect_call, 0
	.section	.AMDGPU.csdata,"",@progbits
; Kernel info:
; codeLenInByte = 2104
; TotalNumSgprs: 28
; NumVgprs: 60
; ScratchSize: 0
; MemoryBound: 0
; FloatMode: 240
; IeeeMode: 1
; LDSByteSize: 1024 bytes/workgroup (compile time only)
; SGPRBlocks: 0
; VGPRBlocks: 7
; NumSGPRsForWavesPerEU: 28
; NumVGPRsForWavesPerEU: 60
; Occupancy: 16
; WaveLimiterHint : 1
; COMPUTE_PGM_RSRC2:SCRATCH_EN: 0
; COMPUTE_PGM_RSRC2:USER_SGPR: 6
; COMPUTE_PGM_RSRC2:TRAP_HANDLER: 0
; COMPUTE_PGM_RSRC2:TGID_X_EN: 1
; COMPUTE_PGM_RSRC2:TGID_Y_EN: 0
; COMPUTE_PGM_RSRC2:TGID_Z_EN: 0
; COMPUTE_PGM_RSRC2:TIDIG_COMP_CNT: 0
	.section	.text._ZL22rocblas_gemvtsm_kernelILb1ELi256EPK19rocblas_complex_numIdES1_KPS1_EviiT2_lPKT1_lilS9_lilS6_lPT3_lil,"axG",@progbits,_ZL22rocblas_gemvtsm_kernelILb1ELi256EPK19rocblas_complex_numIdES1_KPS1_EviiT2_lPKT1_lilS9_lilS6_lPT3_lil,comdat
	.globl	_ZL22rocblas_gemvtsm_kernelILb1ELi256EPK19rocblas_complex_numIdES1_KPS1_EviiT2_lPKT1_lilS9_lilS6_lPT3_lil ; -- Begin function _ZL22rocblas_gemvtsm_kernelILb1ELi256EPK19rocblas_complex_numIdES1_KPS1_EviiT2_lPKT1_lilS9_lilS6_lPT3_lil
	.p2align	8
	.type	_ZL22rocblas_gemvtsm_kernelILb1ELi256EPK19rocblas_complex_numIdES1_KPS1_EviiT2_lPKT1_lilS9_lilS6_lPT3_lil,@function
_ZL22rocblas_gemvtsm_kernelILb1ELi256EPK19rocblas_complex_numIdES1_KPS1_EviiT2_lPKT1_lilS9_lilS6_lPT3_lil: ; @_ZL22rocblas_gemvtsm_kernelILb1ELi256EPK19rocblas_complex_numIdES1_KPS1_EviiT2_lPKT1_lilS9_lilS6_lPT3_lil
; %bb.0:
	s_clause 0x1
	s_load_dwordx4 s[8:11], s[4:5], 0x8
	s_load_dwordx4 s[0:3], s[4:5], 0x60
	s_waitcnt lgkmcnt(0)
	v_cmp_neq_f64_e64 s7, s[8:9], 0
	v_cmp_neq_f64_e64 s12, s[10:11], 0
	s_or_b32 s12, s7, s12
	s_mov_b32 s7, -1
	s_and_b32 vcc_lo, exec_lo, s12
	s_cbranch_vccnz .LBB369_2
; %bb.1:
	v_cmp_neq_f64_e64 s7, s[0:1], 1.0
	v_cmp_neq_f64_e64 s13, s[2:3], 0
	s_or_b32 s7, s7, s13
.LBB369_2:
	s_andn2_b32 vcc_lo, exec_lo, s7
	s_cbranch_vccnz .LBB369_42
; %bb.3:
	s_xor_b32 s7, s12, -1
	v_cndmask_b32_e64 v1, 0, 1, s7
	s_andn2_b32 vcc_lo, exec_lo, s7
	s_mov_b32 s7, 0
	s_cbranch_vccnz .LBB369_5
; %bb.4:
	s_mov_b32 s13, s7
	s_mov_b64 s[18:19], 0
	s_andn2_b32 vcc_lo, exec_lo, s13
	s_mov_b64 s[16:17], 0
	s_cbranch_vccz .LBB369_6
	s_branch .LBB369_7
.LBB369_5:
	s_mov_b64 s[18:19], 0
	s_mov_b64 s[16:17], 0
.LBB369_6:
	s_load_dwordx4 s[20:23], s[4:5], 0x20
	s_lshl_b64 s[14:15], s[6:7], 3
	s_waitcnt lgkmcnt(0)
	s_add_u32 s14, s20, s14
	s_addc_u32 s15, s21, s15
	s_lshl_b64 s[16:17], s[22:23], 4
	s_load_dwordx2 s[14:15], s[14:15], 0x0
	s_waitcnt lgkmcnt(0)
	s_add_u32 s16, s14, s16
	s_addc_u32 s17, s15, s17
.LBB369_7:
	s_andn2_b32 vcc_lo, exec_lo, s12
	s_cbranch_vccnz .LBB369_9
; %bb.8:
	s_load_dwordx4 s[12:15], s[4:5], 0x40
	s_lshl_b64 s[18:19], s[6:7], 3
	s_waitcnt lgkmcnt(0)
	s_add_u32 s12, s12, s18
	s_addc_u32 s13, s13, s19
	s_lshl_b64 s[14:15], s[14:15], 4
	s_load_dwordx2 s[12:13], s[12:13], 0x0
	s_waitcnt lgkmcnt(0)
	s_add_u32 s18, s12, s14
	s_addc_u32 s19, s13, s15
.LBB369_9:
	s_load_dwordx4 s[12:15], s[4:5], 0x78
	s_lshl_b64 s[20:21], s[6:7], 3
	s_load_dwordx2 s[6:7], s[4:5], 0x0
	v_cmp_ne_u32_e32 vcc_lo, 1, v1
	s_waitcnt lgkmcnt(0)
	s_add_u32 s20, s12, s20
	s_addc_u32 s21, s13, s21
	s_load_dword s12, s[4:5], 0x88
	s_load_dwordx2 s[20:21], s[20:21], 0x0
	s_mov_b32 s13, -1
	s_cbranch_vccnz .LBB369_24
; %bb.10:
	v_cmp_neq_f64_e64 s13, s[0:1], 0
	v_cmp_neq_f64_e64 s22, s[2:3], 0
	s_or_b32 s13, s13, s22
	s_cmp_gt_i32 s7, 0
	s_cselect_b32 s24, -1, 0
	s_and_b32 vcc_lo, exec_lo, s13
	s_mov_b32 s13, -1
	s_cbranch_vccnz .LBB369_17
; %bb.11:
	s_andn2_b32 vcc_lo, exec_lo, s24
	s_cbranch_vccnz .LBB369_16
; %bb.12:
	s_waitcnt lgkmcnt(0)
	v_mad_i64_i32 v[1:2], null, s12, v0, 0
	s_lshl_b64 s[22:23], s[14:15], 4
	s_ashr_i32 s13, s12, 31
	s_add_u32 s22, s20, s22
	s_addc_u32 s23, s21, s23
	v_lshlrev_b64 v[1:2], 4, v[1:2]
	v_add_co_u32 v5, vcc_lo, s22, v1
	v_add_co_ci_u32_e64 v6, null, s23, v2, vcc_lo
	v_mov_b32_e32 v1, 0
	s_lshl_b64 s[22:23], s[12:13], 12
	s_mov_b32 s13, 0
	s_branch .LBB369_14
	.p2align	6
.LBB369_13:                             ;   in Loop: Header=BB369_14 Depth=1
	s_or_b32 exec_lo, exec_lo, s25
	v_add_co_u32 v5, vcc_lo, v5, s22
	v_add_co_ci_u32_e64 v6, null, s23, v6, vcc_lo
	s_addk_i32 s13, 0x100
	s_cmp_ge_i32 s13, s7
	s_cbranch_scc1 .LBB369_16
.LBB369_14:                             ; =>This Inner Loop Header: Depth=1
	v_add_nc_u32_e32 v2, s13, v0
	s_mov_b32 s25, exec_lo
	v_cmpx_gt_i32_e64 s7, v2
	s_cbranch_execz .LBB369_13
; %bb.15:                               ;   in Loop: Header=BB369_14 Depth=1
	v_mov_b32_e32 v2, v1
	v_mov_b32_e32 v3, v1
	v_mov_b32_e32 v4, v1
	flat_store_dwordx4 v[5:6], v[1:4]
	s_branch .LBB369_13
.LBB369_16:
	s_mov_b32 s13, 0
.LBB369_17:
	s_andn2_b32 vcc_lo, exec_lo, s13
	s_cbranch_vccnz .LBB369_23
; %bb.18:
	s_andn2_b32 vcc_lo, exec_lo, s24
	s_cbranch_vccnz .LBB369_23
; %bb.19:
	s_waitcnt lgkmcnt(0)
	v_mad_i64_i32 v[1:2], null, s12, v0, 0
	s_lshl_b64 s[22:23], s[14:15], 4
	s_ashr_i32 s13, s12, 31
	s_add_u32 s22, s20, s22
	s_addc_u32 s23, s21, s23
	v_lshlrev_b64 v[1:2], 4, v[1:2]
	v_add_co_u32 v1, vcc_lo, s22, v1
	v_add_co_ci_u32_e64 v2, null, s23, v2, vcc_lo
	s_lshl_b64 s[22:23], s[12:13], 12
	s_mov_b32 s13, 0
	s_inst_prefetch 0x1
	s_branch .LBB369_21
	.p2align	6
.LBB369_20:                             ;   in Loop: Header=BB369_21 Depth=1
	s_or_b32 exec_lo, exec_lo, s24
	v_add_co_u32 v1, vcc_lo, v1, s22
	v_add_co_ci_u32_e64 v2, null, s23, v2, vcc_lo
	s_addk_i32 s13, 0x100
	s_cmp_ge_i32 s13, s7
	s_cbranch_scc1 .LBB369_23
.LBB369_21:                             ; =>This Inner Loop Header: Depth=1
	v_add_nc_u32_e32 v3, s13, v0
	s_mov_b32 s24, exec_lo
	v_cmpx_gt_i32_e64 s7, v3
	s_cbranch_execz .LBB369_20
; %bb.22:                               ;   in Loop: Header=BB369_21 Depth=1
	flat_load_dwordx4 v[3:6], v[1:2]
	s_waitcnt vmcnt(0) lgkmcnt(0)
	v_mul_f64 v[7:8], s[2:3], v[5:6]
	v_mul_f64 v[9:10], s[0:1], v[5:6]
	v_fma_f64 v[5:6], s[0:1], v[3:4], -v[7:8]
	v_fma_f64 v[7:8], s[2:3], v[3:4], v[9:10]
	flat_store_dwordx4 v[1:2], v[5:8]
	s_branch .LBB369_20
.LBB369_23:
	s_inst_prefetch 0x2
	s_mov_b32 s13, 0
.LBB369_24:
	s_andn2_b32 vcc_lo, exec_lo, s13
	s_cbranch_vccnz .LBB369_42
; %bb.25:
	s_mov_b32 s13, exec_lo
	v_cmpx_gt_i32_e64 s6, v0
	s_cbranch_execz .LBB369_27
; %bb.26:
	s_load_dword s22, s[4:5], 0x50
	s_waitcnt lgkmcnt(0)
	v_mad_i64_i32 v[1:2], null, s22, v0, 0
	v_lshlrev_b64 v[1:2], 4, v[1:2]
	v_add_co_u32 v1, vcc_lo, s18, v1
	v_add_co_ci_u32_e64 v2, null, s19, v2, vcc_lo
	flat_load_dwordx4 v[1:4], v[1:2]
	s_waitcnt vmcnt(0) lgkmcnt(0)
	v_mul_f64 v[5:6], s[10:11], v[3:4]
	v_mul_f64 v[7:8], s[8:9], v[3:4]
	v_fma_f64 v[3:4], s[8:9], v[1:2], -v[5:6]
	v_fma_f64 v[5:6], s[10:11], v[1:2], v[7:8]
	v_lshlrev_b32_e32 v1, 4, v0
	ds_write_b128 v1, v[3:6]
.LBB369_27:
	s_or_b32 exec_lo, exec_lo, s13
	s_cmp_lt_i32 s7, 1
	s_waitcnt lgkmcnt(0)
	s_waitcnt_vscnt null, 0x0
	s_barrier
	buffer_gl0_inv
	s_cbranch_scc1 .LBB369_42
; %bb.28:
	s_load_dword s8, s[4:5], 0x30
	v_cmp_neq_f64_e64 s4, s[0:1], 0
	v_cmp_neq_f64_e64 s18, s[2:3], 0
	s_lshl_b64 s[10:11], s[14:15], 4
	s_mov_b32 s5, 0
	s_add_u32 s13, s20, s10
	s_addc_u32 s14, s21, s11
	s_ashr_i32 s15, s12, 31
	s_waitcnt lgkmcnt(0)
	v_mad_i64_i32 v[1:2], null, s8, v0, 0
	s_ashr_i32 s9, s8, 31
	s_or_b32 s18, s4, s18
	s_cmp_gt_i32 s6, 0
	s_cselect_b32 s19, -1, 0
	v_lshlrev_b64 v[1:2], 4, v[1:2]
	s_and_b32 s20, s6, 7
	s_cmp_gt_u32 s6, 7
	s_cselect_b32 s21, -1, 0
	s_and_b32 s6, s6, 0x7ffffff8
	v_add_co_u32 v5, vcc_lo, s16, v1
	v_add_co_ci_u32_e64 v6, null, s17, v2, vcc_lo
	s_cmp_lg_u32 s20, 0
	s_mov_b32 s17, 0
	s_cselect_b32 s16, -1, 0
	s_lshl_b64 s[8:9], s[8:9], 12
	s_branch .LBB369_31
.LBB369_29:                             ;   in Loop: Header=BB369_31 Depth=1
	v_add_co_u32 v7, vcc_lo, s13, v7
	v_add_co_ci_u32_e64 v8, null, s14, v8, vcc_lo
	flat_store_dwordx4 v[7:8], v[1:4]
.LBB369_30:                             ;   in Loop: Header=BB369_31 Depth=1
	s_or_b32 exec_lo, exec_lo, s22
	v_add_co_u32 v5, vcc_lo, v5, s8
	v_add_co_ci_u32_e64 v6, null, s9, v6, vcc_lo
	s_addk_i32 s17, 0x100
	s_cmp_ge_i32 s17, s7
	s_cbranch_scc1 .LBB369_42
.LBB369_31:                             ; =>This Loop Header: Depth=1
                                        ;     Child Loop BB369_37 Depth 2
                                        ;     Child Loop BB369_41 Depth 2
	v_add_nc_u32_e32 v1, s17, v0
	s_mov_b32 s22, exec_lo
	v_cmpx_gt_i32_e64 s7, v1
	s_cbranch_execz .LBB369_30
; %bb.32:                               ;   in Loop: Header=BB369_31 Depth=1
	v_mad_u64_u32 v[3:4], null, v1, s12, 0
	s_andn2_b32 vcc_lo, exec_lo, s18
	v_mov_b32_e32 v2, v4
	v_mad_u64_u32 v[1:2], null, v1, s15, v[2:3]
	v_mov_b32_e32 v4, v1
	v_mov_b32_e32 v1, 0
	;; [unrolled: 1-line block ×3, first 2 shown]
	v_lshlrev_b64 v[7:8], 4, v[3:4]
	v_mov_b32_e32 v3, 0
	v_mov_b32_e32 v4, 0
	s_cbranch_vccnz .LBB369_34
; %bb.33:                               ;   in Loop: Header=BB369_31 Depth=1
	v_add_co_u32 v1, vcc_lo, s13, v7
	v_add_co_ci_u32_e64 v2, null, s14, v8, vcc_lo
	flat_load_dwordx4 v[9:12], v[1:2]
	s_waitcnt vmcnt(0) lgkmcnt(0)
	v_mul_f64 v[1:2], s[2:3], v[11:12]
	v_mul_f64 v[3:4], s[0:1], v[11:12]
	v_fma_f64 v[1:2], s[0:1], v[9:10], -v[1:2]
	v_fma_f64 v[3:4], s[2:3], v[9:10], v[3:4]
.LBB369_34:                             ;   in Loop: Header=BB369_31 Depth=1
	s_andn2_b32 vcc_lo, exec_lo, s19
	s_cbranch_vccnz .LBB369_29
; %bb.35:                               ;   in Loop: Header=BB369_31 Depth=1
	s_andn2_b32 vcc_lo, exec_lo, s21
	s_mov_b32 s4, 0
	s_cbranch_vccnz .LBB369_39
; %bb.36:                               ;   in Loop: Header=BB369_31 Depth=1
	v_mov_b32_e32 v10, v6
	v_mov_b32_e32 v9, v5
	s_mov_b32 s10, 0
.LBB369_37:                             ;   Parent Loop BB369_31 Depth=1
                                        ; =>  This Inner Loop Header: Depth=2
	s_clause 0x7
	flat_load_dwordx4 v[11:14], v[9:10]
	flat_load_dwordx4 v[15:18], v[9:10] offset:16
	flat_load_dwordx4 v[19:22], v[9:10] offset:32
	;; [unrolled: 1-line block ×7, first 2 shown]
	v_mov_b32_e32 v59, s4
	v_add_co_u32 v9, vcc_lo, 0x80, v9
	v_add_co_ci_u32_e64 v10, null, 0, v10, vcc_lo
	ds_read_b128 v[43:46], v59
	ds_read_b128 v[47:50], v59 offset:16
	s_add_i32 s10, s10, 8
	s_addk_i32 s4, 0x80
	s_cmp_eq_u32 s6, s10
	s_waitcnt vmcnt(7) lgkmcnt(1)
	v_mul_f64 v[51:52], v[13:14], v[45:46]
	v_mul_f64 v[13:14], v[13:14], v[43:44]
	s_waitcnt vmcnt(6) lgkmcnt(0)
	v_mul_f64 v[53:54], v[17:18], v[49:50]
	v_mul_f64 v[17:18], v[17:18], v[47:48]
	v_fma_f64 v[51:52], v[11:12], v[43:44], v[51:52]
	v_fma_f64 v[55:56], v[11:12], v[45:46], -v[13:14]
	ds_read_b128 v[11:14], v59 offset:32
	ds_read_b128 v[43:46], v59 offset:48
	v_fma_f64 v[47:48], v[15:16], v[47:48], v[53:54]
	v_fma_f64 v[15:16], v[15:16], v[49:50], -v[17:18]
	s_waitcnt vmcnt(5) lgkmcnt(1)
	v_mul_f64 v[57:58], v[21:22], v[13:14]
	v_mul_f64 v[21:22], v[21:22], v[11:12]
	v_add_f64 v[1:2], v[1:2], v[51:52]
	v_add_f64 v[3:4], v[3:4], v[55:56]
	s_waitcnt vmcnt(4) lgkmcnt(0)
	v_mul_f64 v[17:18], v[25:26], v[45:46]
	v_mul_f64 v[25:26], v[25:26], v[43:44]
	v_fma_f64 v[49:50], v[19:20], v[11:12], v[57:58]
	v_fma_f64 v[19:20], v[19:20], v[13:14], -v[21:22]
	v_add_f64 v[21:22], v[1:2], v[47:48]
	v_add_f64 v[15:16], v[3:4], v[15:16]
	ds_read_b128 v[1:4], v59 offset:64
	ds_read_b128 v[11:14], v59 offset:80
	v_fma_f64 v[17:18], v[23:24], v[43:44], v[17:18]
	v_fma_f64 v[23:24], v[23:24], v[45:46], -v[25:26]
	s_waitcnt vmcnt(3) lgkmcnt(1)
	v_mul_f64 v[47:48], v[29:30], v[3:4]
	v_mul_f64 v[29:30], v[29:30], v[1:2]
	v_add_f64 v[21:22], v[21:22], v[49:50]
	v_add_f64 v[15:16], v[15:16], v[19:20]
	s_waitcnt vmcnt(2) lgkmcnt(0)
	v_mul_f64 v[19:20], v[33:34], v[13:14]
	v_mul_f64 v[25:26], v[33:34], v[11:12]
	v_fma_f64 v[33:34], v[27:28], v[1:2], v[47:48]
	v_fma_f64 v[27:28], v[27:28], v[3:4], -v[29:30]
	v_add_f64 v[21:22], v[21:22], v[17:18]
	v_add_f64 v[23:24], v[15:16], v[23:24]
	;; [unrolled: 16-line block ×3, first 2 shown]
	v_fma_f64 v[15:16], v[39:40], v[15:16], v[23:24]
	v_fma_f64 v[17:18], v[39:40], v[17:18], -v[25:26]
	v_add_f64 v[1:2], v[11:12], v[1:2]
	v_add_f64 v[3:4], v[13:14], v[3:4]
	;; [unrolled: 1-line block ×4, first 2 shown]
	s_cbranch_scc0 .LBB369_37
; %bb.38:                               ;   in Loop: Header=BB369_31 Depth=1
	s_mov_b32 s4, s6
.LBB369_39:                             ;   in Loop: Header=BB369_31 Depth=1
	s_andn2_b32 vcc_lo, exec_lo, s16
	s_cbranch_vccnz .LBB369_29
; %bb.40:                               ;   in Loop: Header=BB369_31 Depth=1
	s_lshl_b32 s23, s4, 4
	s_lshl_b64 s[10:11], s[4:5], 4
	s_mov_b32 s4, s20
	.p2align	6
.LBB369_41:                             ;   Parent Loop BB369_31 Depth=1
                                        ; =>  This Inner Loop Header: Depth=2
	v_add_co_u32 v9, vcc_lo, v5, s10
	v_add_co_ci_u32_e64 v10, null, s11, v6, vcc_lo
	v_mov_b32_e32 v13, s23
	s_add_i32 s23, s23, 16
	s_add_u32 s10, s10, 16
	flat_load_dwordx4 v[9:12], v[9:10]
	s_addc_u32 s11, s11, 0
	ds_read_b128 v[13:16], v13
	s_add_i32 s4, s4, -1
	s_cmp_lg_u32 s4, 0
	s_waitcnt vmcnt(0) lgkmcnt(0)
	v_mul_f64 v[17:18], v[11:12], v[15:16]
	v_mul_f64 v[11:12], v[11:12], v[13:14]
	v_fma_f64 v[13:14], v[9:10], v[13:14], v[17:18]
	v_fma_f64 v[9:10], v[9:10], v[15:16], -v[11:12]
	v_add_f64 v[1:2], v[1:2], v[13:14]
	v_add_f64 v[3:4], v[3:4], v[9:10]
	s_cbranch_scc1 .LBB369_41
	s_branch .LBB369_29
.LBB369_42:
	s_endpgm
	.section	.rodata,"a",@progbits
	.p2align	6, 0x0
	.amdhsa_kernel _ZL22rocblas_gemvtsm_kernelILb1ELi256EPK19rocblas_complex_numIdES1_KPS1_EviiT2_lPKT1_lilS9_lilS6_lPT3_lil
		.amdhsa_group_segment_fixed_size 1024
		.amdhsa_private_segment_fixed_size 0
		.amdhsa_kernarg_size 152
		.amdhsa_user_sgpr_count 6
		.amdhsa_user_sgpr_private_segment_buffer 1
		.amdhsa_user_sgpr_dispatch_ptr 0
		.amdhsa_user_sgpr_queue_ptr 0
		.amdhsa_user_sgpr_kernarg_segment_ptr 1
		.amdhsa_user_sgpr_dispatch_id 0
		.amdhsa_user_sgpr_flat_scratch_init 0
		.amdhsa_user_sgpr_private_segment_size 0
		.amdhsa_wavefront_size32 1
		.amdhsa_uses_dynamic_stack 0
		.amdhsa_system_sgpr_private_segment_wavefront_offset 0
		.amdhsa_system_sgpr_workgroup_id_x 1
		.amdhsa_system_sgpr_workgroup_id_y 0
		.amdhsa_system_sgpr_workgroup_id_z 0
		.amdhsa_system_sgpr_workgroup_info 0
		.amdhsa_system_vgpr_workitem_id 0
		.amdhsa_next_free_vgpr 60
		.amdhsa_next_free_sgpr 26
		.amdhsa_reserve_vcc 1
		.amdhsa_reserve_flat_scratch 1
		.amdhsa_float_round_mode_32 0
		.amdhsa_float_round_mode_16_64 0
		.amdhsa_float_denorm_mode_32 3
		.amdhsa_float_denorm_mode_16_64 3
		.amdhsa_dx10_clamp 1
		.amdhsa_ieee_mode 1
		.amdhsa_fp16_overflow 0
		.amdhsa_workgroup_processor_mode 1
		.amdhsa_memory_ordered 1
		.amdhsa_forward_progress 1
		.amdhsa_shared_vgpr_count 0
		.amdhsa_exception_fp_ieee_invalid_op 0
		.amdhsa_exception_fp_denorm_src 0
		.amdhsa_exception_fp_ieee_div_zero 0
		.amdhsa_exception_fp_ieee_overflow 0
		.amdhsa_exception_fp_ieee_underflow 0
		.amdhsa_exception_fp_ieee_inexact 0
		.amdhsa_exception_int_div_zero 0
	.end_amdhsa_kernel
	.section	.text._ZL22rocblas_gemvtsm_kernelILb1ELi256EPK19rocblas_complex_numIdES1_KPS1_EviiT2_lPKT1_lilS9_lilS6_lPT3_lil,"axG",@progbits,_ZL22rocblas_gemvtsm_kernelILb1ELi256EPK19rocblas_complex_numIdES1_KPS1_EviiT2_lPKT1_lilS9_lilS6_lPT3_lil,comdat
.Lfunc_end369:
	.size	_ZL22rocblas_gemvtsm_kernelILb1ELi256EPK19rocblas_complex_numIdES1_KPS1_EviiT2_lPKT1_lilS9_lilS6_lPT3_lil, .Lfunc_end369-_ZL22rocblas_gemvtsm_kernelILb1ELi256EPK19rocblas_complex_numIdES1_KPS1_EviiT2_lPKT1_lilS9_lilS6_lPT3_lil
                                        ; -- End function
	.set _ZL22rocblas_gemvtsm_kernelILb1ELi256EPK19rocblas_complex_numIdES1_KPS1_EviiT2_lPKT1_lilS9_lilS6_lPT3_lil.num_vgpr, 60
	.set _ZL22rocblas_gemvtsm_kernelILb1ELi256EPK19rocblas_complex_numIdES1_KPS1_EviiT2_lPKT1_lilS9_lilS6_lPT3_lil.num_agpr, 0
	.set _ZL22rocblas_gemvtsm_kernelILb1ELi256EPK19rocblas_complex_numIdES1_KPS1_EviiT2_lPKT1_lilS9_lilS6_lPT3_lil.numbered_sgpr, 26
	.set _ZL22rocblas_gemvtsm_kernelILb1ELi256EPK19rocblas_complex_numIdES1_KPS1_EviiT2_lPKT1_lilS9_lilS6_lPT3_lil.num_named_barrier, 0
	.set _ZL22rocblas_gemvtsm_kernelILb1ELi256EPK19rocblas_complex_numIdES1_KPS1_EviiT2_lPKT1_lilS9_lilS6_lPT3_lil.private_seg_size, 0
	.set _ZL22rocblas_gemvtsm_kernelILb1ELi256EPK19rocblas_complex_numIdES1_KPS1_EviiT2_lPKT1_lilS9_lilS6_lPT3_lil.uses_vcc, 1
	.set _ZL22rocblas_gemvtsm_kernelILb1ELi256EPK19rocblas_complex_numIdES1_KPS1_EviiT2_lPKT1_lilS9_lilS6_lPT3_lil.uses_flat_scratch, 1
	.set _ZL22rocblas_gemvtsm_kernelILb1ELi256EPK19rocblas_complex_numIdES1_KPS1_EviiT2_lPKT1_lilS9_lilS6_lPT3_lil.has_dyn_sized_stack, 0
	.set _ZL22rocblas_gemvtsm_kernelILb1ELi256EPK19rocblas_complex_numIdES1_KPS1_EviiT2_lPKT1_lilS9_lilS6_lPT3_lil.has_recursion, 0
	.set _ZL22rocblas_gemvtsm_kernelILb1ELi256EPK19rocblas_complex_numIdES1_KPS1_EviiT2_lPKT1_lilS9_lilS6_lPT3_lil.has_indirect_call, 0
	.section	.AMDGPU.csdata,"",@progbits
; Kernel info:
; codeLenInByte = 2040
; TotalNumSgprs: 28
; NumVgprs: 60
; ScratchSize: 0
; MemoryBound: 0
; FloatMode: 240
; IeeeMode: 1
; LDSByteSize: 1024 bytes/workgroup (compile time only)
; SGPRBlocks: 0
; VGPRBlocks: 7
; NumSGPRsForWavesPerEU: 28
; NumVGPRsForWavesPerEU: 60
; Occupancy: 16
; WaveLimiterHint : 1
; COMPUTE_PGM_RSRC2:SCRATCH_EN: 0
; COMPUTE_PGM_RSRC2:USER_SGPR: 6
; COMPUTE_PGM_RSRC2:TRAP_HANDLER: 0
; COMPUTE_PGM_RSRC2:TGID_X_EN: 1
; COMPUTE_PGM_RSRC2:TGID_Y_EN: 0
; COMPUTE_PGM_RSRC2:TGID_Z_EN: 0
; COMPUTE_PGM_RSRC2:TIDIG_COMP_CNT: 0
	.section	.text._ZL23rocblas_gemvt_sn_kernelILb1ELi256ELi4EiPK19rocblas_complex_numIdES3_S1_EviiT4_lPKT3_lilS7_lilPT5_i,"axG",@progbits,_ZL23rocblas_gemvt_sn_kernelILb1ELi256ELi4EiPK19rocblas_complex_numIdES3_S1_EviiT4_lPKT3_lilS7_lilPT5_i,comdat
	.globl	_ZL23rocblas_gemvt_sn_kernelILb1ELi256ELi4EiPK19rocblas_complex_numIdES3_S1_EviiT4_lPKT3_lilS7_lilPT5_i ; -- Begin function _ZL23rocblas_gemvt_sn_kernelILb1ELi256ELi4EiPK19rocblas_complex_numIdES3_S1_EviiT4_lPKT3_lilS7_lilPT5_i
	.p2align	8
	.type	_ZL23rocblas_gemvt_sn_kernelILb1ELi256ELi4EiPK19rocblas_complex_numIdES3_S1_EviiT4_lPKT3_lilS7_lilPT5_i,@function
_ZL23rocblas_gemvt_sn_kernelILb1ELi256ELi4EiPK19rocblas_complex_numIdES3_S1_EviiT4_lPKT3_lilS7_lilPT5_i: ; @_ZL23rocblas_gemvt_sn_kernelILb1ELi256ELi4EiPK19rocblas_complex_numIdES3_S1_EviiT4_lPKT3_lilS7_lilPT5_i
; %bb.0:
	s_add_u32 s0, s0, s8
	s_load_dwordx8 s[8:15], s[4:5], 0x8
	s_mov_b32 s22, s7
	s_addc_u32 s1, s1, 0
	s_mov_b32 s23, 0
	s_mov_b64 s[20:21], 0
	s_waitcnt lgkmcnt(0)
	s_mul_i32 s7, s11, s7
	s_mul_hi_u32 s11, s10, s22
	s_mul_i32 s10, s10, s22
	s_add_i32 s11, s11, s7
	s_lshl_b64 s[10:11], s[10:11], 4
	s_add_u32 s8, s8, s10
	s_addc_u32 s9, s9, s11
	s_load_dwordx4 s[16:19], s[8:9], 0x0
	s_waitcnt lgkmcnt(0)
	v_cmp_neq_f64_e64 s7, s[16:17], 0
	v_cmp_neq_f64_e64 s8, s[18:19], 0
	s_or_b32 s7, s7, s8
	s_mov_b64 s[8:9], 0
	s_xor_b32 s24, s7, -1
	s_and_b32 vcc_lo, exec_lo, s24
	s_cbranch_vccnz .LBB370_2
; %bb.1:
	s_lshl_b64 s[8:9], s[22:23], 3
	s_add_u32 s8, s12, s8
	s_addc_u32 s9, s13, s9
	s_lshl_b64 s[10:11], s[14:15], 4
	s_load_dwordx2 s[8:9], s[8:9], 0x0
	s_waitcnt lgkmcnt(0)
	s_add_u32 s8, s8, s10
	s_addc_u32 s9, s9, s11
.LBB370_2:
	s_andn2_b32 vcc_lo, exec_lo, s7
	s_cbranch_vccnz .LBB370_4
; %bb.3:
	s_load_dwordx4 s[12:15], s[4:5], 0x38
	s_lshl_b64 s[10:11], s[22:23], 3
	s_waitcnt lgkmcnt(0)
	s_add_u32 s10, s12, s10
	s_addc_u32 s11, s13, s11
	s_lshl_b64 s[12:13], s[14:15], 4
	s_load_dwordx2 s[10:11], s[10:11], 0x0
	s_waitcnt lgkmcnt(0)
	s_add_u32 s20, s10, s12
	s_addc_u32 s21, s11, s13
.LBB370_4:
	s_clause 0x2
	s_load_dwordx2 s[12:13], s[4:5], 0x0
	s_load_dword s14, s[4:5], 0x68
	s_load_dwordx2 s[10:11], s[4:5], 0x58
	s_andn2_b32 vcc_lo, exec_lo, s24
	v_cmp_eq_u32_e64 s7, 0, v0
	s_mov_b32 s15, 0
	s_waitcnt lgkmcnt(0)
	s_ashr_i32 s28, s13, 31
	s_mul_hi_u32 s23, s13, s22
	s_mul_i32 s24, s28, s22
	s_mul_i32 s22, s13, s22
	s_add_i32 s23, s23, s24
	s_mul_hi_u32 s24, s22, s14
	s_mul_i32 s23, s23, s14
	s_mul_i32 s22, s22, s14
	s_add_i32 s23, s24, s23
	s_mov_b32 s24, -1
	s_cbranch_vccnz .LBB370_9
; %bb.5:
	s_cmp_gt_i32 s13, 0
	s_cselect_b32 s24, -1, 0
	s_and_b32 s7, s7, s24
	s_and_saveexec_b32 s29, s7
	s_cbranch_execz .LBB370_8
; %bb.6:
	s_mov_b32 s7, 0
	v_mov_b32_e32 v1, 0
	s_lshl_b64 s[24:25], s[22:23], 4
	s_lshl_b64 s[26:27], s[6:7], 4
	s_add_u32 s7, s24, s26
	s_addc_u32 s24, s25, s27
	s_add_u32 s7, s10, s7
	v_mov_b32_e32 v2, v1
	v_mov_b32_e32 v3, v1
	;; [unrolled: 1-line block ×3, first 2 shown]
	s_addc_u32 s25, s11, s24
	s_add_u32 s24, s7, 8
	s_addc_u32 s25, s25, 0
	s_lshl_b64 s[26:27], s[14:15], 4
	s_mov_b32 s7, s13
.LBB370_7:                              ; =>This Inner Loop Header: Depth=1
	s_add_i32 s7, s7, -1
	global_store_dwordx4 v1, v[1:4], s[24:25] offset:-8
	s_add_u32 s24, s24, s26
	s_addc_u32 s25, s25, s27
	s_cmp_eq_u32 s7, 0
	s_cbranch_scc0 .LBB370_7
.LBB370_8:
	s_or_b32 exec_lo, exec_lo, s29
	s_mov_b32 s24, 0
.LBB370_9:
	s_andn2_b32 vcc_lo, exec_lo, s24
	s_cbranch_vccnz .LBB370_81
; %bb.10:
	s_lshl_b64 s[22:23], s[22:23], 4
	s_clause 0x1
	s_load_dword s15, s[4:5], 0x28
	s_load_dword s33, s[4:5], 0x48
	s_add_u32 s36, s10, s22
	s_addc_u32 s11, s11, s23
	s_lshl_b32 s7, s6, 10
	s_ashr_i32 s4, s12, 31
	v_lshl_or_b32 v1, v0, 2, s7
	s_lshr_b32 s4, s4, 30
	s_lshr_b32 s5, s28, 30
	s_add_i32 s4, s12, s4
	s_add_i32 s5, s13, s5
	v_ashrrev_i32_e32 v2, 31, v1
	s_and_b32 s4, s4, -4
	s_and_b32 s37, s5, -4
	s_sub_i32 s34, s12, s4
	v_add_nc_u32_e32 v43, 4, v1
	v_lshlrev_b64 v[2:3], 4, v[1:2]
	v_add_nc_u32_e32 v44, s34, v1
	v_and_b32_e32 v41, 31, v0
	v_cmp_gt_u32_e64 s4, 32, v0
	v_mbcnt_lo_u32_b32 v42, -1, 0
	s_waitcnt lgkmcnt(0)
	v_mul_lo_u32 v21, s33, v1
	v_add_co_u32 v35, vcc_lo, s8, v2
	v_add_co_ci_u32_e64 v36, null, s9, v3, vcc_lo
	v_cmp_gt_u32_e64 s5, 8, v0
	v_lshrrev_b32_e32 v40, 1, v0
	v_mov_b32_e32 v37, 16
	v_mov_b32_e32 v38, 32
	;; [unrolled: 1-line block ×3, first 2 shown]
	s_cmp_lt_i32 s37, 1
	s_cbranch_scc1 .LBB370_58
; %bb.11:
	v_cmp_gt_u32_e32 vcc_lo, 24, v42
	v_mul_lo_u32 v22, s33, v1
	v_cmp_ge_i32_e64 s7, s12, v43
	v_cmp_ge_i32_e64 s8, s12, v44
	v_lshl_or_b32 v45, v42, 2, 64
	v_cndmask_b32_e64 v2, 0, 8, vcc_lo
	v_cmp_gt_u32_e32 vcc_lo, 28, v42
	v_cmp_eq_u32_e64 s9, 0, v41
	v_lshlrev_b32_e32 v50, 4, v41
	v_ashrrev_i32_e32 v23, 31, v22
	v_add_lshl_u32 v46, v2, v42, 2
	v_cndmask_b32_e64 v3, 0, 4, vcc_lo
	v_cmp_gt_u32_e32 vcc_lo, 30, v42
	v_and_b32_e32 v51, 0x70, v40
	v_lshlrev_b64 v[5:6], 4, v[22:23]
	v_cmp_eq_u32_e64 s10, 0, v0
	v_add_lshl_u32 v47, v3, v42, 2
	v_cndmask_b32_e64 v1, 0, 2, vcc_lo
	v_cmp_ne_u32_e32 vcc_lo, 31, v42
	s_cmp_gt_i32 s34, 0
	s_mov_b32 s23, 0
	s_cselect_b32 s38, -1, 0
	v_add_lshl_u32 v48, v1, v42, 2
	v_add_nc_u32_e32 v1, s33, v22
	v_add_co_ci_u32_e64 v4, null, 0, v42, vcc_lo
	v_add_co_u32 v23, vcc_lo, s20, v5
	v_add_nc_u32_e32 v3, s33, v1
	v_ashrrev_i32_e32 v2, 31, v1
	v_lshlrev_b32_e32 v49, 2, v4
	v_add_co_ci_u32_e64 v24, null, s21, v6, vcc_lo
	v_add_nc_u32_e32 v7, s33, v3
	v_lshlrev_b64 v[1:2], 4, v[1:2]
	v_ashrrev_i32_e32 v4, 31, v3
	s_lshl_b32 s39, s15, 2
	s_lshl_b32 s40, s15, 1
	v_ashrrev_i32_e32 v8, 31, v7
	s_mul_i32 s41, s15, 3
	v_lshlrev_b64 v[3:4], 4, v[3:4]
	v_add_co_u32 v25, vcc_lo, s20, v1
	v_add_co_ci_u32_e64 v26, null, s21, v2, vcc_lo
	v_lshlrev_b64 v[1:2], 4, v[7:8]
	v_add_co_u32 v27, vcc_lo, s20, v3
	v_add_co_ci_u32_e64 v28, null, s21, v4, vcc_lo
	s_mov_b32 s24, s23
	v_add_co_u32 v29, vcc_lo, s20, v1
	v_add_co_ci_u32_e64 v30, null, s21, v2, vcc_lo
	v_mov_b32_e32 v1, 0
	s_mov_b32 s42, s15
	s_mov_b32 s35, 0
	s_branch .LBB370_13
.LBB370_12:                             ;   in Loop: Header=BB370_13 Depth=1
	s_or_b32 exec_lo, exec_lo, s25
	s_add_i32 s35, s35, 4
	s_add_i32 s42, s42, s39
	;; [unrolled: 1-line block ×5, first 2 shown]
	s_cmp_ge_i32 s35, s37
	s_cbranch_scc1 .LBB370_59
.LBB370_13:                             ; =>This Loop Header: Depth=1
                                        ;     Child Loop BB370_44 Depth 2
                                        ;     Child Loop BB370_46 Depth 2
                                        ; implicit-def: $vgpr17_vgpr18
                                        ; implicit-def: $vgpr19_vgpr20
                                        ; implicit-def: $vgpr13_vgpr14
                                        ; implicit-def: $vgpr15_vgpr16
                                        ; implicit-def: $vgpr9_vgpr10
                                        ; implicit-def: $vgpr11_vgpr12
                                        ; implicit-def: $vgpr33_vgpr34
                                        ; implicit-def: $vgpr31_vgpr32
	s_and_saveexec_b32 s22, s7
	s_xor_b32 s22, exec_lo, s22
	s_cbranch_execnz .LBB370_40
; %bb.14:                               ;   in Loop: Header=BB370_13 Depth=1
	s_andn2_saveexec_b32 s22, s22
	s_cbranch_execnz .LBB370_41
.LBB370_15:                             ;   in Loop: Header=BB370_13 Depth=1
	s_or_b32 exec_lo, exec_lo, s22
	s_and_saveexec_b32 s22, s4
	s_cbranch_execz .LBB370_17
.LBB370_16:                             ;   in Loop: Header=BB370_13 Depth=1
	v_mov_b32_e32 v2, v1
	v_mov_b32_e32 v3, v1
	;; [unrolled: 1-line block ×3, first 2 shown]
	ds_write_b128 v50, v[1:4]
.LBB370_17:                             ;   in Loop: Header=BB370_13 Depth=1
	s_or_b32 exec_lo, exec_lo, s22
	ds_bpermute_b32 v2, v45, v33
	ds_bpermute_b32 v3, v45, v34
	;; [unrolled: 1-line block ×4, first 2 shown]
	s_waitcnt lgkmcnt(0)
	s_waitcnt_vscnt null, 0x0
	s_barrier
	buffer_gl0_inv
	v_add_f64 v[2:3], v[33:34], v[2:3]
	v_add_f64 v[4:5], v[31:32], v[4:5]
	ds_bpermute_b32 v6, v46, v2
	ds_bpermute_b32 v7, v46, v3
	ds_bpermute_b32 v31, v46, v4
	ds_bpermute_b32 v32, v46, v5
	s_waitcnt lgkmcnt(2)
	v_add_f64 v[2:3], v[2:3], v[6:7]
	s_waitcnt lgkmcnt(0)
	v_add_f64 v[4:5], v[4:5], v[31:32]
	ds_bpermute_b32 v6, v47, v2
	ds_bpermute_b32 v7, v47, v3
	ds_bpermute_b32 v31, v47, v4
	ds_bpermute_b32 v32, v47, v5
	s_waitcnt lgkmcnt(2)
	v_add_f64 v[2:3], v[2:3], v[6:7]
	s_waitcnt lgkmcnt(0)
	;; [unrolled: 8-line block ×3, first 2 shown]
	v_add_f64 v[6:7], v[4:5], v[31:32]
	ds_bpermute_b32 v4, v49, v2
	ds_bpermute_b32 v5, v49, v3
	;; [unrolled: 1-line block ×4, first 2 shown]
	s_and_saveexec_b32 s22, s9
	s_cbranch_execz .LBB370_19
; %bb.18:                               ;   in Loop: Header=BB370_13 Depth=1
	s_waitcnt lgkmcnt(0)
	v_add_f64 v[6:7], v[6:7], v[31:32]
	v_add_f64 v[4:5], v[2:3], v[4:5]
	ds_write_b128 v51, v[4:7]
.LBB370_19:                             ;   in Loop: Header=BB370_13 Depth=1
	s_or_b32 exec_lo, exec_lo, s22
	v_mov_b32_e32 v7, 0
	s_waitcnt lgkmcnt(2)
	v_mov_b32_e32 v5, 0
	v_mov_b32_e32 v8, 0
	;; [unrolled: 1-line block ×3, first 2 shown]
	s_waitcnt lgkmcnt(0)
	s_barrier
	buffer_gl0_inv
	s_and_saveexec_b32 s22, s5
	s_cbranch_execnz .LBB370_47
; %bb.20:                               ;   in Loop: Header=BB370_13 Depth=1
	s_or_b32 exec_lo, exec_lo, s22
	s_and_saveexec_b32 s22, s4
	s_cbranch_execnz .LBB370_48
.LBB370_21:                             ;   in Loop: Header=BB370_13 Depth=1
	s_or_b32 exec_lo, exec_lo, s22
	s_and_saveexec_b32 s22, s4
	s_cbranch_execz .LBB370_23
.LBB370_22:                             ;   in Loop: Header=BB370_13 Depth=1
	v_mov_b32_e32 v2, v1
	v_mov_b32_e32 v3, v1
	;; [unrolled: 1-line block ×3, first 2 shown]
	ds_write_b128 v50, v[1:4]
.LBB370_23:                             ;   in Loop: Header=BB370_13 Depth=1
	s_or_b32 exec_lo, exec_lo, s22
	ds_bpermute_b32 v2, v45, v9
	ds_bpermute_b32 v3, v45, v10
	;; [unrolled: 1-line block ×4, first 2 shown]
	s_waitcnt lgkmcnt(0)
	s_barrier
	buffer_gl0_inv
	v_add_f64 v[2:3], v[9:10], v[2:3]
	v_add_f64 v[9:10], v[11:12], v[31:32]
	ds_bpermute_b32 v11, v46, v2
	ds_bpermute_b32 v12, v46, v3
	ds_bpermute_b32 v31, v46, v9
	ds_bpermute_b32 v32, v46, v10
	s_waitcnt lgkmcnt(2)
	v_add_f64 v[2:3], v[2:3], v[11:12]
	s_waitcnt lgkmcnt(0)
	v_add_f64 v[9:10], v[9:10], v[31:32]
	ds_bpermute_b32 v11, v47, v2
	ds_bpermute_b32 v12, v47, v3
	ds_bpermute_b32 v31, v47, v9
	ds_bpermute_b32 v32, v47, v10
	s_waitcnt lgkmcnt(2)
	v_add_f64 v[2:3], v[2:3], v[11:12]
	s_waitcnt lgkmcnt(0)
	;; [unrolled: 8-line block ×3, first 2 shown]
	v_add_f64 v[11:12], v[9:10], v[31:32]
	ds_bpermute_b32 v9, v49, v2
	ds_bpermute_b32 v10, v49, v3
	;; [unrolled: 1-line block ×4, first 2 shown]
	s_and_saveexec_b32 s22, s9
	s_cbranch_execz .LBB370_25
; %bb.24:                               ;   in Loop: Header=BB370_13 Depth=1
	s_waitcnt lgkmcnt(0)
	v_add_f64 v[11:12], v[11:12], v[31:32]
	v_add_f64 v[9:10], v[2:3], v[9:10]
	ds_write_b128 v51, v[9:12]
.LBB370_25:                             ;   in Loop: Header=BB370_13 Depth=1
	s_or_b32 exec_lo, exec_lo, s22
	v_mov_b32_e32 v11, 0
	s_waitcnt lgkmcnt(2)
	v_mov_b32_e32 v9, 0
	v_mov_b32_e32 v12, 0
	;; [unrolled: 1-line block ×3, first 2 shown]
	s_waitcnt lgkmcnt(0)
	s_barrier
	buffer_gl0_inv
	s_and_saveexec_b32 s22, s5
	s_cbranch_execnz .LBB370_49
; %bb.26:                               ;   in Loop: Header=BB370_13 Depth=1
	s_or_b32 exec_lo, exec_lo, s22
	s_and_saveexec_b32 s22, s4
	s_cbranch_execnz .LBB370_50
.LBB370_27:                             ;   in Loop: Header=BB370_13 Depth=1
	s_or_b32 exec_lo, exec_lo, s22
	s_and_saveexec_b32 s22, s4
	s_cbranch_execz .LBB370_29
.LBB370_28:                             ;   in Loop: Header=BB370_13 Depth=1
	v_mov_b32_e32 v2, v1
	v_mov_b32_e32 v3, v1
	;; [unrolled: 1-line block ×3, first 2 shown]
	ds_write_b128 v50, v[1:4]
.LBB370_29:                             ;   in Loop: Header=BB370_13 Depth=1
	s_or_b32 exec_lo, exec_lo, s22
	ds_bpermute_b32 v2, v45, v13
	ds_bpermute_b32 v3, v45, v14
	;; [unrolled: 1-line block ×4, first 2 shown]
	s_waitcnt lgkmcnt(0)
	s_barrier
	buffer_gl0_inv
	v_add_f64 v[2:3], v[13:14], v[2:3]
	v_add_f64 v[13:14], v[15:16], v[31:32]
	ds_bpermute_b32 v15, v46, v2
	ds_bpermute_b32 v16, v46, v3
	ds_bpermute_b32 v31, v46, v13
	ds_bpermute_b32 v32, v46, v14
	s_waitcnt lgkmcnt(2)
	v_add_f64 v[2:3], v[2:3], v[15:16]
	s_waitcnt lgkmcnt(0)
	v_add_f64 v[13:14], v[13:14], v[31:32]
	ds_bpermute_b32 v15, v47, v2
	ds_bpermute_b32 v16, v47, v3
	ds_bpermute_b32 v31, v47, v13
	ds_bpermute_b32 v32, v47, v14
	s_waitcnt lgkmcnt(2)
	v_add_f64 v[2:3], v[2:3], v[15:16]
	s_waitcnt lgkmcnt(0)
	;; [unrolled: 8-line block ×3, first 2 shown]
	v_add_f64 v[15:16], v[13:14], v[31:32]
	ds_bpermute_b32 v13, v49, v2
	ds_bpermute_b32 v14, v49, v3
	;; [unrolled: 1-line block ×4, first 2 shown]
	s_and_saveexec_b32 s22, s9
	s_cbranch_execz .LBB370_31
; %bb.30:                               ;   in Loop: Header=BB370_13 Depth=1
	s_waitcnt lgkmcnt(0)
	v_add_f64 v[15:16], v[15:16], v[31:32]
	v_add_f64 v[13:14], v[2:3], v[13:14]
	ds_write_b128 v51, v[13:16]
.LBB370_31:                             ;   in Loop: Header=BB370_13 Depth=1
	s_or_b32 exec_lo, exec_lo, s22
	v_mov_b32_e32 v15, 0
	s_waitcnt lgkmcnt(2)
	v_mov_b32_e32 v13, 0
	v_mov_b32_e32 v16, 0
	v_mov_b32_e32 v14, 0
	s_waitcnt lgkmcnt(0)
	s_barrier
	buffer_gl0_inv
	s_and_saveexec_b32 s22, s5
	s_cbranch_execnz .LBB370_51
; %bb.32:                               ;   in Loop: Header=BB370_13 Depth=1
	s_or_b32 exec_lo, exec_lo, s22
	s_and_saveexec_b32 s22, s4
	s_cbranch_execnz .LBB370_52
.LBB370_33:                             ;   in Loop: Header=BB370_13 Depth=1
	s_or_b32 exec_lo, exec_lo, s22
	s_and_saveexec_b32 s22, s4
	s_cbranch_execz .LBB370_35
.LBB370_34:                             ;   in Loop: Header=BB370_13 Depth=1
	v_mov_b32_e32 v2, v1
	v_mov_b32_e32 v3, v1
	;; [unrolled: 1-line block ×3, first 2 shown]
	ds_write_b128 v50, v[1:4]
.LBB370_35:                             ;   in Loop: Header=BB370_13 Depth=1
	s_or_b32 exec_lo, exec_lo, s22
	ds_bpermute_b32 v2, v45, v17
	ds_bpermute_b32 v3, v45, v18
	;; [unrolled: 1-line block ×4, first 2 shown]
	s_waitcnt lgkmcnt(0)
	s_barrier
	buffer_gl0_inv
	v_add_f64 v[2:3], v[17:18], v[2:3]
	v_add_f64 v[17:18], v[19:20], v[31:32]
	ds_bpermute_b32 v19, v46, v2
	ds_bpermute_b32 v20, v46, v3
	ds_bpermute_b32 v31, v46, v17
	ds_bpermute_b32 v32, v46, v18
	s_waitcnt lgkmcnt(2)
	v_add_f64 v[2:3], v[2:3], v[19:20]
	s_waitcnt lgkmcnt(0)
	v_add_f64 v[17:18], v[17:18], v[31:32]
	ds_bpermute_b32 v19, v47, v2
	ds_bpermute_b32 v20, v47, v3
	ds_bpermute_b32 v31, v47, v17
	ds_bpermute_b32 v32, v47, v18
	s_waitcnt lgkmcnt(2)
	v_add_f64 v[2:3], v[2:3], v[19:20]
	s_waitcnt lgkmcnt(0)
	v_add_f64 v[17:18], v[17:18], v[31:32]
	ds_bpermute_b32 v19, v48, v2
	ds_bpermute_b32 v20, v48, v3
	ds_bpermute_b32 v31, v48, v17
	ds_bpermute_b32 v32, v48, v18
	s_waitcnt lgkmcnt(2)
	v_add_f64 v[2:3], v[2:3], v[19:20]
	s_waitcnt lgkmcnt(0)
	v_add_f64 v[19:20], v[17:18], v[31:32]
	ds_bpermute_b32 v17, v49, v2
	ds_bpermute_b32 v18, v49, v3
	;; [unrolled: 1-line block ×4, first 2 shown]
	s_and_saveexec_b32 s22, s9
	s_cbranch_execz .LBB370_37
; %bb.36:                               ;   in Loop: Header=BB370_13 Depth=1
	s_waitcnt lgkmcnt(0)
	v_add_f64 v[19:20], v[19:20], v[31:32]
	v_add_f64 v[17:18], v[2:3], v[17:18]
	ds_write_b128 v51, v[17:20]
.LBB370_37:                             ;   in Loop: Header=BB370_13 Depth=1
	s_or_b32 exec_lo, exec_lo, s22
	v_mov_b32_e32 v19, 0
	s_waitcnt lgkmcnt(2)
	v_mov_b32_e32 v17, 0
	v_mov_b32_e32 v20, 0
	;; [unrolled: 1-line block ×3, first 2 shown]
	s_waitcnt lgkmcnt(0)
	s_barrier
	buffer_gl0_inv
	s_and_saveexec_b32 s22, s5
	s_cbranch_execnz .LBB370_53
; %bb.38:                               ;   in Loop: Header=BB370_13 Depth=1
	s_or_b32 exec_lo, exec_lo, s22
	s_and_saveexec_b32 s22, s4
	s_cbranch_execnz .LBB370_54
.LBB370_39:                             ;   in Loop: Header=BB370_13 Depth=1
	s_or_b32 exec_lo, exec_lo, s22
	s_and_saveexec_b32 s25, s10
	s_cbranch_execz .LBB370_12
	s_branch .LBB370_55
.LBB370_40:                             ;   in Loop: Header=BB370_13 Depth=1
	flat_load_dwordx4 v[8:11], v[23:24]
	s_mul_i32 s26, s35, s15
	s_waitcnt vmcnt(0) lgkmcnt(0)
	buffer_store_dword v11, off, s[0:3], 0 offset:12
	buffer_store_dword v10, off, s[0:3], 0 offset:8
	;; [unrolled: 1-line block ×3, first 2 shown]
	buffer_store_dword v8, off, s[0:3], 0
	flat_load_dwordx4 v[2:5], v[25:26]
	s_ashr_i32 s27, s26, 31
	s_waitcnt vmcnt(0) lgkmcnt(0)
	buffer_store_dword v5, v37, s[0:3], 0 offen offset:12
	buffer_store_dword v4, v37, s[0:3], 0 offen offset:8
	;; [unrolled: 1-line block ×3, first 2 shown]
	buffer_store_dword v2, v37, s[0:3], 0 offen
	flat_load_dwordx4 v[2:5], v[27:28]
	s_lshl_b64 s[28:29], s[26:27], 4
	s_add_i32 s26, s26, s15
	s_waitcnt vmcnt(0) lgkmcnt(0)
	buffer_store_dword v5, v38, s[0:3], 0 offen offset:12
	buffer_store_dword v4, v38, s[0:3], 0 offen offset:8
	;; [unrolled: 1-line block ×3, first 2 shown]
	buffer_store_dword v2, v38, s[0:3], 0 offen
	flat_load_dwordx4 v[2:5], v[29:30]
	s_ashr_i32 s27, s26, 31
	s_waitcnt vmcnt(0) lgkmcnt(0)
	buffer_store_dword v5, v39, s[0:3], 0 offen offset:12
	buffer_store_dword v4, v39, s[0:3], 0 offen offset:8
	;; [unrolled: 1-line block ×3, first 2 shown]
	buffer_store_dword v2, v39, s[0:3], 0 offen
	v_add_co_u32 v4, vcc_lo, v35, s28
	v_add_co_ci_u32_e64 v5, null, s29, v36, vcc_lo
	s_lshl_b64 s[28:29], s[26:27], 4
	s_add_i32 s26, s26, s15
	flat_load_dwordx4 v[12:15], v[4:5]
	s_ashr_i32 s27, s26, 31
	s_waitcnt vmcnt(0) lgkmcnt(0)
	v_mul_f64 v[6:7], v[8:9], v[14:15]
	v_mul_f64 v[2:3], v[10:11], v[14:15]
	v_fma_f64 v[6:7], v[10:11], v[12:13], -v[6:7]
	v_fma_f64 v[2:3], v[8:9], v[12:13], v[2:3]
	v_add_f64 v[31:32], v[6:7], 0
	v_add_co_u32 v6, vcc_lo, v35, s28
	v_add_co_ci_u32_e64 v7, null, s29, v36, vcc_lo
	v_add_f64 v[19:20], v[2:3], 0
	s_lshl_b64 s[28:29], s[26:27], 4
	s_add_i32 s26, s26, s15
	flat_load_dwordx4 v[12:15], v[6:7]
	s_ashr_i32 s27, s26, 31
	s_lshl_b64 s[26:27], s[26:27], 4
	s_waitcnt vmcnt(0) lgkmcnt(0)
	v_mul_f64 v[2:3], v[10:11], v[14:15]
	v_mul_f64 v[14:15], v[8:9], v[14:15]
	v_fma_f64 v[2:3], v[8:9], v[12:13], v[2:3]
	v_fma_f64 v[12:13], v[10:11], v[12:13], -v[14:15]
	v_add_f64 v[33:34], v[2:3], 0
	v_add_f64 v[52:53], v[12:13], 0
	v_add_co_u32 v13, vcc_lo, v35, s28
	v_add_co_ci_u32_e64 v14, null, s29, v36, vcc_lo
	flat_load_dwordx4 v[15:18], v[13:14]
	s_waitcnt vmcnt(0) lgkmcnt(0)
	v_mul_f64 v[2:3], v[10:11], v[17:18]
	v_mul_f64 v[17:18], v[8:9], v[17:18]
	v_fma_f64 v[2:3], v[8:9], v[15:16], v[2:3]
	v_fma_f64 v[15:16], v[10:11], v[15:16], -v[17:18]
	v_add_f64 v[54:55], v[2:3], 0
	v_add_co_u32 v2, vcc_lo, v35, s26
	v_add_co_ci_u32_e64 v3, null, s27, v36, vcc_lo
	v_add_f64 v[56:57], v[15:16], 0
	flat_load_dwordx4 v[15:18], v[2:3]
	s_waitcnt vmcnt(0) lgkmcnt(0)
	v_mul_f64 v[58:59], v[10:11], v[17:18]
	v_fma_f64 v[58:59], v[8:9], v[15:16], v[58:59]
	v_mul_f64 v[8:9], v[8:9], v[17:18]
	v_fma_f64 v[8:9], v[10:11], v[15:16], -v[8:9]
	v_add_f64 v[15:16], v[58:59], 0
	s_clause 0x3
	buffer_load_dword v58, off, s[0:3], 0 offset:16
	buffer_load_dword v59, off, s[0:3], 0 offset:20
	;; [unrolled: 1-line block ×4, first 2 shown]
	v_add_f64 v[17:18], v[8:9], 0
	flat_load_dwordx4 v[8:11], v[4:5] offset:16
	s_waitcnt vmcnt(0) lgkmcnt(0)
	v_mul_f64 v[62:63], v[60:61], v[10:11]
	v_mul_f64 v[10:11], v[58:59], v[10:11]
	v_fma_f64 v[62:63], v[58:59], v[8:9], v[62:63]
	v_fma_f64 v[8:9], v[60:61], v[8:9], -v[10:11]
	v_add_f64 v[19:20], v[19:20], v[62:63]
	v_add_f64 v[31:32], v[31:32], v[8:9]
	flat_load_dwordx4 v[8:11], v[6:7] offset:16
	s_waitcnt vmcnt(0) lgkmcnt(0)
	v_mul_f64 v[62:63], v[60:61], v[10:11]
	v_mul_f64 v[10:11], v[58:59], v[10:11]
	v_fma_f64 v[62:63], v[58:59], v[8:9], v[62:63]
	v_fma_f64 v[8:9], v[60:61], v[8:9], -v[10:11]
	v_add_f64 v[33:34], v[33:34], v[62:63]
	;; [unrolled: 8-line block ×3, first 2 shown]
	v_add_f64 v[56:57], v[56:57], v[8:9]
	flat_load_dwordx4 v[8:11], v[2:3] offset:16
	s_waitcnt vmcnt(0) lgkmcnt(0)
	v_mul_f64 v[62:63], v[60:61], v[10:11]
	v_mul_f64 v[10:11], v[58:59], v[10:11]
	v_fma_f64 v[62:63], v[58:59], v[8:9], v[62:63]
	v_fma_f64 v[8:9], v[60:61], v[8:9], -v[10:11]
	s_clause 0x3
	buffer_load_dword v58, off, s[0:3], 0 offset:32
	buffer_load_dword v59, off, s[0:3], 0 offset:36
	;; [unrolled: 1-line block ×4, first 2 shown]
	v_add_f64 v[15:16], v[15:16], v[62:63]
	v_add_f64 v[17:18], v[17:18], v[8:9]
	flat_load_dwordx4 v[8:11], v[4:5] offset:32
	s_waitcnt vmcnt(0) lgkmcnt(0)
	v_mul_f64 v[62:63], v[60:61], v[10:11]
	v_mul_f64 v[10:11], v[58:59], v[10:11]
	v_fma_f64 v[62:63], v[58:59], v[8:9], v[62:63]
	v_fma_f64 v[8:9], v[60:61], v[8:9], -v[10:11]
	v_add_f64 v[19:20], v[19:20], v[62:63]
	v_add_f64 v[31:32], v[31:32], v[8:9]
	flat_load_dwordx4 v[8:11], v[6:7] offset:32
	s_waitcnt vmcnt(0) lgkmcnt(0)
	v_mul_f64 v[62:63], v[60:61], v[10:11]
	v_mul_f64 v[10:11], v[58:59], v[10:11]
	v_fma_f64 v[62:63], v[58:59], v[8:9], v[62:63]
	v_fma_f64 v[8:9], v[60:61], v[8:9], -v[10:11]
	;; [unrolled: 8-line block ×4, first 2 shown]
	v_add_f64 v[58:59], v[15:16], v[33:34]
	v_add_f64 v[60:61], v[17:18], v[8:9]
	s_clause 0x3
	buffer_load_dword v17, off, s[0:3], 0 offset:48
	buffer_load_dword v18, off, s[0:3], 0 offset:52
	;; [unrolled: 1-line block ×4, first 2 shown]
	flat_load_dwordx4 v[8:11], v[4:5] offset:48
	s_waitcnt vmcnt(0) lgkmcnt(0)
	v_mul_f64 v[4:5], v[64:65], v[10:11]
	v_mul_f64 v[10:11], v[17:18], v[10:11]
	v_fma_f64 v[4:5], v[17:18], v[8:9], v[4:5]
	v_fma_f64 v[8:9], v[64:65], v[8:9], -v[10:11]
	v_add_f64 v[33:34], v[19:20], v[4:5]
	flat_load_dwordx4 v[4:7], v[6:7] offset:48
	v_add_f64 v[31:32], v[31:32], v[8:9]
	s_waitcnt vmcnt(0) lgkmcnt(0)
	v_mul_f64 v[8:9], v[64:65], v[6:7]
	v_mul_f64 v[6:7], v[17:18], v[6:7]
	v_fma_f64 v[8:9], v[17:18], v[4:5], v[8:9]
	v_fma_f64 v[4:5], v[64:65], v[4:5], -v[6:7]
	v_add_f64 v[9:10], v[62:63], v[8:9]
	v_add_f64 v[11:12], v[52:53], v[4:5]
	flat_load_dwordx4 v[4:7], v[13:14] offset:48
	s_waitcnt vmcnt(0) lgkmcnt(0)
	v_mul_f64 v[13:14], v[64:65], v[6:7]
	v_mul_f64 v[6:7], v[17:18], v[6:7]
	v_fma_f64 v[13:14], v[17:18], v[4:5], v[13:14]
	v_fma_f64 v[4:5], v[64:65], v[4:5], -v[6:7]
	v_add_f64 v[13:14], v[54:55], v[13:14]
	v_add_f64 v[15:16], v[56:57], v[4:5]
	flat_load_dwordx4 v[2:5], v[2:3] offset:48
	s_waitcnt vmcnt(0) lgkmcnt(0)
	v_mul_f64 v[6:7], v[64:65], v[4:5]
	v_mul_f64 v[4:5], v[17:18], v[4:5]
	v_fma_f64 v[6:7], v[17:18], v[2:3], v[6:7]
	v_fma_f64 v[2:3], v[64:65], v[2:3], -v[4:5]
	v_add_f64 v[17:18], v[58:59], v[6:7]
	v_add_f64 v[19:20], v[60:61], v[2:3]
	s_andn2_saveexec_b32 s22, s22
	s_cbranch_execz .LBB370_15
.LBB370_41:                             ;   in Loop: Header=BB370_13 Depth=1
	s_waitcnt lgkmcnt(0)
	v_mov_b32_e32 v17, 0
	v_mov_b32_e32 v19, 0
	;; [unrolled: 1-line block ×16, first 2 shown]
	s_and_saveexec_b32 s43, s8
	s_cbranch_execz .LBB370_57
; %bb.42:                               ;   in Loop: Header=BB370_13 Depth=1
	s_andn2_b32 vcc_lo, exec_lo, s38
	s_cbranch_vccnz .LBB370_56
; %bb.43:                               ;   in Loop: Header=BB370_13 Depth=1
	v_mov_b32_e32 v2, v22
	s_mov_b32 s25, 0
	s_mov_b32 s26, s34
	.p2align	6
.LBB370_44:                             ;   Parent Loop BB370_13 Depth=1
                                        ; =>  This Inner Loop Header: Depth=2
	v_ashrrev_i32_e32 v3, 31, v2
	v_mov_b32_e32 v7, s25
	s_add_i32 s26, s26, -1
	s_add_i32 s25, s25, 16
	s_cmp_eq_u32 s26, 0
	v_lshlrev_b64 v[3:4], 4, v[2:3]
	v_add_nc_u32_e32 v2, s33, v2
	v_add_co_u32 v3, vcc_lo, s20, v3
	v_add_co_ci_u32_e64 v4, null, s21, v4, vcc_lo
	flat_load_dwordx4 v[3:6], v[3:4]
	s_waitcnt vmcnt(0) lgkmcnt(0)
	buffer_store_dword v6, v7, s[0:3], 0 offen offset:12
	buffer_store_dword v5, v7, s[0:3], 0 offen offset:8
	;; [unrolled: 1-line block ×3, first 2 shown]
	buffer_store_dword v3, v7, s[0:3], 0 offen
	s_cbranch_scc0 .LBB370_44
; %bb.45:                               ;   in Loop: Header=BB370_13 Depth=1
	s_ashr_i32 s25, s24, 31
	v_mov_b32_e32 v31, 0
	s_lshl_b64 s[26:27], s[24:25], 4
	v_mov_b32_e32 v33, 0
	v_add_co_u32 v2, vcc_lo, v35, s26
	v_mov_b32_e32 v11, 0
	v_mov_b32_e32 v9, 0
	;; [unrolled: 1-line block ×6, first 2 shown]
	v_add_co_ci_u32_e64 v3, null, s27, v36, vcc_lo
	v_mov_b32_e32 v32, 0
	v_mov_b32_e32 v34, 0
	;; [unrolled: 1-line block ×8, first 2 shown]
	s_mov_b32 s25, 0
	s_mov_b32 s26, s41
	;; [unrolled: 1-line block ×5, first 2 shown]
.LBB370_46:                             ;   Parent Loop BB370_13 Depth=1
                                        ; =>  This Inner Loop Header: Depth=2
	s_ashr_i32 s31, s30, 31
	s_ashr_i32 s29, s28, 31
	s_lshl_b64 s[46:47], s[30:31], 4
	s_ashr_i32 s27, s26, 31
	s_lshl_b64 s[48:49], s[28:29], 4
	v_add_co_u32 v52, vcc_lo, v35, s46
	s_lshl_b64 s[50:51], s[26:27], 4
	v_add_co_ci_u32_e64 v53, null, s47, v36, vcc_lo
	v_add_co_u32 v56, vcc_lo, v35, s48
	v_mov_b32_e32 v8, s25
	v_add_co_ci_u32_e64 v57, null, s49, v36, vcc_lo
	v_add_co_u32 v60, vcc_lo, v35, s50
	v_add_co_ci_u32_e64 v61, null, s51, v36, vcc_lo
	flat_load_dwordx4 v[4:7], v[2:3]
	s_clause 0x3
	buffer_load_dword v64, v8, s[0:3], 0 offen
	buffer_load_dword v66, v8, s[0:3], 0 offen offset:8
	buffer_load_dword v67, v8, s[0:3], 0 offen offset:12
	;; [unrolled: 1-line block ×3, first 2 shown]
	s_clause 0x2
	flat_load_dwordx4 v[52:55], v[52:53]
	flat_load_dwordx4 v[56:59], v[56:57]
	;; [unrolled: 1-line block ×3, first 2 shown]
	v_add_co_u32 v2, vcc_lo, v2, 16
	v_add_co_ci_u32_e64 v3, null, 0, v3, vcc_lo
	s_add_i32 s44, s44, -1
	s_add_i32 s25, s25, 16
	s_add_i32 s30, s30, 1
	;; [unrolled: 1-line block ×4, first 2 shown]
	s_cmp_lg_u32 s44, 0
	s_waitcnt vmcnt(4) lgkmcnt(3)
	v_mul_f64 v[68:69], v[66:67], v[6:7]
	s_waitcnt vmcnt(3)
	v_mul_f64 v[6:7], v[64:65], v[6:7]
	s_waitcnt vmcnt(2) lgkmcnt(2)
	v_mul_f64 v[70:71], v[66:67], v[54:55]
	v_mul_f64 v[54:55], v[64:65], v[54:55]
	s_waitcnt vmcnt(1) lgkmcnt(1)
	v_mul_f64 v[72:73], v[66:67], v[58:59]
	;; [unrolled: 3-line block ×3, first 2 shown]
	v_mul_f64 v[62:63], v[64:65], v[62:63]
	v_fma_f64 v[68:69], v[64:65], v[4:5], v[68:69]
	v_fma_f64 v[4:5], v[66:67], v[4:5], -v[6:7]
	v_fma_f64 v[6:7], v[64:65], v[52:53], v[70:71]
	v_fma_f64 v[52:53], v[66:67], v[52:53], -v[54:55]
	;; [unrolled: 2-line block ×4, first 2 shown]
	v_add_f64 v[33:34], v[33:34], v[68:69]
	v_add_f64 v[31:32], v[31:32], v[4:5]
	;; [unrolled: 1-line block ×8, first 2 shown]
	s_cbranch_scc1 .LBB370_46
	s_branch .LBB370_57
.LBB370_47:                             ;   in Loop: Header=BB370_13 Depth=1
	ds_read_b128 v[5:8], v50
	s_or_b32 exec_lo, exec_lo, s22
	s_and_saveexec_b32 s22, s4
	s_cbranch_execz .LBB370_21
.LBB370_48:                             ;   in Loop: Header=BB370_13 Depth=1
	s_waitcnt lgkmcnt(0)
	ds_bpermute_b32 v2, v47, v5
	ds_bpermute_b32 v3, v47, v6
	ds_bpermute_b32 v31, v47, v7
	ds_bpermute_b32 v32, v47, v8
	s_waitcnt lgkmcnt(2)
	v_add_f64 v[2:3], v[5:6], v[2:3]
	s_waitcnt lgkmcnt(0)
	v_add_f64 v[4:5], v[7:8], v[31:32]
	ds_bpermute_b32 v6, v48, v2
	ds_bpermute_b32 v7, v48, v3
	ds_bpermute_b32 v31, v48, v4
	ds_bpermute_b32 v32, v48, v5
	s_waitcnt lgkmcnt(2)
	v_add_f64 v[2:3], v[2:3], v[6:7]
	s_waitcnt lgkmcnt(0)
	v_add_f64 v[7:8], v[4:5], v[31:32]
	;; [unrolled: 8-line block ×3, first 2 shown]
	s_or_b32 exec_lo, exec_lo, s22
	s_and_saveexec_b32 s22, s4
	s_cbranch_execnz .LBB370_22
	s_branch .LBB370_23
.LBB370_49:                             ;   in Loop: Header=BB370_13 Depth=1
	ds_read_b128 v[9:12], v50
	s_or_b32 exec_lo, exec_lo, s22
	s_and_saveexec_b32 s22, s4
	s_cbranch_execz .LBB370_27
.LBB370_50:                             ;   in Loop: Header=BB370_13 Depth=1
	s_waitcnt lgkmcnt(0)
	ds_bpermute_b32 v2, v47, v9
	ds_bpermute_b32 v3, v47, v10
	ds_bpermute_b32 v31, v47, v11
	ds_bpermute_b32 v32, v47, v12
	s_waitcnt lgkmcnt(2)
	v_add_f64 v[2:3], v[9:10], v[2:3]
	s_waitcnt lgkmcnt(0)
	v_add_f64 v[9:10], v[11:12], v[31:32]
	ds_bpermute_b32 v11, v48, v2
	ds_bpermute_b32 v12, v48, v3
	ds_bpermute_b32 v31, v48, v9
	ds_bpermute_b32 v32, v48, v10
	s_waitcnt lgkmcnt(2)
	v_add_f64 v[2:3], v[2:3], v[11:12]
	s_waitcnt lgkmcnt(0)
	v_add_f64 v[11:12], v[9:10], v[31:32]
	;; [unrolled: 8-line block ×3, first 2 shown]
	s_or_b32 exec_lo, exec_lo, s22
	s_and_saveexec_b32 s22, s4
	s_cbranch_execnz .LBB370_28
	s_branch .LBB370_29
.LBB370_51:                             ;   in Loop: Header=BB370_13 Depth=1
	ds_read_b128 v[13:16], v50
	s_or_b32 exec_lo, exec_lo, s22
	s_and_saveexec_b32 s22, s4
	s_cbranch_execz .LBB370_33
.LBB370_52:                             ;   in Loop: Header=BB370_13 Depth=1
	s_waitcnt lgkmcnt(0)
	ds_bpermute_b32 v2, v47, v13
	ds_bpermute_b32 v3, v47, v14
	ds_bpermute_b32 v31, v47, v15
	ds_bpermute_b32 v32, v47, v16
	s_waitcnt lgkmcnt(2)
	v_add_f64 v[2:3], v[13:14], v[2:3]
	s_waitcnt lgkmcnt(0)
	v_add_f64 v[13:14], v[15:16], v[31:32]
	ds_bpermute_b32 v15, v48, v2
	ds_bpermute_b32 v16, v48, v3
	ds_bpermute_b32 v31, v48, v13
	ds_bpermute_b32 v32, v48, v14
	s_waitcnt lgkmcnt(2)
	v_add_f64 v[2:3], v[2:3], v[15:16]
	s_waitcnt lgkmcnt(0)
	v_add_f64 v[15:16], v[13:14], v[31:32]
	;; [unrolled: 8-line block ×3, first 2 shown]
	s_or_b32 exec_lo, exec_lo, s22
	s_and_saveexec_b32 s22, s4
	s_cbranch_execnz .LBB370_34
	s_branch .LBB370_35
.LBB370_53:                             ;   in Loop: Header=BB370_13 Depth=1
	ds_read_b128 v[17:20], v50
	s_or_b32 exec_lo, exec_lo, s22
	s_and_saveexec_b32 s22, s4
	s_cbranch_execz .LBB370_39
.LBB370_54:                             ;   in Loop: Header=BB370_13 Depth=1
	s_waitcnt lgkmcnt(0)
	ds_bpermute_b32 v2, v47, v17
	ds_bpermute_b32 v3, v47, v18
	ds_bpermute_b32 v31, v47, v19
	ds_bpermute_b32 v32, v47, v20
	s_waitcnt lgkmcnt(2)
	v_add_f64 v[2:3], v[17:18], v[2:3]
	s_waitcnt lgkmcnt(0)
	v_add_f64 v[17:18], v[19:20], v[31:32]
	ds_bpermute_b32 v19, v48, v2
	ds_bpermute_b32 v20, v48, v3
	ds_bpermute_b32 v31, v48, v17
	ds_bpermute_b32 v32, v48, v18
	s_waitcnt lgkmcnt(2)
	v_add_f64 v[2:3], v[2:3], v[19:20]
	s_waitcnt lgkmcnt(0)
	v_add_f64 v[19:20], v[17:18], v[31:32]
	;; [unrolled: 8-line block ×3, first 2 shown]
	s_or_b32 exec_lo, exec_lo, s22
	s_and_saveexec_b32 s25, s10
	s_cbranch_execz .LBB370_12
.LBB370_55:                             ;   in Loop: Header=BB370_13 Depth=1
	v_mul_f64 v[2:3], s[18:19], v[7:8]
	v_mul_f64 v[7:8], s[16:17], v[7:8]
	;; [unrolled: 1-line block ×6, first 2 shown]
	s_waitcnt lgkmcnt(0)
	v_mul_f64 v[52:53], s[18:19], v[19:20]
	v_mul_f64 v[19:20], s[16:17], v[19:20]
	s_mul_i32 s22, s35, s14
	s_add_i32 s22, s22, s6
	s_lshl_b64 s[26:27], s[22:23], 4
	s_add_u32 s26, s36, s26
	s_addc_u32 s27, s11, s27
	s_add_i32 s22, s22, s14
	s_lshl_b64 s[28:29], s[22:23], 4
	s_add_u32 s28, s36, s28
	s_addc_u32 s29, s11, s29
	v_fma_f64 v[2:3], s[16:17], v[5:6], -v[2:3]
	v_fma_f64 v[4:5], s[18:19], v[5:6], v[7:8]
	v_fma_f64 v[6:7], s[16:17], v[9:10], -v[31:32]
	v_fma_f64 v[8:9], s[18:19], v[9:10], v[11:12]
	;; [unrolled: 2-line block ×4, first 2 shown]
	s_add_i32 s22, s22, s14
	s_lshl_b64 s[30:31], s[22:23], 4
	s_add_u32 s30, s36, s30
	s_addc_u32 s31, s11, s31
	s_add_i32 s22, s22, s14
	s_lshl_b64 s[44:45], s[22:23], 4
	s_add_u32 s44, s36, s44
	s_addc_u32 s45, s11, s45
	global_store_dwordx4 v1, v[2:5], s[26:27]
	global_store_dwordx4 v1, v[6:9], s[28:29]
	;; [unrolled: 1-line block ×4, first 2 shown]
	s_branch .LBB370_12
.LBB370_56:                             ;   in Loop: Header=BB370_13 Depth=1
	v_mov_b32_e32 v17, 0
	v_mov_b32_e32 v19, 0
	v_mov_b32_e32 v13, 0
	v_mov_b32_e32 v15, 0
	v_mov_b32_e32 v9, 0
	v_mov_b32_e32 v11, 0
	v_mov_b32_e32 v33, 0
	v_mov_b32_e32 v31, 0
	v_mov_b32_e32 v18, 0
	v_mov_b32_e32 v20, 0
	v_mov_b32_e32 v14, 0
	v_mov_b32_e32 v16, 0
	v_mov_b32_e32 v10, 0
	v_mov_b32_e32 v12, 0
	v_mov_b32_e32 v34, 0
	v_mov_b32_e32 v32, 0
.LBB370_57:                             ;   in Loop: Header=BB370_13 Depth=1
	s_or_b32 exec_lo, exec_lo, s43
	s_or_b32 exec_lo, exec_lo, s22
	s_and_saveexec_b32 s22, s4
	s_cbranch_execnz .LBB370_16
	s_branch .LBB370_17
.LBB370_58:
	s_mov_b32 s35, 0
.LBB370_59:
	s_cmp_ge_i32 s35, s13
	s_cbranch_scc1 .LBB370_81
; %bb.60:
	v_cmp_gt_u32_e64 s5, 24, v42
	v_ashrrev_i32_e32 v22, 31, v21
	v_cmp_gt_u32_e64 s4, 32, v0
	v_cmp_gt_u32_e64 s8, 8, v0
	v_cmp_eq_u32_e64 s9, 0, v0
	v_cndmask_b32_e64 v1, 0, 8, s5
	v_cmp_gt_u32_e64 s5, 28, v42
	s_cmp_gt_i32 s34, 0
	s_mov_b32 s7, 0
	s_cselect_b32 s24, -1, 0
	s_waitcnt lgkmcnt(0)
	v_add_lshl_u32 v19, v1, v42, 2
	v_cndmask_b32_e64 v2, 0, 4, s5
	v_cmp_gt_u32_e64 s5, 30, v42
	v_add_nc_u32_e32 v1, s33, v21
	s_lshl_b64 s[22:23], s[6:7], 4
	v_cmp_ge_i32_e64 s10, s12, v44
	v_add_lshl_u32 v20, v2, v42, 2
	v_cndmask_b32_e64 v3, 0, 2, s5
	v_cmp_ne_u32_e64 s5, 31, v42
	v_ashrrev_i32_e32 v2, 31, v1
	v_add_nc_u32_e32 v0, s33, v1
	v_lshlrev_b32_e32 v17, 4, v41
	v_add_lshl_u32 v23, v3, v42, 2
	v_add_co_ci_u32_e64 v4, null, 0, v42, s5
	v_lshlrev_b64 v[7:8], 4, v[1:2]
	v_add_nc_u32_e32 v2, s33, v0
	v_ashrrev_i32_e32 v1, 31, v0
	v_lshlrev_b32_e32 v24, 2, v4
	v_lshlrev_b64 v[3:4], 4, v[21:22]
	v_lshl_or_b32 v18, v42, 2, 64
	v_cmp_eq_u32_e64 s5, 0, v41
	v_lshlrev_b64 v[0:1], 4, v[0:1]
	v_and_b32_e32 v25, 0x70, v40
	s_add_u32 s7, s36, s22
	v_add_co_u32 v5, s6, s20, v3
	v_ashrrev_i32_e32 v3, 31, v2
	v_add_co_ci_u32_e64 v6, null, s21, v4, s6
	v_add_co_u32 v7, s6, s20, v7
	v_lshlrev_b64 v[2:3], 4, v[2:3]
	v_add_co_ci_u32_e64 v8, null, s21, v8, s6
	v_add_co_u32 v9, s6, s20, v0
	v_add_co_ci_u32_e64 v10, null, s21, v1, s6
	v_add_co_u32 v11, s6, s20, v2
	v_add_co_ci_u32_e64 v12, null, s21, v3, s6
	v_mov_b32_e32 v0, 0
	v_cmp_ge_i32_e32 vcc_lo, s12, v43
	s_addc_u32 s12, s11, s23
	s_and_b32 s22, s24, s10
	s_mul_i32 s10, s35, s15
	s_branch .LBB370_62
.LBB370_61:                             ;   in Loop: Header=BB370_62 Depth=1
	s_or_b32 exec_lo, exec_lo, s6
	s_add_i32 s35, s35, 1
	s_add_i32 s10, s10, s15
	s_cmp_lt_i32 s35, s13
	s_cbranch_scc0 .LBB370_81
.LBB370_62:                             ; =>This Loop Header: Depth=1
                                        ;     Child Loop BB370_74 Depth 2
                                        ;     Child Loop BB370_76 Depth 2
                                        ; implicit-def: $vgpr13_vgpr14
                                        ; implicit-def: $vgpr15_vgpr16
	s_and_saveexec_b32 s6, vcc_lo
	s_xor_b32 s11, exec_lo, s6
	s_cbranch_execnz .LBB370_71
; %bb.63:                               ;   in Loop: Header=BB370_62 Depth=1
	s_andn2_saveexec_b32 s23, s11
	s_cbranch_execnz .LBB370_72
.LBB370_64:                             ;   in Loop: Header=BB370_62 Depth=1
	s_or_b32 exec_lo, exec_lo, s23
	s_and_saveexec_b32 s6, s4
	s_cbranch_execz .LBB370_66
.LBB370_65:                             ;   in Loop: Header=BB370_62 Depth=1
	s_waitcnt lgkmcnt(0)
	v_mov_b32_e32 v1, v0
	v_mov_b32_e32 v2, v0
	;; [unrolled: 1-line block ×3, first 2 shown]
	ds_write_b128 v17, v[0:3]
.LBB370_66:                             ;   in Loop: Header=BB370_62 Depth=1
	s_or_b32 exec_lo, exec_lo, s6
	s_waitcnt lgkmcnt(0)
	ds_bpermute_b32 v1, v18, v13
	ds_bpermute_b32 v2, v18, v14
	;; [unrolled: 1-line block ×4, first 2 shown]
	s_waitcnt lgkmcnt(0)
	s_waitcnt_vscnt null, 0x0
	s_barrier
	buffer_gl0_inv
	v_add_f64 v[1:2], v[13:14], v[1:2]
	v_add_f64 v[3:4], v[15:16], v[3:4]
	ds_bpermute_b32 v13, v19, v1
	ds_bpermute_b32 v14, v19, v2
	ds_bpermute_b32 v15, v19, v3
	ds_bpermute_b32 v16, v19, v4
	s_waitcnt lgkmcnt(2)
	v_add_f64 v[1:2], v[1:2], v[13:14]
	s_waitcnt lgkmcnt(0)
	v_add_f64 v[3:4], v[3:4], v[15:16]
	ds_bpermute_b32 v13, v20, v1
	ds_bpermute_b32 v14, v20, v2
	ds_bpermute_b32 v15, v20, v3
	ds_bpermute_b32 v16, v20, v4
	s_waitcnt lgkmcnt(2)
	v_add_f64 v[1:2], v[1:2], v[13:14]
	s_waitcnt lgkmcnt(0)
	;; [unrolled: 8-line block ×3, first 2 shown]
	v_add_f64 v[13:14], v[3:4], v[15:16]
	ds_bpermute_b32 v3, v24, v1
	ds_bpermute_b32 v4, v24, v2
	;; [unrolled: 1-line block ×4, first 2 shown]
	s_and_saveexec_b32 s6, s5
	s_cbranch_execz .LBB370_68
; %bb.67:                               ;   in Loop: Header=BB370_62 Depth=1
	s_waitcnt lgkmcnt(0)
	v_add_f64 v[15:16], v[13:14], v[15:16]
	v_add_f64 v[13:14], v[1:2], v[3:4]
	ds_write_b128 v25, v[13:16]
.LBB370_68:                             ;   in Loop: Header=BB370_62 Depth=1
	s_or_b32 exec_lo, exec_lo, s6
	s_waitcnt lgkmcnt(2)
	v_mov_b32_e32 v3, 0
	v_mov_b32_e32 v1, 0
	;; [unrolled: 1-line block ×4, first 2 shown]
	s_waitcnt lgkmcnt(0)
	s_barrier
	buffer_gl0_inv
	s_and_saveexec_b32 s6, s8
	s_cbranch_execnz .LBB370_78
; %bb.69:                               ;   in Loop: Header=BB370_62 Depth=1
	s_or_b32 exec_lo, exec_lo, s6
	s_and_saveexec_b32 s6, s4
	s_cbranch_execnz .LBB370_79
.LBB370_70:                             ;   in Loop: Header=BB370_62 Depth=1
	s_or_b32 exec_lo, exec_lo, s6
	s_and_saveexec_b32 s6, s9
	s_cbranch_execz .LBB370_61
	s_branch .LBB370_80
.LBB370_71:                             ;   in Loop: Header=BB370_62 Depth=1
	s_waitcnt lgkmcnt(0)
	s_clause 0x2
	flat_load_dwordx4 v[1:4], v[7:8]
	flat_load_dwordx4 v[13:16], v[9:10]
	;; [unrolled: 1-line block ×3, first 2 shown]
	s_mul_i32 s24, s35, s15
	s_ashr_i32 s25, s24, 31
	s_lshl_b64 s[24:25], s[24:25], 4
	v_add_co_u32 v48, s6, v35, s24
	v_add_co_ci_u32_e64 v49, null, s25, v36, s6
	flat_load_dwordx4 v[30:33], v[5:6]
	s_clause 0x1
	flat_load_dwordx4 v[40:43], v[48:49]
	flat_load_dwordx4 v[44:47], v[48:49] offset:16
	s_waitcnt vmcnt(5) lgkmcnt(5)
	buffer_store_dword v4, v37, s[0:3], 0 offen offset:12
	buffer_store_dword v3, v37, s[0:3], 0 offen offset:8
	;; [unrolled: 1-line block ×3, first 2 shown]
	buffer_store_dword v1, v37, s[0:3], 0 offen
	s_waitcnt vmcnt(4) lgkmcnt(4)
	buffer_store_dword v16, v38, s[0:3], 0 offen offset:12
	buffer_store_dword v15, v38, s[0:3], 0 offen offset:8
	;; [unrolled: 1-line block ×3, first 2 shown]
	buffer_store_dword v13, v38, s[0:3], 0 offen
	s_clause 0x7
	buffer_load_dword v50, off, s[0:3], 0 offset:16
	buffer_load_dword v53, off, s[0:3], 0 offset:28
	;; [unrolled: 1-line block ×8, first 2 shown]
	s_clause 0x1
	flat_load_dwordx4 v[1:4], v[48:49] offset:32
	flat_load_dwordx4 v[13:16], v[48:49] offset:48
	s_waitcnt vmcnt(13) lgkmcnt(5)
	buffer_store_dword v29, v39, s[0:3], 0 offen offset:12
	buffer_store_dword v28, v39, s[0:3], 0 offen offset:8
	;; [unrolled: 1-line block ×3, first 2 shown]
	buffer_store_dword v26, v39, s[0:3], 0 offen
	s_clause 0x3
	buffer_load_dword v26, off, s[0:3], 0 offset:48
	buffer_load_dword v29, off, s[0:3], 0 offset:60
	;; [unrolled: 1-line block ×4, first 2 shown]
	s_waitcnt vmcnt(16) lgkmcnt(4)
	buffer_store_dword v33, off, s[0:3], 0 offset:12
	buffer_store_dword v32, off, s[0:3], 0 offset:8
	buffer_store_dword v31, off, s[0:3], 0 offset:4
	buffer_store_dword v30, off, s[0:3], 0
	s_waitcnt vmcnt(15) lgkmcnt(3)
	v_mul_f64 v[48:49], v[42:43], v[32:33]
	v_mul_f64 v[42:43], v[42:43], v[30:31]
	v_fma_f64 v[48:49], v[40:41], v[30:31], v[48:49]
	v_fma_f64 v[40:41], v[40:41], v[32:33], -v[42:43]
	v_add_f64 v[48:49], v[48:49], 0
	v_add_f64 v[40:41], v[40:41], 0
	s_waitcnt vmcnt(8) lgkmcnt(2)
	v_mul_f64 v[42:43], v[46:47], v[52:53]
	s_waitcnt vmcnt(7)
	v_mul_f64 v[46:47], v[46:47], v[50:51]
	s_waitcnt vmcnt(5) lgkmcnt(1)
	v_mul_f64 v[58:59], v[3:4], v[56:57]
	v_mul_f64 v[3:4], v[3:4], v[54:55]
	v_fma_f64 v[42:43], v[44:45], v[50:51], v[42:43]
	v_fma_f64 v[44:45], v[44:45], v[52:53], -v[46:47]
	s_waitcnt vmcnt(1) lgkmcnt(0)
	v_mul_f64 v[46:47], v[15:16], v[28:29]
	s_waitcnt vmcnt(0)
	v_mul_f64 v[15:16], v[15:16], v[26:27]
	v_fma_f64 v[50:51], v[1:2], v[54:55], v[58:59]
	v_fma_f64 v[1:2], v[1:2], v[56:57], -v[3:4]
	v_add_f64 v[3:4], v[48:49], v[42:43]
	v_add_f64 v[40:41], v[40:41], v[44:45]
	v_fma_f64 v[26:27], v[13:14], v[26:27], v[46:47]
	v_fma_f64 v[15:16], v[13:14], v[28:29], -v[15:16]
	v_add_f64 v[3:4], v[3:4], v[50:51]
	v_add_f64 v[1:2], v[40:41], v[1:2]
	;; [unrolled: 1-line block ×4, first 2 shown]
	s_andn2_saveexec_b32 s23, s11
	s_cbranch_execz .LBB370_64
.LBB370_72:                             ;   in Loop: Header=BB370_62 Depth=1
	v_mov_b32_e32 v13, 0
	v_mov_b32_e32 v15, 0
	;; [unrolled: 1-line block ×4, first 2 shown]
	s_and_saveexec_b32 s24, s22
	s_cbranch_execz .LBB370_77
; %bb.73:                               ;   in Loop: Header=BB370_62 Depth=1
	s_waitcnt lgkmcnt(0)
	v_mov_b32_e32 v1, v21
	s_mov_b32 s11, 0
	s_mov_b32 s25, s34
	.p2align	6
.LBB370_74:                             ;   Parent Loop BB370_62 Depth=1
                                        ; =>  This Inner Loop Header: Depth=2
	v_ashrrev_i32_e32 v2, 31, v1
	s_add_i32 s25, s25, -1
	v_lshlrev_b64 v[2:3], 4, v[1:2]
	v_add_nc_u32_e32 v1, s33, v1
	v_add_co_u32 v2, s6, s20, v2
	v_add_co_ci_u32_e64 v3, null, s21, v3, s6
	flat_load_dwordx4 v[13:16], v[2:3]
	v_mov_b32_e32 v2, s11
	s_add_i32 s11, s11, 16
	s_cmp_eq_u32 s25, 0
	s_waitcnt vmcnt(0) lgkmcnt(0)
	buffer_store_dword v16, v2, s[0:3], 0 offen offset:12
	buffer_store_dword v15, v2, s[0:3], 0 offen offset:8
	;; [unrolled: 1-line block ×3, first 2 shown]
	buffer_store_dword v13, v2, s[0:3], 0 offen
	s_cbranch_scc0 .LBB370_74
; %bb.75:                               ;   in Loop: Header=BB370_62 Depth=1
	s_ashr_i32 s11, s10, 31
	v_mov_b32_e32 v13, 0
	s_lshl_b64 s[26:27], s[10:11], 4
	v_mov_b32_e32 v15, 0
	v_add_co_u32 v1, s6, v35, s26
	v_mov_b32_e32 v14, 0
	v_mov_b32_e32 v16, 0
	v_add_co_ci_u32_e64 v2, null, s27, v36, s6
	s_mov_b32 s11, 0
	s_mov_b32 s25, s34
	.p2align	6
.LBB370_76:                             ;   Parent Loop BB370_62 Depth=1
                                        ; =>  This Inner Loop Header: Depth=2
	v_mov_b32_e32 v4, s11
	flat_load_dwordx4 v[26:29], v[1:2]
	v_add_co_u32 v1, s6, v1, 16
	v_add_co_ci_u32_e64 v2, null, 0, v2, s6
	s_clause 0x3
	buffer_load_dword v3, v4, s[0:3], 0 offen
	buffer_load_dword v30, v4, s[0:3], 0 offen offset:8
	buffer_load_dword v31, v4, s[0:3], 0 offen offset:12
	;; [unrolled: 1-line block ×3, first 2 shown]
	s_add_i32 s25, s25, -1
	s_add_i32 s11, s11, 16
	s_cmp_lg_u32 s25, 0
	s_waitcnt vmcnt(1) lgkmcnt(0)
	v_mul_f64 v[32:33], v[28:29], v[30:31]
	s_waitcnt vmcnt(0)
	v_mul_f64 v[28:29], v[28:29], v[3:4]
	v_fma_f64 v[3:4], v[26:27], v[3:4], v[32:33]
	v_fma_f64 v[26:27], v[26:27], v[30:31], -v[28:29]
	v_add_f64 v[13:14], v[13:14], v[3:4]
	v_add_f64 v[15:16], v[15:16], v[26:27]
	s_cbranch_scc1 .LBB370_76
.LBB370_77:                             ;   in Loop: Header=BB370_62 Depth=1
	s_or_b32 exec_lo, exec_lo, s24
	s_or_b32 exec_lo, exec_lo, s23
	s_and_saveexec_b32 s6, s4
	s_cbranch_execnz .LBB370_65
	s_branch .LBB370_66
.LBB370_78:                             ;   in Loop: Header=BB370_62 Depth=1
	ds_read_b128 v[1:4], v17
	s_or_b32 exec_lo, exec_lo, s6
	s_and_saveexec_b32 s6, s4
	s_cbranch_execz .LBB370_70
.LBB370_79:                             ;   in Loop: Header=BB370_62 Depth=1
	s_waitcnt lgkmcnt(0)
	ds_bpermute_b32 v13, v20, v1
	ds_bpermute_b32 v14, v20, v2
	ds_bpermute_b32 v15, v20, v3
	ds_bpermute_b32 v16, v20, v4
	s_waitcnt lgkmcnt(2)
	v_add_f64 v[1:2], v[1:2], v[13:14]
	s_waitcnt lgkmcnt(0)
	v_add_f64 v[3:4], v[3:4], v[15:16]
	ds_bpermute_b32 v13, v23, v1
	ds_bpermute_b32 v14, v23, v2
	ds_bpermute_b32 v15, v23, v3
	ds_bpermute_b32 v16, v23, v4
	s_waitcnt lgkmcnt(2)
	v_add_f64 v[1:2], v[1:2], v[13:14]
	s_waitcnt lgkmcnt(0)
	v_add_f64 v[3:4], v[3:4], v[15:16]
	;; [unrolled: 8-line block ×3, first 2 shown]
	s_or_b32 exec_lo, exec_lo, s6
	s_and_saveexec_b32 s6, s9
	s_cbranch_execz .LBB370_61
.LBB370_80:                             ;   in Loop: Header=BB370_62 Depth=1
	s_waitcnt lgkmcnt(0)
	v_mul_f64 v[13:14], s[18:19], v[3:4]
	v_mul_f64 v[3:4], s[16:17], v[3:4]
	s_mul_hi_u32 s25, s35, s14
	s_mul_i32 s24, s35, s14
	s_lshl_b64 s[24:25], s[24:25], 4
	s_add_u32 s24, s7, s24
	s_addc_u32 s25, s12, s25
	v_fma_f64 v[13:14], s[16:17], v[1:2], -v[13:14]
	v_fma_f64 v[15:16], s[18:19], v[1:2], v[3:4]
	global_store_dwordx4 v0, v[13:16], s[24:25]
	s_branch .LBB370_61
.LBB370_81:
	s_endpgm
	.section	.rodata,"a",@progbits
	.p2align	6, 0x0
	.amdhsa_kernel _ZL23rocblas_gemvt_sn_kernelILb1ELi256ELi4EiPK19rocblas_complex_numIdES3_S1_EviiT4_lPKT3_lilS7_lilPT5_i
		.amdhsa_group_segment_fixed_size 512
		.amdhsa_private_segment_fixed_size 80
		.amdhsa_kernarg_size 360
		.amdhsa_user_sgpr_count 6
		.amdhsa_user_sgpr_private_segment_buffer 1
		.amdhsa_user_sgpr_dispatch_ptr 0
		.amdhsa_user_sgpr_queue_ptr 0
		.amdhsa_user_sgpr_kernarg_segment_ptr 1
		.amdhsa_user_sgpr_dispatch_id 0
		.amdhsa_user_sgpr_flat_scratch_init 0
		.amdhsa_user_sgpr_private_segment_size 0
		.amdhsa_wavefront_size32 1
		.amdhsa_uses_dynamic_stack 0
		.amdhsa_system_sgpr_private_segment_wavefront_offset 1
		.amdhsa_system_sgpr_workgroup_id_x 1
		.amdhsa_system_sgpr_workgroup_id_y 0
		.amdhsa_system_sgpr_workgroup_id_z 1
		.amdhsa_system_sgpr_workgroup_info 0
		.amdhsa_system_vgpr_workitem_id 0
		.amdhsa_next_free_vgpr 76
		.amdhsa_next_free_sgpr 52
		.amdhsa_reserve_vcc 1
		.amdhsa_reserve_flat_scratch 1
		.amdhsa_float_round_mode_32 0
		.amdhsa_float_round_mode_16_64 0
		.amdhsa_float_denorm_mode_32 3
		.amdhsa_float_denorm_mode_16_64 3
		.amdhsa_dx10_clamp 1
		.amdhsa_ieee_mode 1
		.amdhsa_fp16_overflow 0
		.amdhsa_workgroup_processor_mode 1
		.amdhsa_memory_ordered 1
		.amdhsa_forward_progress 1
		.amdhsa_shared_vgpr_count 0
		.amdhsa_exception_fp_ieee_invalid_op 0
		.amdhsa_exception_fp_denorm_src 0
		.amdhsa_exception_fp_ieee_div_zero 0
		.amdhsa_exception_fp_ieee_overflow 0
		.amdhsa_exception_fp_ieee_underflow 0
		.amdhsa_exception_fp_ieee_inexact 0
		.amdhsa_exception_int_div_zero 0
	.end_amdhsa_kernel
	.section	.text._ZL23rocblas_gemvt_sn_kernelILb1ELi256ELi4EiPK19rocblas_complex_numIdES3_S1_EviiT4_lPKT3_lilS7_lilPT5_i,"axG",@progbits,_ZL23rocblas_gemvt_sn_kernelILb1ELi256ELi4EiPK19rocblas_complex_numIdES3_S1_EviiT4_lPKT3_lilS7_lilPT5_i,comdat
.Lfunc_end370:
	.size	_ZL23rocblas_gemvt_sn_kernelILb1ELi256ELi4EiPK19rocblas_complex_numIdES3_S1_EviiT4_lPKT3_lilS7_lilPT5_i, .Lfunc_end370-_ZL23rocblas_gemvt_sn_kernelILb1ELi256ELi4EiPK19rocblas_complex_numIdES3_S1_EviiT4_lPKT3_lilS7_lilPT5_i
                                        ; -- End function
	.set _ZL23rocblas_gemvt_sn_kernelILb1ELi256ELi4EiPK19rocblas_complex_numIdES3_S1_EviiT4_lPKT3_lilS7_lilPT5_i.num_vgpr, 76
	.set _ZL23rocblas_gemvt_sn_kernelILb1ELi256ELi4EiPK19rocblas_complex_numIdES3_S1_EviiT4_lPKT3_lilS7_lilPT5_i.num_agpr, 0
	.set _ZL23rocblas_gemvt_sn_kernelILb1ELi256ELi4EiPK19rocblas_complex_numIdES3_S1_EviiT4_lPKT3_lilS7_lilPT5_i.numbered_sgpr, 52
	.set _ZL23rocblas_gemvt_sn_kernelILb1ELi256ELi4EiPK19rocblas_complex_numIdES3_S1_EviiT4_lPKT3_lilS7_lilPT5_i.num_named_barrier, 0
	.set _ZL23rocblas_gemvt_sn_kernelILb1ELi256ELi4EiPK19rocblas_complex_numIdES3_S1_EviiT4_lPKT3_lilS7_lilPT5_i.private_seg_size, 80
	.set _ZL23rocblas_gemvt_sn_kernelILb1ELi256ELi4EiPK19rocblas_complex_numIdES3_S1_EviiT4_lPKT3_lilS7_lilPT5_i.uses_vcc, 1
	.set _ZL23rocblas_gemvt_sn_kernelILb1ELi256ELi4EiPK19rocblas_complex_numIdES3_S1_EviiT4_lPKT3_lilS7_lilPT5_i.uses_flat_scratch, 1
	.set _ZL23rocblas_gemvt_sn_kernelILb1ELi256ELi4EiPK19rocblas_complex_numIdES3_S1_EviiT4_lPKT3_lilS7_lilPT5_i.has_dyn_sized_stack, 0
	.set _ZL23rocblas_gemvt_sn_kernelILb1ELi256ELi4EiPK19rocblas_complex_numIdES3_S1_EviiT4_lPKT3_lilS7_lilPT5_i.has_recursion, 0
	.set _ZL23rocblas_gemvt_sn_kernelILb1ELi256ELi4EiPK19rocblas_complex_numIdES3_S1_EviiT4_lPKT3_lilS7_lilPT5_i.has_indirect_call, 0
	.section	.AMDGPU.csdata,"",@progbits
; Kernel info:
; codeLenInByte = 7856
; TotalNumSgprs: 54
; NumVgprs: 76
; ScratchSize: 80
; MemoryBound: 0
; FloatMode: 240
; IeeeMode: 1
; LDSByteSize: 512 bytes/workgroup (compile time only)
; SGPRBlocks: 0
; VGPRBlocks: 9
; NumSGPRsForWavesPerEU: 54
; NumVGPRsForWavesPerEU: 76
; Occupancy: 12
; WaveLimiterHint : 0
; COMPUTE_PGM_RSRC2:SCRATCH_EN: 1
; COMPUTE_PGM_RSRC2:USER_SGPR: 6
; COMPUTE_PGM_RSRC2:TRAP_HANDLER: 0
; COMPUTE_PGM_RSRC2:TGID_X_EN: 1
; COMPUTE_PGM_RSRC2:TGID_Y_EN: 0
; COMPUTE_PGM_RSRC2:TGID_Z_EN: 1
; COMPUTE_PGM_RSRC2:TIDIG_COMP_CNT: 0
	.section	.text._ZL23rocblas_gemvt_sn_kernelILb1ELi256ELi4ElPK19rocblas_complex_numIdES3_S1_EviiT4_lPKT3_lilS7_lilPT5_i,"axG",@progbits,_ZL23rocblas_gemvt_sn_kernelILb1ELi256ELi4ElPK19rocblas_complex_numIdES3_S1_EviiT4_lPKT3_lilS7_lilPT5_i,comdat
	.globl	_ZL23rocblas_gemvt_sn_kernelILb1ELi256ELi4ElPK19rocblas_complex_numIdES3_S1_EviiT4_lPKT3_lilS7_lilPT5_i ; -- Begin function _ZL23rocblas_gemvt_sn_kernelILb1ELi256ELi4ElPK19rocblas_complex_numIdES3_S1_EviiT4_lPKT3_lilS7_lilPT5_i
	.p2align	8
	.type	_ZL23rocblas_gemvt_sn_kernelILb1ELi256ELi4ElPK19rocblas_complex_numIdES3_S1_EviiT4_lPKT3_lilS7_lilPT5_i,@function
_ZL23rocblas_gemvt_sn_kernelILb1ELi256ELi4ElPK19rocblas_complex_numIdES3_S1_EviiT4_lPKT3_lilS7_lilPT5_i: ; @_ZL23rocblas_gemvt_sn_kernelILb1ELi256ELi4ElPK19rocblas_complex_numIdES3_S1_EviiT4_lPKT3_lilS7_lilPT5_i
; %bb.0:
	s_add_u32 s0, s0, s8
	s_load_dwordx8 s[8:15], s[4:5], 0x8
	s_mov_b32 s20, s7
	s_addc_u32 s1, s1, 0
	s_mov_b32 s21, 0
	s_mov_b64 s[24:25], 0
	s_mov_b64 s[22:23], 0
	s_waitcnt lgkmcnt(0)
	s_mul_i32 s7, s11, s7
	s_mul_hi_u32 s11, s10, s20
	s_mul_i32 s10, s10, s20
	s_add_i32 s11, s11, s7
	s_lshl_b64 s[10:11], s[10:11], 4
	s_add_u32 s8, s8, s10
	s_addc_u32 s9, s9, s11
	s_load_dwordx4 s[16:19], s[8:9], 0x0
	s_waitcnt lgkmcnt(0)
	v_cmp_neq_f64_e64 s7, s[16:17], 0
	v_cmp_neq_f64_e64 s8, s[18:19], 0
	s_or_b32 s7, s7, s8
	s_xor_b32 s10, s7, -1
	s_and_b32 vcc_lo, exec_lo, s10
	s_cbranch_vccnz .LBB371_2
; %bb.1:
	s_lshl_b64 s[8:9], s[20:21], 3
	s_add_u32 s8, s12, s8
	s_addc_u32 s9, s13, s9
	s_lshl_b64 s[12:13], s[14:15], 4
	s_load_dwordx2 s[8:9], s[8:9], 0x0
	s_waitcnt lgkmcnt(0)
	s_add_u32 s22, s8, s12
	s_addc_u32 s23, s9, s13
.LBB371_2:
	s_andn2_b32 vcc_lo, exec_lo, s7
	s_cbranch_vccnz .LBB371_4
; %bb.3:
	s_load_dwordx4 s[12:15], s[4:5], 0x38
	s_lshl_b64 s[8:9], s[20:21], 3
	s_waitcnt lgkmcnt(0)
	s_add_u32 s8, s12, s8
	s_addc_u32 s9, s13, s9
	s_lshl_b64 s[12:13], s[14:15], 4
	s_load_dwordx2 s[8:9], s[8:9], 0x0
	s_waitcnt lgkmcnt(0)
	s_add_u32 s24, s8, s12
	s_addc_u32 s25, s9, s13
.LBB371_4:
	s_clause 0x2
	s_load_dwordx2 s[12:13], s[4:5], 0x0
	s_load_dword s14, s[4:5], 0x68
	s_load_dwordx2 s[8:9], s[4:5], 0x58
	s_andn2_b32 vcc_lo, exec_lo, s10
	v_cmp_eq_u32_e64 s7, 0, v0
	s_mov_b32 s15, 0
	s_waitcnt lgkmcnt(0)
	s_ashr_i32 s28, s13, 31
	s_mul_hi_u32 s10, s13, s20
	s_mul_i32 s11, s28, s20
	s_mul_i32 s20, s13, s20
	s_add_i32 s10, s10, s11
	s_mul_hi_u32 s11, s20, s14
	s_mul_i32 s21, s10, s14
	s_mul_i32 s10, s20, s14
	s_add_i32 s11, s11, s21
	s_mov_b32 s20, -1
	s_cbranch_vccnz .LBB371_9
; %bb.5:
	s_cmp_gt_i32 s13, 0
	s_cselect_b32 s20, -1, 0
	s_and_b32 s7, s7, s20
	s_and_saveexec_b32 s29, s7
	s_cbranch_execz .LBB371_8
; %bb.6:
	s_mov_b32 s7, 0
	v_mov_b32_e32 v1, 0
	s_lshl_b64 s[20:21], s[10:11], 4
	s_lshl_b64 s[26:27], s[6:7], 4
	s_add_u32 s7, s20, s26
	s_addc_u32 s20, s21, s27
	s_add_u32 s7, s8, s7
	v_mov_b32_e32 v2, v1
	v_mov_b32_e32 v3, v1
	;; [unrolled: 1-line block ×3, first 2 shown]
	s_addc_u32 s21, s9, s20
	s_add_u32 s20, s7, 8
	s_addc_u32 s21, s21, 0
	s_lshl_b64 s[26:27], s[14:15], 4
	s_mov_b32 s7, s13
.LBB371_7:                              ; =>This Inner Loop Header: Depth=1
	s_add_i32 s7, s7, -1
	global_store_dwordx4 v1, v[1:4], s[20:21] offset:-8
	s_add_u32 s20, s20, s26
	s_addc_u32 s21, s21, s27
	s_cmp_eq_u32 s7, 0
	s_cbranch_scc0 .LBB371_7
.LBB371_8:
	s_or_b32 exec_lo, exec_lo, s29
	s_mov_b32 s20, 0
.LBB371_9:
	s_andn2_b32 vcc_lo, exec_lo, s20
	s_cbranch_vccnz .LBB371_81
; %bb.10:
	s_clause 0x1
	s_load_dword s20, s[4:5], 0x28
	s_load_dword s26, s[4:5], 0x48
	s_lshl_b64 s[10:11], s[10:11], 4
	v_and_b32_e32 v45, 31, v0
	v_cmp_gt_u32_e64 s4, 32, v0
	v_mbcnt_lo_u32_b32 v47, -1, 0
	v_cmp_gt_u32_e64 s5, 8, v0
	v_lshrrev_b32_e32 v46, 1, v0
	v_mov_b32_e32 v40, 16
	v_mov_b32_e32 v41, 32
	;; [unrolled: 1-line block ×3, first 2 shown]
	s_waitcnt lgkmcnt(0)
	s_ashr_i32 s21, s20, 31
	s_ashr_i32 s27, s26, 31
	s_add_u32 s33, s8, s10
	s_addc_u32 s36, s9, s11
	s_lshl_b32 s7, s6, 10
	s_ashr_i32 s8, s12, 31
	v_lshl_or_b32 v25, v0, 2, s7
	s_lshr_b32 s7, s28, 30
	s_lshr_b32 s8, s8, 30
	s_add_i32 s7, s13, s7
	s_add_i32 s8, s12, s8
	v_ashrrev_i32_e32 v26, 31, v25
	s_and_b32 s37, s7, -4
	s_and_b32 s7, s8, -4
	v_add_nc_u32_e32 v49, 4, v25
	s_sub_i32 s15, s12, s7
	v_lshlrev_b64 v[23:24], 4, v[25:26]
	v_or_b32_e32 v48, 1, v25
	v_or_b32_e32 v44, 2, v25
	;; [unrolled: 1-line block ×3, first 2 shown]
	v_add_nc_u32_e32 v50, s15, v25
	s_cmp_lt_i32 s37, 1
	v_add_co_u32 v21, vcc_lo, s22, v23
	v_add_co_ci_u32_e64 v22, null, s23, v24, vcc_lo
	s_cbranch_scc1 .LBB371_58
; %bb.11:
	v_cmp_gt_u32_e32 vcc_lo, 24, v47
	v_mad_i64_i32 v[5:6], null, s26, v44, 0
	v_mad_i64_i32 v[7:8], null, s26, v43, 0
	v_cndmask_b32_e64 v1, 0, 8, vcc_lo
	v_cmp_gt_u32_e32 vcc_lo, 28, v47
	s_cmp_gt_i32 s15, 0
	s_mov_b32 s7, 0
	v_mov_b32_e32 v35, v22
	v_add_lshl_u32 v52, v1, v47, 2
	v_cndmask_b32_e64 v2, 0, 4, vcc_lo
	v_cmp_gt_u32_e32 vcc_lo, 30, v47
	v_cmp_ge_i32_e64 s8, s12, v49
	v_cmp_ge_i32_e64 s9, s12, v50
	s_cselect_b32 s38, -1, 0
	v_add_lshl_u32 v53, v2, v47, 2
	v_cndmask_b32_e64 v3, 0, 2, vcc_lo
	v_cmp_ne_u32_e32 vcc_lo, 31, v47
	v_mad_i64_i32 v[1:2], null, s26, v25, 0
	v_lshl_or_b32 v51, v47, 2, 64
	v_add_lshl_u32 v54, v3, v47, 2
	v_add_co_ci_u32_e64 v4, null, 0, v47, vcc_lo
	v_cmp_eq_u32_e64 s10, 0, v45
	v_lshlrev_b32_e32 v56, 4, v45
	v_lshlrev_b64 v[1:2], 4, v[1:2]
	v_lshlrev_b32_e32 v55, 2, v4
	v_mad_i64_i32 v[3:4], null, s26, v48, 0
	v_and_b32_e32 v57, 0x70, v46
	s_lshl_b64 s[28:29], s[6:7], 4
	v_add_co_u32 v26, vcc_lo, s24, v1
	v_add_co_ci_u32_e64 v27, null, s25, v2, vcc_lo
	v_lshlrev_b64 v[3:4], 4, v[3:4]
	v_lshlrev_b64 v[1:2], 4, v[5:6]
	v_cmp_eq_u32_e64 s11, 0, v0
	v_mov_b32_e32 v34, v21
	s_add_u32 s39, s33, s28
	s_addc_u32 s40, s36, s29
	v_add_co_u32 v28, vcc_lo, s24, v3
	v_add_co_ci_u32_e64 v29, null, s25, v4, vcc_lo
	v_lshlrev_b64 v[3:4], 4, v[7:8]
	v_add_co_u32 v30, vcc_lo, s24, v1
	v_add_co_ci_u32_e64 v31, null, s25, v2, vcc_lo
	v_mov_b32_e32 v1, 0
	v_add_co_u32 v32, vcc_lo, s24, v3
	v_add_co_ci_u32_e64 v33, null, s25, v4, vcc_lo
	s_lshl_b64 s[28:29], s[26:27], 4
	s_lshl_b64 s[30:31], s[20:21], 6
	s_lshl_b64 s[34:35], s[20:21], 4
	s_branch .LBB371_13
.LBB371_12:                             ;   in Loop: Header=BB371_13 Depth=1
	s_or_b32 exec_lo, exec_lo, s41
	v_add_co_u32 v34, vcc_lo, v34, s30
	v_add_co_ci_u32_e64 v35, null, s31, v35, vcc_lo
	s_add_i32 s7, s7, 4
	s_cmp_ge_i32 s7, s37
	s_cbranch_scc1 .LBB371_59
.LBB371_13:                             ; =>This Loop Header: Depth=1
                                        ;     Child Loop BB371_44 Depth 2
                                        ;     Child Loop BB371_46 Depth 2
                                        ; implicit-def: $vgpr17_vgpr18
                                        ; implicit-def: $vgpr19_vgpr20
                                        ; implicit-def: $vgpr13_vgpr14
                                        ; implicit-def: $vgpr15_vgpr16
                                        ; implicit-def: $vgpr9_vgpr10
                                        ; implicit-def: $vgpr11_vgpr12
                                        ; implicit-def: $vgpr38_vgpr39
                                        ; implicit-def: $vgpr36_vgpr37
	s_and_saveexec_b32 s41, s8
	s_xor_b32 s41, exec_lo, s41
	s_cbranch_execnz .LBB371_40
; %bb.14:                               ;   in Loop: Header=BB371_13 Depth=1
	s_andn2_saveexec_b32 s41, s41
	s_cbranch_execnz .LBB371_41
.LBB371_15:                             ;   in Loop: Header=BB371_13 Depth=1
	s_or_b32 exec_lo, exec_lo, s41
	s_and_saveexec_b32 s41, s4
	s_cbranch_execz .LBB371_17
.LBB371_16:                             ;   in Loop: Header=BB371_13 Depth=1
	v_mov_b32_e32 v2, v1
	v_mov_b32_e32 v3, v1
	;; [unrolled: 1-line block ×3, first 2 shown]
	ds_write_b128 v56, v[1:4]
.LBB371_17:                             ;   in Loop: Header=BB371_13 Depth=1
	s_or_b32 exec_lo, exec_lo, s41
	ds_bpermute_b32 v2, v51, v38
	ds_bpermute_b32 v3, v51, v39
	;; [unrolled: 1-line block ×4, first 2 shown]
	s_waitcnt lgkmcnt(0)
	s_waitcnt_vscnt null, 0x0
	s_barrier
	buffer_gl0_inv
	v_add_f64 v[2:3], v[38:39], v[2:3]
	v_add_f64 v[4:5], v[36:37], v[4:5]
	ds_bpermute_b32 v6, v52, v2
	ds_bpermute_b32 v7, v52, v3
	ds_bpermute_b32 v36, v52, v4
	ds_bpermute_b32 v37, v52, v5
	s_waitcnt lgkmcnt(2)
	v_add_f64 v[2:3], v[2:3], v[6:7]
	s_waitcnt lgkmcnt(0)
	v_add_f64 v[4:5], v[4:5], v[36:37]
	ds_bpermute_b32 v6, v53, v2
	ds_bpermute_b32 v7, v53, v3
	ds_bpermute_b32 v36, v53, v4
	ds_bpermute_b32 v37, v53, v5
	s_waitcnt lgkmcnt(2)
	v_add_f64 v[2:3], v[2:3], v[6:7]
	s_waitcnt lgkmcnt(0)
	;; [unrolled: 8-line block ×3, first 2 shown]
	v_add_f64 v[6:7], v[4:5], v[36:37]
	ds_bpermute_b32 v4, v55, v2
	ds_bpermute_b32 v5, v55, v3
	;; [unrolled: 1-line block ×4, first 2 shown]
	s_and_saveexec_b32 s41, s10
	s_cbranch_execz .LBB371_19
; %bb.18:                               ;   in Loop: Header=BB371_13 Depth=1
	s_waitcnt lgkmcnt(0)
	v_add_f64 v[6:7], v[6:7], v[36:37]
	v_add_f64 v[4:5], v[2:3], v[4:5]
	ds_write_b128 v57, v[4:7]
.LBB371_19:                             ;   in Loop: Header=BB371_13 Depth=1
	s_or_b32 exec_lo, exec_lo, s41
	v_mov_b32_e32 v7, 0
	s_waitcnt lgkmcnt(2)
	v_mov_b32_e32 v5, 0
	v_mov_b32_e32 v8, 0
	;; [unrolled: 1-line block ×3, first 2 shown]
	s_waitcnt lgkmcnt(0)
	s_barrier
	buffer_gl0_inv
	s_and_saveexec_b32 s41, s5
	s_cbranch_execnz .LBB371_47
; %bb.20:                               ;   in Loop: Header=BB371_13 Depth=1
	s_or_b32 exec_lo, exec_lo, s41
	s_and_saveexec_b32 s41, s4
	s_cbranch_execnz .LBB371_48
.LBB371_21:                             ;   in Loop: Header=BB371_13 Depth=1
	s_or_b32 exec_lo, exec_lo, s41
	s_and_saveexec_b32 s41, s4
	s_cbranch_execz .LBB371_23
.LBB371_22:                             ;   in Loop: Header=BB371_13 Depth=1
	v_mov_b32_e32 v2, v1
	v_mov_b32_e32 v3, v1
	;; [unrolled: 1-line block ×3, first 2 shown]
	ds_write_b128 v56, v[1:4]
.LBB371_23:                             ;   in Loop: Header=BB371_13 Depth=1
	s_or_b32 exec_lo, exec_lo, s41
	ds_bpermute_b32 v2, v51, v9
	ds_bpermute_b32 v3, v51, v10
	;; [unrolled: 1-line block ×4, first 2 shown]
	s_waitcnt lgkmcnt(0)
	s_barrier
	buffer_gl0_inv
	v_add_f64 v[2:3], v[9:10], v[2:3]
	v_add_f64 v[9:10], v[11:12], v[36:37]
	ds_bpermute_b32 v11, v52, v2
	ds_bpermute_b32 v12, v52, v3
	ds_bpermute_b32 v36, v52, v9
	ds_bpermute_b32 v37, v52, v10
	s_waitcnt lgkmcnt(2)
	v_add_f64 v[2:3], v[2:3], v[11:12]
	s_waitcnt lgkmcnt(0)
	v_add_f64 v[9:10], v[9:10], v[36:37]
	ds_bpermute_b32 v11, v53, v2
	ds_bpermute_b32 v12, v53, v3
	ds_bpermute_b32 v36, v53, v9
	ds_bpermute_b32 v37, v53, v10
	s_waitcnt lgkmcnt(2)
	v_add_f64 v[2:3], v[2:3], v[11:12]
	s_waitcnt lgkmcnt(0)
	;; [unrolled: 8-line block ×3, first 2 shown]
	v_add_f64 v[11:12], v[9:10], v[36:37]
	ds_bpermute_b32 v9, v55, v2
	ds_bpermute_b32 v10, v55, v3
	;; [unrolled: 1-line block ×4, first 2 shown]
	s_and_saveexec_b32 s41, s10
	s_cbranch_execz .LBB371_25
; %bb.24:                               ;   in Loop: Header=BB371_13 Depth=1
	s_waitcnt lgkmcnt(0)
	v_add_f64 v[11:12], v[11:12], v[36:37]
	v_add_f64 v[9:10], v[2:3], v[9:10]
	ds_write_b128 v57, v[9:12]
.LBB371_25:                             ;   in Loop: Header=BB371_13 Depth=1
	s_or_b32 exec_lo, exec_lo, s41
	v_mov_b32_e32 v11, 0
	s_waitcnt lgkmcnt(2)
	v_mov_b32_e32 v9, 0
	v_mov_b32_e32 v12, 0
	;; [unrolled: 1-line block ×3, first 2 shown]
	s_waitcnt lgkmcnt(0)
	s_barrier
	buffer_gl0_inv
	s_and_saveexec_b32 s41, s5
	s_cbranch_execnz .LBB371_49
; %bb.26:                               ;   in Loop: Header=BB371_13 Depth=1
	s_or_b32 exec_lo, exec_lo, s41
	s_and_saveexec_b32 s41, s4
	s_cbranch_execnz .LBB371_50
.LBB371_27:                             ;   in Loop: Header=BB371_13 Depth=1
	s_or_b32 exec_lo, exec_lo, s41
	s_and_saveexec_b32 s41, s4
	s_cbranch_execz .LBB371_29
.LBB371_28:                             ;   in Loop: Header=BB371_13 Depth=1
	v_mov_b32_e32 v2, v1
	v_mov_b32_e32 v3, v1
	;; [unrolled: 1-line block ×3, first 2 shown]
	ds_write_b128 v56, v[1:4]
.LBB371_29:                             ;   in Loop: Header=BB371_13 Depth=1
	s_or_b32 exec_lo, exec_lo, s41
	ds_bpermute_b32 v2, v51, v13
	ds_bpermute_b32 v3, v51, v14
	;; [unrolled: 1-line block ×4, first 2 shown]
	s_waitcnt lgkmcnt(0)
	s_barrier
	buffer_gl0_inv
	v_add_f64 v[2:3], v[13:14], v[2:3]
	v_add_f64 v[13:14], v[15:16], v[36:37]
	ds_bpermute_b32 v15, v52, v2
	ds_bpermute_b32 v16, v52, v3
	ds_bpermute_b32 v36, v52, v13
	ds_bpermute_b32 v37, v52, v14
	s_waitcnt lgkmcnt(2)
	v_add_f64 v[2:3], v[2:3], v[15:16]
	s_waitcnt lgkmcnt(0)
	v_add_f64 v[13:14], v[13:14], v[36:37]
	ds_bpermute_b32 v15, v53, v2
	ds_bpermute_b32 v16, v53, v3
	ds_bpermute_b32 v36, v53, v13
	ds_bpermute_b32 v37, v53, v14
	s_waitcnt lgkmcnt(2)
	v_add_f64 v[2:3], v[2:3], v[15:16]
	s_waitcnt lgkmcnt(0)
	;; [unrolled: 8-line block ×3, first 2 shown]
	v_add_f64 v[15:16], v[13:14], v[36:37]
	ds_bpermute_b32 v13, v55, v2
	ds_bpermute_b32 v14, v55, v3
	ds_bpermute_b32 v36, v55, v15
	ds_bpermute_b32 v37, v55, v16
	s_and_saveexec_b32 s41, s10
	s_cbranch_execz .LBB371_31
; %bb.30:                               ;   in Loop: Header=BB371_13 Depth=1
	s_waitcnt lgkmcnt(0)
	v_add_f64 v[15:16], v[15:16], v[36:37]
	v_add_f64 v[13:14], v[2:3], v[13:14]
	ds_write_b128 v57, v[13:16]
.LBB371_31:                             ;   in Loop: Header=BB371_13 Depth=1
	s_or_b32 exec_lo, exec_lo, s41
	v_mov_b32_e32 v15, 0
	s_waitcnt lgkmcnt(2)
	v_mov_b32_e32 v13, 0
	v_mov_b32_e32 v16, 0
	;; [unrolled: 1-line block ×3, first 2 shown]
	s_waitcnt lgkmcnt(0)
	s_barrier
	buffer_gl0_inv
	s_and_saveexec_b32 s41, s5
	s_cbranch_execnz .LBB371_51
; %bb.32:                               ;   in Loop: Header=BB371_13 Depth=1
	s_or_b32 exec_lo, exec_lo, s41
	s_and_saveexec_b32 s41, s4
	s_cbranch_execnz .LBB371_52
.LBB371_33:                             ;   in Loop: Header=BB371_13 Depth=1
	s_or_b32 exec_lo, exec_lo, s41
	s_and_saveexec_b32 s41, s4
	s_cbranch_execz .LBB371_35
.LBB371_34:                             ;   in Loop: Header=BB371_13 Depth=1
	v_mov_b32_e32 v2, v1
	v_mov_b32_e32 v3, v1
	;; [unrolled: 1-line block ×3, first 2 shown]
	ds_write_b128 v56, v[1:4]
.LBB371_35:                             ;   in Loop: Header=BB371_13 Depth=1
	s_or_b32 exec_lo, exec_lo, s41
	ds_bpermute_b32 v2, v51, v17
	ds_bpermute_b32 v3, v51, v18
	;; [unrolled: 1-line block ×4, first 2 shown]
	s_waitcnt lgkmcnt(0)
	s_barrier
	buffer_gl0_inv
	v_add_f64 v[2:3], v[17:18], v[2:3]
	v_add_f64 v[17:18], v[19:20], v[36:37]
	ds_bpermute_b32 v19, v52, v2
	ds_bpermute_b32 v20, v52, v3
	ds_bpermute_b32 v36, v52, v17
	ds_bpermute_b32 v37, v52, v18
	s_waitcnt lgkmcnt(2)
	v_add_f64 v[2:3], v[2:3], v[19:20]
	s_waitcnt lgkmcnt(0)
	v_add_f64 v[17:18], v[17:18], v[36:37]
	ds_bpermute_b32 v19, v53, v2
	ds_bpermute_b32 v20, v53, v3
	ds_bpermute_b32 v36, v53, v17
	ds_bpermute_b32 v37, v53, v18
	s_waitcnt lgkmcnt(2)
	v_add_f64 v[2:3], v[2:3], v[19:20]
	s_waitcnt lgkmcnt(0)
	;; [unrolled: 8-line block ×3, first 2 shown]
	v_add_f64 v[19:20], v[17:18], v[36:37]
	ds_bpermute_b32 v17, v55, v2
	ds_bpermute_b32 v18, v55, v3
	;; [unrolled: 1-line block ×4, first 2 shown]
	s_and_saveexec_b32 s41, s10
	s_cbranch_execz .LBB371_37
; %bb.36:                               ;   in Loop: Header=BB371_13 Depth=1
	s_waitcnt lgkmcnt(0)
	v_add_f64 v[19:20], v[19:20], v[36:37]
	v_add_f64 v[17:18], v[2:3], v[17:18]
	ds_write_b128 v57, v[17:20]
.LBB371_37:                             ;   in Loop: Header=BB371_13 Depth=1
	s_or_b32 exec_lo, exec_lo, s41
	v_mov_b32_e32 v19, 0
	s_waitcnt lgkmcnt(2)
	v_mov_b32_e32 v17, 0
	v_mov_b32_e32 v20, 0
	;; [unrolled: 1-line block ×3, first 2 shown]
	s_waitcnt lgkmcnt(0)
	s_barrier
	buffer_gl0_inv
	s_and_saveexec_b32 s41, s5
	s_cbranch_execnz .LBB371_53
; %bb.38:                               ;   in Loop: Header=BB371_13 Depth=1
	s_or_b32 exec_lo, exec_lo, s41
	s_and_saveexec_b32 s41, s4
	s_cbranch_execnz .LBB371_54
.LBB371_39:                             ;   in Loop: Header=BB371_13 Depth=1
	s_or_b32 exec_lo, exec_lo, s41
	s_and_saveexec_b32 s41, s11
	s_cbranch_execz .LBB371_12
	s_branch .LBB371_55
.LBB371_40:                             ;   in Loop: Header=BB371_13 Depth=1
	flat_load_dwordx4 v[8:11], v[26:27]
	s_mul_i32 s42, s7, s21
	s_mul_hi_u32 s43, s7, s20
	s_waitcnt vmcnt(0) lgkmcnt(0)
	buffer_store_dword v11, off, s[0:3], 0 offset:12
	buffer_store_dword v10, off, s[0:3], 0 offset:8
	;; [unrolled: 1-line block ×3, first 2 shown]
	buffer_store_dword v8, off, s[0:3], 0
	flat_load_dwordx4 v[2:5], v[28:29]
	s_add_i32 s43, s43, s42
	s_mul_i32 s42, s7, s20
	s_waitcnt vmcnt(0) lgkmcnt(0)
	buffer_store_dword v5, v40, s[0:3], 0 offen offset:12
	buffer_store_dword v4, v40, s[0:3], 0 offen offset:8
	;; [unrolled: 1-line block ×3, first 2 shown]
	buffer_store_dword v2, v40, s[0:3], 0 offen
	flat_load_dwordx4 v[2:5], v[30:31]
	s_lshl_b64 s[42:43], s[42:43], 4
	s_waitcnt vmcnt(0) lgkmcnt(0)
	buffer_store_dword v5, v41, s[0:3], 0 offen offset:12
	buffer_store_dword v4, v41, s[0:3], 0 offen offset:8
	;; [unrolled: 1-line block ×3, first 2 shown]
	buffer_store_dword v2, v41, s[0:3], 0 offen
	flat_load_dwordx4 v[2:5], v[32:33]
	s_waitcnt vmcnt(0) lgkmcnt(0)
	buffer_store_dword v5, v42, s[0:3], 0 offen offset:12
	buffer_store_dword v4, v42, s[0:3], 0 offen offset:8
	;; [unrolled: 1-line block ×3, first 2 shown]
	buffer_store_dword v2, v42, s[0:3], 0 offen
	v_add_co_u32 v2, vcc_lo, v21, s42
	v_add_co_ci_u32_e64 v3, null, s43, v22, vcc_lo
	s_or_b32 s42, s7, 1
	s_mul_i32 s43, s42, s21
	flat_load_dwordx4 v[4:7], v[2:3]
	s_mul_hi_u32 s44, s42, s20
	s_mul_i32 s42, s42, s20
	s_add_i32 s43, s44, s43
	s_lshl_b64 s[42:43], s[42:43], 4
	s_waitcnt vmcnt(0) lgkmcnt(0)
	v_mul_f64 v[12:13], v[10:11], v[6:7]
	v_mul_f64 v[6:7], v[8:9], v[6:7]
	v_fma_f64 v[12:13], v[8:9], v[4:5], v[12:13]
	v_fma_f64 v[4:5], v[10:11], v[4:5], -v[6:7]
	v_add_f64 v[19:20], v[12:13], 0
	v_add_f64 v[36:37], v[4:5], 0
	v_add_co_u32 v4, vcc_lo, v21, s42
	v_add_co_ci_u32_e64 v5, null, s43, v22, vcc_lo
	s_or_b32 s42, s7, 2
	s_mul_i32 s43, s42, s21
	flat_load_dwordx4 v[12:15], v[4:5]
	s_mul_hi_u32 s44, s42, s20
	s_mul_i32 s42, s42, s20
	s_add_i32 s43, s44, s43
	s_lshl_b64 s[42:43], s[42:43], 4
	s_waitcnt vmcnt(0) lgkmcnt(0)
	v_mul_f64 v[6:7], v[10:11], v[14:15]
	v_mul_f64 v[14:15], v[8:9], v[14:15]
	v_fma_f64 v[6:7], v[8:9], v[12:13], v[6:7]
	v_fma_f64 v[12:13], v[10:11], v[12:13], -v[14:15]
	v_add_f64 v[38:39], v[6:7], 0
	v_add_co_u32 v6, vcc_lo, v21, s42
	v_add_co_ci_u32_e64 v7, null, s43, v22, vcc_lo
	v_add_f64 v[58:59], v[12:13], 0
	s_or_b32 s42, s7, 3
	flat_load_dwordx4 v[12:15], v[6:7]
	s_mul_i32 s43, s42, s21
	s_mul_hi_u32 s44, s42, s20
	s_mul_i32 s42, s42, s20
	s_add_i32 s43, s44, s43
	s_lshl_b64 s[42:43], s[42:43], 4
	s_waitcnt vmcnt(0) lgkmcnt(0)
	v_mul_f64 v[16:17], v[10:11], v[14:15]
	v_mul_f64 v[14:15], v[8:9], v[14:15]
	v_fma_f64 v[16:17], v[8:9], v[12:13], v[16:17]
	v_fma_f64 v[12:13], v[10:11], v[12:13], -v[14:15]
	v_add_f64 v[60:61], v[16:17], 0
	v_add_co_u32 v17, vcc_lo, v21, s42
	v_add_co_ci_u32_e64 v18, null, s43, v22, vcc_lo
	v_add_f64 v[62:63], v[12:13], 0
	flat_load_dwordx4 v[12:15], v[17:18]
	s_waitcnt vmcnt(0) lgkmcnt(0)
	v_mul_f64 v[64:65], v[10:11], v[14:15]
	v_fma_f64 v[64:65], v[8:9], v[12:13], v[64:65]
	v_mul_f64 v[8:9], v[8:9], v[14:15]
	v_fma_f64 v[8:9], v[10:11], v[12:13], -v[8:9]
	v_add_f64 v[12:13], v[64:65], 0
	s_clause 0x3
	buffer_load_dword v64, off, s[0:3], 0 offset:16
	buffer_load_dword v65, off, s[0:3], 0 offset:20
	;; [unrolled: 1-line block ×4, first 2 shown]
	v_add_f64 v[14:15], v[8:9], 0
	flat_load_dwordx4 v[8:11], v[2:3] offset:16
	s_waitcnt vmcnt(0) lgkmcnt(0)
	v_mul_f64 v[68:69], v[66:67], v[10:11]
	v_mul_f64 v[10:11], v[64:65], v[10:11]
	v_fma_f64 v[68:69], v[64:65], v[8:9], v[68:69]
	v_fma_f64 v[8:9], v[66:67], v[8:9], -v[10:11]
	v_add_f64 v[19:20], v[19:20], v[68:69]
	v_add_f64 v[36:37], v[36:37], v[8:9]
	flat_load_dwordx4 v[8:11], v[4:5] offset:16
	s_waitcnt vmcnt(0) lgkmcnt(0)
	v_mul_f64 v[68:69], v[66:67], v[10:11]
	v_mul_f64 v[10:11], v[64:65], v[10:11]
	v_fma_f64 v[68:69], v[64:65], v[8:9], v[68:69]
	v_fma_f64 v[8:9], v[66:67], v[8:9], -v[10:11]
	v_add_f64 v[38:39], v[38:39], v[68:69]
	;; [unrolled: 8-line block ×3, first 2 shown]
	v_add_f64 v[62:63], v[62:63], v[8:9]
	flat_load_dwordx4 v[8:11], v[17:18] offset:16
	s_waitcnt vmcnt(0) lgkmcnt(0)
	v_mul_f64 v[68:69], v[66:67], v[10:11]
	v_mul_f64 v[10:11], v[64:65], v[10:11]
	v_fma_f64 v[68:69], v[64:65], v[8:9], v[68:69]
	v_fma_f64 v[8:9], v[66:67], v[8:9], -v[10:11]
	s_clause 0x3
	buffer_load_dword v64, off, s[0:3], 0 offset:32
	buffer_load_dword v65, off, s[0:3], 0 offset:36
	;; [unrolled: 1-line block ×4, first 2 shown]
	v_add_f64 v[12:13], v[12:13], v[68:69]
	v_add_f64 v[14:15], v[14:15], v[8:9]
	flat_load_dwordx4 v[8:11], v[2:3] offset:32
	s_waitcnt vmcnt(0) lgkmcnt(0)
	v_mul_f64 v[68:69], v[66:67], v[10:11]
	v_mul_f64 v[10:11], v[64:65], v[10:11]
	v_fma_f64 v[68:69], v[64:65], v[8:9], v[68:69]
	v_fma_f64 v[8:9], v[66:67], v[8:9], -v[10:11]
	v_add_f64 v[19:20], v[19:20], v[68:69]
	v_add_f64 v[36:37], v[36:37], v[8:9]
	flat_load_dwordx4 v[8:11], v[4:5] offset:32
	s_waitcnt vmcnt(0) lgkmcnt(0)
	v_mul_f64 v[68:69], v[66:67], v[10:11]
	v_mul_f64 v[10:11], v[64:65], v[10:11]
	v_fma_f64 v[68:69], v[64:65], v[8:9], v[68:69]
	v_fma_f64 v[8:9], v[66:67], v[8:9], -v[10:11]
	;; [unrolled: 8-line block ×3, first 2 shown]
	v_add_f64 v[60:61], v[60:61], v[38:39]
	v_add_f64 v[62:63], v[62:63], v[8:9]
	flat_load_dwordx4 v[8:11], v[17:18] offset:32
	s_clause 0x3
	buffer_load_dword v70, off, s[0:3], 0 offset:48
	buffer_load_dword v71, off, s[0:3], 0 offset:52
	;; [unrolled: 1-line block ×4, first 2 shown]
	s_waitcnt vmcnt(4) lgkmcnt(0)
	v_mul_f64 v[38:39], v[66:67], v[10:11]
	v_mul_f64 v[10:11], v[64:65], v[10:11]
	v_fma_f64 v[38:39], v[64:65], v[8:9], v[38:39]
	v_fma_f64 v[8:9], v[66:67], v[8:9], -v[10:11]
	v_add_f64 v[64:65], v[12:13], v[38:39]
	v_add_f64 v[66:67], v[14:15], v[8:9]
	flat_load_dwordx4 v[8:11], v[2:3] offset:48
	s_waitcnt vmcnt(0) lgkmcnt(0)
	v_mul_f64 v[2:3], v[72:73], v[10:11]
	v_mul_f64 v[10:11], v[70:71], v[10:11]
	v_fma_f64 v[2:3], v[70:71], v[8:9], v[2:3]
	v_fma_f64 v[8:9], v[72:73], v[8:9], -v[10:11]
	v_add_f64 v[38:39], v[19:20], v[2:3]
	flat_load_dwordx4 v[2:5], v[4:5] offset:48
	v_add_f64 v[36:37], v[36:37], v[8:9]
	s_waitcnt vmcnt(0) lgkmcnt(0)
	v_mul_f64 v[8:9], v[72:73], v[4:5]
	v_mul_f64 v[4:5], v[70:71], v[4:5]
	v_fma_f64 v[8:9], v[70:71], v[2:3], v[8:9]
	v_fma_f64 v[2:3], v[72:73], v[2:3], -v[4:5]
	v_add_f64 v[9:10], v[68:69], v[8:9]
	v_add_f64 v[11:12], v[58:59], v[2:3]
	flat_load_dwordx4 v[2:5], v[6:7] offset:48
	s_waitcnt vmcnt(0) lgkmcnt(0)
	v_mul_f64 v[6:7], v[72:73], v[4:5]
	v_mul_f64 v[4:5], v[70:71], v[4:5]
	v_fma_f64 v[6:7], v[70:71], v[2:3], v[6:7]
	v_fma_f64 v[2:3], v[72:73], v[2:3], -v[4:5]
	v_add_f64 v[13:14], v[60:61], v[6:7]
	v_add_f64 v[15:16], v[62:63], v[2:3]
	flat_load_dwordx4 v[2:5], v[17:18] offset:48
	s_waitcnt vmcnt(0) lgkmcnt(0)
	v_mul_f64 v[6:7], v[72:73], v[4:5]
	v_mul_f64 v[4:5], v[70:71], v[4:5]
	v_fma_f64 v[6:7], v[70:71], v[2:3], v[6:7]
	v_fma_f64 v[2:3], v[72:73], v[2:3], -v[4:5]
	v_add_f64 v[17:18], v[64:65], v[6:7]
	v_add_f64 v[19:20], v[66:67], v[2:3]
	s_andn2_saveexec_b32 s41, s41
	s_cbranch_execz .LBB371_15
.LBB371_41:                             ;   in Loop: Header=BB371_13 Depth=1
	s_waitcnt lgkmcnt(0)
	v_mov_b32_e32 v17, 0
	v_mov_b32_e32 v19, 0
	;; [unrolled: 1-line block ×16, first 2 shown]
	s_and_saveexec_b32 s42, s9
	s_cbranch_execz .LBB371_57
; %bb.42:                               ;   in Loop: Header=BB371_13 Depth=1
	s_andn2_b32 vcc_lo, exec_lo, s38
	s_cbranch_vccnz .LBB371_56
; %bb.43:                               ;   in Loop: Header=BB371_13 Depth=1
	v_mov_b32_e32 v2, v26
	v_mov_b32_e32 v3, v27
	s_mov_b32 s43, 0
	s_mov_b32 s44, s15
	.p2align	6
.LBB371_44:                             ;   Parent Loop BB371_13 Depth=1
                                        ; =>  This Inner Loop Header: Depth=2
	flat_load_dwordx4 v[4:7], v[2:3]
	v_add_co_u32 v2, vcc_lo, v2, s28
	v_mov_b32_e32 v8, s43
	v_add_co_ci_u32_e64 v3, null, s29, v3, vcc_lo
	s_add_i32 s44, s44, -1
	s_add_i32 s43, s43, 16
	s_cmp_eq_u32 s44, 0
	s_waitcnt vmcnt(0) lgkmcnt(0)
	buffer_store_dword v7, v8, s[0:3], 0 offen offset:12
	buffer_store_dword v6, v8, s[0:3], 0 offen offset:8
	buffer_store_dword v5, v8, s[0:3], 0 offen offset:4
	buffer_store_dword v4, v8, s[0:3], 0 offen
	s_cbranch_scc0 .LBB371_44
; %bb.45:                               ;   in Loop: Header=BB371_13 Depth=1
	v_mov_b32_e32 v36, 0
	v_mov_b32_e32 v38, 0
	;; [unrolled: 1-line block ×18, first 2 shown]
	s_mov_b32 s43, 0
	s_mov_b32 s44, s15
.LBB371_46:                             ;   Parent Loop BB371_13 Depth=1
                                        ; =>  This Inner Loop Header: Depth=2
	v_mov_b32_e32 v4, s43
	s_add_i32 s44, s44, -1
	s_add_i32 s43, s43, 16
	s_cmp_lg_u32 s44, 0
	s_clause 0x3
	buffer_load_dword v58, v4, s[0:3], 0 offen
	buffer_load_dword v59, v4, s[0:3], 0 offen offset:4
	buffer_load_dword v60, v4, s[0:3], 0 offen offset:8
	;; [unrolled: 1-line block ×3, first 2 shown]
	flat_load_dwordx4 v[4:7], v[2:3]
	s_waitcnt vmcnt(0) lgkmcnt(0)
	v_mul_f64 v[62:63], v[60:61], v[6:7]
	v_mul_f64 v[6:7], v[58:59], v[6:7]
	v_fma_f64 v[62:63], v[58:59], v[4:5], v[62:63]
	v_fma_f64 v[4:5], v[60:61], v[4:5], -v[6:7]
	v_add_f64 v[38:39], v[38:39], v[62:63]
	v_add_co_u32 v62, vcc_lo, v2, s34
	v_add_co_ci_u32_e64 v63, null, s35, v3, vcc_lo
	v_add_f64 v[36:37], v[36:37], v[4:5]
	flat_load_dwordx4 v[4:7], v[62:63]
	v_add_co_u32 v62, vcc_lo, v62, s34
	v_add_co_ci_u32_e64 v63, null, s35, v63, vcc_lo
	s_waitcnt vmcnt(0) lgkmcnt(0)
	v_mul_f64 v[64:65], v[60:61], v[6:7]
	v_mul_f64 v[6:7], v[58:59], v[6:7]
	v_fma_f64 v[64:65], v[58:59], v[4:5], v[64:65]
	v_fma_f64 v[4:5], v[60:61], v[4:5], -v[6:7]
	v_add_f64 v[9:10], v[9:10], v[64:65]
	v_add_f64 v[11:12], v[11:12], v[4:5]
	flat_load_dwordx4 v[4:7], v[62:63]
	s_waitcnt vmcnt(0) lgkmcnt(0)
	v_mul_f64 v[64:65], v[60:61], v[6:7]
	v_mul_f64 v[6:7], v[58:59], v[6:7]
	v_fma_f64 v[64:65], v[58:59], v[4:5], v[64:65]
	v_fma_f64 v[4:5], v[60:61], v[4:5], -v[6:7]
	v_add_f64 v[13:14], v[13:14], v[64:65]
	v_add_f64 v[15:16], v[15:16], v[4:5]
	v_add_co_u32 v4, vcc_lo, v62, s34
	v_add_co_ci_u32_e64 v5, null, s35, v63, vcc_lo
	v_add_co_u32 v2, vcc_lo, v2, 16
	v_add_co_ci_u32_e64 v3, null, 0, v3, vcc_lo
	flat_load_dwordx4 v[4:7], v[4:5]
	s_waitcnt vmcnt(0) lgkmcnt(0)
	v_mul_f64 v[62:63], v[60:61], v[6:7]
	v_mul_f64 v[6:7], v[58:59], v[6:7]
	v_fma_f64 v[62:63], v[58:59], v[4:5], v[62:63]
	v_fma_f64 v[4:5], v[60:61], v[4:5], -v[6:7]
	v_add_f64 v[17:18], v[17:18], v[62:63]
	v_add_f64 v[19:20], v[19:20], v[4:5]
	s_cbranch_scc1 .LBB371_46
	s_branch .LBB371_57
.LBB371_47:                             ;   in Loop: Header=BB371_13 Depth=1
	ds_read_b128 v[5:8], v56
	s_or_b32 exec_lo, exec_lo, s41
	s_and_saveexec_b32 s41, s4
	s_cbranch_execz .LBB371_21
.LBB371_48:                             ;   in Loop: Header=BB371_13 Depth=1
	s_waitcnt lgkmcnt(0)
	ds_bpermute_b32 v2, v53, v5
	ds_bpermute_b32 v3, v53, v6
	ds_bpermute_b32 v36, v53, v7
	ds_bpermute_b32 v37, v53, v8
	s_waitcnt lgkmcnt(2)
	v_add_f64 v[2:3], v[5:6], v[2:3]
	s_waitcnt lgkmcnt(0)
	v_add_f64 v[4:5], v[7:8], v[36:37]
	ds_bpermute_b32 v6, v54, v2
	ds_bpermute_b32 v7, v54, v3
	ds_bpermute_b32 v36, v54, v4
	ds_bpermute_b32 v37, v54, v5
	s_waitcnt lgkmcnt(2)
	v_add_f64 v[2:3], v[2:3], v[6:7]
	s_waitcnt lgkmcnt(0)
	v_add_f64 v[7:8], v[4:5], v[36:37]
	;; [unrolled: 8-line block ×3, first 2 shown]
	s_or_b32 exec_lo, exec_lo, s41
	s_and_saveexec_b32 s41, s4
	s_cbranch_execnz .LBB371_22
	s_branch .LBB371_23
.LBB371_49:                             ;   in Loop: Header=BB371_13 Depth=1
	ds_read_b128 v[9:12], v56
	s_or_b32 exec_lo, exec_lo, s41
	s_and_saveexec_b32 s41, s4
	s_cbranch_execz .LBB371_27
.LBB371_50:                             ;   in Loop: Header=BB371_13 Depth=1
	s_waitcnt lgkmcnt(0)
	ds_bpermute_b32 v2, v53, v9
	ds_bpermute_b32 v3, v53, v10
	ds_bpermute_b32 v36, v53, v11
	ds_bpermute_b32 v37, v53, v12
	s_waitcnt lgkmcnt(2)
	v_add_f64 v[2:3], v[9:10], v[2:3]
	s_waitcnt lgkmcnt(0)
	v_add_f64 v[9:10], v[11:12], v[36:37]
	ds_bpermute_b32 v11, v54, v2
	ds_bpermute_b32 v12, v54, v3
	ds_bpermute_b32 v36, v54, v9
	ds_bpermute_b32 v37, v54, v10
	s_waitcnt lgkmcnt(2)
	v_add_f64 v[2:3], v[2:3], v[11:12]
	s_waitcnt lgkmcnt(0)
	v_add_f64 v[11:12], v[9:10], v[36:37]
	;; [unrolled: 8-line block ×3, first 2 shown]
	s_or_b32 exec_lo, exec_lo, s41
	s_and_saveexec_b32 s41, s4
	s_cbranch_execnz .LBB371_28
	s_branch .LBB371_29
.LBB371_51:                             ;   in Loop: Header=BB371_13 Depth=1
	ds_read_b128 v[13:16], v56
	s_or_b32 exec_lo, exec_lo, s41
	s_and_saveexec_b32 s41, s4
	s_cbranch_execz .LBB371_33
.LBB371_52:                             ;   in Loop: Header=BB371_13 Depth=1
	s_waitcnt lgkmcnt(0)
	ds_bpermute_b32 v2, v53, v13
	ds_bpermute_b32 v3, v53, v14
	ds_bpermute_b32 v36, v53, v15
	ds_bpermute_b32 v37, v53, v16
	s_waitcnt lgkmcnt(2)
	v_add_f64 v[2:3], v[13:14], v[2:3]
	s_waitcnt lgkmcnt(0)
	v_add_f64 v[13:14], v[15:16], v[36:37]
	ds_bpermute_b32 v15, v54, v2
	ds_bpermute_b32 v16, v54, v3
	ds_bpermute_b32 v36, v54, v13
	ds_bpermute_b32 v37, v54, v14
	s_waitcnt lgkmcnt(2)
	v_add_f64 v[2:3], v[2:3], v[15:16]
	s_waitcnt lgkmcnt(0)
	v_add_f64 v[15:16], v[13:14], v[36:37]
	;; [unrolled: 8-line block ×3, first 2 shown]
	s_or_b32 exec_lo, exec_lo, s41
	s_and_saveexec_b32 s41, s4
	s_cbranch_execnz .LBB371_34
	s_branch .LBB371_35
.LBB371_53:                             ;   in Loop: Header=BB371_13 Depth=1
	ds_read_b128 v[17:20], v56
	s_or_b32 exec_lo, exec_lo, s41
	s_and_saveexec_b32 s41, s4
	s_cbranch_execz .LBB371_39
.LBB371_54:                             ;   in Loop: Header=BB371_13 Depth=1
	s_waitcnt lgkmcnt(0)
	ds_bpermute_b32 v2, v53, v17
	ds_bpermute_b32 v3, v53, v18
	ds_bpermute_b32 v36, v53, v19
	ds_bpermute_b32 v37, v53, v20
	s_waitcnt lgkmcnt(2)
	v_add_f64 v[2:3], v[17:18], v[2:3]
	s_waitcnt lgkmcnt(0)
	v_add_f64 v[17:18], v[19:20], v[36:37]
	ds_bpermute_b32 v19, v54, v2
	ds_bpermute_b32 v20, v54, v3
	ds_bpermute_b32 v36, v54, v17
	ds_bpermute_b32 v37, v54, v18
	s_waitcnt lgkmcnt(2)
	v_add_f64 v[2:3], v[2:3], v[19:20]
	s_waitcnt lgkmcnt(0)
	v_add_f64 v[19:20], v[17:18], v[36:37]
	;; [unrolled: 8-line block ×3, first 2 shown]
	s_or_b32 exec_lo, exec_lo, s41
	s_and_saveexec_b32 s41, s11
	s_cbranch_execz .LBB371_12
.LBB371_55:                             ;   in Loop: Header=BB371_13 Depth=1
	v_mul_f64 v[2:3], s[18:19], v[7:8]
	v_mul_f64 v[7:8], s[16:17], v[7:8]
	;; [unrolled: 1-line block ×6, first 2 shown]
	s_waitcnt lgkmcnt(0)
	v_mul_f64 v[58:59], s[18:19], v[19:20]
	v_mul_f64 v[19:20], s[16:17], v[19:20]
	s_mul_hi_u32 s43, s7, s14
	s_mul_i32 s42, s7, s14
	s_lshl_b64 s[42:43], s[42:43], 4
	s_add_u32 s42, s39, s42
	s_addc_u32 s43, s40, s43
	s_or_b32 s44, s7, 1
	s_mul_hi_u32 s45, s44, s14
	s_mul_i32 s44, s44, s14
	s_lshl_b64 s[44:45], s[44:45], 4
	s_add_u32 s44, s39, s44
	v_fma_f64 v[2:3], s[16:17], v[5:6], -v[2:3]
	v_fma_f64 v[4:5], s[18:19], v[5:6], v[7:8]
	v_fma_f64 v[6:7], s[16:17], v[9:10], -v[36:37]
	v_fma_f64 v[8:9], s[18:19], v[9:10], v[11:12]
	;; [unrolled: 2-line block ×4, first 2 shown]
	s_addc_u32 s45, s40, s45
	s_or_b32 s46, s7, 2
	s_mul_hi_u32 s47, s46, s14
	s_mul_i32 s46, s46, s14
	s_lshl_b64 s[46:47], s[46:47], 4
	s_add_u32 s46, s39, s46
	s_addc_u32 s47, s40, s47
	s_or_b32 s48, s7, 3
	s_mul_hi_u32 s49, s48, s14
	s_mul_i32 s48, s48, s14
	s_lshl_b64 s[48:49], s[48:49], 4
	s_add_u32 s48, s39, s48
	s_addc_u32 s49, s40, s49
	global_store_dwordx4 v1, v[2:5], s[42:43]
	global_store_dwordx4 v1, v[6:9], s[44:45]
	;; [unrolled: 1-line block ×4, first 2 shown]
	s_branch .LBB371_12
.LBB371_56:                             ;   in Loop: Header=BB371_13 Depth=1
	v_mov_b32_e32 v17, 0
	v_mov_b32_e32 v19, 0
	;; [unrolled: 1-line block ×16, first 2 shown]
.LBB371_57:                             ;   in Loop: Header=BB371_13 Depth=1
	s_or_b32 exec_lo, exec_lo, s42
	s_or_b32 exec_lo, exec_lo, s41
	s_and_saveexec_b32 s41, s4
	s_cbranch_execnz .LBB371_16
	s_branch .LBB371_17
.LBB371_58:
	s_mov_b32 s7, 0
.LBB371_59:
	s_cmp_ge_i32 s7, s13
	s_cbranch_scc1 .LBB371_81
; %bb.60:
	v_cmp_gt_u32_e64 s5, 24, v47
	v_cmp_gt_u32_e64 s4, 32, v0
	v_cmp_gt_u32_e64 s8, 8, v0
	s_mov_b32 s10, s6
	v_cmp_eq_u32_e64 s6, 0, v0
	v_cndmask_b32_e64 v1, 0, 8, s5
	v_cmp_gt_u32_e64 s5, 28, v47
	v_mad_i64_i32 v[7:8], null, s26, v44, 0
	s_cmp_gt_i32 s15, 0
	v_add_lshl_u32 v26, v1, v47, 2
	v_cndmask_b32_e64 v2, 0, 4, s5
	v_cmp_gt_u32_e64 s5, 30, v47
	s_mov_b32 s11, 0
	v_mad_i64_i32 v[9:10], null, s26, v43, 0
	v_add_lshl_u32 v27, v2, v47, 2
	v_cndmask_b32_e64 v3, 0, 2, s5
	v_cmp_ne_u32_e64 s5, 31, v47
	v_mad_i64_i32 v[1:2], null, s26, v25, 0
	s_cselect_b32 s29, -1, 0
	v_add_lshl_u32 v28, v3, v47, 2
	v_add_co_ci_u32_e64 v4, null, 0, v47, s5
	s_lshl_b64 s[10:11], s[10:11], 4
	v_cmp_ge_i32_e32 vcc_lo, s12, v49
	v_lshlrev_b64 v[0:1], 4, v[1:2]
	v_lshlrev_b32_e32 v29, 2, v4
	v_mad_i64_i32 v[3:4], null, s26, v48, 0
	v_cmp_ge_i32_e64 s9, s12, v50
	s_add_u32 s12, s33, s10
	v_add_co_u32 v5, s10, s24, v0
	v_add_co_ci_u32_e64 v6, null, s25, v1, s10
	v_lshlrev_b64 v[2:3], 4, v[3:4]
	v_lshlrev_b64 v[0:1], 4, v[7:8]
	s_addc_u32 s28, s36, s11
	s_mul_i32 s11, s21, s7
	s_mul_hi_u32 s30, s20, s7
	s_waitcnt lgkmcnt(0)
	v_lshlrev_b32_e32 v19, 4, v45
	v_add_co_u32 v7, s10, s24, v2
	v_add_co_ci_u32_e64 v8, null, s25, v3, s10
	v_lshlrev_b64 v[2:3], 4, v[9:10]
	v_add_co_u32 v9, s10, s24, v0
	v_add_co_ci_u32_e64 v10, null, s25, v1, s10
	s_add_i32 s11, s30, s11
	v_add_co_u32 v11, s10, s24, v2
	v_add_co_ci_u32_e64 v12, null, s25, v3, s10
	s_mul_i32 s10, s20, s7
	s_and_b32 s24, s29, s9
	s_lshl_b64 s[30:31], s[10:11], 4
	s_lshl_b64 s[10:11], s[26:27], 4
	s_add_u32 s9, s22, s30
	s_addc_u32 s22, s23, s31
	v_add_co_u32 v13, s9, s9, v23
	v_lshl_or_b32 v20, v47, 2, 64
	v_cmp_eq_u32_e64 s5, 0, v45
	v_and_b32_e32 v30, 0x70, v46
	v_add_co_ci_u32_e64 v14, null, s22, v24, s9
	v_mov_b32_e32 v0, 0
	s_lshl_b64 s[22:23], s[20:21], 4
	s_branch .LBB371_62
.LBB371_61:                             ;   in Loop: Header=BB371_62 Depth=1
	s_or_b32 exec_lo, exec_lo, s9
	v_add_co_u32 v13, s9, v13, s22
	v_add_co_ci_u32_e64 v14, null, s23, v14, s9
	s_add_i32 s7, s7, 1
	s_cmp_lt_i32 s7, s13
	s_cbranch_scc0 .LBB371_81
.LBB371_62:                             ; =>This Loop Header: Depth=1
                                        ;     Child Loop BB371_74 Depth 2
                                        ;     Child Loop BB371_76 Depth 2
                                        ; implicit-def: $vgpr15_vgpr16
                                        ; implicit-def: $vgpr17_vgpr18
	s_and_saveexec_b32 s9, vcc_lo
	s_xor_b32 s25, exec_lo, s9
	s_cbranch_execnz .LBB371_71
; %bb.63:                               ;   in Loop: Header=BB371_62 Depth=1
	s_andn2_saveexec_b32 s25, s25
	s_cbranch_execnz .LBB371_72
.LBB371_64:                             ;   in Loop: Header=BB371_62 Depth=1
	s_or_b32 exec_lo, exec_lo, s25
	s_and_saveexec_b32 s9, s4
	s_cbranch_execz .LBB371_66
.LBB371_65:                             ;   in Loop: Header=BB371_62 Depth=1
	s_waitcnt lgkmcnt(0)
	v_mov_b32_e32 v1, v0
	v_mov_b32_e32 v2, v0
	;; [unrolled: 1-line block ×3, first 2 shown]
	ds_write_b128 v19, v[0:3]
.LBB371_66:                             ;   in Loop: Header=BB371_62 Depth=1
	s_or_b32 exec_lo, exec_lo, s9
	s_waitcnt lgkmcnt(0)
	ds_bpermute_b32 v1, v20, v15
	ds_bpermute_b32 v2, v20, v16
	;; [unrolled: 1-line block ×4, first 2 shown]
	s_waitcnt lgkmcnt(0)
	s_waitcnt_vscnt null, 0x0
	s_barrier
	buffer_gl0_inv
	v_add_f64 v[1:2], v[15:16], v[1:2]
	v_add_f64 v[3:4], v[17:18], v[3:4]
	ds_bpermute_b32 v15, v26, v1
	ds_bpermute_b32 v16, v26, v2
	ds_bpermute_b32 v17, v26, v3
	ds_bpermute_b32 v18, v26, v4
	s_waitcnt lgkmcnt(2)
	v_add_f64 v[1:2], v[1:2], v[15:16]
	s_waitcnt lgkmcnt(0)
	v_add_f64 v[3:4], v[3:4], v[17:18]
	ds_bpermute_b32 v15, v27, v1
	ds_bpermute_b32 v16, v27, v2
	ds_bpermute_b32 v17, v27, v3
	ds_bpermute_b32 v18, v27, v4
	s_waitcnt lgkmcnt(2)
	v_add_f64 v[1:2], v[1:2], v[15:16]
	s_waitcnt lgkmcnt(0)
	;; [unrolled: 8-line block ×3, first 2 shown]
	v_add_f64 v[15:16], v[3:4], v[17:18]
	ds_bpermute_b32 v3, v29, v1
	ds_bpermute_b32 v4, v29, v2
	;; [unrolled: 1-line block ×4, first 2 shown]
	s_and_saveexec_b32 s9, s5
	s_cbranch_execz .LBB371_68
; %bb.67:                               ;   in Loop: Header=BB371_62 Depth=1
	s_waitcnt lgkmcnt(0)
	v_add_f64 v[17:18], v[15:16], v[17:18]
	v_add_f64 v[15:16], v[1:2], v[3:4]
	ds_write_b128 v30, v[15:18]
.LBB371_68:                             ;   in Loop: Header=BB371_62 Depth=1
	s_or_b32 exec_lo, exec_lo, s9
	s_waitcnt lgkmcnt(2)
	v_mov_b32_e32 v3, 0
	v_mov_b32_e32 v1, 0
	;; [unrolled: 1-line block ×4, first 2 shown]
	s_waitcnt lgkmcnt(0)
	s_barrier
	buffer_gl0_inv
	s_and_saveexec_b32 s9, s8
	s_cbranch_execnz .LBB371_78
; %bb.69:                               ;   in Loop: Header=BB371_62 Depth=1
	s_or_b32 exec_lo, exec_lo, s9
	s_and_saveexec_b32 s9, s4
	s_cbranch_execnz .LBB371_79
.LBB371_70:                             ;   in Loop: Header=BB371_62 Depth=1
	s_or_b32 exec_lo, exec_lo, s9
	s_and_saveexec_b32 s9, s6
	s_cbranch_execz .LBB371_61
	s_branch .LBB371_80
.LBB371_71:                             ;   in Loop: Header=BB371_62 Depth=1
	s_waitcnt lgkmcnt(0)
	s_clause 0x2
	flat_load_dwordx4 v[1:4], v[7:8]
	flat_load_dwordx4 v[15:18], v[9:10]
	;; [unrolled: 1-line block ×3, first 2 shown]
	s_mul_i32 s9, s7, s21
	s_mul_hi_u32 s27, s7, s20
	s_mul_i32 s26, s7, s20
	s_add_i32 s27, s27, s9
	s_lshl_b64 s[26:27], s[26:27], 4
	v_add_co_u32 v23, s9, v21, s26
	v_add_co_ci_u32_e64 v24, null, s27, v22, s9
	flat_load_dwordx4 v[35:38], v[5:6]
	s_clause 0x1
	flat_load_dwordx4 v[43:46], v[23:24]
	flat_load_dwordx4 v[47:50], v[23:24] offset:16
	s_waitcnt vmcnt(5) lgkmcnt(5)
	buffer_store_dword v4, v40, s[0:3], 0 offen offset:12
	buffer_store_dword v3, v40, s[0:3], 0 offen offset:8
	buffer_store_dword v2, v40, s[0:3], 0 offen offset:4
	buffer_store_dword v1, v40, s[0:3], 0 offen
	s_waitcnt vmcnt(4) lgkmcnt(4)
	buffer_store_dword v18, v41, s[0:3], 0 offen offset:12
	buffer_store_dword v17, v41, s[0:3], 0 offen offset:8
	;; [unrolled: 1-line block ×3, first 2 shown]
	buffer_store_dword v15, v41, s[0:3], 0 offen
	s_clause 0x7
	buffer_load_dword v51, off, s[0:3], 0 offset:16
	buffer_load_dword v54, off, s[0:3], 0 offset:28
	;; [unrolled: 1-line block ×8, first 2 shown]
	s_clause 0x1
	flat_load_dwordx4 v[1:4], v[23:24] offset:32
	flat_load_dwordx4 v[15:18], v[23:24] offset:48
	s_waitcnt vmcnt(13) lgkmcnt(5)
	buffer_store_dword v34, v42, s[0:3], 0 offen offset:12
	buffer_store_dword v33, v42, s[0:3], 0 offen offset:8
	;; [unrolled: 1-line block ×3, first 2 shown]
	buffer_store_dword v31, v42, s[0:3], 0 offen
	s_clause 0x3
	buffer_load_dword v23, off, s[0:3], 0 offset:48
	buffer_load_dword v32, off, s[0:3], 0 offset:60
	;; [unrolled: 1-line block ×4, first 2 shown]
	s_waitcnt vmcnt(16) lgkmcnt(4)
	buffer_store_dword v38, off, s[0:3], 0 offset:12
	buffer_store_dword v37, off, s[0:3], 0 offset:8
	;; [unrolled: 1-line block ×3, first 2 shown]
	buffer_store_dword v35, off, s[0:3], 0
	s_waitcnt vmcnt(15) lgkmcnt(3)
	v_mul_f64 v[33:34], v[45:46], v[37:38]
	v_mul_f64 v[45:46], v[45:46], v[35:36]
	v_fma_f64 v[33:34], v[43:44], v[35:36], v[33:34]
	v_fma_f64 v[43:44], v[43:44], v[37:38], -v[45:46]
	v_add_f64 v[33:34], v[33:34], 0
	v_add_f64 v[43:44], v[43:44], 0
	s_waitcnt vmcnt(8) lgkmcnt(2)
	v_mul_f64 v[45:46], v[49:50], v[53:54]
	s_waitcnt vmcnt(7)
	v_mul_f64 v[49:50], v[49:50], v[51:52]
	s_waitcnt vmcnt(5) lgkmcnt(1)
	v_mul_f64 v[59:60], v[3:4], v[57:58]
	v_mul_f64 v[3:4], v[3:4], v[55:56]
	v_fma_f64 v[45:46], v[47:48], v[51:52], v[45:46]
	v_fma_f64 v[47:48], v[47:48], v[53:54], -v[49:50]
	s_waitcnt vmcnt(1) lgkmcnt(0)
	v_mul_f64 v[49:50], v[17:18], v[31:32]
	s_waitcnt vmcnt(0)
	v_mul_f64 v[17:18], v[17:18], v[23:24]
	v_fma_f64 v[51:52], v[1:2], v[55:56], v[59:60]
	v_fma_f64 v[1:2], v[1:2], v[57:58], -v[3:4]
	v_add_f64 v[3:4], v[33:34], v[45:46]
	v_add_f64 v[33:34], v[43:44], v[47:48]
	v_fma_f64 v[23:24], v[15:16], v[23:24], v[49:50]
	v_fma_f64 v[17:18], v[15:16], v[31:32], -v[17:18]
	v_add_f64 v[3:4], v[3:4], v[51:52]
	v_add_f64 v[1:2], v[33:34], v[1:2]
	;; [unrolled: 1-line block ×4, first 2 shown]
	s_andn2_saveexec_b32 s25, s25
	s_cbranch_execz .LBB371_64
.LBB371_72:                             ;   in Loop: Header=BB371_62 Depth=1
	v_mov_b32_e32 v15, 0
	v_mov_b32_e32 v17, 0
	;; [unrolled: 1-line block ×4, first 2 shown]
	s_and_saveexec_b32 s26, s24
	s_cbranch_execz .LBB371_77
; %bb.73:                               ;   in Loop: Header=BB371_62 Depth=1
	s_waitcnt lgkmcnt(0)
	v_mov_b32_e32 v1, v5
	v_mov_b32_e32 v2, v6
	s_mov_b32 s27, 0
	s_mov_b32 s29, s15
	.p2align	6
.LBB371_74:                             ;   Parent Loop BB371_62 Depth=1
                                        ; =>  This Inner Loop Header: Depth=2
	flat_load_dwordx4 v[15:18], v[1:2]
	v_add_co_u32 v1, s9, v1, s10
	v_mov_b32_e32 v3, s27
	v_add_co_ci_u32_e64 v2, null, s11, v2, s9
	s_add_i32 s29, s29, -1
	s_add_i32 s27, s27, 16
	s_cmp_eq_u32 s29, 0
	s_waitcnt vmcnt(0) lgkmcnt(0)
	buffer_store_dword v18, v3, s[0:3], 0 offen offset:12
	buffer_store_dword v17, v3, s[0:3], 0 offen offset:8
	;; [unrolled: 1-line block ×3, first 2 shown]
	buffer_store_dword v15, v3, s[0:3], 0 offen
	s_cbranch_scc0 .LBB371_74
; %bb.75:                               ;   in Loop: Header=BB371_62 Depth=1
	v_mov_b32_e32 v15, 0
	v_mov_b32_e32 v17, 0
	;; [unrolled: 1-line block ×6, first 2 shown]
	s_mov_b32 s27, 0
	s_mov_b32 s29, s15
	.p2align	6
.LBB371_76:                             ;   Parent Loop BB371_62 Depth=1
                                        ; =>  This Inner Loop Header: Depth=2
	v_mov_b32_e32 v4, s27
	flat_load_dwordx4 v[31:34], v[1:2]
	v_add_co_u32 v1, s9, v1, 16
	v_add_co_ci_u32_e64 v2, null, 0, v2, s9
	s_clause 0x3
	buffer_load_dword v3, v4, s[0:3], 0 offen
	buffer_load_dword v23, v4, s[0:3], 0 offen offset:8
	buffer_load_dword v24, v4, s[0:3], 0 offen offset:12
	;; [unrolled: 1-line block ×3, first 2 shown]
	s_add_i32 s29, s29, -1
	s_add_i32 s27, s27, 16
	s_cmp_lg_u32 s29, 0
	s_waitcnt vmcnt(1) lgkmcnt(0)
	v_mul_f64 v[35:36], v[33:34], v[23:24]
	s_waitcnt vmcnt(0)
	v_mul_f64 v[33:34], v[33:34], v[3:4]
	v_fma_f64 v[3:4], v[31:32], v[3:4], v[35:36]
	v_fma_f64 v[23:24], v[31:32], v[23:24], -v[33:34]
	v_add_f64 v[15:16], v[15:16], v[3:4]
	v_add_f64 v[17:18], v[17:18], v[23:24]
	s_cbranch_scc1 .LBB371_76
.LBB371_77:                             ;   in Loop: Header=BB371_62 Depth=1
	s_or_b32 exec_lo, exec_lo, s26
	s_or_b32 exec_lo, exec_lo, s25
	s_and_saveexec_b32 s9, s4
	s_cbranch_execnz .LBB371_65
	s_branch .LBB371_66
.LBB371_78:                             ;   in Loop: Header=BB371_62 Depth=1
	ds_read_b128 v[1:4], v19
	s_or_b32 exec_lo, exec_lo, s9
	s_and_saveexec_b32 s9, s4
	s_cbranch_execz .LBB371_70
.LBB371_79:                             ;   in Loop: Header=BB371_62 Depth=1
	s_waitcnt lgkmcnt(0)
	ds_bpermute_b32 v15, v27, v1
	ds_bpermute_b32 v16, v27, v2
	ds_bpermute_b32 v17, v27, v3
	ds_bpermute_b32 v18, v27, v4
	s_waitcnt lgkmcnt(2)
	v_add_f64 v[1:2], v[1:2], v[15:16]
	s_waitcnt lgkmcnt(0)
	v_add_f64 v[3:4], v[3:4], v[17:18]
	ds_bpermute_b32 v15, v28, v1
	ds_bpermute_b32 v16, v28, v2
	ds_bpermute_b32 v17, v28, v3
	ds_bpermute_b32 v18, v28, v4
	s_waitcnt lgkmcnt(2)
	v_add_f64 v[1:2], v[1:2], v[15:16]
	s_waitcnt lgkmcnt(0)
	v_add_f64 v[3:4], v[3:4], v[17:18]
	;; [unrolled: 8-line block ×3, first 2 shown]
	s_or_b32 exec_lo, exec_lo, s9
	s_and_saveexec_b32 s9, s6
	s_cbranch_execz .LBB371_61
.LBB371_80:                             ;   in Loop: Header=BB371_62 Depth=1
	s_waitcnt lgkmcnt(0)
	v_mul_f64 v[15:16], s[18:19], v[3:4]
	v_mul_f64 v[3:4], s[16:17], v[3:4]
	s_mul_hi_u32 s27, s7, s14
	s_mul_i32 s26, s7, s14
	s_lshl_b64 s[26:27], s[26:27], 4
	s_add_u32 s26, s12, s26
	s_addc_u32 s27, s28, s27
	v_fma_f64 v[15:16], s[16:17], v[1:2], -v[15:16]
	v_fma_f64 v[17:18], s[18:19], v[1:2], v[3:4]
	global_store_dwordx4 v0, v[15:18], s[26:27]
	s_branch .LBB371_61
.LBB371_81:
	s_endpgm
	.section	.rodata,"a",@progbits
	.p2align	6, 0x0
	.amdhsa_kernel _ZL23rocblas_gemvt_sn_kernelILb1ELi256ELi4ElPK19rocblas_complex_numIdES3_S1_EviiT4_lPKT3_lilS7_lilPT5_i
		.amdhsa_group_segment_fixed_size 512
		.amdhsa_private_segment_fixed_size 80
		.amdhsa_kernarg_size 360
		.amdhsa_user_sgpr_count 6
		.amdhsa_user_sgpr_private_segment_buffer 1
		.amdhsa_user_sgpr_dispatch_ptr 0
		.amdhsa_user_sgpr_queue_ptr 0
		.amdhsa_user_sgpr_kernarg_segment_ptr 1
		.amdhsa_user_sgpr_dispatch_id 0
		.amdhsa_user_sgpr_flat_scratch_init 0
		.amdhsa_user_sgpr_private_segment_size 0
		.amdhsa_wavefront_size32 1
		.amdhsa_uses_dynamic_stack 0
		.amdhsa_system_sgpr_private_segment_wavefront_offset 1
		.amdhsa_system_sgpr_workgroup_id_x 1
		.amdhsa_system_sgpr_workgroup_id_y 0
		.amdhsa_system_sgpr_workgroup_id_z 1
		.amdhsa_system_sgpr_workgroup_info 0
		.amdhsa_system_vgpr_workitem_id 0
		.amdhsa_next_free_vgpr 74
		.amdhsa_next_free_sgpr 50
		.amdhsa_reserve_vcc 1
		.amdhsa_reserve_flat_scratch 1
		.amdhsa_float_round_mode_32 0
		.amdhsa_float_round_mode_16_64 0
		.amdhsa_float_denorm_mode_32 3
		.amdhsa_float_denorm_mode_16_64 3
		.amdhsa_dx10_clamp 1
		.amdhsa_ieee_mode 1
		.amdhsa_fp16_overflow 0
		.amdhsa_workgroup_processor_mode 1
		.amdhsa_memory_ordered 1
		.amdhsa_forward_progress 1
		.amdhsa_shared_vgpr_count 0
		.amdhsa_exception_fp_ieee_invalid_op 0
		.amdhsa_exception_fp_denorm_src 0
		.amdhsa_exception_fp_ieee_div_zero 0
		.amdhsa_exception_fp_ieee_overflow 0
		.amdhsa_exception_fp_ieee_underflow 0
		.amdhsa_exception_fp_ieee_inexact 0
		.amdhsa_exception_int_div_zero 0
	.end_amdhsa_kernel
	.section	.text._ZL23rocblas_gemvt_sn_kernelILb1ELi256ELi4ElPK19rocblas_complex_numIdES3_S1_EviiT4_lPKT3_lilS7_lilPT5_i,"axG",@progbits,_ZL23rocblas_gemvt_sn_kernelILb1ELi256ELi4ElPK19rocblas_complex_numIdES3_S1_EviiT4_lPKT3_lilS7_lilPT5_i,comdat
.Lfunc_end371:
	.size	_ZL23rocblas_gemvt_sn_kernelILb1ELi256ELi4ElPK19rocblas_complex_numIdES3_S1_EviiT4_lPKT3_lilS7_lilPT5_i, .Lfunc_end371-_ZL23rocblas_gemvt_sn_kernelILb1ELi256ELi4ElPK19rocblas_complex_numIdES3_S1_EviiT4_lPKT3_lilS7_lilPT5_i
                                        ; -- End function
	.set _ZL23rocblas_gemvt_sn_kernelILb1ELi256ELi4ElPK19rocblas_complex_numIdES3_S1_EviiT4_lPKT3_lilS7_lilPT5_i.num_vgpr, 74
	.set _ZL23rocblas_gemvt_sn_kernelILb1ELi256ELi4ElPK19rocblas_complex_numIdES3_S1_EviiT4_lPKT3_lilS7_lilPT5_i.num_agpr, 0
	.set _ZL23rocblas_gemvt_sn_kernelILb1ELi256ELi4ElPK19rocblas_complex_numIdES3_S1_EviiT4_lPKT3_lilS7_lilPT5_i.numbered_sgpr, 50
	.set _ZL23rocblas_gemvt_sn_kernelILb1ELi256ELi4ElPK19rocblas_complex_numIdES3_S1_EviiT4_lPKT3_lilS7_lilPT5_i.num_named_barrier, 0
	.set _ZL23rocblas_gemvt_sn_kernelILb1ELi256ELi4ElPK19rocblas_complex_numIdES3_S1_EviiT4_lPKT3_lilS7_lilPT5_i.private_seg_size, 80
	.set _ZL23rocblas_gemvt_sn_kernelILb1ELi256ELi4ElPK19rocblas_complex_numIdES3_S1_EviiT4_lPKT3_lilS7_lilPT5_i.uses_vcc, 1
	.set _ZL23rocblas_gemvt_sn_kernelILb1ELi256ELi4ElPK19rocblas_complex_numIdES3_S1_EviiT4_lPKT3_lilS7_lilPT5_i.uses_flat_scratch, 1
	.set _ZL23rocblas_gemvt_sn_kernelILb1ELi256ELi4ElPK19rocblas_complex_numIdES3_S1_EviiT4_lPKT3_lilS7_lilPT5_i.has_dyn_sized_stack, 0
	.set _ZL23rocblas_gemvt_sn_kernelILb1ELi256ELi4ElPK19rocblas_complex_numIdES3_S1_EviiT4_lPKT3_lilS7_lilPT5_i.has_recursion, 0
	.set _ZL23rocblas_gemvt_sn_kernelILb1ELi256ELi4ElPK19rocblas_complex_numIdES3_S1_EviiT4_lPKT3_lilS7_lilPT5_i.has_indirect_call, 0
	.section	.AMDGPU.csdata,"",@progbits
; Kernel info:
; codeLenInByte = 7856
; TotalNumSgprs: 52
; NumVgprs: 74
; ScratchSize: 80
; MemoryBound: 0
; FloatMode: 240
; IeeeMode: 1
; LDSByteSize: 512 bytes/workgroup (compile time only)
; SGPRBlocks: 0
; VGPRBlocks: 9
; NumSGPRsForWavesPerEU: 52
; NumVGPRsForWavesPerEU: 74
; Occupancy: 12
; WaveLimiterHint : 0
; COMPUTE_PGM_RSRC2:SCRATCH_EN: 1
; COMPUTE_PGM_RSRC2:USER_SGPR: 6
; COMPUTE_PGM_RSRC2:TRAP_HANDLER: 0
; COMPUTE_PGM_RSRC2:TGID_X_EN: 1
; COMPUTE_PGM_RSRC2:TGID_Y_EN: 0
; COMPUTE_PGM_RSRC2:TGID_Z_EN: 1
; COMPUTE_PGM_RSRC2:TIDIG_COMP_CNT: 0
	.section	.text._ZL23rocblas_gemvt_sn_kernelILb1ELi256ELi4EiPK19rocblas_complex_numIdES1_S1_EviiT4_lPKT3_lilS7_lilPT5_i,"axG",@progbits,_ZL23rocblas_gemvt_sn_kernelILb1ELi256ELi4EiPK19rocblas_complex_numIdES1_S1_EviiT4_lPKT3_lilS7_lilPT5_i,comdat
	.globl	_ZL23rocblas_gemvt_sn_kernelILb1ELi256ELi4EiPK19rocblas_complex_numIdES1_S1_EviiT4_lPKT3_lilS7_lilPT5_i ; -- Begin function _ZL23rocblas_gemvt_sn_kernelILb1ELi256ELi4EiPK19rocblas_complex_numIdES1_S1_EviiT4_lPKT3_lilS7_lilPT5_i
	.p2align	8
	.type	_ZL23rocblas_gemvt_sn_kernelILb1ELi256ELi4EiPK19rocblas_complex_numIdES1_S1_EviiT4_lPKT3_lilS7_lilPT5_i,@function
_ZL23rocblas_gemvt_sn_kernelILb1ELi256ELi4EiPK19rocblas_complex_numIdES1_S1_EviiT4_lPKT3_lilS7_lilPT5_i: ; @_ZL23rocblas_gemvt_sn_kernelILb1ELi256ELi4EiPK19rocblas_complex_numIdES1_S1_EviiT4_lPKT3_lilS7_lilPT5_i
; %bb.0:
	s_load_dwordx4 s[12:15], s[4:5], 0x8
	s_mov_b32 s10, s7
	s_add_u32 s0, s0, s8
	s_addc_u32 s1, s1, 0
	s_mov_b64 s[8:9], 0
	s_mov_b32 s16, -1
	s_waitcnt lgkmcnt(0)
	v_cmp_neq_f64_e64 s7, s[12:13], 0
	v_cmp_neq_f64_e64 s11, s[14:15], 0
	s_or_b32 s7, s7, s11
	s_mov_b32 s11, 0
	s_and_b32 vcc_lo, exec_lo, s7
	s_cbranch_vccnz .LBB372_2
; %bb.1:
	s_mov_b32 s16, s11
.LBB372_2:
	s_andn2_b32 vcc_lo, exec_lo, s16
	s_cbranch_vccnz .LBB372_4
; %bb.3:
	s_load_dwordx4 s[16:19], s[4:5], 0x20
	s_lshl_b64 s[8:9], s[10:11], 3
	s_waitcnt lgkmcnt(0)
	s_add_u32 s8, s16, s8
	s_addc_u32 s9, s17, s9
	s_lshl_b64 s[16:17], s[18:19], 4
	s_load_dwordx2 s[8:9], s[8:9], 0x0
	s_waitcnt lgkmcnt(0)
	s_add_u32 s8, s8, s16
	s_addc_u32 s9, s9, s17
.LBB372_4:
	v_cndmask_b32_e64 v1, 0, 1, s7
	s_xor_b32 s24, s7, -1
	s_mov_b64 s[16:17], 0
	v_cmp_ne_u32_e32 vcc_lo, 1, v1
	s_cbranch_vccnz .LBB372_6
; %bb.5:
	s_load_dwordx4 s[16:19], s[4:5], 0x40
	s_lshl_b64 s[20:21], s[10:11], 3
	s_waitcnt lgkmcnt(0)
	s_add_u32 s16, s16, s20
	s_addc_u32 s17, s17, s21
	s_lshl_b64 s[18:19], s[18:19], 4
	s_load_dwordx2 s[16:17], s[16:17], 0x0
	s_waitcnt lgkmcnt(0)
	s_add_u32 s16, s16, s18
	s_addc_u32 s17, s17, s19
.LBB372_6:
	s_clause 0x2
	s_load_dwordx2 s[18:19], s[4:5], 0x0
	s_load_dword s20, s[4:5], 0x70
	s_load_dwordx2 s[22:23], s[4:5], 0x60
	s_andn2_b32 vcc_lo, exec_lo, s24
	v_cmp_eq_u32_e64 s7, 0, v0
	s_mov_b32 s21, 0
	s_waitcnt lgkmcnt(0)
	s_ashr_i32 s28, s19, 31
	s_mul_hi_u32 s11, s10, s19
	s_mul_i32 s24, s10, s28
	s_mul_i32 s10, s10, s19
	s_add_i32 s11, s11, s24
	s_mul_hi_u32 s24, s10, s20
	s_mul_i32 s11, s11, s20
	s_mul_i32 s10, s10, s20
	s_add_i32 s11, s24, s11
	s_mov_b32 s24, -1
	s_cbranch_vccnz .LBB372_11
; %bb.7:
	s_cmp_gt_i32 s19, 0
	s_cselect_b32 s24, -1, 0
	s_and_b32 s7, s7, s24
	s_and_saveexec_b32 s29, s7
	s_cbranch_execz .LBB372_10
; %bb.8:
	s_mov_b32 s7, 0
	v_mov_b32_e32 v1, 0
	s_lshl_b64 s[24:25], s[10:11], 4
	s_lshl_b64 s[26:27], s[6:7], 4
	s_add_u32 s7, s24, s26
	s_addc_u32 s24, s25, s27
	s_add_u32 s7, s22, s7
	v_mov_b32_e32 v2, v1
	v_mov_b32_e32 v3, v1
	;; [unrolled: 1-line block ×3, first 2 shown]
	s_addc_u32 s25, s23, s24
	s_add_u32 s24, s7, 8
	s_addc_u32 s25, s25, 0
	s_lshl_b64 s[26:27], s[20:21], 4
	s_mov_b32 s7, s19
.LBB372_9:                              ; =>This Inner Loop Header: Depth=1
	s_add_i32 s7, s7, -1
	global_store_dwordx4 v1, v[1:4], s[24:25] offset:-8
	s_add_u32 s24, s24, s26
	s_addc_u32 s25, s25, s27
	s_cmp_eq_u32 s7, 0
	s_cbranch_scc0 .LBB372_9
.LBB372_10:
	s_or_b32 exec_lo, exec_lo, s29
	s_mov_b32 s24, 0
.LBB372_11:
	s_andn2_b32 vcc_lo, exec_lo, s24
	s_cbranch_vccnz .LBB372_83
; %bb.12:
	s_lshl_b64 s[10:11], s[10:11], 4
	s_clause 0x1
	s_load_dword s21, s[4:5], 0x30
	s_load_dword s33, s[4:5], 0x50
	s_add_u32 s36, s22, s10
	s_addc_u32 s11, s23, s11
	s_lshl_b32 s7, s6, 10
	s_ashr_i32 s4, s18, 31
	v_lshl_or_b32 v1, v0, 2, s7
	s_lshr_b32 s4, s4, 30
	s_lshr_b32 s5, s28, 30
	s_add_i32 s4, s18, s4
	s_add_i32 s5, s19, s5
	v_ashrrev_i32_e32 v2, 31, v1
	s_and_b32 s4, s4, -4
	s_and_b32 s37, s5, -4
	s_sub_i32 s34, s18, s4
	v_add_nc_u32_e32 v43, 4, v1
	v_lshlrev_b64 v[2:3], 4, v[1:2]
	v_add_nc_u32_e32 v44, s34, v1
	v_and_b32_e32 v41, 31, v0
	v_cmp_gt_u32_e64 s4, 32, v0
	v_mbcnt_lo_u32_b32 v42, -1, 0
	s_waitcnt lgkmcnt(0)
	v_mul_lo_u32 v21, s33, v1
	v_add_co_u32 v35, vcc_lo, s8, v2
	v_add_co_ci_u32_e64 v36, null, s9, v3, vcc_lo
	v_cmp_gt_u32_e64 s5, 8, v0
	v_lshrrev_b32_e32 v40, 1, v0
	v_mov_b32_e32 v37, 16
	v_mov_b32_e32 v38, 32
	;; [unrolled: 1-line block ×3, first 2 shown]
	s_cmp_lt_i32 s37, 1
	s_cbranch_scc1 .LBB372_60
; %bb.13:
	v_cmp_gt_u32_e32 vcc_lo, 24, v42
	v_mul_lo_u32 v22, s33, v1
	v_cmp_ge_i32_e64 s7, s18, v43
	v_cmp_ge_i32_e64 s8, s18, v44
	v_lshl_or_b32 v45, v42, 2, 64
	v_cndmask_b32_e64 v2, 0, 8, vcc_lo
	v_cmp_gt_u32_e32 vcc_lo, 28, v42
	v_cmp_eq_u32_e64 s9, 0, v41
	v_lshlrev_b32_e32 v50, 4, v41
	v_ashrrev_i32_e32 v23, 31, v22
	v_add_lshl_u32 v46, v2, v42, 2
	v_cndmask_b32_e64 v3, 0, 4, vcc_lo
	v_cmp_gt_u32_e32 vcc_lo, 30, v42
	v_and_b32_e32 v51, 0x70, v40
	v_lshlrev_b64 v[5:6], 4, v[22:23]
	v_cmp_eq_u32_e64 s10, 0, v0
	v_add_lshl_u32 v47, v3, v42, 2
	v_cndmask_b32_e64 v1, 0, 2, vcc_lo
	v_cmp_ne_u32_e32 vcc_lo, 31, v42
	s_cmp_gt_i32 s34, 0
	s_mov_b32 s23, 0
	s_cselect_b32 s38, -1, 0
	v_add_lshl_u32 v48, v1, v42, 2
	v_add_nc_u32_e32 v1, s33, v22
	v_add_co_ci_u32_e64 v4, null, 0, v42, vcc_lo
	v_add_co_u32 v23, vcc_lo, s16, v5
	v_add_nc_u32_e32 v3, s33, v1
	v_ashrrev_i32_e32 v2, 31, v1
	v_lshlrev_b32_e32 v49, 2, v4
	v_add_co_ci_u32_e64 v24, null, s17, v6, vcc_lo
	v_add_nc_u32_e32 v7, s33, v3
	v_lshlrev_b64 v[1:2], 4, v[1:2]
	v_ashrrev_i32_e32 v4, 31, v3
	s_lshl_b32 s39, s21, 2
	s_lshl_b32 s40, s21, 1
	v_ashrrev_i32_e32 v8, 31, v7
	s_mul_i32 s41, s21, 3
	v_lshlrev_b64 v[3:4], 4, v[3:4]
	v_add_co_u32 v25, vcc_lo, s16, v1
	v_add_co_ci_u32_e64 v26, null, s17, v2, vcc_lo
	v_lshlrev_b64 v[1:2], 4, v[7:8]
	v_add_co_u32 v27, vcc_lo, s16, v3
	v_add_co_ci_u32_e64 v28, null, s17, v4, vcc_lo
	s_mov_b32 s24, s23
	v_add_co_u32 v29, vcc_lo, s16, v1
	v_add_co_ci_u32_e64 v30, null, s17, v2, vcc_lo
	v_mov_b32_e32 v1, 0
	s_mov_b32 s42, s21
	s_mov_b32 s35, 0
	s_branch .LBB372_15
.LBB372_14:                             ;   in Loop: Header=BB372_15 Depth=1
	s_or_b32 exec_lo, exec_lo, s25
	s_add_i32 s35, s35, 4
	s_add_i32 s42, s42, s39
	;; [unrolled: 1-line block ×5, first 2 shown]
	s_cmp_ge_i32 s35, s37
	s_cbranch_scc1 .LBB372_61
.LBB372_15:                             ; =>This Loop Header: Depth=1
                                        ;     Child Loop BB372_46 Depth 2
                                        ;     Child Loop BB372_48 Depth 2
                                        ; implicit-def: $vgpr17_vgpr18
                                        ; implicit-def: $vgpr19_vgpr20
                                        ; implicit-def: $vgpr13_vgpr14
                                        ; implicit-def: $vgpr15_vgpr16
                                        ; implicit-def: $vgpr9_vgpr10
                                        ; implicit-def: $vgpr11_vgpr12
                                        ; implicit-def: $vgpr33_vgpr34
                                        ; implicit-def: $vgpr31_vgpr32
	s_and_saveexec_b32 s22, s7
	s_xor_b32 s22, exec_lo, s22
	s_cbranch_execnz .LBB372_42
; %bb.16:                               ;   in Loop: Header=BB372_15 Depth=1
	s_andn2_saveexec_b32 s22, s22
	s_cbranch_execnz .LBB372_43
.LBB372_17:                             ;   in Loop: Header=BB372_15 Depth=1
	s_or_b32 exec_lo, exec_lo, s22
	s_and_saveexec_b32 s22, s4
	s_cbranch_execz .LBB372_19
.LBB372_18:                             ;   in Loop: Header=BB372_15 Depth=1
	v_mov_b32_e32 v2, v1
	v_mov_b32_e32 v3, v1
	;; [unrolled: 1-line block ×3, first 2 shown]
	ds_write_b128 v50, v[1:4]
.LBB372_19:                             ;   in Loop: Header=BB372_15 Depth=1
	s_or_b32 exec_lo, exec_lo, s22
	ds_bpermute_b32 v2, v45, v33
	ds_bpermute_b32 v3, v45, v34
	;; [unrolled: 1-line block ×4, first 2 shown]
	s_waitcnt lgkmcnt(0)
	s_waitcnt_vscnt null, 0x0
	s_barrier
	buffer_gl0_inv
	v_add_f64 v[2:3], v[33:34], v[2:3]
	v_add_f64 v[4:5], v[31:32], v[4:5]
	ds_bpermute_b32 v6, v46, v2
	ds_bpermute_b32 v7, v46, v3
	ds_bpermute_b32 v31, v46, v4
	ds_bpermute_b32 v32, v46, v5
	s_waitcnt lgkmcnt(2)
	v_add_f64 v[2:3], v[2:3], v[6:7]
	s_waitcnt lgkmcnt(0)
	v_add_f64 v[4:5], v[4:5], v[31:32]
	ds_bpermute_b32 v6, v47, v2
	ds_bpermute_b32 v7, v47, v3
	ds_bpermute_b32 v31, v47, v4
	ds_bpermute_b32 v32, v47, v5
	s_waitcnt lgkmcnt(2)
	v_add_f64 v[2:3], v[2:3], v[6:7]
	s_waitcnt lgkmcnt(0)
	;; [unrolled: 8-line block ×3, first 2 shown]
	v_add_f64 v[6:7], v[4:5], v[31:32]
	ds_bpermute_b32 v4, v49, v2
	ds_bpermute_b32 v5, v49, v3
	;; [unrolled: 1-line block ×4, first 2 shown]
	s_and_saveexec_b32 s22, s9
	s_cbranch_execz .LBB372_21
; %bb.20:                               ;   in Loop: Header=BB372_15 Depth=1
	s_waitcnt lgkmcnt(0)
	v_add_f64 v[6:7], v[6:7], v[31:32]
	v_add_f64 v[4:5], v[2:3], v[4:5]
	ds_write_b128 v51, v[4:7]
.LBB372_21:                             ;   in Loop: Header=BB372_15 Depth=1
	s_or_b32 exec_lo, exec_lo, s22
	v_mov_b32_e32 v7, 0
	s_waitcnt lgkmcnt(2)
	v_mov_b32_e32 v5, 0
	v_mov_b32_e32 v8, 0
	;; [unrolled: 1-line block ×3, first 2 shown]
	s_waitcnt lgkmcnt(0)
	s_barrier
	buffer_gl0_inv
	s_and_saveexec_b32 s22, s5
	s_cbranch_execnz .LBB372_49
; %bb.22:                               ;   in Loop: Header=BB372_15 Depth=1
	s_or_b32 exec_lo, exec_lo, s22
	s_and_saveexec_b32 s22, s4
	s_cbranch_execnz .LBB372_50
.LBB372_23:                             ;   in Loop: Header=BB372_15 Depth=1
	s_or_b32 exec_lo, exec_lo, s22
	s_and_saveexec_b32 s22, s4
	s_cbranch_execz .LBB372_25
.LBB372_24:                             ;   in Loop: Header=BB372_15 Depth=1
	v_mov_b32_e32 v2, v1
	v_mov_b32_e32 v3, v1
	;; [unrolled: 1-line block ×3, first 2 shown]
	ds_write_b128 v50, v[1:4]
.LBB372_25:                             ;   in Loop: Header=BB372_15 Depth=1
	s_or_b32 exec_lo, exec_lo, s22
	ds_bpermute_b32 v2, v45, v9
	ds_bpermute_b32 v3, v45, v10
	;; [unrolled: 1-line block ×4, first 2 shown]
	s_waitcnt lgkmcnt(0)
	s_barrier
	buffer_gl0_inv
	v_add_f64 v[2:3], v[9:10], v[2:3]
	v_add_f64 v[9:10], v[11:12], v[31:32]
	ds_bpermute_b32 v11, v46, v2
	ds_bpermute_b32 v12, v46, v3
	ds_bpermute_b32 v31, v46, v9
	ds_bpermute_b32 v32, v46, v10
	s_waitcnt lgkmcnt(2)
	v_add_f64 v[2:3], v[2:3], v[11:12]
	s_waitcnt lgkmcnt(0)
	v_add_f64 v[9:10], v[9:10], v[31:32]
	ds_bpermute_b32 v11, v47, v2
	ds_bpermute_b32 v12, v47, v3
	ds_bpermute_b32 v31, v47, v9
	ds_bpermute_b32 v32, v47, v10
	s_waitcnt lgkmcnt(2)
	v_add_f64 v[2:3], v[2:3], v[11:12]
	s_waitcnt lgkmcnt(0)
	;; [unrolled: 8-line block ×3, first 2 shown]
	v_add_f64 v[11:12], v[9:10], v[31:32]
	ds_bpermute_b32 v9, v49, v2
	ds_bpermute_b32 v10, v49, v3
	;; [unrolled: 1-line block ×4, first 2 shown]
	s_and_saveexec_b32 s22, s9
	s_cbranch_execz .LBB372_27
; %bb.26:                               ;   in Loop: Header=BB372_15 Depth=1
	s_waitcnt lgkmcnt(0)
	v_add_f64 v[11:12], v[11:12], v[31:32]
	v_add_f64 v[9:10], v[2:3], v[9:10]
	ds_write_b128 v51, v[9:12]
.LBB372_27:                             ;   in Loop: Header=BB372_15 Depth=1
	s_or_b32 exec_lo, exec_lo, s22
	v_mov_b32_e32 v11, 0
	s_waitcnt lgkmcnt(2)
	v_mov_b32_e32 v9, 0
	v_mov_b32_e32 v12, 0
	;; [unrolled: 1-line block ×3, first 2 shown]
	s_waitcnt lgkmcnt(0)
	s_barrier
	buffer_gl0_inv
	s_and_saveexec_b32 s22, s5
	s_cbranch_execnz .LBB372_51
; %bb.28:                               ;   in Loop: Header=BB372_15 Depth=1
	s_or_b32 exec_lo, exec_lo, s22
	s_and_saveexec_b32 s22, s4
	s_cbranch_execnz .LBB372_52
.LBB372_29:                             ;   in Loop: Header=BB372_15 Depth=1
	s_or_b32 exec_lo, exec_lo, s22
	s_and_saveexec_b32 s22, s4
	s_cbranch_execz .LBB372_31
.LBB372_30:                             ;   in Loop: Header=BB372_15 Depth=1
	v_mov_b32_e32 v2, v1
	v_mov_b32_e32 v3, v1
	v_mov_b32_e32 v4, v1
	ds_write_b128 v50, v[1:4]
.LBB372_31:                             ;   in Loop: Header=BB372_15 Depth=1
	s_or_b32 exec_lo, exec_lo, s22
	ds_bpermute_b32 v2, v45, v13
	ds_bpermute_b32 v3, v45, v14
	;; [unrolled: 1-line block ×4, first 2 shown]
	s_waitcnt lgkmcnt(0)
	s_barrier
	buffer_gl0_inv
	v_add_f64 v[2:3], v[13:14], v[2:3]
	v_add_f64 v[13:14], v[15:16], v[31:32]
	ds_bpermute_b32 v15, v46, v2
	ds_bpermute_b32 v16, v46, v3
	ds_bpermute_b32 v31, v46, v13
	ds_bpermute_b32 v32, v46, v14
	s_waitcnt lgkmcnt(2)
	v_add_f64 v[2:3], v[2:3], v[15:16]
	s_waitcnt lgkmcnt(0)
	v_add_f64 v[13:14], v[13:14], v[31:32]
	ds_bpermute_b32 v15, v47, v2
	ds_bpermute_b32 v16, v47, v3
	ds_bpermute_b32 v31, v47, v13
	ds_bpermute_b32 v32, v47, v14
	s_waitcnt lgkmcnt(2)
	v_add_f64 v[2:3], v[2:3], v[15:16]
	s_waitcnt lgkmcnt(0)
	v_add_f64 v[13:14], v[13:14], v[31:32]
	ds_bpermute_b32 v15, v48, v2
	ds_bpermute_b32 v16, v48, v3
	ds_bpermute_b32 v31, v48, v13
	ds_bpermute_b32 v32, v48, v14
	s_waitcnt lgkmcnt(2)
	v_add_f64 v[2:3], v[2:3], v[15:16]
	s_waitcnt lgkmcnt(0)
	v_add_f64 v[15:16], v[13:14], v[31:32]
	ds_bpermute_b32 v13, v49, v2
	ds_bpermute_b32 v14, v49, v3
	;; [unrolled: 1-line block ×4, first 2 shown]
	s_and_saveexec_b32 s22, s9
	s_cbranch_execz .LBB372_33
; %bb.32:                               ;   in Loop: Header=BB372_15 Depth=1
	s_waitcnt lgkmcnt(0)
	v_add_f64 v[15:16], v[15:16], v[31:32]
	v_add_f64 v[13:14], v[2:3], v[13:14]
	ds_write_b128 v51, v[13:16]
.LBB372_33:                             ;   in Loop: Header=BB372_15 Depth=1
	s_or_b32 exec_lo, exec_lo, s22
	v_mov_b32_e32 v15, 0
	s_waitcnt lgkmcnt(2)
	v_mov_b32_e32 v13, 0
	v_mov_b32_e32 v16, 0
	;; [unrolled: 1-line block ×3, first 2 shown]
	s_waitcnt lgkmcnt(0)
	s_barrier
	buffer_gl0_inv
	s_and_saveexec_b32 s22, s5
	s_cbranch_execnz .LBB372_53
; %bb.34:                               ;   in Loop: Header=BB372_15 Depth=1
	s_or_b32 exec_lo, exec_lo, s22
	s_and_saveexec_b32 s22, s4
	s_cbranch_execnz .LBB372_54
.LBB372_35:                             ;   in Loop: Header=BB372_15 Depth=1
	s_or_b32 exec_lo, exec_lo, s22
	s_and_saveexec_b32 s22, s4
	s_cbranch_execz .LBB372_37
.LBB372_36:                             ;   in Loop: Header=BB372_15 Depth=1
	v_mov_b32_e32 v2, v1
	v_mov_b32_e32 v3, v1
	;; [unrolled: 1-line block ×3, first 2 shown]
	ds_write_b128 v50, v[1:4]
.LBB372_37:                             ;   in Loop: Header=BB372_15 Depth=1
	s_or_b32 exec_lo, exec_lo, s22
	ds_bpermute_b32 v2, v45, v17
	ds_bpermute_b32 v3, v45, v18
	;; [unrolled: 1-line block ×4, first 2 shown]
	s_waitcnt lgkmcnt(0)
	s_barrier
	buffer_gl0_inv
	v_add_f64 v[2:3], v[17:18], v[2:3]
	v_add_f64 v[17:18], v[19:20], v[31:32]
	ds_bpermute_b32 v19, v46, v2
	ds_bpermute_b32 v20, v46, v3
	ds_bpermute_b32 v31, v46, v17
	ds_bpermute_b32 v32, v46, v18
	s_waitcnt lgkmcnt(2)
	v_add_f64 v[2:3], v[2:3], v[19:20]
	s_waitcnt lgkmcnt(0)
	v_add_f64 v[17:18], v[17:18], v[31:32]
	ds_bpermute_b32 v19, v47, v2
	ds_bpermute_b32 v20, v47, v3
	ds_bpermute_b32 v31, v47, v17
	ds_bpermute_b32 v32, v47, v18
	s_waitcnt lgkmcnt(2)
	v_add_f64 v[2:3], v[2:3], v[19:20]
	s_waitcnt lgkmcnt(0)
	;; [unrolled: 8-line block ×3, first 2 shown]
	v_add_f64 v[19:20], v[17:18], v[31:32]
	ds_bpermute_b32 v17, v49, v2
	ds_bpermute_b32 v18, v49, v3
	;; [unrolled: 1-line block ×4, first 2 shown]
	s_and_saveexec_b32 s22, s9
	s_cbranch_execz .LBB372_39
; %bb.38:                               ;   in Loop: Header=BB372_15 Depth=1
	s_waitcnt lgkmcnt(0)
	v_add_f64 v[19:20], v[19:20], v[31:32]
	v_add_f64 v[17:18], v[2:3], v[17:18]
	ds_write_b128 v51, v[17:20]
.LBB372_39:                             ;   in Loop: Header=BB372_15 Depth=1
	s_or_b32 exec_lo, exec_lo, s22
	v_mov_b32_e32 v19, 0
	s_waitcnt lgkmcnt(2)
	v_mov_b32_e32 v17, 0
	v_mov_b32_e32 v20, 0
	;; [unrolled: 1-line block ×3, first 2 shown]
	s_waitcnt lgkmcnt(0)
	s_barrier
	buffer_gl0_inv
	s_and_saveexec_b32 s22, s5
	s_cbranch_execnz .LBB372_55
; %bb.40:                               ;   in Loop: Header=BB372_15 Depth=1
	s_or_b32 exec_lo, exec_lo, s22
	s_and_saveexec_b32 s22, s4
	s_cbranch_execnz .LBB372_56
.LBB372_41:                             ;   in Loop: Header=BB372_15 Depth=1
	s_or_b32 exec_lo, exec_lo, s22
	s_and_saveexec_b32 s25, s10
	s_cbranch_execz .LBB372_14
	s_branch .LBB372_57
.LBB372_42:                             ;   in Loop: Header=BB372_15 Depth=1
	flat_load_dwordx4 v[8:11], v[23:24]
	s_mul_i32 s26, s35, s21
	s_waitcnt vmcnt(0) lgkmcnt(0)
	buffer_store_dword v11, off, s[0:3], 0 offset:12
	buffer_store_dword v10, off, s[0:3], 0 offset:8
	;; [unrolled: 1-line block ×3, first 2 shown]
	buffer_store_dword v8, off, s[0:3], 0
	flat_load_dwordx4 v[2:5], v[25:26]
	s_ashr_i32 s27, s26, 31
	s_waitcnt vmcnt(0) lgkmcnt(0)
	buffer_store_dword v5, v37, s[0:3], 0 offen offset:12
	buffer_store_dword v4, v37, s[0:3], 0 offen offset:8
	;; [unrolled: 1-line block ×3, first 2 shown]
	buffer_store_dword v2, v37, s[0:3], 0 offen
	flat_load_dwordx4 v[2:5], v[27:28]
	s_lshl_b64 s[28:29], s[26:27], 4
	s_add_i32 s26, s26, s21
	s_waitcnt vmcnt(0) lgkmcnt(0)
	buffer_store_dword v5, v38, s[0:3], 0 offen offset:12
	buffer_store_dword v4, v38, s[0:3], 0 offen offset:8
	;; [unrolled: 1-line block ×3, first 2 shown]
	buffer_store_dword v2, v38, s[0:3], 0 offen
	flat_load_dwordx4 v[2:5], v[29:30]
	s_ashr_i32 s27, s26, 31
	s_waitcnt vmcnt(0) lgkmcnt(0)
	buffer_store_dword v5, v39, s[0:3], 0 offen offset:12
	buffer_store_dword v4, v39, s[0:3], 0 offen offset:8
	;; [unrolled: 1-line block ×3, first 2 shown]
	buffer_store_dword v2, v39, s[0:3], 0 offen
	v_add_co_u32 v4, vcc_lo, v35, s28
	v_add_co_ci_u32_e64 v5, null, s29, v36, vcc_lo
	s_lshl_b64 s[28:29], s[26:27], 4
	s_add_i32 s26, s26, s21
	flat_load_dwordx4 v[12:15], v[4:5]
	s_ashr_i32 s27, s26, 31
	s_waitcnt vmcnt(0) lgkmcnt(0)
	v_mul_f64 v[6:7], v[8:9], v[14:15]
	v_mul_f64 v[2:3], v[10:11], v[14:15]
	v_fma_f64 v[6:7], v[10:11], v[12:13], -v[6:7]
	v_fma_f64 v[2:3], v[8:9], v[12:13], v[2:3]
	v_add_f64 v[31:32], v[6:7], 0
	v_add_co_u32 v6, vcc_lo, v35, s28
	v_add_co_ci_u32_e64 v7, null, s29, v36, vcc_lo
	v_add_f64 v[19:20], v[2:3], 0
	s_lshl_b64 s[28:29], s[26:27], 4
	s_add_i32 s26, s26, s21
	flat_load_dwordx4 v[12:15], v[6:7]
	s_ashr_i32 s27, s26, 31
	s_lshl_b64 s[26:27], s[26:27], 4
	s_waitcnt vmcnt(0) lgkmcnt(0)
	v_mul_f64 v[2:3], v[10:11], v[14:15]
	v_mul_f64 v[14:15], v[8:9], v[14:15]
	v_fma_f64 v[2:3], v[8:9], v[12:13], v[2:3]
	v_fma_f64 v[12:13], v[10:11], v[12:13], -v[14:15]
	v_add_f64 v[33:34], v[2:3], 0
	v_add_f64 v[52:53], v[12:13], 0
	v_add_co_u32 v13, vcc_lo, v35, s28
	v_add_co_ci_u32_e64 v14, null, s29, v36, vcc_lo
	flat_load_dwordx4 v[15:18], v[13:14]
	s_waitcnt vmcnt(0) lgkmcnt(0)
	v_mul_f64 v[2:3], v[10:11], v[17:18]
	v_mul_f64 v[17:18], v[8:9], v[17:18]
	v_fma_f64 v[2:3], v[8:9], v[15:16], v[2:3]
	v_fma_f64 v[15:16], v[10:11], v[15:16], -v[17:18]
	v_add_f64 v[54:55], v[2:3], 0
	v_add_co_u32 v2, vcc_lo, v35, s26
	v_add_co_ci_u32_e64 v3, null, s27, v36, vcc_lo
	v_add_f64 v[56:57], v[15:16], 0
	flat_load_dwordx4 v[15:18], v[2:3]
	s_waitcnt vmcnt(0) lgkmcnt(0)
	v_mul_f64 v[58:59], v[10:11], v[17:18]
	v_fma_f64 v[58:59], v[8:9], v[15:16], v[58:59]
	v_mul_f64 v[8:9], v[8:9], v[17:18]
	v_fma_f64 v[8:9], v[10:11], v[15:16], -v[8:9]
	v_add_f64 v[15:16], v[58:59], 0
	s_clause 0x3
	buffer_load_dword v58, off, s[0:3], 0 offset:16
	buffer_load_dword v59, off, s[0:3], 0 offset:20
	;; [unrolled: 1-line block ×4, first 2 shown]
	v_add_f64 v[17:18], v[8:9], 0
	flat_load_dwordx4 v[8:11], v[4:5] offset:16
	s_waitcnt vmcnt(0) lgkmcnt(0)
	v_mul_f64 v[62:63], v[60:61], v[10:11]
	v_mul_f64 v[10:11], v[58:59], v[10:11]
	v_fma_f64 v[62:63], v[58:59], v[8:9], v[62:63]
	v_fma_f64 v[8:9], v[60:61], v[8:9], -v[10:11]
	v_add_f64 v[19:20], v[19:20], v[62:63]
	v_add_f64 v[31:32], v[31:32], v[8:9]
	flat_load_dwordx4 v[8:11], v[6:7] offset:16
	s_waitcnt vmcnt(0) lgkmcnt(0)
	v_mul_f64 v[62:63], v[60:61], v[10:11]
	v_mul_f64 v[10:11], v[58:59], v[10:11]
	v_fma_f64 v[62:63], v[58:59], v[8:9], v[62:63]
	v_fma_f64 v[8:9], v[60:61], v[8:9], -v[10:11]
	v_add_f64 v[33:34], v[33:34], v[62:63]
	;; [unrolled: 8-line block ×3, first 2 shown]
	v_add_f64 v[56:57], v[56:57], v[8:9]
	flat_load_dwordx4 v[8:11], v[2:3] offset:16
	s_waitcnt vmcnt(0) lgkmcnt(0)
	v_mul_f64 v[62:63], v[60:61], v[10:11]
	v_mul_f64 v[10:11], v[58:59], v[10:11]
	v_fma_f64 v[62:63], v[58:59], v[8:9], v[62:63]
	v_fma_f64 v[8:9], v[60:61], v[8:9], -v[10:11]
	s_clause 0x3
	buffer_load_dword v58, off, s[0:3], 0 offset:32
	buffer_load_dword v59, off, s[0:3], 0 offset:36
	;; [unrolled: 1-line block ×4, first 2 shown]
	v_add_f64 v[15:16], v[15:16], v[62:63]
	v_add_f64 v[17:18], v[17:18], v[8:9]
	flat_load_dwordx4 v[8:11], v[4:5] offset:32
	s_waitcnt vmcnt(0) lgkmcnt(0)
	v_mul_f64 v[62:63], v[60:61], v[10:11]
	v_mul_f64 v[10:11], v[58:59], v[10:11]
	v_fma_f64 v[62:63], v[58:59], v[8:9], v[62:63]
	v_fma_f64 v[8:9], v[60:61], v[8:9], -v[10:11]
	v_add_f64 v[19:20], v[19:20], v[62:63]
	v_add_f64 v[31:32], v[31:32], v[8:9]
	flat_load_dwordx4 v[8:11], v[6:7] offset:32
	s_waitcnt vmcnt(0) lgkmcnt(0)
	v_mul_f64 v[62:63], v[60:61], v[10:11]
	v_mul_f64 v[10:11], v[58:59], v[10:11]
	v_fma_f64 v[62:63], v[58:59], v[8:9], v[62:63]
	v_fma_f64 v[8:9], v[60:61], v[8:9], -v[10:11]
	;; [unrolled: 8-line block ×4, first 2 shown]
	v_add_f64 v[58:59], v[15:16], v[33:34]
	v_add_f64 v[60:61], v[17:18], v[8:9]
	s_clause 0x3
	buffer_load_dword v17, off, s[0:3], 0 offset:48
	buffer_load_dword v18, off, s[0:3], 0 offset:52
	;; [unrolled: 1-line block ×4, first 2 shown]
	flat_load_dwordx4 v[8:11], v[4:5] offset:48
	s_waitcnt vmcnt(0) lgkmcnt(0)
	v_mul_f64 v[4:5], v[64:65], v[10:11]
	v_mul_f64 v[10:11], v[17:18], v[10:11]
	v_fma_f64 v[4:5], v[17:18], v[8:9], v[4:5]
	v_fma_f64 v[8:9], v[64:65], v[8:9], -v[10:11]
	v_add_f64 v[33:34], v[19:20], v[4:5]
	flat_load_dwordx4 v[4:7], v[6:7] offset:48
	v_add_f64 v[31:32], v[31:32], v[8:9]
	s_waitcnt vmcnt(0) lgkmcnt(0)
	v_mul_f64 v[8:9], v[64:65], v[6:7]
	v_mul_f64 v[6:7], v[17:18], v[6:7]
	v_fma_f64 v[8:9], v[17:18], v[4:5], v[8:9]
	v_fma_f64 v[4:5], v[64:65], v[4:5], -v[6:7]
	v_add_f64 v[9:10], v[62:63], v[8:9]
	v_add_f64 v[11:12], v[52:53], v[4:5]
	flat_load_dwordx4 v[4:7], v[13:14] offset:48
	s_waitcnt vmcnt(0) lgkmcnt(0)
	v_mul_f64 v[13:14], v[64:65], v[6:7]
	v_mul_f64 v[6:7], v[17:18], v[6:7]
	v_fma_f64 v[13:14], v[17:18], v[4:5], v[13:14]
	v_fma_f64 v[4:5], v[64:65], v[4:5], -v[6:7]
	v_add_f64 v[13:14], v[54:55], v[13:14]
	v_add_f64 v[15:16], v[56:57], v[4:5]
	flat_load_dwordx4 v[2:5], v[2:3] offset:48
	s_waitcnt vmcnt(0) lgkmcnt(0)
	v_mul_f64 v[6:7], v[64:65], v[4:5]
	v_mul_f64 v[4:5], v[17:18], v[4:5]
	v_fma_f64 v[6:7], v[17:18], v[2:3], v[6:7]
	v_fma_f64 v[2:3], v[64:65], v[2:3], -v[4:5]
	v_add_f64 v[17:18], v[58:59], v[6:7]
	v_add_f64 v[19:20], v[60:61], v[2:3]
	s_andn2_saveexec_b32 s22, s22
	s_cbranch_execz .LBB372_17
.LBB372_43:                             ;   in Loop: Header=BB372_15 Depth=1
	s_waitcnt lgkmcnt(0)
	v_mov_b32_e32 v17, 0
	v_mov_b32_e32 v19, 0
	;; [unrolled: 1-line block ×16, first 2 shown]
	s_and_saveexec_b32 s43, s8
	s_cbranch_execz .LBB372_59
; %bb.44:                               ;   in Loop: Header=BB372_15 Depth=1
	s_andn2_b32 vcc_lo, exec_lo, s38
	s_cbranch_vccnz .LBB372_58
; %bb.45:                               ;   in Loop: Header=BB372_15 Depth=1
	v_mov_b32_e32 v2, v22
	s_mov_b32 s25, 0
	s_mov_b32 s26, s34
	.p2align	6
.LBB372_46:                             ;   Parent Loop BB372_15 Depth=1
                                        ; =>  This Inner Loop Header: Depth=2
	v_ashrrev_i32_e32 v3, 31, v2
	v_mov_b32_e32 v7, s25
	s_add_i32 s26, s26, -1
	s_add_i32 s25, s25, 16
	s_cmp_eq_u32 s26, 0
	v_lshlrev_b64 v[3:4], 4, v[2:3]
	v_add_nc_u32_e32 v2, s33, v2
	v_add_co_u32 v3, vcc_lo, s16, v3
	v_add_co_ci_u32_e64 v4, null, s17, v4, vcc_lo
	flat_load_dwordx4 v[3:6], v[3:4]
	s_waitcnt vmcnt(0) lgkmcnt(0)
	buffer_store_dword v6, v7, s[0:3], 0 offen offset:12
	buffer_store_dword v5, v7, s[0:3], 0 offen offset:8
	;; [unrolled: 1-line block ×3, first 2 shown]
	buffer_store_dword v3, v7, s[0:3], 0 offen
	s_cbranch_scc0 .LBB372_46
; %bb.47:                               ;   in Loop: Header=BB372_15 Depth=1
	s_ashr_i32 s25, s24, 31
	v_mov_b32_e32 v31, 0
	s_lshl_b64 s[26:27], s[24:25], 4
	v_mov_b32_e32 v33, 0
	v_add_co_u32 v2, vcc_lo, v35, s26
	v_mov_b32_e32 v11, 0
	v_mov_b32_e32 v9, 0
	;; [unrolled: 1-line block ×6, first 2 shown]
	v_add_co_ci_u32_e64 v3, null, s27, v36, vcc_lo
	v_mov_b32_e32 v32, 0
	v_mov_b32_e32 v34, 0
	;; [unrolled: 1-line block ×8, first 2 shown]
	s_mov_b32 s25, 0
	s_mov_b32 s26, s41
	;; [unrolled: 1-line block ×5, first 2 shown]
.LBB372_48:                             ;   Parent Loop BB372_15 Depth=1
                                        ; =>  This Inner Loop Header: Depth=2
	s_ashr_i32 s31, s30, 31
	s_ashr_i32 s29, s28, 31
	s_lshl_b64 s[46:47], s[30:31], 4
	s_ashr_i32 s27, s26, 31
	s_lshl_b64 s[48:49], s[28:29], 4
	v_add_co_u32 v52, vcc_lo, v35, s46
	s_lshl_b64 s[50:51], s[26:27], 4
	v_add_co_ci_u32_e64 v53, null, s47, v36, vcc_lo
	v_add_co_u32 v56, vcc_lo, v35, s48
	v_mov_b32_e32 v8, s25
	v_add_co_ci_u32_e64 v57, null, s49, v36, vcc_lo
	v_add_co_u32 v60, vcc_lo, v35, s50
	v_add_co_ci_u32_e64 v61, null, s51, v36, vcc_lo
	flat_load_dwordx4 v[4:7], v[2:3]
	s_clause 0x3
	buffer_load_dword v64, v8, s[0:3], 0 offen
	buffer_load_dword v66, v8, s[0:3], 0 offen offset:8
	buffer_load_dword v67, v8, s[0:3], 0 offen offset:12
	;; [unrolled: 1-line block ×3, first 2 shown]
	s_clause 0x2
	flat_load_dwordx4 v[52:55], v[52:53]
	flat_load_dwordx4 v[56:59], v[56:57]
	flat_load_dwordx4 v[60:63], v[60:61]
	v_add_co_u32 v2, vcc_lo, v2, 16
	v_add_co_ci_u32_e64 v3, null, 0, v3, vcc_lo
	s_add_i32 s44, s44, -1
	s_add_i32 s25, s25, 16
	s_add_i32 s30, s30, 1
	;; [unrolled: 1-line block ×4, first 2 shown]
	s_cmp_lg_u32 s44, 0
	s_waitcnt vmcnt(4) lgkmcnt(3)
	v_mul_f64 v[68:69], v[66:67], v[6:7]
	s_waitcnt vmcnt(3)
	v_mul_f64 v[6:7], v[64:65], v[6:7]
	s_waitcnt vmcnt(2) lgkmcnt(2)
	v_mul_f64 v[70:71], v[66:67], v[54:55]
	v_mul_f64 v[54:55], v[64:65], v[54:55]
	s_waitcnt vmcnt(1) lgkmcnt(1)
	v_mul_f64 v[72:73], v[66:67], v[58:59]
	;; [unrolled: 3-line block ×3, first 2 shown]
	v_mul_f64 v[62:63], v[64:65], v[62:63]
	v_fma_f64 v[68:69], v[64:65], v[4:5], v[68:69]
	v_fma_f64 v[4:5], v[66:67], v[4:5], -v[6:7]
	v_fma_f64 v[6:7], v[64:65], v[52:53], v[70:71]
	v_fma_f64 v[52:53], v[66:67], v[52:53], -v[54:55]
	;; [unrolled: 2-line block ×4, first 2 shown]
	v_add_f64 v[33:34], v[33:34], v[68:69]
	v_add_f64 v[31:32], v[31:32], v[4:5]
	;; [unrolled: 1-line block ×8, first 2 shown]
	s_cbranch_scc1 .LBB372_48
	s_branch .LBB372_59
.LBB372_49:                             ;   in Loop: Header=BB372_15 Depth=1
	ds_read_b128 v[5:8], v50
	s_or_b32 exec_lo, exec_lo, s22
	s_and_saveexec_b32 s22, s4
	s_cbranch_execz .LBB372_23
.LBB372_50:                             ;   in Loop: Header=BB372_15 Depth=1
	s_waitcnt lgkmcnt(0)
	ds_bpermute_b32 v2, v47, v5
	ds_bpermute_b32 v3, v47, v6
	ds_bpermute_b32 v31, v47, v7
	ds_bpermute_b32 v32, v47, v8
	s_waitcnt lgkmcnt(2)
	v_add_f64 v[2:3], v[5:6], v[2:3]
	s_waitcnt lgkmcnt(0)
	v_add_f64 v[4:5], v[7:8], v[31:32]
	ds_bpermute_b32 v6, v48, v2
	ds_bpermute_b32 v7, v48, v3
	ds_bpermute_b32 v31, v48, v4
	ds_bpermute_b32 v32, v48, v5
	s_waitcnt lgkmcnt(2)
	v_add_f64 v[2:3], v[2:3], v[6:7]
	s_waitcnt lgkmcnt(0)
	v_add_f64 v[7:8], v[4:5], v[31:32]
	;; [unrolled: 8-line block ×3, first 2 shown]
	s_or_b32 exec_lo, exec_lo, s22
	s_and_saveexec_b32 s22, s4
	s_cbranch_execnz .LBB372_24
	s_branch .LBB372_25
.LBB372_51:                             ;   in Loop: Header=BB372_15 Depth=1
	ds_read_b128 v[9:12], v50
	s_or_b32 exec_lo, exec_lo, s22
	s_and_saveexec_b32 s22, s4
	s_cbranch_execz .LBB372_29
.LBB372_52:                             ;   in Loop: Header=BB372_15 Depth=1
	s_waitcnt lgkmcnt(0)
	ds_bpermute_b32 v2, v47, v9
	ds_bpermute_b32 v3, v47, v10
	ds_bpermute_b32 v31, v47, v11
	ds_bpermute_b32 v32, v47, v12
	s_waitcnt lgkmcnt(2)
	v_add_f64 v[2:3], v[9:10], v[2:3]
	s_waitcnt lgkmcnt(0)
	v_add_f64 v[9:10], v[11:12], v[31:32]
	ds_bpermute_b32 v11, v48, v2
	ds_bpermute_b32 v12, v48, v3
	ds_bpermute_b32 v31, v48, v9
	ds_bpermute_b32 v32, v48, v10
	s_waitcnt lgkmcnt(2)
	v_add_f64 v[2:3], v[2:3], v[11:12]
	s_waitcnt lgkmcnt(0)
	v_add_f64 v[11:12], v[9:10], v[31:32]
	;; [unrolled: 8-line block ×3, first 2 shown]
	s_or_b32 exec_lo, exec_lo, s22
	s_and_saveexec_b32 s22, s4
	s_cbranch_execnz .LBB372_30
	s_branch .LBB372_31
.LBB372_53:                             ;   in Loop: Header=BB372_15 Depth=1
	ds_read_b128 v[13:16], v50
	s_or_b32 exec_lo, exec_lo, s22
	s_and_saveexec_b32 s22, s4
	s_cbranch_execz .LBB372_35
.LBB372_54:                             ;   in Loop: Header=BB372_15 Depth=1
	s_waitcnt lgkmcnt(0)
	ds_bpermute_b32 v2, v47, v13
	ds_bpermute_b32 v3, v47, v14
	ds_bpermute_b32 v31, v47, v15
	ds_bpermute_b32 v32, v47, v16
	s_waitcnt lgkmcnt(2)
	v_add_f64 v[2:3], v[13:14], v[2:3]
	s_waitcnt lgkmcnt(0)
	v_add_f64 v[13:14], v[15:16], v[31:32]
	ds_bpermute_b32 v15, v48, v2
	ds_bpermute_b32 v16, v48, v3
	ds_bpermute_b32 v31, v48, v13
	ds_bpermute_b32 v32, v48, v14
	s_waitcnt lgkmcnt(2)
	v_add_f64 v[2:3], v[2:3], v[15:16]
	s_waitcnt lgkmcnt(0)
	v_add_f64 v[15:16], v[13:14], v[31:32]
	;; [unrolled: 8-line block ×3, first 2 shown]
	s_or_b32 exec_lo, exec_lo, s22
	s_and_saveexec_b32 s22, s4
	s_cbranch_execnz .LBB372_36
	s_branch .LBB372_37
.LBB372_55:                             ;   in Loop: Header=BB372_15 Depth=1
	ds_read_b128 v[17:20], v50
	s_or_b32 exec_lo, exec_lo, s22
	s_and_saveexec_b32 s22, s4
	s_cbranch_execz .LBB372_41
.LBB372_56:                             ;   in Loop: Header=BB372_15 Depth=1
	s_waitcnt lgkmcnt(0)
	ds_bpermute_b32 v2, v47, v17
	ds_bpermute_b32 v3, v47, v18
	ds_bpermute_b32 v31, v47, v19
	ds_bpermute_b32 v32, v47, v20
	s_waitcnt lgkmcnt(2)
	v_add_f64 v[2:3], v[17:18], v[2:3]
	s_waitcnt lgkmcnt(0)
	v_add_f64 v[17:18], v[19:20], v[31:32]
	ds_bpermute_b32 v19, v48, v2
	ds_bpermute_b32 v20, v48, v3
	ds_bpermute_b32 v31, v48, v17
	ds_bpermute_b32 v32, v48, v18
	s_waitcnt lgkmcnt(2)
	v_add_f64 v[2:3], v[2:3], v[19:20]
	s_waitcnt lgkmcnt(0)
	v_add_f64 v[19:20], v[17:18], v[31:32]
	;; [unrolled: 8-line block ×3, first 2 shown]
	s_or_b32 exec_lo, exec_lo, s22
	s_and_saveexec_b32 s25, s10
	s_cbranch_execz .LBB372_14
.LBB372_57:                             ;   in Loop: Header=BB372_15 Depth=1
	v_mul_f64 v[2:3], s[14:15], v[7:8]
	v_mul_f64 v[7:8], s[12:13], v[7:8]
	;; [unrolled: 1-line block ×6, first 2 shown]
	s_waitcnt lgkmcnt(0)
	v_mul_f64 v[52:53], s[14:15], v[19:20]
	v_mul_f64 v[19:20], s[12:13], v[19:20]
	s_mul_i32 s22, s35, s20
	s_add_i32 s22, s22, s6
	s_lshl_b64 s[26:27], s[22:23], 4
	s_add_u32 s26, s36, s26
	s_addc_u32 s27, s11, s27
	s_add_i32 s22, s22, s20
	s_lshl_b64 s[28:29], s[22:23], 4
	s_add_u32 s28, s36, s28
	s_addc_u32 s29, s11, s29
	v_fma_f64 v[2:3], s[12:13], v[5:6], -v[2:3]
	v_fma_f64 v[4:5], s[14:15], v[5:6], v[7:8]
	v_fma_f64 v[6:7], s[12:13], v[9:10], -v[31:32]
	v_fma_f64 v[8:9], s[14:15], v[9:10], v[11:12]
	;; [unrolled: 2-line block ×4, first 2 shown]
	s_add_i32 s22, s22, s20
	s_lshl_b64 s[30:31], s[22:23], 4
	s_add_u32 s30, s36, s30
	s_addc_u32 s31, s11, s31
	s_add_i32 s22, s22, s20
	s_lshl_b64 s[44:45], s[22:23], 4
	s_add_u32 s44, s36, s44
	s_addc_u32 s45, s11, s45
	global_store_dwordx4 v1, v[2:5], s[26:27]
	global_store_dwordx4 v1, v[6:9], s[28:29]
	;; [unrolled: 1-line block ×4, first 2 shown]
	s_branch .LBB372_14
.LBB372_58:                             ;   in Loop: Header=BB372_15 Depth=1
	v_mov_b32_e32 v17, 0
	v_mov_b32_e32 v19, 0
	;; [unrolled: 1-line block ×16, first 2 shown]
.LBB372_59:                             ;   in Loop: Header=BB372_15 Depth=1
	s_or_b32 exec_lo, exec_lo, s43
	s_or_b32 exec_lo, exec_lo, s22
	s_and_saveexec_b32 s22, s4
	s_cbranch_execnz .LBB372_18
	s_branch .LBB372_19
.LBB372_60:
	s_mov_b32 s35, 0
.LBB372_61:
	s_cmp_ge_i32 s35, s19
	s_cbranch_scc1 .LBB372_83
; %bb.62:
	v_cmp_gt_u32_e64 s5, 24, v42
	v_ashrrev_i32_e32 v22, 31, v21
	v_cmp_gt_u32_e64 s4, 32, v0
	v_cmp_gt_u32_e64 s8, 8, v0
	v_cmp_eq_u32_e64 s9, 0, v0
	v_cndmask_b32_e64 v1, 0, 8, s5
	v_cmp_gt_u32_e64 s5, 28, v42
	s_cmp_gt_i32 s34, 0
	s_mov_b32 s7, 0
	s_cselect_b32 s24, -1, 0
	s_waitcnt lgkmcnt(0)
	v_add_lshl_u32 v19, v1, v42, 2
	v_cndmask_b32_e64 v2, 0, 4, s5
	v_cmp_gt_u32_e64 s5, 30, v42
	v_add_nc_u32_e32 v1, s33, v21
	s_lshl_b64 s[22:23], s[6:7], 4
	v_cmp_ge_i32_e64 s10, s18, v44
	v_add_lshl_u32 v20, v2, v42, 2
	v_cndmask_b32_e64 v3, 0, 2, s5
	v_cmp_ne_u32_e64 s5, 31, v42
	v_ashrrev_i32_e32 v2, 31, v1
	v_add_nc_u32_e32 v0, s33, v1
	v_lshlrev_b32_e32 v17, 4, v41
	v_add_lshl_u32 v23, v3, v42, 2
	v_add_co_ci_u32_e64 v4, null, 0, v42, s5
	v_lshlrev_b64 v[7:8], 4, v[1:2]
	v_add_nc_u32_e32 v2, s33, v0
	v_ashrrev_i32_e32 v1, 31, v0
	v_lshlrev_b32_e32 v24, 2, v4
	v_lshlrev_b64 v[3:4], 4, v[21:22]
	v_lshl_or_b32 v18, v42, 2, 64
	v_cmp_eq_u32_e64 s5, 0, v41
	v_lshlrev_b64 v[0:1], 4, v[0:1]
	v_and_b32_e32 v25, 0x70, v40
	s_add_u32 s7, s36, s22
	v_add_co_u32 v5, s6, s16, v3
	v_ashrrev_i32_e32 v3, 31, v2
	v_add_co_ci_u32_e64 v6, null, s17, v4, s6
	v_add_co_u32 v7, s6, s16, v7
	v_lshlrev_b64 v[2:3], 4, v[2:3]
	v_add_co_ci_u32_e64 v8, null, s17, v8, s6
	v_add_co_u32 v9, s6, s16, v0
	v_add_co_ci_u32_e64 v10, null, s17, v1, s6
	v_add_co_u32 v11, s6, s16, v2
	v_add_co_ci_u32_e64 v12, null, s17, v3, s6
	v_mov_b32_e32 v0, 0
	v_cmp_ge_i32_e32 vcc_lo, s18, v43
	s_addc_u32 s18, s11, s23
	s_and_b32 s22, s24, s10
	s_mul_i32 s10, s35, s21
	s_branch .LBB372_64
.LBB372_63:                             ;   in Loop: Header=BB372_64 Depth=1
	s_or_b32 exec_lo, exec_lo, s6
	s_add_i32 s35, s35, 1
	s_add_i32 s10, s10, s21
	s_cmp_lt_i32 s35, s19
	s_cbranch_scc0 .LBB372_83
.LBB372_64:                             ; =>This Loop Header: Depth=1
                                        ;     Child Loop BB372_76 Depth 2
                                        ;     Child Loop BB372_78 Depth 2
                                        ; implicit-def: $vgpr13_vgpr14
                                        ; implicit-def: $vgpr15_vgpr16
	s_and_saveexec_b32 s6, vcc_lo
	s_xor_b32 s11, exec_lo, s6
	s_cbranch_execnz .LBB372_73
; %bb.65:                               ;   in Loop: Header=BB372_64 Depth=1
	s_andn2_saveexec_b32 s23, s11
	s_cbranch_execnz .LBB372_74
.LBB372_66:                             ;   in Loop: Header=BB372_64 Depth=1
	s_or_b32 exec_lo, exec_lo, s23
	s_and_saveexec_b32 s6, s4
	s_cbranch_execz .LBB372_68
.LBB372_67:                             ;   in Loop: Header=BB372_64 Depth=1
	s_waitcnt lgkmcnt(0)
	v_mov_b32_e32 v1, v0
	v_mov_b32_e32 v2, v0
	;; [unrolled: 1-line block ×3, first 2 shown]
	ds_write_b128 v17, v[0:3]
.LBB372_68:                             ;   in Loop: Header=BB372_64 Depth=1
	s_or_b32 exec_lo, exec_lo, s6
	s_waitcnt lgkmcnt(0)
	ds_bpermute_b32 v1, v18, v13
	ds_bpermute_b32 v2, v18, v14
	;; [unrolled: 1-line block ×4, first 2 shown]
	s_waitcnt lgkmcnt(0)
	s_waitcnt_vscnt null, 0x0
	s_barrier
	buffer_gl0_inv
	v_add_f64 v[1:2], v[13:14], v[1:2]
	v_add_f64 v[3:4], v[15:16], v[3:4]
	ds_bpermute_b32 v13, v19, v1
	ds_bpermute_b32 v14, v19, v2
	ds_bpermute_b32 v15, v19, v3
	ds_bpermute_b32 v16, v19, v4
	s_waitcnt lgkmcnt(2)
	v_add_f64 v[1:2], v[1:2], v[13:14]
	s_waitcnt lgkmcnt(0)
	v_add_f64 v[3:4], v[3:4], v[15:16]
	ds_bpermute_b32 v13, v20, v1
	ds_bpermute_b32 v14, v20, v2
	ds_bpermute_b32 v15, v20, v3
	ds_bpermute_b32 v16, v20, v4
	s_waitcnt lgkmcnt(2)
	v_add_f64 v[1:2], v[1:2], v[13:14]
	s_waitcnt lgkmcnt(0)
	v_add_f64 v[3:4], v[3:4], v[15:16]
	ds_bpermute_b32 v13, v23, v1
	ds_bpermute_b32 v14, v23, v2
	ds_bpermute_b32 v15, v23, v3
	ds_bpermute_b32 v16, v23, v4
	s_waitcnt lgkmcnt(2)
	v_add_f64 v[1:2], v[1:2], v[13:14]
	s_waitcnt lgkmcnt(0)
	v_add_f64 v[13:14], v[3:4], v[15:16]
	ds_bpermute_b32 v3, v24, v1
	ds_bpermute_b32 v4, v24, v2
	;; [unrolled: 1-line block ×4, first 2 shown]
	s_and_saveexec_b32 s6, s5
	s_cbranch_execz .LBB372_70
; %bb.69:                               ;   in Loop: Header=BB372_64 Depth=1
	s_waitcnt lgkmcnt(0)
	v_add_f64 v[15:16], v[13:14], v[15:16]
	v_add_f64 v[13:14], v[1:2], v[3:4]
	ds_write_b128 v25, v[13:16]
.LBB372_70:                             ;   in Loop: Header=BB372_64 Depth=1
	s_or_b32 exec_lo, exec_lo, s6
	s_waitcnt lgkmcnt(2)
	v_mov_b32_e32 v3, 0
	v_mov_b32_e32 v1, 0
	;; [unrolled: 1-line block ×4, first 2 shown]
	s_waitcnt lgkmcnt(0)
	s_barrier
	buffer_gl0_inv
	s_and_saveexec_b32 s6, s8
	s_cbranch_execnz .LBB372_80
; %bb.71:                               ;   in Loop: Header=BB372_64 Depth=1
	s_or_b32 exec_lo, exec_lo, s6
	s_and_saveexec_b32 s6, s4
	s_cbranch_execnz .LBB372_81
.LBB372_72:                             ;   in Loop: Header=BB372_64 Depth=1
	s_or_b32 exec_lo, exec_lo, s6
	s_and_saveexec_b32 s6, s9
	s_cbranch_execz .LBB372_63
	s_branch .LBB372_82
.LBB372_73:                             ;   in Loop: Header=BB372_64 Depth=1
	s_waitcnt lgkmcnt(0)
	s_clause 0x2
	flat_load_dwordx4 v[1:4], v[7:8]
	flat_load_dwordx4 v[13:16], v[9:10]
	;; [unrolled: 1-line block ×3, first 2 shown]
	s_mul_i32 s24, s35, s21
	s_ashr_i32 s25, s24, 31
	s_lshl_b64 s[24:25], s[24:25], 4
	v_add_co_u32 v48, s6, v35, s24
	v_add_co_ci_u32_e64 v49, null, s25, v36, s6
	flat_load_dwordx4 v[30:33], v[5:6]
	s_clause 0x1
	flat_load_dwordx4 v[40:43], v[48:49]
	flat_load_dwordx4 v[44:47], v[48:49] offset:16
	s_waitcnt vmcnt(5) lgkmcnt(5)
	buffer_store_dword v4, v37, s[0:3], 0 offen offset:12
	buffer_store_dword v3, v37, s[0:3], 0 offen offset:8
	;; [unrolled: 1-line block ×3, first 2 shown]
	buffer_store_dword v1, v37, s[0:3], 0 offen
	s_waitcnt vmcnt(4) lgkmcnt(4)
	buffer_store_dword v16, v38, s[0:3], 0 offen offset:12
	buffer_store_dword v15, v38, s[0:3], 0 offen offset:8
	;; [unrolled: 1-line block ×3, first 2 shown]
	buffer_store_dword v13, v38, s[0:3], 0 offen
	s_clause 0x7
	buffer_load_dword v50, off, s[0:3], 0 offset:16
	buffer_load_dword v53, off, s[0:3], 0 offset:28
	;; [unrolled: 1-line block ×8, first 2 shown]
	s_clause 0x1
	flat_load_dwordx4 v[1:4], v[48:49] offset:32
	flat_load_dwordx4 v[13:16], v[48:49] offset:48
	s_waitcnt vmcnt(13) lgkmcnt(5)
	buffer_store_dword v29, v39, s[0:3], 0 offen offset:12
	buffer_store_dword v28, v39, s[0:3], 0 offen offset:8
	;; [unrolled: 1-line block ×3, first 2 shown]
	buffer_store_dword v26, v39, s[0:3], 0 offen
	s_clause 0x3
	buffer_load_dword v26, off, s[0:3], 0 offset:48
	buffer_load_dword v29, off, s[0:3], 0 offset:60
	;; [unrolled: 1-line block ×4, first 2 shown]
	s_waitcnt vmcnt(16) lgkmcnt(4)
	buffer_store_dword v33, off, s[0:3], 0 offset:12
	buffer_store_dword v32, off, s[0:3], 0 offset:8
	;; [unrolled: 1-line block ×3, first 2 shown]
	buffer_store_dword v30, off, s[0:3], 0
	s_waitcnt vmcnt(15) lgkmcnt(3)
	v_mul_f64 v[48:49], v[42:43], v[32:33]
	v_mul_f64 v[42:43], v[42:43], v[30:31]
	v_fma_f64 v[48:49], v[40:41], v[30:31], v[48:49]
	v_fma_f64 v[40:41], v[40:41], v[32:33], -v[42:43]
	v_add_f64 v[48:49], v[48:49], 0
	v_add_f64 v[40:41], v[40:41], 0
	s_waitcnt vmcnt(8) lgkmcnt(2)
	v_mul_f64 v[42:43], v[46:47], v[52:53]
	s_waitcnt vmcnt(7)
	v_mul_f64 v[46:47], v[46:47], v[50:51]
	s_waitcnt vmcnt(5) lgkmcnt(1)
	v_mul_f64 v[58:59], v[3:4], v[56:57]
	v_mul_f64 v[3:4], v[3:4], v[54:55]
	v_fma_f64 v[42:43], v[44:45], v[50:51], v[42:43]
	v_fma_f64 v[44:45], v[44:45], v[52:53], -v[46:47]
	s_waitcnt vmcnt(1) lgkmcnt(0)
	v_mul_f64 v[46:47], v[15:16], v[28:29]
	s_waitcnt vmcnt(0)
	v_mul_f64 v[15:16], v[15:16], v[26:27]
	v_fma_f64 v[50:51], v[1:2], v[54:55], v[58:59]
	v_fma_f64 v[1:2], v[1:2], v[56:57], -v[3:4]
	v_add_f64 v[3:4], v[48:49], v[42:43]
	v_add_f64 v[40:41], v[40:41], v[44:45]
	v_fma_f64 v[26:27], v[13:14], v[26:27], v[46:47]
	v_fma_f64 v[15:16], v[13:14], v[28:29], -v[15:16]
	v_add_f64 v[3:4], v[3:4], v[50:51]
	v_add_f64 v[1:2], v[40:41], v[1:2]
	;; [unrolled: 1-line block ×4, first 2 shown]
	s_andn2_saveexec_b32 s23, s11
	s_cbranch_execz .LBB372_66
.LBB372_74:                             ;   in Loop: Header=BB372_64 Depth=1
	v_mov_b32_e32 v13, 0
	v_mov_b32_e32 v15, 0
	;; [unrolled: 1-line block ×4, first 2 shown]
	s_and_saveexec_b32 s24, s22
	s_cbranch_execz .LBB372_79
; %bb.75:                               ;   in Loop: Header=BB372_64 Depth=1
	s_waitcnt lgkmcnt(0)
	v_mov_b32_e32 v1, v21
	s_mov_b32 s11, 0
	s_mov_b32 s25, s34
	.p2align	6
.LBB372_76:                             ;   Parent Loop BB372_64 Depth=1
                                        ; =>  This Inner Loop Header: Depth=2
	v_ashrrev_i32_e32 v2, 31, v1
	s_add_i32 s25, s25, -1
	v_lshlrev_b64 v[2:3], 4, v[1:2]
	v_add_nc_u32_e32 v1, s33, v1
	v_add_co_u32 v2, s6, s16, v2
	v_add_co_ci_u32_e64 v3, null, s17, v3, s6
	flat_load_dwordx4 v[13:16], v[2:3]
	v_mov_b32_e32 v2, s11
	s_add_i32 s11, s11, 16
	s_cmp_eq_u32 s25, 0
	s_waitcnt vmcnt(0) lgkmcnt(0)
	buffer_store_dword v16, v2, s[0:3], 0 offen offset:12
	buffer_store_dword v15, v2, s[0:3], 0 offen offset:8
	;; [unrolled: 1-line block ×3, first 2 shown]
	buffer_store_dword v13, v2, s[0:3], 0 offen
	s_cbranch_scc0 .LBB372_76
; %bb.77:                               ;   in Loop: Header=BB372_64 Depth=1
	s_ashr_i32 s11, s10, 31
	v_mov_b32_e32 v13, 0
	s_lshl_b64 s[26:27], s[10:11], 4
	v_mov_b32_e32 v15, 0
	v_add_co_u32 v1, s6, v35, s26
	v_mov_b32_e32 v14, 0
	v_mov_b32_e32 v16, 0
	v_add_co_ci_u32_e64 v2, null, s27, v36, s6
	s_mov_b32 s11, 0
	s_mov_b32 s25, s34
	.p2align	6
.LBB372_78:                             ;   Parent Loop BB372_64 Depth=1
                                        ; =>  This Inner Loop Header: Depth=2
	v_mov_b32_e32 v4, s11
	flat_load_dwordx4 v[26:29], v[1:2]
	v_add_co_u32 v1, s6, v1, 16
	v_add_co_ci_u32_e64 v2, null, 0, v2, s6
	s_clause 0x3
	buffer_load_dword v3, v4, s[0:3], 0 offen
	buffer_load_dword v30, v4, s[0:3], 0 offen offset:8
	buffer_load_dword v31, v4, s[0:3], 0 offen offset:12
	;; [unrolled: 1-line block ×3, first 2 shown]
	s_add_i32 s25, s25, -1
	s_add_i32 s11, s11, 16
	s_cmp_lg_u32 s25, 0
	s_waitcnt vmcnt(1) lgkmcnt(0)
	v_mul_f64 v[32:33], v[28:29], v[30:31]
	s_waitcnt vmcnt(0)
	v_mul_f64 v[28:29], v[28:29], v[3:4]
	v_fma_f64 v[3:4], v[26:27], v[3:4], v[32:33]
	v_fma_f64 v[26:27], v[26:27], v[30:31], -v[28:29]
	v_add_f64 v[13:14], v[13:14], v[3:4]
	v_add_f64 v[15:16], v[15:16], v[26:27]
	s_cbranch_scc1 .LBB372_78
.LBB372_79:                             ;   in Loop: Header=BB372_64 Depth=1
	s_or_b32 exec_lo, exec_lo, s24
	s_or_b32 exec_lo, exec_lo, s23
	s_and_saveexec_b32 s6, s4
	s_cbranch_execnz .LBB372_67
	s_branch .LBB372_68
.LBB372_80:                             ;   in Loop: Header=BB372_64 Depth=1
	ds_read_b128 v[1:4], v17
	s_or_b32 exec_lo, exec_lo, s6
	s_and_saveexec_b32 s6, s4
	s_cbranch_execz .LBB372_72
.LBB372_81:                             ;   in Loop: Header=BB372_64 Depth=1
	s_waitcnt lgkmcnt(0)
	ds_bpermute_b32 v13, v20, v1
	ds_bpermute_b32 v14, v20, v2
	ds_bpermute_b32 v15, v20, v3
	ds_bpermute_b32 v16, v20, v4
	s_waitcnt lgkmcnt(2)
	v_add_f64 v[1:2], v[1:2], v[13:14]
	s_waitcnt lgkmcnt(0)
	v_add_f64 v[3:4], v[3:4], v[15:16]
	ds_bpermute_b32 v13, v23, v1
	ds_bpermute_b32 v14, v23, v2
	ds_bpermute_b32 v15, v23, v3
	ds_bpermute_b32 v16, v23, v4
	s_waitcnt lgkmcnt(2)
	v_add_f64 v[1:2], v[1:2], v[13:14]
	s_waitcnt lgkmcnt(0)
	v_add_f64 v[3:4], v[3:4], v[15:16]
	;; [unrolled: 8-line block ×3, first 2 shown]
	s_or_b32 exec_lo, exec_lo, s6
	s_and_saveexec_b32 s6, s9
	s_cbranch_execz .LBB372_63
.LBB372_82:                             ;   in Loop: Header=BB372_64 Depth=1
	s_waitcnt lgkmcnt(0)
	v_mul_f64 v[13:14], s[14:15], v[3:4]
	v_mul_f64 v[3:4], s[12:13], v[3:4]
	s_mul_hi_u32 s25, s35, s20
	s_mul_i32 s24, s35, s20
	s_lshl_b64 s[24:25], s[24:25], 4
	s_add_u32 s24, s7, s24
	s_addc_u32 s25, s18, s25
	v_fma_f64 v[13:14], s[12:13], v[1:2], -v[13:14]
	v_fma_f64 v[15:16], s[14:15], v[1:2], v[3:4]
	global_store_dwordx4 v0, v[13:16], s[24:25]
	s_branch .LBB372_63
.LBB372_83:
	s_endpgm
	.section	.rodata,"a",@progbits
	.p2align	6, 0x0
	.amdhsa_kernel _ZL23rocblas_gemvt_sn_kernelILb1ELi256ELi4EiPK19rocblas_complex_numIdES1_S1_EviiT4_lPKT3_lilS7_lilPT5_i
		.amdhsa_group_segment_fixed_size 512
		.amdhsa_private_segment_fixed_size 80
		.amdhsa_kernarg_size 368
		.amdhsa_user_sgpr_count 6
		.amdhsa_user_sgpr_private_segment_buffer 1
		.amdhsa_user_sgpr_dispatch_ptr 0
		.amdhsa_user_sgpr_queue_ptr 0
		.amdhsa_user_sgpr_kernarg_segment_ptr 1
		.amdhsa_user_sgpr_dispatch_id 0
		.amdhsa_user_sgpr_flat_scratch_init 0
		.amdhsa_user_sgpr_private_segment_size 0
		.amdhsa_wavefront_size32 1
		.amdhsa_uses_dynamic_stack 0
		.amdhsa_system_sgpr_private_segment_wavefront_offset 1
		.amdhsa_system_sgpr_workgroup_id_x 1
		.amdhsa_system_sgpr_workgroup_id_y 0
		.amdhsa_system_sgpr_workgroup_id_z 1
		.amdhsa_system_sgpr_workgroup_info 0
		.amdhsa_system_vgpr_workitem_id 0
		.amdhsa_next_free_vgpr 76
		.amdhsa_next_free_sgpr 52
		.amdhsa_reserve_vcc 1
		.amdhsa_reserve_flat_scratch 1
		.amdhsa_float_round_mode_32 0
		.amdhsa_float_round_mode_16_64 0
		.amdhsa_float_denorm_mode_32 3
		.amdhsa_float_denorm_mode_16_64 3
		.amdhsa_dx10_clamp 1
		.amdhsa_ieee_mode 1
		.amdhsa_fp16_overflow 0
		.amdhsa_workgroup_processor_mode 1
		.amdhsa_memory_ordered 1
		.amdhsa_forward_progress 1
		.amdhsa_shared_vgpr_count 0
		.amdhsa_exception_fp_ieee_invalid_op 0
		.amdhsa_exception_fp_denorm_src 0
		.amdhsa_exception_fp_ieee_div_zero 0
		.amdhsa_exception_fp_ieee_overflow 0
		.amdhsa_exception_fp_ieee_underflow 0
		.amdhsa_exception_fp_ieee_inexact 0
		.amdhsa_exception_int_div_zero 0
	.end_amdhsa_kernel
	.section	.text._ZL23rocblas_gemvt_sn_kernelILb1ELi256ELi4EiPK19rocblas_complex_numIdES1_S1_EviiT4_lPKT3_lilS7_lilPT5_i,"axG",@progbits,_ZL23rocblas_gemvt_sn_kernelILb1ELi256ELi4EiPK19rocblas_complex_numIdES1_S1_EviiT4_lPKT3_lilS7_lilPT5_i,comdat
.Lfunc_end372:
	.size	_ZL23rocblas_gemvt_sn_kernelILb1ELi256ELi4EiPK19rocblas_complex_numIdES1_S1_EviiT4_lPKT3_lilS7_lilPT5_i, .Lfunc_end372-_ZL23rocblas_gemvt_sn_kernelILb1ELi256ELi4EiPK19rocblas_complex_numIdES1_S1_EviiT4_lPKT3_lilS7_lilPT5_i
                                        ; -- End function
	.set _ZL23rocblas_gemvt_sn_kernelILb1ELi256ELi4EiPK19rocblas_complex_numIdES1_S1_EviiT4_lPKT3_lilS7_lilPT5_i.num_vgpr, 76
	.set _ZL23rocblas_gemvt_sn_kernelILb1ELi256ELi4EiPK19rocblas_complex_numIdES1_S1_EviiT4_lPKT3_lilS7_lilPT5_i.num_agpr, 0
	.set _ZL23rocblas_gemvt_sn_kernelILb1ELi256ELi4EiPK19rocblas_complex_numIdES1_S1_EviiT4_lPKT3_lilS7_lilPT5_i.numbered_sgpr, 52
	.set _ZL23rocblas_gemvt_sn_kernelILb1ELi256ELi4EiPK19rocblas_complex_numIdES1_S1_EviiT4_lPKT3_lilS7_lilPT5_i.num_named_barrier, 0
	.set _ZL23rocblas_gemvt_sn_kernelILb1ELi256ELi4EiPK19rocblas_complex_numIdES1_S1_EviiT4_lPKT3_lilS7_lilPT5_i.private_seg_size, 80
	.set _ZL23rocblas_gemvt_sn_kernelILb1ELi256ELi4EiPK19rocblas_complex_numIdES1_S1_EviiT4_lPKT3_lilS7_lilPT5_i.uses_vcc, 1
	.set _ZL23rocblas_gemvt_sn_kernelILb1ELi256ELi4EiPK19rocblas_complex_numIdES1_S1_EviiT4_lPKT3_lilS7_lilPT5_i.uses_flat_scratch, 1
	.set _ZL23rocblas_gemvt_sn_kernelILb1ELi256ELi4EiPK19rocblas_complex_numIdES1_S1_EviiT4_lPKT3_lilS7_lilPT5_i.has_dyn_sized_stack, 0
	.set _ZL23rocblas_gemvt_sn_kernelILb1ELi256ELi4EiPK19rocblas_complex_numIdES1_S1_EviiT4_lPKT3_lilS7_lilPT5_i.has_recursion, 0
	.set _ZL23rocblas_gemvt_sn_kernelILb1ELi256ELi4EiPK19rocblas_complex_numIdES1_S1_EviiT4_lPKT3_lilS7_lilPT5_i.has_indirect_call, 0
	.section	.AMDGPU.csdata,"",@progbits
; Kernel info:
; codeLenInByte = 7856
; TotalNumSgprs: 54
; NumVgprs: 76
; ScratchSize: 80
; MemoryBound: 0
; FloatMode: 240
; IeeeMode: 1
; LDSByteSize: 512 bytes/workgroup (compile time only)
; SGPRBlocks: 0
; VGPRBlocks: 9
; NumSGPRsForWavesPerEU: 54
; NumVGPRsForWavesPerEU: 76
; Occupancy: 12
; WaveLimiterHint : 0
; COMPUTE_PGM_RSRC2:SCRATCH_EN: 1
; COMPUTE_PGM_RSRC2:USER_SGPR: 6
; COMPUTE_PGM_RSRC2:TRAP_HANDLER: 0
; COMPUTE_PGM_RSRC2:TGID_X_EN: 1
; COMPUTE_PGM_RSRC2:TGID_Y_EN: 0
; COMPUTE_PGM_RSRC2:TGID_Z_EN: 1
; COMPUTE_PGM_RSRC2:TIDIG_COMP_CNT: 0
	.section	.text._ZL23rocblas_gemvt_sn_kernelILb1ELi256ELi4ElPK19rocblas_complex_numIdES1_S1_EviiT4_lPKT3_lilS7_lilPT5_i,"axG",@progbits,_ZL23rocblas_gemvt_sn_kernelILb1ELi256ELi4ElPK19rocblas_complex_numIdES1_S1_EviiT4_lPKT3_lilS7_lilPT5_i,comdat
	.globl	_ZL23rocblas_gemvt_sn_kernelILb1ELi256ELi4ElPK19rocblas_complex_numIdES1_S1_EviiT4_lPKT3_lilS7_lilPT5_i ; -- Begin function _ZL23rocblas_gemvt_sn_kernelILb1ELi256ELi4ElPK19rocblas_complex_numIdES1_S1_EviiT4_lPKT3_lilS7_lilPT5_i
	.p2align	8
	.type	_ZL23rocblas_gemvt_sn_kernelILb1ELi256ELi4ElPK19rocblas_complex_numIdES1_S1_EviiT4_lPKT3_lilS7_lilPT5_i,@function
_ZL23rocblas_gemvt_sn_kernelILb1ELi256ELi4ElPK19rocblas_complex_numIdES1_S1_EviiT4_lPKT3_lilS7_lilPT5_i: ; @_ZL23rocblas_gemvt_sn_kernelILb1ELi256ELi4ElPK19rocblas_complex_numIdES1_S1_EviiT4_lPKT3_lilS7_lilPT5_i
; %bb.0:
	s_load_dwordx4 s[12:15], s[4:5], 0x8
	s_add_u32 s0, s0, s8
	s_mov_b32 s10, s7
	s_addc_u32 s1, s1, 0
	s_mov_b64 s[22:23], 0
	s_mov_b32 s11, 0
	s_waitcnt lgkmcnt(0)
	v_cmp_neq_f64_e64 s7, s[12:13], 0
	v_cmp_neq_f64_e64 s8, s[14:15], 0
	s_or_b32 s7, s7, s8
	s_mov_b32 s8, -1
	s_and_b32 vcc_lo, exec_lo, s7
	s_cbranch_vccnz .LBB373_2
; %bb.1:
	s_mov_b32 s8, s11
.LBB373_2:
	s_andn2_b32 vcc_lo, exec_lo, s8
	s_cbranch_vccnz .LBB373_4
; %bb.3:
	s_load_dwordx4 s[16:19], s[4:5], 0x20
	s_lshl_b64 s[8:9], s[10:11], 3
	s_waitcnt lgkmcnt(0)
	s_add_u32 s8, s16, s8
	s_addc_u32 s9, s17, s9
	s_lshl_b64 s[16:17], s[18:19], 4
	s_load_dwordx2 s[8:9], s[8:9], 0x0
	s_waitcnt lgkmcnt(0)
	s_add_u32 s22, s8, s16
	s_addc_u32 s23, s9, s17
.LBB373_4:
	v_cndmask_b32_e64 v1, 0, 1, s7
	s_xor_b32 s20, s7, -1
	s_mov_b64 s[24:25], 0
	v_cmp_ne_u32_e32 vcc_lo, 1, v1
	s_cbranch_vccnz .LBB373_6
; %bb.5:
	s_load_dwordx4 s[16:19], s[4:5], 0x40
	s_lshl_b64 s[8:9], s[10:11], 3
	s_waitcnt lgkmcnt(0)
	s_add_u32 s8, s16, s8
	s_addc_u32 s9, s17, s9
	s_lshl_b64 s[16:17], s[18:19], 4
	s_load_dwordx2 s[8:9], s[8:9], 0x0
	s_waitcnt lgkmcnt(0)
	s_add_u32 s24, s8, s16
	s_addc_u32 s25, s9, s17
.LBB373_6:
	s_clause 0x2
	s_load_dwordx2 s[16:17], s[4:5], 0x0
	s_load_dword s18, s[4:5], 0x70
	s_load_dwordx2 s[8:9], s[4:5], 0x60
	s_andn2_b32 vcc_lo, exec_lo, s20
	v_cmp_eq_u32_e64 s7, 0, v0
	s_mov_b32 s19, 0
	s_waitcnt lgkmcnt(0)
	s_ashr_i32 s28, s17, 31
	s_mul_hi_u32 s11, s10, s17
	s_mul_i32 s20, s10, s28
	s_mul_i32 s10, s10, s17
	s_add_i32 s11, s11, s20
	s_mul_hi_u32 s20, s10, s18
	s_mul_i32 s11, s11, s18
	s_mul_i32 s10, s10, s18
	s_add_i32 s11, s20, s11
	s_mov_b32 s20, -1
	s_cbranch_vccnz .LBB373_11
; %bb.7:
	s_cmp_gt_i32 s17, 0
	s_cselect_b32 s20, -1, 0
	s_and_b32 s7, s7, s20
	s_and_saveexec_b32 s29, s7
	s_cbranch_execz .LBB373_10
; %bb.8:
	s_mov_b32 s7, 0
	v_mov_b32_e32 v1, 0
	s_lshl_b64 s[20:21], s[10:11], 4
	s_lshl_b64 s[26:27], s[6:7], 4
	s_add_u32 s7, s20, s26
	s_addc_u32 s20, s21, s27
	s_add_u32 s7, s8, s7
	v_mov_b32_e32 v2, v1
	v_mov_b32_e32 v3, v1
	;; [unrolled: 1-line block ×3, first 2 shown]
	s_addc_u32 s21, s9, s20
	s_add_u32 s20, s7, 8
	s_addc_u32 s21, s21, 0
	s_lshl_b64 s[26:27], s[18:19], 4
	s_mov_b32 s7, s17
.LBB373_9:                              ; =>This Inner Loop Header: Depth=1
	s_add_i32 s7, s7, -1
	global_store_dwordx4 v1, v[1:4], s[20:21] offset:-8
	s_add_u32 s20, s20, s26
	s_addc_u32 s21, s21, s27
	s_cmp_eq_u32 s7, 0
	s_cbranch_scc0 .LBB373_9
.LBB373_10:
	s_or_b32 exec_lo, exec_lo, s29
	s_mov_b32 s20, 0
.LBB373_11:
	s_andn2_b32 vcc_lo, exec_lo, s20
	s_cbranch_vccnz .LBB373_83
; %bb.12:
	s_clause 0x1
	s_load_dword s20, s[4:5], 0x30
	s_load_dword s26, s[4:5], 0x50
	s_lshl_b64 s[10:11], s[10:11], 4
	v_and_b32_e32 v45, 31, v0
	v_cmp_gt_u32_e64 s4, 32, v0
	v_mbcnt_lo_u32_b32 v47, -1, 0
	v_cmp_gt_u32_e64 s5, 8, v0
	v_lshrrev_b32_e32 v46, 1, v0
	v_mov_b32_e32 v40, 16
	v_mov_b32_e32 v41, 32
	;; [unrolled: 1-line block ×3, first 2 shown]
	s_waitcnt lgkmcnt(0)
	s_ashr_i32 s21, s20, 31
	s_ashr_i32 s27, s26, 31
	s_add_u32 s33, s8, s10
	s_addc_u32 s36, s9, s11
	s_lshl_b32 s7, s6, 10
	s_ashr_i32 s8, s16, 31
	v_lshl_or_b32 v25, v0, 2, s7
	s_lshr_b32 s7, s28, 30
	s_lshr_b32 s8, s8, 30
	s_add_i32 s7, s17, s7
	s_add_i32 s8, s16, s8
	v_ashrrev_i32_e32 v26, 31, v25
	s_and_b32 s37, s7, -4
	s_and_b32 s7, s8, -4
	v_add_nc_u32_e32 v49, 4, v25
	s_sub_i32 s19, s16, s7
	v_lshlrev_b64 v[23:24], 4, v[25:26]
	v_or_b32_e32 v48, 1, v25
	v_or_b32_e32 v44, 2, v25
	;; [unrolled: 1-line block ×3, first 2 shown]
	v_add_nc_u32_e32 v50, s19, v25
	s_cmp_lt_i32 s37, 1
	v_add_co_u32 v21, vcc_lo, s22, v23
	v_add_co_ci_u32_e64 v22, null, s23, v24, vcc_lo
	s_cbranch_scc1 .LBB373_60
; %bb.13:
	v_cmp_gt_u32_e32 vcc_lo, 24, v47
	v_mad_i64_i32 v[5:6], null, s26, v44, 0
	v_mad_i64_i32 v[7:8], null, s26, v43, 0
	v_cndmask_b32_e64 v1, 0, 8, vcc_lo
	v_cmp_gt_u32_e32 vcc_lo, 28, v47
	s_cmp_gt_i32 s19, 0
	s_mov_b32 s7, 0
	v_mov_b32_e32 v35, v22
	v_add_lshl_u32 v52, v1, v47, 2
	v_cndmask_b32_e64 v2, 0, 4, vcc_lo
	v_cmp_gt_u32_e32 vcc_lo, 30, v47
	v_cmp_ge_i32_e64 s8, s16, v49
	v_cmp_ge_i32_e64 s9, s16, v50
	s_cselect_b32 s38, -1, 0
	v_add_lshl_u32 v53, v2, v47, 2
	v_cndmask_b32_e64 v3, 0, 2, vcc_lo
	v_cmp_ne_u32_e32 vcc_lo, 31, v47
	v_mad_i64_i32 v[1:2], null, s26, v25, 0
	v_lshl_or_b32 v51, v47, 2, 64
	v_add_lshl_u32 v54, v3, v47, 2
	v_add_co_ci_u32_e64 v4, null, 0, v47, vcc_lo
	v_cmp_eq_u32_e64 s10, 0, v45
	v_lshlrev_b32_e32 v56, 4, v45
	v_lshlrev_b64 v[1:2], 4, v[1:2]
	v_lshlrev_b32_e32 v55, 2, v4
	v_mad_i64_i32 v[3:4], null, s26, v48, 0
	v_and_b32_e32 v57, 0x70, v46
	s_lshl_b64 s[28:29], s[6:7], 4
	v_add_co_u32 v26, vcc_lo, s24, v1
	v_add_co_ci_u32_e64 v27, null, s25, v2, vcc_lo
	v_lshlrev_b64 v[3:4], 4, v[3:4]
	v_lshlrev_b64 v[1:2], 4, v[5:6]
	v_cmp_eq_u32_e64 s11, 0, v0
	v_mov_b32_e32 v34, v21
	s_add_u32 s39, s33, s28
	s_addc_u32 s40, s36, s29
	v_add_co_u32 v28, vcc_lo, s24, v3
	v_add_co_ci_u32_e64 v29, null, s25, v4, vcc_lo
	v_lshlrev_b64 v[3:4], 4, v[7:8]
	v_add_co_u32 v30, vcc_lo, s24, v1
	v_add_co_ci_u32_e64 v31, null, s25, v2, vcc_lo
	v_mov_b32_e32 v1, 0
	v_add_co_u32 v32, vcc_lo, s24, v3
	v_add_co_ci_u32_e64 v33, null, s25, v4, vcc_lo
	s_lshl_b64 s[28:29], s[26:27], 4
	s_lshl_b64 s[30:31], s[20:21], 6
	;; [unrolled: 1-line block ×3, first 2 shown]
	s_branch .LBB373_15
.LBB373_14:                             ;   in Loop: Header=BB373_15 Depth=1
	s_or_b32 exec_lo, exec_lo, s41
	v_add_co_u32 v34, vcc_lo, v34, s30
	v_add_co_ci_u32_e64 v35, null, s31, v35, vcc_lo
	s_add_i32 s7, s7, 4
	s_cmp_ge_i32 s7, s37
	s_cbranch_scc1 .LBB373_61
.LBB373_15:                             ; =>This Loop Header: Depth=1
                                        ;     Child Loop BB373_46 Depth 2
                                        ;     Child Loop BB373_48 Depth 2
                                        ; implicit-def: $vgpr17_vgpr18
                                        ; implicit-def: $vgpr19_vgpr20
                                        ; implicit-def: $vgpr13_vgpr14
                                        ; implicit-def: $vgpr15_vgpr16
                                        ; implicit-def: $vgpr9_vgpr10
                                        ; implicit-def: $vgpr11_vgpr12
                                        ; implicit-def: $vgpr38_vgpr39
                                        ; implicit-def: $vgpr36_vgpr37
	s_and_saveexec_b32 s41, s8
	s_xor_b32 s41, exec_lo, s41
	s_cbranch_execnz .LBB373_42
; %bb.16:                               ;   in Loop: Header=BB373_15 Depth=1
	s_andn2_saveexec_b32 s41, s41
	s_cbranch_execnz .LBB373_43
.LBB373_17:                             ;   in Loop: Header=BB373_15 Depth=1
	s_or_b32 exec_lo, exec_lo, s41
	s_and_saveexec_b32 s41, s4
	s_cbranch_execz .LBB373_19
.LBB373_18:                             ;   in Loop: Header=BB373_15 Depth=1
	v_mov_b32_e32 v2, v1
	v_mov_b32_e32 v3, v1
	;; [unrolled: 1-line block ×3, first 2 shown]
	ds_write_b128 v56, v[1:4]
.LBB373_19:                             ;   in Loop: Header=BB373_15 Depth=1
	s_or_b32 exec_lo, exec_lo, s41
	ds_bpermute_b32 v2, v51, v38
	ds_bpermute_b32 v3, v51, v39
	;; [unrolled: 1-line block ×4, first 2 shown]
	s_waitcnt lgkmcnt(0)
	s_waitcnt_vscnt null, 0x0
	s_barrier
	buffer_gl0_inv
	v_add_f64 v[2:3], v[38:39], v[2:3]
	v_add_f64 v[4:5], v[36:37], v[4:5]
	ds_bpermute_b32 v6, v52, v2
	ds_bpermute_b32 v7, v52, v3
	ds_bpermute_b32 v36, v52, v4
	ds_bpermute_b32 v37, v52, v5
	s_waitcnt lgkmcnt(2)
	v_add_f64 v[2:3], v[2:3], v[6:7]
	s_waitcnt lgkmcnt(0)
	v_add_f64 v[4:5], v[4:5], v[36:37]
	ds_bpermute_b32 v6, v53, v2
	ds_bpermute_b32 v7, v53, v3
	ds_bpermute_b32 v36, v53, v4
	ds_bpermute_b32 v37, v53, v5
	s_waitcnt lgkmcnt(2)
	v_add_f64 v[2:3], v[2:3], v[6:7]
	s_waitcnt lgkmcnt(0)
	;; [unrolled: 8-line block ×3, first 2 shown]
	v_add_f64 v[6:7], v[4:5], v[36:37]
	ds_bpermute_b32 v4, v55, v2
	ds_bpermute_b32 v5, v55, v3
	;; [unrolled: 1-line block ×4, first 2 shown]
	s_and_saveexec_b32 s41, s10
	s_cbranch_execz .LBB373_21
; %bb.20:                               ;   in Loop: Header=BB373_15 Depth=1
	s_waitcnt lgkmcnt(0)
	v_add_f64 v[6:7], v[6:7], v[36:37]
	v_add_f64 v[4:5], v[2:3], v[4:5]
	ds_write_b128 v57, v[4:7]
.LBB373_21:                             ;   in Loop: Header=BB373_15 Depth=1
	s_or_b32 exec_lo, exec_lo, s41
	v_mov_b32_e32 v7, 0
	s_waitcnt lgkmcnt(2)
	v_mov_b32_e32 v5, 0
	v_mov_b32_e32 v8, 0
	;; [unrolled: 1-line block ×3, first 2 shown]
	s_waitcnt lgkmcnt(0)
	s_barrier
	buffer_gl0_inv
	s_and_saveexec_b32 s41, s5
	s_cbranch_execnz .LBB373_49
; %bb.22:                               ;   in Loop: Header=BB373_15 Depth=1
	s_or_b32 exec_lo, exec_lo, s41
	s_and_saveexec_b32 s41, s4
	s_cbranch_execnz .LBB373_50
.LBB373_23:                             ;   in Loop: Header=BB373_15 Depth=1
	s_or_b32 exec_lo, exec_lo, s41
	s_and_saveexec_b32 s41, s4
	s_cbranch_execz .LBB373_25
.LBB373_24:                             ;   in Loop: Header=BB373_15 Depth=1
	v_mov_b32_e32 v2, v1
	v_mov_b32_e32 v3, v1
	;; [unrolled: 1-line block ×3, first 2 shown]
	ds_write_b128 v56, v[1:4]
.LBB373_25:                             ;   in Loop: Header=BB373_15 Depth=1
	s_or_b32 exec_lo, exec_lo, s41
	ds_bpermute_b32 v2, v51, v9
	ds_bpermute_b32 v3, v51, v10
	;; [unrolled: 1-line block ×4, first 2 shown]
	s_waitcnt lgkmcnt(0)
	s_barrier
	buffer_gl0_inv
	v_add_f64 v[2:3], v[9:10], v[2:3]
	v_add_f64 v[9:10], v[11:12], v[36:37]
	ds_bpermute_b32 v11, v52, v2
	ds_bpermute_b32 v12, v52, v3
	ds_bpermute_b32 v36, v52, v9
	ds_bpermute_b32 v37, v52, v10
	s_waitcnt lgkmcnt(2)
	v_add_f64 v[2:3], v[2:3], v[11:12]
	s_waitcnt lgkmcnt(0)
	v_add_f64 v[9:10], v[9:10], v[36:37]
	ds_bpermute_b32 v11, v53, v2
	ds_bpermute_b32 v12, v53, v3
	ds_bpermute_b32 v36, v53, v9
	ds_bpermute_b32 v37, v53, v10
	s_waitcnt lgkmcnt(2)
	v_add_f64 v[2:3], v[2:3], v[11:12]
	s_waitcnt lgkmcnt(0)
	;; [unrolled: 8-line block ×3, first 2 shown]
	v_add_f64 v[11:12], v[9:10], v[36:37]
	ds_bpermute_b32 v9, v55, v2
	ds_bpermute_b32 v10, v55, v3
	ds_bpermute_b32 v36, v55, v11
	ds_bpermute_b32 v37, v55, v12
	s_and_saveexec_b32 s41, s10
	s_cbranch_execz .LBB373_27
; %bb.26:                               ;   in Loop: Header=BB373_15 Depth=1
	s_waitcnt lgkmcnt(0)
	v_add_f64 v[11:12], v[11:12], v[36:37]
	v_add_f64 v[9:10], v[2:3], v[9:10]
	ds_write_b128 v57, v[9:12]
.LBB373_27:                             ;   in Loop: Header=BB373_15 Depth=1
	s_or_b32 exec_lo, exec_lo, s41
	v_mov_b32_e32 v11, 0
	s_waitcnt lgkmcnt(2)
	v_mov_b32_e32 v9, 0
	v_mov_b32_e32 v12, 0
	;; [unrolled: 1-line block ×3, first 2 shown]
	s_waitcnt lgkmcnt(0)
	s_barrier
	buffer_gl0_inv
	s_and_saveexec_b32 s41, s5
	s_cbranch_execnz .LBB373_51
; %bb.28:                               ;   in Loop: Header=BB373_15 Depth=1
	s_or_b32 exec_lo, exec_lo, s41
	s_and_saveexec_b32 s41, s4
	s_cbranch_execnz .LBB373_52
.LBB373_29:                             ;   in Loop: Header=BB373_15 Depth=1
	s_or_b32 exec_lo, exec_lo, s41
	s_and_saveexec_b32 s41, s4
	s_cbranch_execz .LBB373_31
.LBB373_30:                             ;   in Loop: Header=BB373_15 Depth=1
	v_mov_b32_e32 v2, v1
	v_mov_b32_e32 v3, v1
	;; [unrolled: 1-line block ×3, first 2 shown]
	ds_write_b128 v56, v[1:4]
.LBB373_31:                             ;   in Loop: Header=BB373_15 Depth=1
	s_or_b32 exec_lo, exec_lo, s41
	ds_bpermute_b32 v2, v51, v13
	ds_bpermute_b32 v3, v51, v14
	;; [unrolled: 1-line block ×4, first 2 shown]
	s_waitcnt lgkmcnt(0)
	s_barrier
	buffer_gl0_inv
	v_add_f64 v[2:3], v[13:14], v[2:3]
	v_add_f64 v[13:14], v[15:16], v[36:37]
	ds_bpermute_b32 v15, v52, v2
	ds_bpermute_b32 v16, v52, v3
	ds_bpermute_b32 v36, v52, v13
	ds_bpermute_b32 v37, v52, v14
	s_waitcnt lgkmcnt(2)
	v_add_f64 v[2:3], v[2:3], v[15:16]
	s_waitcnt lgkmcnt(0)
	v_add_f64 v[13:14], v[13:14], v[36:37]
	ds_bpermute_b32 v15, v53, v2
	ds_bpermute_b32 v16, v53, v3
	ds_bpermute_b32 v36, v53, v13
	ds_bpermute_b32 v37, v53, v14
	s_waitcnt lgkmcnt(2)
	v_add_f64 v[2:3], v[2:3], v[15:16]
	s_waitcnt lgkmcnt(0)
	;; [unrolled: 8-line block ×3, first 2 shown]
	v_add_f64 v[15:16], v[13:14], v[36:37]
	ds_bpermute_b32 v13, v55, v2
	ds_bpermute_b32 v14, v55, v3
	;; [unrolled: 1-line block ×4, first 2 shown]
	s_and_saveexec_b32 s41, s10
	s_cbranch_execz .LBB373_33
; %bb.32:                               ;   in Loop: Header=BB373_15 Depth=1
	s_waitcnt lgkmcnt(0)
	v_add_f64 v[15:16], v[15:16], v[36:37]
	v_add_f64 v[13:14], v[2:3], v[13:14]
	ds_write_b128 v57, v[13:16]
.LBB373_33:                             ;   in Loop: Header=BB373_15 Depth=1
	s_or_b32 exec_lo, exec_lo, s41
	v_mov_b32_e32 v15, 0
	s_waitcnt lgkmcnt(2)
	v_mov_b32_e32 v13, 0
	v_mov_b32_e32 v16, 0
	;; [unrolled: 1-line block ×3, first 2 shown]
	s_waitcnt lgkmcnt(0)
	s_barrier
	buffer_gl0_inv
	s_and_saveexec_b32 s41, s5
	s_cbranch_execnz .LBB373_53
; %bb.34:                               ;   in Loop: Header=BB373_15 Depth=1
	s_or_b32 exec_lo, exec_lo, s41
	s_and_saveexec_b32 s41, s4
	s_cbranch_execnz .LBB373_54
.LBB373_35:                             ;   in Loop: Header=BB373_15 Depth=1
	s_or_b32 exec_lo, exec_lo, s41
	s_and_saveexec_b32 s41, s4
	s_cbranch_execz .LBB373_37
.LBB373_36:                             ;   in Loop: Header=BB373_15 Depth=1
	v_mov_b32_e32 v2, v1
	v_mov_b32_e32 v3, v1
	;; [unrolled: 1-line block ×3, first 2 shown]
	ds_write_b128 v56, v[1:4]
.LBB373_37:                             ;   in Loop: Header=BB373_15 Depth=1
	s_or_b32 exec_lo, exec_lo, s41
	ds_bpermute_b32 v2, v51, v17
	ds_bpermute_b32 v3, v51, v18
	;; [unrolled: 1-line block ×4, first 2 shown]
	s_waitcnt lgkmcnt(0)
	s_barrier
	buffer_gl0_inv
	v_add_f64 v[2:3], v[17:18], v[2:3]
	v_add_f64 v[17:18], v[19:20], v[36:37]
	ds_bpermute_b32 v19, v52, v2
	ds_bpermute_b32 v20, v52, v3
	ds_bpermute_b32 v36, v52, v17
	ds_bpermute_b32 v37, v52, v18
	s_waitcnt lgkmcnt(2)
	v_add_f64 v[2:3], v[2:3], v[19:20]
	s_waitcnt lgkmcnt(0)
	v_add_f64 v[17:18], v[17:18], v[36:37]
	ds_bpermute_b32 v19, v53, v2
	ds_bpermute_b32 v20, v53, v3
	ds_bpermute_b32 v36, v53, v17
	ds_bpermute_b32 v37, v53, v18
	s_waitcnt lgkmcnt(2)
	v_add_f64 v[2:3], v[2:3], v[19:20]
	s_waitcnt lgkmcnt(0)
	v_add_f64 v[17:18], v[17:18], v[36:37]
	ds_bpermute_b32 v19, v54, v2
	ds_bpermute_b32 v20, v54, v3
	ds_bpermute_b32 v36, v54, v17
	ds_bpermute_b32 v37, v54, v18
	s_waitcnt lgkmcnt(2)
	v_add_f64 v[2:3], v[2:3], v[19:20]
	s_waitcnt lgkmcnt(0)
	v_add_f64 v[19:20], v[17:18], v[36:37]
	ds_bpermute_b32 v17, v55, v2
	ds_bpermute_b32 v18, v55, v3
	;; [unrolled: 1-line block ×4, first 2 shown]
	s_and_saveexec_b32 s41, s10
	s_cbranch_execz .LBB373_39
; %bb.38:                               ;   in Loop: Header=BB373_15 Depth=1
	s_waitcnt lgkmcnt(0)
	v_add_f64 v[19:20], v[19:20], v[36:37]
	v_add_f64 v[17:18], v[2:3], v[17:18]
	ds_write_b128 v57, v[17:20]
.LBB373_39:                             ;   in Loop: Header=BB373_15 Depth=1
	s_or_b32 exec_lo, exec_lo, s41
	v_mov_b32_e32 v19, 0
	s_waitcnt lgkmcnt(2)
	v_mov_b32_e32 v17, 0
	v_mov_b32_e32 v20, 0
	;; [unrolled: 1-line block ×3, first 2 shown]
	s_waitcnt lgkmcnt(0)
	s_barrier
	buffer_gl0_inv
	s_and_saveexec_b32 s41, s5
	s_cbranch_execnz .LBB373_55
; %bb.40:                               ;   in Loop: Header=BB373_15 Depth=1
	s_or_b32 exec_lo, exec_lo, s41
	s_and_saveexec_b32 s41, s4
	s_cbranch_execnz .LBB373_56
.LBB373_41:                             ;   in Loop: Header=BB373_15 Depth=1
	s_or_b32 exec_lo, exec_lo, s41
	s_and_saveexec_b32 s41, s11
	s_cbranch_execz .LBB373_14
	s_branch .LBB373_57
.LBB373_42:                             ;   in Loop: Header=BB373_15 Depth=1
	flat_load_dwordx4 v[8:11], v[26:27]
	s_mul_i32 s42, s7, s21
	s_mul_hi_u32 s43, s7, s20
	s_waitcnt vmcnt(0) lgkmcnt(0)
	buffer_store_dword v11, off, s[0:3], 0 offset:12
	buffer_store_dword v10, off, s[0:3], 0 offset:8
	buffer_store_dword v9, off, s[0:3], 0 offset:4
	buffer_store_dword v8, off, s[0:3], 0
	flat_load_dwordx4 v[2:5], v[28:29]
	s_add_i32 s43, s43, s42
	s_mul_i32 s42, s7, s20
	s_waitcnt vmcnt(0) lgkmcnt(0)
	buffer_store_dword v5, v40, s[0:3], 0 offen offset:12
	buffer_store_dword v4, v40, s[0:3], 0 offen offset:8
	;; [unrolled: 1-line block ×3, first 2 shown]
	buffer_store_dword v2, v40, s[0:3], 0 offen
	flat_load_dwordx4 v[2:5], v[30:31]
	s_lshl_b64 s[42:43], s[42:43], 4
	s_waitcnt vmcnt(0) lgkmcnt(0)
	buffer_store_dword v5, v41, s[0:3], 0 offen offset:12
	buffer_store_dword v4, v41, s[0:3], 0 offen offset:8
	;; [unrolled: 1-line block ×3, first 2 shown]
	buffer_store_dword v2, v41, s[0:3], 0 offen
	flat_load_dwordx4 v[2:5], v[32:33]
	s_waitcnt vmcnt(0) lgkmcnt(0)
	buffer_store_dword v5, v42, s[0:3], 0 offen offset:12
	buffer_store_dword v4, v42, s[0:3], 0 offen offset:8
	;; [unrolled: 1-line block ×3, first 2 shown]
	buffer_store_dword v2, v42, s[0:3], 0 offen
	v_add_co_u32 v2, vcc_lo, v21, s42
	v_add_co_ci_u32_e64 v3, null, s43, v22, vcc_lo
	s_or_b32 s42, s7, 1
	s_mul_i32 s43, s42, s21
	flat_load_dwordx4 v[4:7], v[2:3]
	s_mul_hi_u32 s44, s42, s20
	s_mul_i32 s42, s42, s20
	s_add_i32 s43, s44, s43
	s_lshl_b64 s[42:43], s[42:43], 4
	s_waitcnt vmcnt(0) lgkmcnt(0)
	v_mul_f64 v[12:13], v[10:11], v[6:7]
	v_mul_f64 v[6:7], v[8:9], v[6:7]
	v_fma_f64 v[12:13], v[8:9], v[4:5], v[12:13]
	v_fma_f64 v[4:5], v[10:11], v[4:5], -v[6:7]
	v_add_f64 v[19:20], v[12:13], 0
	v_add_f64 v[36:37], v[4:5], 0
	v_add_co_u32 v4, vcc_lo, v21, s42
	v_add_co_ci_u32_e64 v5, null, s43, v22, vcc_lo
	s_or_b32 s42, s7, 2
	s_mul_i32 s43, s42, s21
	flat_load_dwordx4 v[12:15], v[4:5]
	s_mul_hi_u32 s44, s42, s20
	s_mul_i32 s42, s42, s20
	s_add_i32 s43, s44, s43
	s_lshl_b64 s[42:43], s[42:43], 4
	s_waitcnt vmcnt(0) lgkmcnt(0)
	v_mul_f64 v[6:7], v[10:11], v[14:15]
	v_mul_f64 v[14:15], v[8:9], v[14:15]
	v_fma_f64 v[6:7], v[8:9], v[12:13], v[6:7]
	v_fma_f64 v[12:13], v[10:11], v[12:13], -v[14:15]
	v_add_f64 v[38:39], v[6:7], 0
	v_add_co_u32 v6, vcc_lo, v21, s42
	v_add_co_ci_u32_e64 v7, null, s43, v22, vcc_lo
	v_add_f64 v[58:59], v[12:13], 0
	s_or_b32 s42, s7, 3
	flat_load_dwordx4 v[12:15], v[6:7]
	s_mul_i32 s43, s42, s21
	s_mul_hi_u32 s44, s42, s20
	s_mul_i32 s42, s42, s20
	s_add_i32 s43, s44, s43
	s_lshl_b64 s[42:43], s[42:43], 4
	s_waitcnt vmcnt(0) lgkmcnt(0)
	v_mul_f64 v[16:17], v[10:11], v[14:15]
	v_mul_f64 v[14:15], v[8:9], v[14:15]
	v_fma_f64 v[16:17], v[8:9], v[12:13], v[16:17]
	v_fma_f64 v[12:13], v[10:11], v[12:13], -v[14:15]
	v_add_f64 v[60:61], v[16:17], 0
	v_add_co_u32 v17, vcc_lo, v21, s42
	v_add_co_ci_u32_e64 v18, null, s43, v22, vcc_lo
	v_add_f64 v[62:63], v[12:13], 0
	flat_load_dwordx4 v[12:15], v[17:18]
	s_waitcnt vmcnt(0) lgkmcnt(0)
	v_mul_f64 v[64:65], v[10:11], v[14:15]
	v_fma_f64 v[64:65], v[8:9], v[12:13], v[64:65]
	v_mul_f64 v[8:9], v[8:9], v[14:15]
	v_fma_f64 v[8:9], v[10:11], v[12:13], -v[8:9]
	v_add_f64 v[12:13], v[64:65], 0
	s_clause 0x3
	buffer_load_dword v64, off, s[0:3], 0 offset:16
	buffer_load_dword v65, off, s[0:3], 0 offset:20
	;; [unrolled: 1-line block ×4, first 2 shown]
	v_add_f64 v[14:15], v[8:9], 0
	flat_load_dwordx4 v[8:11], v[2:3] offset:16
	s_waitcnt vmcnt(0) lgkmcnt(0)
	v_mul_f64 v[68:69], v[66:67], v[10:11]
	v_mul_f64 v[10:11], v[64:65], v[10:11]
	v_fma_f64 v[68:69], v[64:65], v[8:9], v[68:69]
	v_fma_f64 v[8:9], v[66:67], v[8:9], -v[10:11]
	v_add_f64 v[19:20], v[19:20], v[68:69]
	v_add_f64 v[36:37], v[36:37], v[8:9]
	flat_load_dwordx4 v[8:11], v[4:5] offset:16
	s_waitcnt vmcnt(0) lgkmcnt(0)
	v_mul_f64 v[68:69], v[66:67], v[10:11]
	v_mul_f64 v[10:11], v[64:65], v[10:11]
	v_fma_f64 v[68:69], v[64:65], v[8:9], v[68:69]
	v_fma_f64 v[8:9], v[66:67], v[8:9], -v[10:11]
	v_add_f64 v[38:39], v[38:39], v[68:69]
	;; [unrolled: 8-line block ×3, first 2 shown]
	v_add_f64 v[62:63], v[62:63], v[8:9]
	flat_load_dwordx4 v[8:11], v[17:18] offset:16
	s_waitcnt vmcnt(0) lgkmcnt(0)
	v_mul_f64 v[68:69], v[66:67], v[10:11]
	v_mul_f64 v[10:11], v[64:65], v[10:11]
	v_fma_f64 v[68:69], v[64:65], v[8:9], v[68:69]
	v_fma_f64 v[8:9], v[66:67], v[8:9], -v[10:11]
	s_clause 0x3
	buffer_load_dword v64, off, s[0:3], 0 offset:32
	buffer_load_dword v65, off, s[0:3], 0 offset:36
	;; [unrolled: 1-line block ×4, first 2 shown]
	v_add_f64 v[12:13], v[12:13], v[68:69]
	v_add_f64 v[14:15], v[14:15], v[8:9]
	flat_load_dwordx4 v[8:11], v[2:3] offset:32
	s_waitcnt vmcnt(0) lgkmcnt(0)
	v_mul_f64 v[68:69], v[66:67], v[10:11]
	v_mul_f64 v[10:11], v[64:65], v[10:11]
	v_fma_f64 v[68:69], v[64:65], v[8:9], v[68:69]
	v_fma_f64 v[8:9], v[66:67], v[8:9], -v[10:11]
	v_add_f64 v[19:20], v[19:20], v[68:69]
	v_add_f64 v[36:37], v[36:37], v[8:9]
	flat_load_dwordx4 v[8:11], v[4:5] offset:32
	s_waitcnt vmcnt(0) lgkmcnt(0)
	v_mul_f64 v[68:69], v[66:67], v[10:11]
	v_mul_f64 v[10:11], v[64:65], v[10:11]
	v_fma_f64 v[68:69], v[64:65], v[8:9], v[68:69]
	v_fma_f64 v[8:9], v[66:67], v[8:9], -v[10:11]
	;; [unrolled: 8-line block ×3, first 2 shown]
	v_add_f64 v[60:61], v[60:61], v[38:39]
	v_add_f64 v[62:63], v[62:63], v[8:9]
	flat_load_dwordx4 v[8:11], v[17:18] offset:32
	s_clause 0x3
	buffer_load_dword v70, off, s[0:3], 0 offset:48
	buffer_load_dword v71, off, s[0:3], 0 offset:52
	;; [unrolled: 1-line block ×4, first 2 shown]
	s_waitcnt vmcnt(4) lgkmcnt(0)
	v_mul_f64 v[38:39], v[66:67], v[10:11]
	v_mul_f64 v[10:11], v[64:65], v[10:11]
	v_fma_f64 v[38:39], v[64:65], v[8:9], v[38:39]
	v_fma_f64 v[8:9], v[66:67], v[8:9], -v[10:11]
	v_add_f64 v[64:65], v[12:13], v[38:39]
	v_add_f64 v[66:67], v[14:15], v[8:9]
	flat_load_dwordx4 v[8:11], v[2:3] offset:48
	s_waitcnt vmcnt(0) lgkmcnt(0)
	v_mul_f64 v[2:3], v[72:73], v[10:11]
	v_mul_f64 v[10:11], v[70:71], v[10:11]
	v_fma_f64 v[2:3], v[70:71], v[8:9], v[2:3]
	v_fma_f64 v[8:9], v[72:73], v[8:9], -v[10:11]
	v_add_f64 v[38:39], v[19:20], v[2:3]
	flat_load_dwordx4 v[2:5], v[4:5] offset:48
	v_add_f64 v[36:37], v[36:37], v[8:9]
	s_waitcnt vmcnt(0) lgkmcnt(0)
	v_mul_f64 v[8:9], v[72:73], v[4:5]
	v_mul_f64 v[4:5], v[70:71], v[4:5]
	v_fma_f64 v[8:9], v[70:71], v[2:3], v[8:9]
	v_fma_f64 v[2:3], v[72:73], v[2:3], -v[4:5]
	v_add_f64 v[9:10], v[68:69], v[8:9]
	v_add_f64 v[11:12], v[58:59], v[2:3]
	flat_load_dwordx4 v[2:5], v[6:7] offset:48
	s_waitcnt vmcnt(0) lgkmcnt(0)
	v_mul_f64 v[6:7], v[72:73], v[4:5]
	v_mul_f64 v[4:5], v[70:71], v[4:5]
	v_fma_f64 v[6:7], v[70:71], v[2:3], v[6:7]
	v_fma_f64 v[2:3], v[72:73], v[2:3], -v[4:5]
	v_add_f64 v[13:14], v[60:61], v[6:7]
	v_add_f64 v[15:16], v[62:63], v[2:3]
	flat_load_dwordx4 v[2:5], v[17:18] offset:48
	s_waitcnt vmcnt(0) lgkmcnt(0)
	v_mul_f64 v[6:7], v[72:73], v[4:5]
	v_mul_f64 v[4:5], v[70:71], v[4:5]
	v_fma_f64 v[6:7], v[70:71], v[2:3], v[6:7]
	v_fma_f64 v[2:3], v[72:73], v[2:3], -v[4:5]
	v_add_f64 v[17:18], v[64:65], v[6:7]
	v_add_f64 v[19:20], v[66:67], v[2:3]
	s_andn2_saveexec_b32 s41, s41
	s_cbranch_execz .LBB373_17
.LBB373_43:                             ;   in Loop: Header=BB373_15 Depth=1
	s_waitcnt lgkmcnt(0)
	v_mov_b32_e32 v17, 0
	v_mov_b32_e32 v19, 0
	;; [unrolled: 1-line block ×16, first 2 shown]
	s_and_saveexec_b32 s42, s9
	s_cbranch_execz .LBB373_59
; %bb.44:                               ;   in Loop: Header=BB373_15 Depth=1
	s_andn2_b32 vcc_lo, exec_lo, s38
	s_cbranch_vccnz .LBB373_58
; %bb.45:                               ;   in Loop: Header=BB373_15 Depth=1
	v_mov_b32_e32 v2, v26
	v_mov_b32_e32 v3, v27
	s_mov_b32 s43, 0
	s_mov_b32 s44, s19
	.p2align	6
.LBB373_46:                             ;   Parent Loop BB373_15 Depth=1
                                        ; =>  This Inner Loop Header: Depth=2
	flat_load_dwordx4 v[4:7], v[2:3]
	v_add_co_u32 v2, vcc_lo, v2, s28
	v_mov_b32_e32 v8, s43
	v_add_co_ci_u32_e64 v3, null, s29, v3, vcc_lo
	s_add_i32 s44, s44, -1
	s_add_i32 s43, s43, 16
	s_cmp_eq_u32 s44, 0
	s_waitcnt vmcnt(0) lgkmcnt(0)
	buffer_store_dword v7, v8, s[0:3], 0 offen offset:12
	buffer_store_dword v6, v8, s[0:3], 0 offen offset:8
	;; [unrolled: 1-line block ×3, first 2 shown]
	buffer_store_dword v4, v8, s[0:3], 0 offen
	s_cbranch_scc0 .LBB373_46
; %bb.47:                               ;   in Loop: Header=BB373_15 Depth=1
	v_mov_b32_e32 v36, 0
	v_mov_b32_e32 v38, 0
	;; [unrolled: 1-line block ×18, first 2 shown]
	s_mov_b32 s43, 0
	s_mov_b32 s44, s19
.LBB373_48:                             ;   Parent Loop BB373_15 Depth=1
                                        ; =>  This Inner Loop Header: Depth=2
	v_mov_b32_e32 v4, s43
	s_add_i32 s44, s44, -1
	s_add_i32 s43, s43, 16
	s_cmp_lg_u32 s44, 0
	s_clause 0x3
	buffer_load_dword v58, v4, s[0:3], 0 offen
	buffer_load_dword v59, v4, s[0:3], 0 offen offset:4
	buffer_load_dword v60, v4, s[0:3], 0 offen offset:8
	;; [unrolled: 1-line block ×3, first 2 shown]
	flat_load_dwordx4 v[4:7], v[2:3]
	s_waitcnt vmcnt(0) lgkmcnt(0)
	v_mul_f64 v[62:63], v[60:61], v[6:7]
	v_mul_f64 v[6:7], v[58:59], v[6:7]
	v_fma_f64 v[62:63], v[58:59], v[4:5], v[62:63]
	v_fma_f64 v[4:5], v[60:61], v[4:5], -v[6:7]
	v_add_f64 v[38:39], v[38:39], v[62:63]
	v_add_co_u32 v62, vcc_lo, v2, s34
	v_add_co_ci_u32_e64 v63, null, s35, v3, vcc_lo
	v_add_f64 v[36:37], v[36:37], v[4:5]
	flat_load_dwordx4 v[4:7], v[62:63]
	v_add_co_u32 v62, vcc_lo, v62, s34
	v_add_co_ci_u32_e64 v63, null, s35, v63, vcc_lo
	s_waitcnt vmcnt(0) lgkmcnt(0)
	v_mul_f64 v[64:65], v[60:61], v[6:7]
	v_mul_f64 v[6:7], v[58:59], v[6:7]
	v_fma_f64 v[64:65], v[58:59], v[4:5], v[64:65]
	v_fma_f64 v[4:5], v[60:61], v[4:5], -v[6:7]
	v_add_f64 v[9:10], v[9:10], v[64:65]
	v_add_f64 v[11:12], v[11:12], v[4:5]
	flat_load_dwordx4 v[4:7], v[62:63]
	s_waitcnt vmcnt(0) lgkmcnt(0)
	v_mul_f64 v[64:65], v[60:61], v[6:7]
	v_mul_f64 v[6:7], v[58:59], v[6:7]
	v_fma_f64 v[64:65], v[58:59], v[4:5], v[64:65]
	v_fma_f64 v[4:5], v[60:61], v[4:5], -v[6:7]
	v_add_f64 v[13:14], v[13:14], v[64:65]
	v_add_f64 v[15:16], v[15:16], v[4:5]
	v_add_co_u32 v4, vcc_lo, v62, s34
	v_add_co_ci_u32_e64 v5, null, s35, v63, vcc_lo
	v_add_co_u32 v2, vcc_lo, v2, 16
	v_add_co_ci_u32_e64 v3, null, 0, v3, vcc_lo
	flat_load_dwordx4 v[4:7], v[4:5]
	s_waitcnt vmcnt(0) lgkmcnt(0)
	v_mul_f64 v[62:63], v[60:61], v[6:7]
	v_mul_f64 v[6:7], v[58:59], v[6:7]
	v_fma_f64 v[62:63], v[58:59], v[4:5], v[62:63]
	v_fma_f64 v[4:5], v[60:61], v[4:5], -v[6:7]
	v_add_f64 v[17:18], v[17:18], v[62:63]
	v_add_f64 v[19:20], v[19:20], v[4:5]
	s_cbranch_scc1 .LBB373_48
	s_branch .LBB373_59
.LBB373_49:                             ;   in Loop: Header=BB373_15 Depth=1
	ds_read_b128 v[5:8], v56
	s_or_b32 exec_lo, exec_lo, s41
	s_and_saveexec_b32 s41, s4
	s_cbranch_execz .LBB373_23
.LBB373_50:                             ;   in Loop: Header=BB373_15 Depth=1
	s_waitcnt lgkmcnt(0)
	ds_bpermute_b32 v2, v53, v5
	ds_bpermute_b32 v3, v53, v6
	ds_bpermute_b32 v36, v53, v7
	ds_bpermute_b32 v37, v53, v8
	s_waitcnt lgkmcnt(2)
	v_add_f64 v[2:3], v[5:6], v[2:3]
	s_waitcnt lgkmcnt(0)
	v_add_f64 v[4:5], v[7:8], v[36:37]
	ds_bpermute_b32 v6, v54, v2
	ds_bpermute_b32 v7, v54, v3
	ds_bpermute_b32 v36, v54, v4
	ds_bpermute_b32 v37, v54, v5
	s_waitcnt lgkmcnt(2)
	v_add_f64 v[2:3], v[2:3], v[6:7]
	s_waitcnt lgkmcnt(0)
	v_add_f64 v[7:8], v[4:5], v[36:37]
	;; [unrolled: 8-line block ×3, first 2 shown]
	s_or_b32 exec_lo, exec_lo, s41
	s_and_saveexec_b32 s41, s4
	s_cbranch_execnz .LBB373_24
	s_branch .LBB373_25
.LBB373_51:                             ;   in Loop: Header=BB373_15 Depth=1
	ds_read_b128 v[9:12], v56
	s_or_b32 exec_lo, exec_lo, s41
	s_and_saveexec_b32 s41, s4
	s_cbranch_execz .LBB373_29
.LBB373_52:                             ;   in Loop: Header=BB373_15 Depth=1
	s_waitcnt lgkmcnt(0)
	ds_bpermute_b32 v2, v53, v9
	ds_bpermute_b32 v3, v53, v10
	ds_bpermute_b32 v36, v53, v11
	ds_bpermute_b32 v37, v53, v12
	s_waitcnt lgkmcnt(2)
	v_add_f64 v[2:3], v[9:10], v[2:3]
	s_waitcnt lgkmcnt(0)
	v_add_f64 v[9:10], v[11:12], v[36:37]
	ds_bpermute_b32 v11, v54, v2
	ds_bpermute_b32 v12, v54, v3
	ds_bpermute_b32 v36, v54, v9
	ds_bpermute_b32 v37, v54, v10
	s_waitcnt lgkmcnt(2)
	v_add_f64 v[2:3], v[2:3], v[11:12]
	s_waitcnt lgkmcnt(0)
	v_add_f64 v[11:12], v[9:10], v[36:37]
	;; [unrolled: 8-line block ×3, first 2 shown]
	s_or_b32 exec_lo, exec_lo, s41
	s_and_saveexec_b32 s41, s4
	s_cbranch_execnz .LBB373_30
	s_branch .LBB373_31
.LBB373_53:                             ;   in Loop: Header=BB373_15 Depth=1
	ds_read_b128 v[13:16], v56
	s_or_b32 exec_lo, exec_lo, s41
	s_and_saveexec_b32 s41, s4
	s_cbranch_execz .LBB373_35
.LBB373_54:                             ;   in Loop: Header=BB373_15 Depth=1
	s_waitcnt lgkmcnt(0)
	ds_bpermute_b32 v2, v53, v13
	ds_bpermute_b32 v3, v53, v14
	ds_bpermute_b32 v36, v53, v15
	ds_bpermute_b32 v37, v53, v16
	s_waitcnt lgkmcnt(2)
	v_add_f64 v[2:3], v[13:14], v[2:3]
	s_waitcnt lgkmcnt(0)
	v_add_f64 v[13:14], v[15:16], v[36:37]
	ds_bpermute_b32 v15, v54, v2
	ds_bpermute_b32 v16, v54, v3
	ds_bpermute_b32 v36, v54, v13
	ds_bpermute_b32 v37, v54, v14
	s_waitcnt lgkmcnt(2)
	v_add_f64 v[2:3], v[2:3], v[15:16]
	s_waitcnt lgkmcnt(0)
	v_add_f64 v[15:16], v[13:14], v[36:37]
	;; [unrolled: 8-line block ×3, first 2 shown]
	s_or_b32 exec_lo, exec_lo, s41
	s_and_saveexec_b32 s41, s4
	s_cbranch_execnz .LBB373_36
	s_branch .LBB373_37
.LBB373_55:                             ;   in Loop: Header=BB373_15 Depth=1
	ds_read_b128 v[17:20], v56
	s_or_b32 exec_lo, exec_lo, s41
	s_and_saveexec_b32 s41, s4
	s_cbranch_execz .LBB373_41
.LBB373_56:                             ;   in Loop: Header=BB373_15 Depth=1
	s_waitcnt lgkmcnt(0)
	ds_bpermute_b32 v2, v53, v17
	ds_bpermute_b32 v3, v53, v18
	ds_bpermute_b32 v36, v53, v19
	ds_bpermute_b32 v37, v53, v20
	s_waitcnt lgkmcnt(2)
	v_add_f64 v[2:3], v[17:18], v[2:3]
	s_waitcnt lgkmcnt(0)
	v_add_f64 v[17:18], v[19:20], v[36:37]
	ds_bpermute_b32 v19, v54, v2
	ds_bpermute_b32 v20, v54, v3
	ds_bpermute_b32 v36, v54, v17
	ds_bpermute_b32 v37, v54, v18
	s_waitcnt lgkmcnt(2)
	v_add_f64 v[2:3], v[2:3], v[19:20]
	s_waitcnt lgkmcnt(0)
	v_add_f64 v[19:20], v[17:18], v[36:37]
	;; [unrolled: 8-line block ×3, first 2 shown]
	s_or_b32 exec_lo, exec_lo, s41
	s_and_saveexec_b32 s41, s11
	s_cbranch_execz .LBB373_14
.LBB373_57:                             ;   in Loop: Header=BB373_15 Depth=1
	v_mul_f64 v[2:3], s[14:15], v[7:8]
	v_mul_f64 v[7:8], s[12:13], v[7:8]
	;; [unrolled: 1-line block ×6, first 2 shown]
	s_waitcnt lgkmcnt(0)
	v_mul_f64 v[58:59], s[14:15], v[19:20]
	v_mul_f64 v[19:20], s[12:13], v[19:20]
	s_mul_hi_u32 s43, s7, s18
	s_mul_i32 s42, s7, s18
	s_lshl_b64 s[42:43], s[42:43], 4
	s_add_u32 s42, s39, s42
	s_addc_u32 s43, s40, s43
	s_or_b32 s44, s7, 1
	s_mul_hi_u32 s45, s44, s18
	s_mul_i32 s44, s44, s18
	s_lshl_b64 s[44:45], s[44:45], 4
	s_add_u32 s44, s39, s44
	v_fma_f64 v[2:3], s[12:13], v[5:6], -v[2:3]
	v_fma_f64 v[4:5], s[14:15], v[5:6], v[7:8]
	v_fma_f64 v[6:7], s[12:13], v[9:10], -v[36:37]
	v_fma_f64 v[8:9], s[14:15], v[9:10], v[11:12]
	;; [unrolled: 2-line block ×4, first 2 shown]
	s_addc_u32 s45, s40, s45
	s_or_b32 s46, s7, 2
	s_mul_hi_u32 s47, s46, s18
	s_mul_i32 s46, s46, s18
	s_lshl_b64 s[46:47], s[46:47], 4
	s_add_u32 s46, s39, s46
	s_addc_u32 s47, s40, s47
	s_or_b32 s48, s7, 3
	s_mul_hi_u32 s49, s48, s18
	s_mul_i32 s48, s48, s18
	s_lshl_b64 s[48:49], s[48:49], 4
	s_add_u32 s48, s39, s48
	s_addc_u32 s49, s40, s49
	global_store_dwordx4 v1, v[2:5], s[42:43]
	global_store_dwordx4 v1, v[6:9], s[44:45]
	;; [unrolled: 1-line block ×4, first 2 shown]
	s_branch .LBB373_14
.LBB373_58:                             ;   in Loop: Header=BB373_15 Depth=1
	v_mov_b32_e32 v17, 0
	v_mov_b32_e32 v19, 0
	;; [unrolled: 1-line block ×16, first 2 shown]
.LBB373_59:                             ;   in Loop: Header=BB373_15 Depth=1
	s_or_b32 exec_lo, exec_lo, s42
	s_or_b32 exec_lo, exec_lo, s41
	s_and_saveexec_b32 s41, s4
	s_cbranch_execnz .LBB373_18
	s_branch .LBB373_19
.LBB373_60:
	s_mov_b32 s7, 0
.LBB373_61:
	s_cmp_ge_i32 s7, s17
	s_cbranch_scc1 .LBB373_83
; %bb.62:
	v_cmp_gt_u32_e64 s5, 24, v47
	v_cmp_gt_u32_e64 s4, 32, v0
	;; [unrolled: 1-line block ×3, first 2 shown]
	s_mov_b32 s10, s6
	v_cmp_eq_u32_e64 s6, 0, v0
	v_cndmask_b32_e64 v1, 0, 8, s5
	v_cmp_gt_u32_e64 s5, 28, v47
	v_mad_i64_i32 v[7:8], null, s26, v44, 0
	s_cmp_gt_i32 s19, 0
	v_add_lshl_u32 v26, v1, v47, 2
	v_cndmask_b32_e64 v2, 0, 4, s5
	v_cmp_gt_u32_e64 s5, 30, v47
	s_mov_b32 s11, 0
	v_mad_i64_i32 v[9:10], null, s26, v43, 0
	v_add_lshl_u32 v27, v2, v47, 2
	v_cndmask_b32_e64 v3, 0, 2, s5
	v_cmp_ne_u32_e64 s5, 31, v47
	v_mad_i64_i32 v[1:2], null, s26, v25, 0
	s_cselect_b32 s29, -1, 0
	v_add_lshl_u32 v28, v3, v47, 2
	v_add_co_ci_u32_e64 v4, null, 0, v47, s5
	s_lshl_b64 s[10:11], s[10:11], 4
	v_cmp_ge_i32_e32 vcc_lo, s16, v49
	v_lshlrev_b64 v[0:1], 4, v[1:2]
	v_lshlrev_b32_e32 v29, 2, v4
	v_mad_i64_i32 v[3:4], null, s26, v48, 0
	v_cmp_ge_i32_e64 s9, s16, v50
	s_add_u32 s16, s33, s10
	v_add_co_u32 v5, s10, s24, v0
	v_add_co_ci_u32_e64 v6, null, s25, v1, s10
	v_lshlrev_b64 v[2:3], 4, v[3:4]
	v_lshlrev_b64 v[0:1], 4, v[7:8]
	s_addc_u32 s28, s36, s11
	s_mul_i32 s11, s21, s7
	s_mul_hi_u32 s30, s20, s7
	s_waitcnt lgkmcnt(0)
	v_lshlrev_b32_e32 v19, 4, v45
	v_add_co_u32 v7, s10, s24, v2
	v_add_co_ci_u32_e64 v8, null, s25, v3, s10
	v_lshlrev_b64 v[2:3], 4, v[9:10]
	v_add_co_u32 v9, s10, s24, v0
	v_add_co_ci_u32_e64 v10, null, s25, v1, s10
	s_add_i32 s11, s30, s11
	v_add_co_u32 v11, s10, s24, v2
	v_add_co_ci_u32_e64 v12, null, s25, v3, s10
	s_mul_i32 s10, s20, s7
	s_and_b32 s24, s29, s9
	s_lshl_b64 s[30:31], s[10:11], 4
	s_lshl_b64 s[10:11], s[26:27], 4
	s_add_u32 s9, s22, s30
	s_addc_u32 s22, s23, s31
	v_add_co_u32 v13, s9, s9, v23
	v_lshl_or_b32 v20, v47, 2, 64
	v_cmp_eq_u32_e64 s5, 0, v45
	v_and_b32_e32 v30, 0x70, v46
	v_add_co_ci_u32_e64 v14, null, s22, v24, s9
	v_mov_b32_e32 v0, 0
	s_lshl_b64 s[22:23], s[20:21], 4
	s_branch .LBB373_64
.LBB373_63:                             ;   in Loop: Header=BB373_64 Depth=1
	s_or_b32 exec_lo, exec_lo, s9
	v_add_co_u32 v13, s9, v13, s22
	v_add_co_ci_u32_e64 v14, null, s23, v14, s9
	s_add_i32 s7, s7, 1
	s_cmp_lt_i32 s7, s17
	s_cbranch_scc0 .LBB373_83
.LBB373_64:                             ; =>This Loop Header: Depth=1
                                        ;     Child Loop BB373_76 Depth 2
                                        ;     Child Loop BB373_78 Depth 2
                                        ; implicit-def: $vgpr15_vgpr16
                                        ; implicit-def: $vgpr17_vgpr18
	s_and_saveexec_b32 s9, vcc_lo
	s_xor_b32 s25, exec_lo, s9
	s_cbranch_execnz .LBB373_73
; %bb.65:                               ;   in Loop: Header=BB373_64 Depth=1
	s_andn2_saveexec_b32 s25, s25
	s_cbranch_execnz .LBB373_74
.LBB373_66:                             ;   in Loop: Header=BB373_64 Depth=1
	s_or_b32 exec_lo, exec_lo, s25
	s_and_saveexec_b32 s9, s4
	s_cbranch_execz .LBB373_68
.LBB373_67:                             ;   in Loop: Header=BB373_64 Depth=1
	s_waitcnt lgkmcnt(0)
	v_mov_b32_e32 v1, v0
	v_mov_b32_e32 v2, v0
	;; [unrolled: 1-line block ×3, first 2 shown]
	ds_write_b128 v19, v[0:3]
.LBB373_68:                             ;   in Loop: Header=BB373_64 Depth=1
	s_or_b32 exec_lo, exec_lo, s9
	s_waitcnt lgkmcnt(0)
	ds_bpermute_b32 v1, v20, v15
	ds_bpermute_b32 v2, v20, v16
	;; [unrolled: 1-line block ×4, first 2 shown]
	s_waitcnt lgkmcnt(0)
	s_waitcnt_vscnt null, 0x0
	s_barrier
	buffer_gl0_inv
	v_add_f64 v[1:2], v[15:16], v[1:2]
	v_add_f64 v[3:4], v[17:18], v[3:4]
	ds_bpermute_b32 v15, v26, v1
	ds_bpermute_b32 v16, v26, v2
	ds_bpermute_b32 v17, v26, v3
	ds_bpermute_b32 v18, v26, v4
	s_waitcnt lgkmcnt(2)
	v_add_f64 v[1:2], v[1:2], v[15:16]
	s_waitcnt lgkmcnt(0)
	v_add_f64 v[3:4], v[3:4], v[17:18]
	ds_bpermute_b32 v15, v27, v1
	ds_bpermute_b32 v16, v27, v2
	ds_bpermute_b32 v17, v27, v3
	ds_bpermute_b32 v18, v27, v4
	s_waitcnt lgkmcnt(2)
	v_add_f64 v[1:2], v[1:2], v[15:16]
	s_waitcnt lgkmcnt(0)
	;; [unrolled: 8-line block ×3, first 2 shown]
	v_add_f64 v[15:16], v[3:4], v[17:18]
	ds_bpermute_b32 v3, v29, v1
	ds_bpermute_b32 v4, v29, v2
	;; [unrolled: 1-line block ×4, first 2 shown]
	s_and_saveexec_b32 s9, s5
	s_cbranch_execz .LBB373_70
; %bb.69:                               ;   in Loop: Header=BB373_64 Depth=1
	s_waitcnt lgkmcnt(0)
	v_add_f64 v[17:18], v[15:16], v[17:18]
	v_add_f64 v[15:16], v[1:2], v[3:4]
	ds_write_b128 v30, v[15:18]
.LBB373_70:                             ;   in Loop: Header=BB373_64 Depth=1
	s_or_b32 exec_lo, exec_lo, s9
	s_waitcnt lgkmcnt(2)
	v_mov_b32_e32 v3, 0
	v_mov_b32_e32 v1, 0
	v_mov_b32_e32 v4, 0
	v_mov_b32_e32 v2, 0
	s_waitcnt lgkmcnt(0)
	s_barrier
	buffer_gl0_inv
	s_and_saveexec_b32 s9, s8
	s_cbranch_execnz .LBB373_80
; %bb.71:                               ;   in Loop: Header=BB373_64 Depth=1
	s_or_b32 exec_lo, exec_lo, s9
	s_and_saveexec_b32 s9, s4
	s_cbranch_execnz .LBB373_81
.LBB373_72:                             ;   in Loop: Header=BB373_64 Depth=1
	s_or_b32 exec_lo, exec_lo, s9
	s_and_saveexec_b32 s9, s6
	s_cbranch_execz .LBB373_63
	s_branch .LBB373_82
.LBB373_73:                             ;   in Loop: Header=BB373_64 Depth=1
	s_waitcnt lgkmcnt(0)
	s_clause 0x2
	flat_load_dwordx4 v[1:4], v[7:8]
	flat_load_dwordx4 v[15:18], v[9:10]
	;; [unrolled: 1-line block ×3, first 2 shown]
	s_mul_i32 s9, s7, s21
	s_mul_hi_u32 s27, s7, s20
	s_mul_i32 s26, s7, s20
	s_add_i32 s27, s27, s9
	s_lshl_b64 s[26:27], s[26:27], 4
	v_add_co_u32 v23, s9, v21, s26
	v_add_co_ci_u32_e64 v24, null, s27, v22, s9
	flat_load_dwordx4 v[35:38], v[5:6]
	s_clause 0x1
	flat_load_dwordx4 v[43:46], v[23:24]
	flat_load_dwordx4 v[47:50], v[23:24] offset:16
	s_waitcnt vmcnt(5) lgkmcnt(5)
	buffer_store_dword v4, v40, s[0:3], 0 offen offset:12
	buffer_store_dword v3, v40, s[0:3], 0 offen offset:8
	;; [unrolled: 1-line block ×3, first 2 shown]
	buffer_store_dword v1, v40, s[0:3], 0 offen
	s_waitcnt vmcnt(4) lgkmcnt(4)
	buffer_store_dword v18, v41, s[0:3], 0 offen offset:12
	buffer_store_dword v17, v41, s[0:3], 0 offen offset:8
	;; [unrolled: 1-line block ×3, first 2 shown]
	buffer_store_dword v15, v41, s[0:3], 0 offen
	s_clause 0x7
	buffer_load_dword v51, off, s[0:3], 0 offset:16
	buffer_load_dword v54, off, s[0:3], 0 offset:28
	;; [unrolled: 1-line block ×8, first 2 shown]
	s_clause 0x1
	flat_load_dwordx4 v[1:4], v[23:24] offset:32
	flat_load_dwordx4 v[15:18], v[23:24] offset:48
	s_waitcnt vmcnt(13) lgkmcnt(5)
	buffer_store_dword v34, v42, s[0:3], 0 offen offset:12
	buffer_store_dword v33, v42, s[0:3], 0 offen offset:8
	;; [unrolled: 1-line block ×3, first 2 shown]
	buffer_store_dword v31, v42, s[0:3], 0 offen
	s_clause 0x3
	buffer_load_dword v23, off, s[0:3], 0 offset:48
	buffer_load_dword v32, off, s[0:3], 0 offset:60
	;; [unrolled: 1-line block ×4, first 2 shown]
	s_waitcnt vmcnt(16) lgkmcnt(4)
	buffer_store_dword v38, off, s[0:3], 0 offset:12
	buffer_store_dword v37, off, s[0:3], 0 offset:8
	;; [unrolled: 1-line block ×3, first 2 shown]
	buffer_store_dword v35, off, s[0:3], 0
	s_waitcnt vmcnt(15) lgkmcnt(3)
	v_mul_f64 v[33:34], v[45:46], v[37:38]
	v_mul_f64 v[45:46], v[45:46], v[35:36]
	v_fma_f64 v[33:34], v[43:44], v[35:36], v[33:34]
	v_fma_f64 v[43:44], v[43:44], v[37:38], -v[45:46]
	v_add_f64 v[33:34], v[33:34], 0
	v_add_f64 v[43:44], v[43:44], 0
	s_waitcnt vmcnt(8) lgkmcnt(2)
	v_mul_f64 v[45:46], v[49:50], v[53:54]
	s_waitcnt vmcnt(7)
	v_mul_f64 v[49:50], v[49:50], v[51:52]
	s_waitcnt vmcnt(5) lgkmcnt(1)
	v_mul_f64 v[59:60], v[3:4], v[57:58]
	v_mul_f64 v[3:4], v[3:4], v[55:56]
	v_fma_f64 v[45:46], v[47:48], v[51:52], v[45:46]
	v_fma_f64 v[47:48], v[47:48], v[53:54], -v[49:50]
	s_waitcnt vmcnt(1) lgkmcnt(0)
	v_mul_f64 v[49:50], v[17:18], v[31:32]
	s_waitcnt vmcnt(0)
	v_mul_f64 v[17:18], v[17:18], v[23:24]
	v_fma_f64 v[51:52], v[1:2], v[55:56], v[59:60]
	v_fma_f64 v[1:2], v[1:2], v[57:58], -v[3:4]
	v_add_f64 v[3:4], v[33:34], v[45:46]
	v_add_f64 v[33:34], v[43:44], v[47:48]
	v_fma_f64 v[23:24], v[15:16], v[23:24], v[49:50]
	v_fma_f64 v[17:18], v[15:16], v[31:32], -v[17:18]
	v_add_f64 v[3:4], v[3:4], v[51:52]
	v_add_f64 v[1:2], v[33:34], v[1:2]
	;; [unrolled: 1-line block ×4, first 2 shown]
	s_andn2_saveexec_b32 s25, s25
	s_cbranch_execz .LBB373_66
.LBB373_74:                             ;   in Loop: Header=BB373_64 Depth=1
	v_mov_b32_e32 v15, 0
	v_mov_b32_e32 v17, 0
	;; [unrolled: 1-line block ×4, first 2 shown]
	s_and_saveexec_b32 s26, s24
	s_cbranch_execz .LBB373_79
; %bb.75:                               ;   in Loop: Header=BB373_64 Depth=1
	s_waitcnt lgkmcnt(0)
	v_mov_b32_e32 v1, v5
	v_mov_b32_e32 v2, v6
	s_mov_b32 s27, 0
	s_mov_b32 s29, s19
	.p2align	6
.LBB373_76:                             ;   Parent Loop BB373_64 Depth=1
                                        ; =>  This Inner Loop Header: Depth=2
	flat_load_dwordx4 v[15:18], v[1:2]
	v_add_co_u32 v1, s9, v1, s10
	v_mov_b32_e32 v3, s27
	v_add_co_ci_u32_e64 v2, null, s11, v2, s9
	s_add_i32 s29, s29, -1
	s_add_i32 s27, s27, 16
	s_cmp_eq_u32 s29, 0
	s_waitcnt vmcnt(0) lgkmcnt(0)
	buffer_store_dword v18, v3, s[0:3], 0 offen offset:12
	buffer_store_dword v17, v3, s[0:3], 0 offen offset:8
	;; [unrolled: 1-line block ×3, first 2 shown]
	buffer_store_dword v15, v3, s[0:3], 0 offen
	s_cbranch_scc0 .LBB373_76
; %bb.77:                               ;   in Loop: Header=BB373_64 Depth=1
	v_mov_b32_e32 v15, 0
	v_mov_b32_e32 v17, 0
	;; [unrolled: 1-line block ×6, first 2 shown]
	s_mov_b32 s27, 0
	s_mov_b32 s29, s19
	.p2align	6
.LBB373_78:                             ;   Parent Loop BB373_64 Depth=1
                                        ; =>  This Inner Loop Header: Depth=2
	v_mov_b32_e32 v4, s27
	flat_load_dwordx4 v[31:34], v[1:2]
	v_add_co_u32 v1, s9, v1, 16
	v_add_co_ci_u32_e64 v2, null, 0, v2, s9
	s_clause 0x3
	buffer_load_dword v3, v4, s[0:3], 0 offen
	buffer_load_dword v23, v4, s[0:3], 0 offen offset:8
	buffer_load_dword v24, v4, s[0:3], 0 offen offset:12
	;; [unrolled: 1-line block ×3, first 2 shown]
	s_add_i32 s29, s29, -1
	s_add_i32 s27, s27, 16
	s_cmp_lg_u32 s29, 0
	s_waitcnt vmcnt(1) lgkmcnt(0)
	v_mul_f64 v[35:36], v[33:34], v[23:24]
	s_waitcnt vmcnt(0)
	v_mul_f64 v[33:34], v[33:34], v[3:4]
	v_fma_f64 v[3:4], v[31:32], v[3:4], v[35:36]
	v_fma_f64 v[23:24], v[31:32], v[23:24], -v[33:34]
	v_add_f64 v[15:16], v[15:16], v[3:4]
	v_add_f64 v[17:18], v[17:18], v[23:24]
	s_cbranch_scc1 .LBB373_78
.LBB373_79:                             ;   in Loop: Header=BB373_64 Depth=1
	s_or_b32 exec_lo, exec_lo, s26
	s_or_b32 exec_lo, exec_lo, s25
	s_and_saveexec_b32 s9, s4
	s_cbranch_execnz .LBB373_67
	s_branch .LBB373_68
.LBB373_80:                             ;   in Loop: Header=BB373_64 Depth=1
	ds_read_b128 v[1:4], v19
	s_or_b32 exec_lo, exec_lo, s9
	s_and_saveexec_b32 s9, s4
	s_cbranch_execz .LBB373_72
.LBB373_81:                             ;   in Loop: Header=BB373_64 Depth=1
	s_waitcnt lgkmcnt(0)
	ds_bpermute_b32 v15, v27, v1
	ds_bpermute_b32 v16, v27, v2
	ds_bpermute_b32 v17, v27, v3
	ds_bpermute_b32 v18, v27, v4
	s_waitcnt lgkmcnt(2)
	v_add_f64 v[1:2], v[1:2], v[15:16]
	s_waitcnt lgkmcnt(0)
	v_add_f64 v[3:4], v[3:4], v[17:18]
	ds_bpermute_b32 v15, v28, v1
	ds_bpermute_b32 v16, v28, v2
	ds_bpermute_b32 v17, v28, v3
	ds_bpermute_b32 v18, v28, v4
	s_waitcnt lgkmcnt(2)
	v_add_f64 v[1:2], v[1:2], v[15:16]
	s_waitcnt lgkmcnt(0)
	v_add_f64 v[3:4], v[3:4], v[17:18]
	ds_bpermute_b32 v15, v29, v1
	ds_bpermute_b32 v16, v29, v2
	ds_bpermute_b32 v17, v29, v3
	ds_bpermute_b32 v18, v29, v4
	s_waitcnt lgkmcnt(2)
	v_add_f64 v[1:2], v[1:2], v[15:16]
	s_waitcnt lgkmcnt(0)
	v_add_f64 v[3:4], v[3:4], v[17:18]
	s_or_b32 exec_lo, exec_lo, s9
	s_and_saveexec_b32 s9, s6
	s_cbranch_execz .LBB373_63
.LBB373_82:                             ;   in Loop: Header=BB373_64 Depth=1
	s_waitcnt lgkmcnt(0)
	v_mul_f64 v[15:16], s[14:15], v[3:4]
	v_mul_f64 v[3:4], s[12:13], v[3:4]
	s_mul_hi_u32 s27, s7, s18
	s_mul_i32 s26, s7, s18
	s_lshl_b64 s[26:27], s[26:27], 4
	s_add_u32 s26, s16, s26
	s_addc_u32 s27, s28, s27
	v_fma_f64 v[15:16], s[12:13], v[1:2], -v[15:16]
	v_fma_f64 v[17:18], s[14:15], v[1:2], v[3:4]
	global_store_dwordx4 v0, v[15:18], s[26:27]
	s_branch .LBB373_63
.LBB373_83:
	s_endpgm
	.section	.rodata,"a",@progbits
	.p2align	6, 0x0
	.amdhsa_kernel _ZL23rocblas_gemvt_sn_kernelILb1ELi256ELi4ElPK19rocblas_complex_numIdES1_S1_EviiT4_lPKT3_lilS7_lilPT5_i
		.amdhsa_group_segment_fixed_size 512
		.amdhsa_private_segment_fixed_size 80
		.amdhsa_kernarg_size 368
		.amdhsa_user_sgpr_count 6
		.amdhsa_user_sgpr_private_segment_buffer 1
		.amdhsa_user_sgpr_dispatch_ptr 0
		.amdhsa_user_sgpr_queue_ptr 0
		.amdhsa_user_sgpr_kernarg_segment_ptr 1
		.amdhsa_user_sgpr_dispatch_id 0
		.amdhsa_user_sgpr_flat_scratch_init 0
		.amdhsa_user_sgpr_private_segment_size 0
		.amdhsa_wavefront_size32 1
		.amdhsa_uses_dynamic_stack 0
		.amdhsa_system_sgpr_private_segment_wavefront_offset 1
		.amdhsa_system_sgpr_workgroup_id_x 1
		.amdhsa_system_sgpr_workgroup_id_y 0
		.amdhsa_system_sgpr_workgroup_id_z 1
		.amdhsa_system_sgpr_workgroup_info 0
		.amdhsa_system_vgpr_workitem_id 0
		.amdhsa_next_free_vgpr 74
		.amdhsa_next_free_sgpr 50
		.amdhsa_reserve_vcc 1
		.amdhsa_reserve_flat_scratch 1
		.amdhsa_float_round_mode_32 0
		.amdhsa_float_round_mode_16_64 0
		.amdhsa_float_denorm_mode_32 3
		.amdhsa_float_denorm_mode_16_64 3
		.amdhsa_dx10_clamp 1
		.amdhsa_ieee_mode 1
		.amdhsa_fp16_overflow 0
		.amdhsa_workgroup_processor_mode 1
		.amdhsa_memory_ordered 1
		.amdhsa_forward_progress 1
		.amdhsa_shared_vgpr_count 0
		.amdhsa_exception_fp_ieee_invalid_op 0
		.amdhsa_exception_fp_denorm_src 0
		.amdhsa_exception_fp_ieee_div_zero 0
		.amdhsa_exception_fp_ieee_overflow 0
		.amdhsa_exception_fp_ieee_underflow 0
		.amdhsa_exception_fp_ieee_inexact 0
		.amdhsa_exception_int_div_zero 0
	.end_amdhsa_kernel
	.section	.text._ZL23rocblas_gemvt_sn_kernelILb1ELi256ELi4ElPK19rocblas_complex_numIdES1_S1_EviiT4_lPKT3_lilS7_lilPT5_i,"axG",@progbits,_ZL23rocblas_gemvt_sn_kernelILb1ELi256ELi4ElPK19rocblas_complex_numIdES1_S1_EviiT4_lPKT3_lilS7_lilPT5_i,comdat
.Lfunc_end373:
	.size	_ZL23rocblas_gemvt_sn_kernelILb1ELi256ELi4ElPK19rocblas_complex_numIdES1_S1_EviiT4_lPKT3_lilS7_lilPT5_i, .Lfunc_end373-_ZL23rocblas_gemvt_sn_kernelILb1ELi256ELi4ElPK19rocblas_complex_numIdES1_S1_EviiT4_lPKT3_lilS7_lilPT5_i
                                        ; -- End function
	.set _ZL23rocblas_gemvt_sn_kernelILb1ELi256ELi4ElPK19rocblas_complex_numIdES1_S1_EviiT4_lPKT3_lilS7_lilPT5_i.num_vgpr, 74
	.set _ZL23rocblas_gemvt_sn_kernelILb1ELi256ELi4ElPK19rocblas_complex_numIdES1_S1_EviiT4_lPKT3_lilS7_lilPT5_i.num_agpr, 0
	.set _ZL23rocblas_gemvt_sn_kernelILb1ELi256ELi4ElPK19rocblas_complex_numIdES1_S1_EviiT4_lPKT3_lilS7_lilPT5_i.numbered_sgpr, 50
	.set _ZL23rocblas_gemvt_sn_kernelILb1ELi256ELi4ElPK19rocblas_complex_numIdES1_S1_EviiT4_lPKT3_lilS7_lilPT5_i.num_named_barrier, 0
	.set _ZL23rocblas_gemvt_sn_kernelILb1ELi256ELi4ElPK19rocblas_complex_numIdES1_S1_EviiT4_lPKT3_lilS7_lilPT5_i.private_seg_size, 80
	.set _ZL23rocblas_gemvt_sn_kernelILb1ELi256ELi4ElPK19rocblas_complex_numIdES1_S1_EviiT4_lPKT3_lilS7_lilPT5_i.uses_vcc, 1
	.set _ZL23rocblas_gemvt_sn_kernelILb1ELi256ELi4ElPK19rocblas_complex_numIdES1_S1_EviiT4_lPKT3_lilS7_lilPT5_i.uses_flat_scratch, 1
	.set _ZL23rocblas_gemvt_sn_kernelILb1ELi256ELi4ElPK19rocblas_complex_numIdES1_S1_EviiT4_lPKT3_lilS7_lilPT5_i.has_dyn_sized_stack, 0
	.set _ZL23rocblas_gemvt_sn_kernelILb1ELi256ELi4ElPK19rocblas_complex_numIdES1_S1_EviiT4_lPKT3_lilS7_lilPT5_i.has_recursion, 0
	.set _ZL23rocblas_gemvt_sn_kernelILb1ELi256ELi4ElPK19rocblas_complex_numIdES1_S1_EviiT4_lPKT3_lilS7_lilPT5_i.has_indirect_call, 0
	.section	.AMDGPU.csdata,"",@progbits
; Kernel info:
; codeLenInByte = 7856
; TotalNumSgprs: 52
; NumVgprs: 74
; ScratchSize: 80
; MemoryBound: 0
; FloatMode: 240
; IeeeMode: 1
; LDSByteSize: 512 bytes/workgroup (compile time only)
; SGPRBlocks: 0
; VGPRBlocks: 9
; NumSGPRsForWavesPerEU: 52
; NumVGPRsForWavesPerEU: 74
; Occupancy: 12
; WaveLimiterHint : 0
; COMPUTE_PGM_RSRC2:SCRATCH_EN: 1
; COMPUTE_PGM_RSRC2:USER_SGPR: 6
; COMPUTE_PGM_RSRC2:TRAP_HANDLER: 0
; COMPUTE_PGM_RSRC2:TGID_X_EN: 1
; COMPUTE_PGM_RSRC2:TGID_Y_EN: 0
; COMPUTE_PGM_RSRC2:TGID_Z_EN: 1
; COMPUTE_PGM_RSRC2:TIDIG_COMP_CNT: 0
	.section	.text._ZL20rocblas_gemvt_kernelILb1ELi256EPK19rocblas_complex_numIdES3_KPS1_EviiT2_lPKT1_lilS9_lilS6_lPT3_lili,"axG",@progbits,_ZL20rocblas_gemvt_kernelILb1ELi256EPK19rocblas_complex_numIdES3_KPS1_EviiT2_lPKT1_lilS9_lilS6_lPT3_lili,comdat
	.globl	_ZL20rocblas_gemvt_kernelILb1ELi256EPK19rocblas_complex_numIdES3_KPS1_EviiT2_lPKT1_lilS9_lilS6_lPT3_lili ; -- Begin function _ZL20rocblas_gemvt_kernelILb1ELi256EPK19rocblas_complex_numIdES3_KPS1_EviiT2_lPKT1_lilS9_lilS6_lPT3_lili
	.p2align	8
	.type	_ZL20rocblas_gemvt_kernelILb1ELi256EPK19rocblas_complex_numIdES3_KPS1_EviiT2_lPKT1_lilS9_lilS6_lPT3_lili,@function
_ZL20rocblas_gemvt_kernelILb1ELi256EPK19rocblas_complex_numIdES3_KPS1_EviiT2_lPKT1_lilS9_lilS6_lPT3_lili: ; @_ZL20rocblas_gemvt_kernelILb1ELi256EPK19rocblas_complex_numIdES3_KPS1_EviiT2_lPKT1_lilS9_lilS6_lPT3_lili
; %bb.0:
	s_clause 0x1
	s_load_dwordx8 s[16:23], s[4:5], 0x8
	s_load_dwordx8 s[8:15], s[4:5], 0x58
	s_mov_b32 s0, s7
	s_mov_b64 s[24:25], 0
	s_waitcnt lgkmcnt(0)
	s_mul_i32 s1, s19, s7
	s_mul_hi_u32 s3, s18, s7
	s_mul_i32 s2, s18, s7
	s_add_i32 s3, s3, s1
	s_mul_i32 s1, s11, s7
	s_lshl_b64 s[2:3], s[2:3], 4
	s_add_u32 s2, s16, s2
	s_addc_u32 s3, s17, s3
	s_load_dwordx4 s[16:19], s[2:3], 0x0
	s_mul_hi_u32 s2, s10, s7
	s_add_i32 s3, s2, s1
	s_mul_i32 s2, s10, s0
	s_mov_b32 s1, 0
	s_lshl_b64 s[2:3], s[2:3], 4
	s_add_u32 s2, s8, s2
	s_addc_u32 s3, s9, s3
	s_load_dwordx4 s[8:11], s[2:3], 0x0
	s_mov_b32 s3, s1
	s_waitcnt lgkmcnt(0)
	v_cmp_neq_f64_e64 s7, s[16:17], 0
	v_cmp_neq_f64_e64 s26, s[18:19], 0
	s_or_b32 s2, s7, s26
	s_mov_b32 s7, -1
	s_and_b32 vcc_lo, exec_lo, s2
	s_cbranch_vccz .LBB374_4
; %bb.1:
	s_andn2_b32 vcc_lo, exec_lo, s7
	s_cbranch_vccz .LBB374_5
.LBB374_2:
	s_andn2_b32 vcc_lo, exec_lo, s3
	s_cbranch_vccz .LBB374_6
.LBB374_3:
	s_endpgm
.LBB374_4:
	v_cmp_neq_f64_e64 s3, s[8:9], 1.0
	v_cmp_neq_f64_e64 s7, s[10:11], 0
	s_or_b32 s3, s3, s7
	s_cbranch_execnz .LBB374_2
.LBB374_5:
	s_lshl_b64 s[24:25], s[0:1], 3
	s_add_u32 s20, s20, s24
	s_addc_u32 s21, s21, s25
	s_lshl_b64 s[22:23], s[22:23], 4
	s_load_dwordx2 s[20:21], s[20:21], 0x0
	s_waitcnt lgkmcnt(0)
	s_add_u32 s24, s20, s22
	s_addc_u32 s25, s21, s23
.LBB374_6:
	v_cndmask_b32_e64 v1, 0, 1, s2
	s_xor_b32 s21, s2, -1
	s_mov_b64 s[2:3], 0
	v_cmp_ne_u32_e32 vcc_lo, 1, v1
	s_cbranch_vccnz .LBB374_8
; %bb.7:
	s_load_dwordx4 s[28:31], s[4:5], 0x38
	s_lshl_b64 s[2:3], s[0:1], 3
	s_waitcnt lgkmcnt(0)
	s_add_u32 s2, s28, s2
	s_addc_u32 s3, s29, s3
	s_lshl_b64 s[22:23], s[30:31], 4
	s_load_dwordx2 s[2:3], s[2:3], 0x0
	s_waitcnt lgkmcnt(0)
	s_add_u32 s2, s2, s22
	s_addc_u32 s3, s3, s23
.LBB374_8:
	s_lshl_b64 s[0:1], s[0:1], 3
	s_add_u32 s0, s12, s0
	s_addc_u32 s1, s13, s1
	s_lshl_b64 s[14:15], s[14:15], 4
	s_load_dwordx2 s[12:13], s[0:1], 0x0
	s_load_dword s20, s[4:5], 0x78
	v_cmp_eq_u32_e64 s0, 0, v0
	s_waitcnt lgkmcnt(0)
	s_add_u32 s7, s12, s14
	s_addc_u32 s14, s13, s15
	s_andn2_b32 vcc_lo, exec_lo, s21
	s_cbranch_vccnz .LBB374_13
; %bb.9:
	s_mov_b32 s1, 0
	s_mov_b32 s15, 0
                                        ; implicit-def: $vgpr3_vgpr4
                                        ; implicit-def: $sgpr12_sgpr13
	s_and_saveexec_b32 s21, s0
	s_cbranch_execz .LBB374_14
; %bb.10:
	v_cmp_neq_f64_e64 s0, s[8:9], 0
	v_cmp_neq_f64_e64 s12, s[10:11], 0
	v_mov_b32_e32 v3, 0
	v_mov_b32_e32 v1, 0
	;; [unrolled: 1-line block ×4, first 2 shown]
	s_mul_hi_i32 s13, s20, s6
	s_or_b32 s0, s0, s12
	s_mul_i32 s12, s20, s6
	s_andn2_b32 vcc_lo, exec_lo, s0
	s_cbranch_vccnz .LBB374_12
; %bb.11:
	s_lshl_b64 s[22:23], s[12:13], 4
	s_add_u32 s22, s7, s22
	s_addc_u32 s23, s14, s23
	v_mov_b32_e32 v1, s22
	v_mov_b32_e32 v2, s23
	flat_load_dwordx4 v[3:6], v[1:2]
	s_waitcnt vmcnt(0) lgkmcnt(0)
	v_mul_f64 v[1:2], s[10:11], v[5:6]
	v_mul_f64 v[5:6], s[8:9], v[5:6]
	v_fma_f64 v[1:2], s[8:9], v[3:4], -v[1:2]
	v_fma_f64 v[3:4], s[10:11], v[3:4], v[5:6]
.LBB374_12:
	s_mov_b32 s15, exec_lo
	s_or_b32 exec_lo, exec_lo, s21
	s_and_b32 vcc_lo, exec_lo, s1
	s_cbranch_vccnz .LBB374_15
	s_branch .LBB374_41
.LBB374_13:
	s_mov_b32 s15, 0
                                        ; implicit-def: $vgpr3_vgpr4
                                        ; implicit-def: $sgpr12_sgpr13
	s_cbranch_execnz .LBB374_15
	s_branch .LBB374_41
.LBB374_14:
	s_or_b32 exec_lo, exec_lo, s21
	s_and_b32 vcc_lo, exec_lo, s1
	s_cbranch_vccz .LBB374_41
.LBB374_15:
	s_clause 0x2
	s_load_dword s21, s[4:5], 0x0
	s_load_dword s1, s[4:5], 0x28
	;; [unrolled: 1-line block ×3, first 2 shown]
	v_mov_b32_e32 v3, 0
	v_mov_b32_e32 v4, 0
	s_waitcnt lgkmcnt(0)
	v_cmp_gt_i32_e32 vcc_lo, s21, v0
	s_mul_hi_i32 s5, s1, s6
	s_mul_i32 s4, s1, s6
	s_ashr_i32 s1, s21, 31
	s_lshl_b64 s[4:5], s[4:5], 4
	v_cndmask_b32_e32 v1, 0, v0, vcc_lo
	s_lshr_b32 s1, s1, 24
	s_add_i32 s1, s21, s1
	v_lshlrev_b32_e32 v1, 4, v1
	v_add_co_u32 v1, s12, s24, v1
	v_add_co_ci_u32_e64 v2, null, s25, 0, s12
	v_add_co_u32 v5, vcc_lo, v1, s4
	v_add_co_ci_u32_e64 v6, null, s5, v2, vcc_lo
	v_mov_b32_e32 v1, v3
	v_mov_b32_e32 v2, v4
	s_and_b32 s4, s1, 0xffffff00
	s_cmpk_lt_i32 s21, 0x100
	s_mov_b32 s5, 0
	s_cbranch_scc1 .LBB374_18
; %bb.16:
	v_mad_i64_i32 v[1:2], null, s0, v0, 0
	v_mov_b32_e32 v3, 0
	v_mov_b32_e32 v4, 0
	;; [unrolled: 1-line block ×4, first 2 shown]
	s_ashr_i32 s1, s0, 31
	s_lshl_b64 s[12:13], s[0:1], 12
	v_lshlrev_b64 v[1:2], 4, v[1:2]
	v_add_co_u32 v9, vcc_lo, s2, v1
	v_add_co_ci_u32_e64 v10, null, s3, v2, vcc_lo
	v_mov_b32_e32 v1, v3
	v_mov_b32_e32 v2, v4
	.p2align	6
.LBB374_17:                             ; =>This Inner Loop Header: Depth=1
	flat_load_dwordx4 v[11:14], v[7:8]
	flat_load_dwordx4 v[15:18], v[9:10]
	v_add_co_u32 v9, vcc_lo, v9, s12
	v_add_co_ci_u32_e64 v10, null, s13, v10, vcc_lo
	v_add_co_u32 v7, vcc_lo, 0x1000, v7
	v_add_co_ci_u32_e64 v8, null, 0, v8, vcc_lo
	s_addk_i32 s5, 0x100
	s_cmp_ge_i32 s5, s4
	s_waitcnt vmcnt(0) lgkmcnt(0)
	v_mul_f64 v[19:20], v[13:14], v[17:18]
	v_mul_f64 v[13:14], v[13:14], v[15:16]
	v_fma_f64 v[15:16], v[11:12], v[15:16], v[19:20]
	v_fma_f64 v[11:12], v[11:12], v[17:18], -v[13:14]
	v_add_f64 v[1:2], v[1:2], v[15:16]
	v_add_f64 v[3:4], v[3:4], v[11:12]
	s_cbranch_scc0 .LBB374_17
.LBB374_18:
	v_add_nc_u32_e32 v7, s4, v0
	s_mov_b32 s1, exec_lo
	v_cmpx_gt_i32_e64 s21, v7
	s_cbranch_execz .LBB374_20
; %bb.19:
	v_mad_i64_i32 v[7:8], null, s0, v7, 0
	s_ashr_i32 s5, s4, 31
	s_lshl_b64 s[4:5], s[4:5], 4
	v_add_co_u32 v5, vcc_lo, v5, s4
	v_lshlrev_b64 v[7:8], 4, v[7:8]
	v_add_co_ci_u32_e64 v6, null, s5, v6, vcc_lo
	v_add_co_u32 v9, vcc_lo, s2, v7
	v_add_co_ci_u32_e64 v10, null, s3, v8, vcc_lo
	flat_load_dwordx4 v[5:8], v[5:6]
	flat_load_dwordx4 v[9:12], v[9:10]
	s_waitcnt vmcnt(0) lgkmcnt(0)
	v_mul_f64 v[13:14], v[7:8], v[11:12]
	v_mul_f64 v[7:8], v[7:8], v[9:10]
	v_fma_f64 v[9:10], v[5:6], v[9:10], v[13:14]
	v_fma_f64 v[5:6], v[5:6], v[11:12], -v[7:8]
	v_add_f64 v[1:2], v[1:2], v[9:10]
	v_add_f64 v[3:4], v[3:4], v[5:6]
.LBB374_20:
	s_or_b32 exec_lo, exec_lo, s1
	v_lshlrev_b32_e32 v5, 4, v0
	s_mov_b32 s0, exec_lo
	ds_write_b128 v5, v[1:4]
	s_waitcnt lgkmcnt(0)
	s_barrier
	buffer_gl0_inv
	v_cmpx_gt_u32_e32 0x80, v0
	s_cbranch_execz .LBB374_22
; %bb.21:
	ds_read_b128 v[1:4], v5 offset:2048
	ds_read_b128 v[6:9], v5
	s_waitcnt lgkmcnt(0)
	v_add_f64 v[1:2], v[1:2], v[6:7]
	v_add_f64 v[3:4], v[3:4], v[8:9]
	ds_write_b128 v5, v[1:4]
.LBB374_22:
	s_or_b32 exec_lo, exec_lo, s0
	s_mov_b32 s0, exec_lo
	s_waitcnt lgkmcnt(0)
	s_barrier
	buffer_gl0_inv
	v_cmpx_gt_u32_e32 64, v0
	s_cbranch_execz .LBB374_24
; %bb.23:
	ds_read_b128 v[1:4], v5 offset:1024
	ds_read_b128 v[6:9], v5
	s_waitcnt lgkmcnt(0)
	v_add_f64 v[1:2], v[1:2], v[6:7]
	v_add_f64 v[3:4], v[3:4], v[8:9]
	ds_write_b128 v5, v[1:4]
.LBB374_24:
	s_or_b32 exec_lo, exec_lo, s0
	s_mov_b32 s0, exec_lo
	;; [unrolled: 15-line block ×6, first 2 shown]
	s_waitcnt lgkmcnt(0)
	s_barrier
	buffer_gl0_inv
	v_cmpx_gt_u32_e32 2, v0
	s_cbranch_execz .LBB374_34
; %bb.33:
	ds_read_b128 v[1:4], v5
	ds_read_b128 v[6:9], v5 offset:32
	s_waitcnt lgkmcnt(0)
	v_add_f64 v[1:2], v[6:7], v[1:2]
	v_add_f64 v[3:4], v[8:9], v[3:4]
	ds_write_b128 v5, v[1:4]
.LBB374_34:
	s_or_b32 exec_lo, exec_lo, s0
	v_cmp_eq_u32_e32 vcc_lo, 0, v0
	s_waitcnt lgkmcnt(0)
	s_barrier
	buffer_gl0_inv
	s_and_saveexec_b32 s0, vcc_lo
	s_cbranch_execz .LBB374_36
; %bb.35:
	v_mov_b32_e32 v8, 0
	ds_read_b128 v[0:3], v8
	ds_read_b128 v[4:7], v8 offset:16
	s_waitcnt lgkmcnt(0)
	v_add_f64 v[0:1], v[4:5], v[0:1]
	v_add_f64 v[2:3], v[6:7], v[2:3]
	ds_write_b128 v8, v[0:3]
.LBB374_36:
	s_or_b32 exec_lo, exec_lo, s0
	s_waitcnt lgkmcnt(0)
	s_barrier
	buffer_gl0_inv
                                        ; implicit-def: $vgpr3_vgpr4
                                        ; implicit-def: $sgpr12_sgpr13
	s_and_saveexec_b32 s0, vcc_lo
	s_cbranch_execz .LBB374_40
; %bb.37:
	v_mov_b32_e32 v0, 0
	v_cmp_neq_f64_e64 s1, s[8:9], 0
	v_cmp_neq_f64_e64 s2, s[10:11], 0
	s_mul_hi_i32 s13, s20, s6
	s_mul_i32 s12, s20, s6
	ds_read_b128 v[3:6], v0
	s_or_b32 s1, s1, s2
	s_waitcnt lgkmcnt(0)
	v_mul_f64 v[0:1], s[18:19], v[5:6]
	v_mul_f64 v[5:6], s[16:17], v[5:6]
	s_andn2_b32 vcc_lo, exec_lo, s1
	v_fma_f64 v[1:2], s[16:17], v[3:4], -v[0:1]
	v_fma_f64 v[3:4], s[18:19], v[3:4], v[5:6]
	s_cbranch_vccnz .LBB374_39
; %bb.38:
	s_lshl_b64 s[2:3], s[12:13], 4
	s_add_u32 s2, s7, s2
	s_addc_u32 s3, s14, s3
	v_mov_b32_e32 v6, s3
	v_mov_b32_e32 v5, s2
	flat_load_dwordx4 v[5:8], v[5:6]
	s_waitcnt vmcnt(0) lgkmcnt(0)
	v_mul_f64 v[9:10], s[10:11], v[7:8]
	v_mul_f64 v[7:8], s[8:9], v[7:8]
	v_fma_f64 v[9:10], s[8:9], v[5:6], -v[9:10]
	v_fma_f64 v[5:6], s[10:11], v[5:6], v[7:8]
	v_add_f64 v[1:2], v[1:2], v[9:10]
	v_add_f64 v[3:4], v[3:4], v[5:6]
.LBB374_39:
	s_or_b32 s15, s15, exec_lo
.LBB374_40:
	s_or_b32 exec_lo, exec_lo, s0
.LBB374_41:
	s_and_saveexec_b32 s0, s15
	s_cbranch_execz .LBB374_3
; %bb.42:
	s_lshl_b64 s[0:1], s[12:13], 4
	s_add_u32 s0, s7, s0
	s_addc_u32 s1, s14, s1
	v_mov_b32_e32 v6, s1
	v_mov_b32_e32 v5, s0
	flat_store_dwordx4 v[5:6], v[1:4]
	s_endpgm
	.section	.rodata,"a",@progbits
	.p2align	6, 0x0
	.amdhsa_kernel _ZL20rocblas_gemvt_kernelILb1ELi256EPK19rocblas_complex_numIdES3_KPS1_EviiT2_lPKT1_lilS9_lilS6_lPT3_lili
		.amdhsa_group_segment_fixed_size 4096
		.amdhsa_private_segment_fixed_size 0
		.amdhsa_kernarg_size 140
		.amdhsa_user_sgpr_count 6
		.amdhsa_user_sgpr_private_segment_buffer 1
		.amdhsa_user_sgpr_dispatch_ptr 0
		.amdhsa_user_sgpr_queue_ptr 0
		.amdhsa_user_sgpr_kernarg_segment_ptr 1
		.amdhsa_user_sgpr_dispatch_id 0
		.amdhsa_user_sgpr_flat_scratch_init 0
		.amdhsa_user_sgpr_private_segment_size 0
		.amdhsa_wavefront_size32 1
		.amdhsa_uses_dynamic_stack 0
		.amdhsa_system_sgpr_private_segment_wavefront_offset 0
		.amdhsa_system_sgpr_workgroup_id_x 1
		.amdhsa_system_sgpr_workgroup_id_y 0
		.amdhsa_system_sgpr_workgroup_id_z 1
		.amdhsa_system_sgpr_workgroup_info 0
		.amdhsa_system_vgpr_workitem_id 0
		.amdhsa_next_free_vgpr 21
		.amdhsa_next_free_sgpr 32
		.amdhsa_reserve_vcc 1
		.amdhsa_reserve_flat_scratch 0
		.amdhsa_float_round_mode_32 0
		.amdhsa_float_round_mode_16_64 0
		.amdhsa_float_denorm_mode_32 3
		.amdhsa_float_denorm_mode_16_64 3
		.amdhsa_dx10_clamp 1
		.amdhsa_ieee_mode 1
		.amdhsa_fp16_overflow 0
		.amdhsa_workgroup_processor_mode 1
		.amdhsa_memory_ordered 1
		.amdhsa_forward_progress 1
		.amdhsa_shared_vgpr_count 0
		.amdhsa_exception_fp_ieee_invalid_op 0
		.amdhsa_exception_fp_denorm_src 0
		.amdhsa_exception_fp_ieee_div_zero 0
		.amdhsa_exception_fp_ieee_overflow 0
		.amdhsa_exception_fp_ieee_underflow 0
		.amdhsa_exception_fp_ieee_inexact 0
		.amdhsa_exception_int_div_zero 0
	.end_amdhsa_kernel
	.section	.text._ZL20rocblas_gemvt_kernelILb1ELi256EPK19rocblas_complex_numIdES3_KPS1_EviiT2_lPKT1_lilS9_lilS6_lPT3_lili,"axG",@progbits,_ZL20rocblas_gemvt_kernelILb1ELi256EPK19rocblas_complex_numIdES3_KPS1_EviiT2_lPKT1_lilS9_lilS6_lPT3_lili,comdat
.Lfunc_end374:
	.size	_ZL20rocblas_gemvt_kernelILb1ELi256EPK19rocblas_complex_numIdES3_KPS1_EviiT2_lPKT1_lilS9_lilS6_lPT3_lili, .Lfunc_end374-_ZL20rocblas_gemvt_kernelILb1ELi256EPK19rocblas_complex_numIdES3_KPS1_EviiT2_lPKT1_lilS9_lilS6_lPT3_lili
                                        ; -- End function
	.set _ZL20rocblas_gemvt_kernelILb1ELi256EPK19rocblas_complex_numIdES3_KPS1_EviiT2_lPKT1_lilS9_lilS6_lPT3_lili.num_vgpr, 21
	.set _ZL20rocblas_gemvt_kernelILb1ELi256EPK19rocblas_complex_numIdES3_KPS1_EviiT2_lPKT1_lilS9_lilS6_lPT3_lili.num_agpr, 0
	.set _ZL20rocblas_gemvt_kernelILb1ELi256EPK19rocblas_complex_numIdES3_KPS1_EviiT2_lPKT1_lilS9_lilS6_lPT3_lili.numbered_sgpr, 32
	.set _ZL20rocblas_gemvt_kernelILb1ELi256EPK19rocblas_complex_numIdES3_KPS1_EviiT2_lPKT1_lilS9_lilS6_lPT3_lili.num_named_barrier, 0
	.set _ZL20rocblas_gemvt_kernelILb1ELi256EPK19rocblas_complex_numIdES3_KPS1_EviiT2_lPKT1_lilS9_lilS6_lPT3_lili.private_seg_size, 0
	.set _ZL20rocblas_gemvt_kernelILb1ELi256EPK19rocblas_complex_numIdES3_KPS1_EviiT2_lPKT1_lilS9_lilS6_lPT3_lili.uses_vcc, 1
	.set _ZL20rocblas_gemvt_kernelILb1ELi256EPK19rocblas_complex_numIdES3_KPS1_EviiT2_lPKT1_lilS9_lilS6_lPT3_lili.uses_flat_scratch, 0
	.set _ZL20rocblas_gemvt_kernelILb1ELi256EPK19rocblas_complex_numIdES3_KPS1_EviiT2_lPKT1_lilS9_lilS6_lPT3_lili.has_dyn_sized_stack, 0
	.set _ZL20rocblas_gemvt_kernelILb1ELi256EPK19rocblas_complex_numIdES3_KPS1_EviiT2_lPKT1_lilS9_lilS6_lPT3_lili.has_recursion, 0
	.set _ZL20rocblas_gemvt_kernelILb1ELi256EPK19rocblas_complex_numIdES3_KPS1_EviiT2_lPKT1_lilS9_lilS6_lPT3_lili.has_indirect_call, 0
	.section	.AMDGPU.csdata,"",@progbits
; Kernel info:
; codeLenInByte = 1896
; TotalNumSgprs: 34
; NumVgprs: 21
; ScratchSize: 0
; MemoryBound: 0
; FloatMode: 240
; IeeeMode: 1
; LDSByteSize: 4096 bytes/workgroup (compile time only)
; SGPRBlocks: 0
; VGPRBlocks: 2
; NumSGPRsForWavesPerEU: 34
; NumVGPRsForWavesPerEU: 21
; Occupancy: 16
; WaveLimiterHint : 1
; COMPUTE_PGM_RSRC2:SCRATCH_EN: 0
; COMPUTE_PGM_RSRC2:USER_SGPR: 6
; COMPUTE_PGM_RSRC2:TRAP_HANDLER: 0
; COMPUTE_PGM_RSRC2:TGID_X_EN: 1
; COMPUTE_PGM_RSRC2:TGID_Y_EN: 0
; COMPUTE_PGM_RSRC2:TGID_Z_EN: 1
; COMPUTE_PGM_RSRC2:TIDIG_COMP_CNT: 0
	.section	.text._ZL20rocblas_gemvt_kernelILb1ELi256EPK19rocblas_complex_numIdES1_KPS1_EviiT2_lPKT1_lilS9_lilS6_lPT3_lili,"axG",@progbits,_ZL20rocblas_gemvt_kernelILb1ELi256EPK19rocblas_complex_numIdES1_KPS1_EviiT2_lPKT1_lilS9_lilS6_lPT3_lili,comdat
	.globl	_ZL20rocblas_gemvt_kernelILb1ELi256EPK19rocblas_complex_numIdES1_KPS1_EviiT2_lPKT1_lilS9_lilS6_lPT3_lili ; -- Begin function _ZL20rocblas_gemvt_kernelILb1ELi256EPK19rocblas_complex_numIdES1_KPS1_EviiT2_lPKT1_lilS9_lilS6_lPT3_lili
	.p2align	8
	.type	_ZL20rocblas_gemvt_kernelILb1ELi256EPK19rocblas_complex_numIdES1_KPS1_EviiT2_lPKT1_lilS9_lilS6_lPT3_lili,@function
_ZL20rocblas_gemvt_kernelILb1ELi256EPK19rocblas_complex_numIdES1_KPS1_EviiT2_lPKT1_lilS9_lilS6_lPT3_lili: ; @_ZL20rocblas_gemvt_kernelILb1ELi256EPK19rocblas_complex_numIdES1_KPS1_EviiT2_lPKT1_lilS9_lilS6_lPT3_lili
; %bb.0:
	s_clause 0x1
	s_load_dwordx4 s[12:15], s[4:5], 0x8
	s_load_dwordx4 s[8:11], s[4:5], 0x60
	s_mov_b32 s2, s7
	s_mov_b32 s3, 0
	s_mov_b64 s[16:17], 0
	s_mov_b32 s18, -1
	s_mov_b32 s19, s3
	s_waitcnt lgkmcnt(0)
	v_cmp_neq_f64_e64 s0, s[12:13], 0
	v_cmp_neq_f64_e64 s1, s[14:15], 0
	s_or_b32 s7, s0, s1
	s_mov_b64 s[0:1], s[2:3]
	s_and_b32 vcc_lo, exec_lo, s7
	s_cbranch_vccnz .LBB375_3
; %bb.1:
	v_cmp_eq_f64_e64 s0, s[8:9], 1.0
	v_cmp_eq_f64_e64 s1, s[10:11], 0
	s_mov_b32 s18, 0
	s_mov_b32 s19, 0
	s_and_b32 s0, s0, s1
	s_andn2_b32 vcc_lo, exec_lo, s0
                                        ; implicit-def: $sgpr0_sgpr1
	s_cbranch_vccz .LBB375_3
; %bb.2:
	s_mov_b32 s1, 0
	s_mov_b32 s0, s2
	s_mov_b32 s19, -1
.LBB375_3:
	s_and_b32 vcc_lo, exec_lo, s18
	s_cbranch_vccz .LBB375_5
; %bb.4:
	s_load_dwordx4 s[16:19], s[4:5], 0x20
	s_lshl_b64 s[2:3], s[2:3], 3
	s_waitcnt lgkmcnt(0)
	s_add_u32 s2, s16, s2
	s_addc_u32 s3, s17, s3
	s_lshl_b64 s[16:17], s[18:19], 4
	s_load_dwordx2 s[2:3], s[2:3], 0x0
	s_mov_b32 s19, -1
	s_waitcnt lgkmcnt(0)
	s_add_u32 s16, s2, s16
	s_addc_u32 s17, s3, s17
.LBB375_5:
	s_andn2_b32 vcc_lo, exec_lo, s19
	s_cbranch_vccnz .LBB375_43
; %bb.6:
	v_cndmask_b32_e64 v1, 0, 1, s7
	s_xor_b32 s18, s7, -1
	s_mov_b64 s[2:3], 0
	v_cmp_ne_u32_e32 vcc_lo, 1, v1
	s_cbranch_vccnz .LBB375_8
; %bb.7:
	s_load_dwordx4 s[20:23], s[4:5], 0x40
	s_lshl_b64 s[2:3], s[0:1], 3
	s_waitcnt lgkmcnt(0)
	s_add_u32 s2, s20, s2
	s_addc_u32 s3, s21, s3
	s_lshl_b64 s[20:21], s[22:23], 4
	s_load_dwordx2 s[2:3], s[2:3], 0x0
	s_waitcnt lgkmcnt(0)
	s_add_u32 s2, s2, s20
	s_addc_u32 s3, s3, s21
.LBB375_8:
	s_clause 0x1
	s_load_dwordx4 s[24:27], s[4:5], 0x78
	s_load_dword s21, s[4:5], 0x88
	s_lshl_b64 s[0:1], s[0:1], 3
	s_waitcnt lgkmcnt(0)
	s_add_u32 s0, s24, s0
	s_addc_u32 s1, s25, s1
	s_lshl_b64 s[24:25], s[26:27], 4
	s_load_dwordx2 s[22:23], s[0:1], 0x0
	v_cmp_eq_u32_e64 s0, 0, v0
	s_waitcnt lgkmcnt(0)
	s_add_u32 s7, s22, s24
	s_addc_u32 s20, s23, s25
	s_andn2_b32 vcc_lo, exec_lo, s18
	s_cbranch_vccnz .LBB375_13
; %bb.9:
	s_mov_b32 s1, 0
	s_mov_b32 s22, 0
                                        ; implicit-def: $vgpr3_vgpr4
                                        ; implicit-def: $sgpr18_sgpr19
	s_and_saveexec_b32 s23, s0
	s_cbranch_execz .LBB375_14
; %bb.10:
	v_cmp_neq_f64_e64 s0, s[8:9], 0
	v_cmp_neq_f64_e64 s18, s[10:11], 0
	v_mov_b32_e32 v3, 0
	v_mov_b32_e32 v1, 0
	;; [unrolled: 1-line block ×4, first 2 shown]
	s_mul_hi_i32 s19, s21, s6
	s_or_b32 s0, s0, s18
	s_mul_i32 s18, s21, s6
	s_andn2_b32 vcc_lo, exec_lo, s0
	s_cbranch_vccnz .LBB375_12
; %bb.11:
	s_lshl_b64 s[24:25], s[18:19], 4
	s_add_u32 s24, s7, s24
	s_addc_u32 s25, s20, s25
	v_mov_b32_e32 v1, s24
	v_mov_b32_e32 v2, s25
	flat_load_dwordx4 v[3:6], v[1:2]
	s_waitcnt vmcnt(0) lgkmcnt(0)
	v_mul_f64 v[1:2], s[10:11], v[5:6]
	v_mul_f64 v[5:6], s[8:9], v[5:6]
	v_fma_f64 v[1:2], s[8:9], v[3:4], -v[1:2]
	v_fma_f64 v[3:4], s[10:11], v[3:4], v[5:6]
.LBB375_12:
	s_mov_b32 s22, exec_lo
	s_or_b32 exec_lo, exec_lo, s23
	s_and_b32 vcc_lo, exec_lo, s1
	s_cbranch_vccnz .LBB375_15
	s_branch .LBB375_41
.LBB375_13:
	s_mov_b32 s22, 0
                                        ; implicit-def: $vgpr3_vgpr4
                                        ; implicit-def: $sgpr18_sgpr19
	s_cbranch_execnz .LBB375_15
	s_branch .LBB375_41
.LBB375_14:
	s_or_b32 exec_lo, exec_lo, s23
	s_and_b32 vcc_lo, exec_lo, s1
	s_cbranch_vccz .LBB375_41
.LBB375_15:
	s_clause 0x2
	s_load_dword s18, s[4:5], 0x0
	s_load_dword s1, s[4:5], 0x30
	;; [unrolled: 1-line block ×3, first 2 shown]
	v_mov_b32_e32 v3, 0
	v_mov_b32_e32 v4, 0
	s_waitcnt lgkmcnt(0)
	v_cmp_gt_i32_e32 vcc_lo, s18, v0
	s_mul_hi_i32 s5, s1, s6
	s_mul_i32 s4, s1, s6
	s_ashr_i32 s1, s18, 31
	s_lshl_b64 s[4:5], s[4:5], 4
	v_cndmask_b32_e32 v1, 0, v0, vcc_lo
	s_lshr_b32 s1, s1, 24
	s_add_i32 s1, s18, s1
	v_lshlrev_b32_e32 v1, 4, v1
	v_add_co_u32 v1, s16, s16, v1
	v_add_co_ci_u32_e64 v2, null, s17, 0, s16
	v_add_co_u32 v5, vcc_lo, v1, s4
	v_add_co_ci_u32_e64 v6, null, s5, v2, vcc_lo
	v_mov_b32_e32 v1, v3
	v_mov_b32_e32 v2, v4
	s_and_b32 s4, s1, 0xffffff00
	s_cmpk_lt_i32 s18, 0x100
	s_mov_b32 s5, 0
	s_cbranch_scc1 .LBB375_18
; %bb.16:
	v_mad_i64_i32 v[1:2], null, s0, v0, 0
	v_mov_b32_e32 v3, 0
	v_mov_b32_e32 v4, 0
	;; [unrolled: 1-line block ×4, first 2 shown]
	s_ashr_i32 s1, s0, 31
	s_lshl_b64 s[16:17], s[0:1], 12
	v_lshlrev_b64 v[1:2], 4, v[1:2]
	v_add_co_u32 v9, vcc_lo, s2, v1
	v_add_co_ci_u32_e64 v10, null, s3, v2, vcc_lo
	v_mov_b32_e32 v1, v3
	v_mov_b32_e32 v2, v4
	.p2align	6
.LBB375_17:                             ; =>This Inner Loop Header: Depth=1
	flat_load_dwordx4 v[11:14], v[7:8]
	flat_load_dwordx4 v[15:18], v[9:10]
	v_add_co_u32 v9, vcc_lo, v9, s16
	v_add_co_ci_u32_e64 v10, null, s17, v10, vcc_lo
	v_add_co_u32 v7, vcc_lo, 0x1000, v7
	v_add_co_ci_u32_e64 v8, null, 0, v8, vcc_lo
	s_addk_i32 s5, 0x100
	s_cmp_ge_i32 s5, s4
	s_waitcnt vmcnt(0) lgkmcnt(0)
	v_mul_f64 v[19:20], v[13:14], v[17:18]
	v_mul_f64 v[13:14], v[13:14], v[15:16]
	v_fma_f64 v[15:16], v[11:12], v[15:16], v[19:20]
	v_fma_f64 v[11:12], v[11:12], v[17:18], -v[13:14]
	v_add_f64 v[1:2], v[1:2], v[15:16]
	v_add_f64 v[3:4], v[3:4], v[11:12]
	s_cbranch_scc0 .LBB375_17
.LBB375_18:
	v_add_nc_u32_e32 v7, s4, v0
	s_mov_b32 s1, exec_lo
	v_cmpx_gt_i32_e64 s18, v7
	s_cbranch_execz .LBB375_20
; %bb.19:
	v_mad_i64_i32 v[7:8], null, s0, v7, 0
	s_ashr_i32 s5, s4, 31
	s_lshl_b64 s[4:5], s[4:5], 4
	v_add_co_u32 v5, vcc_lo, v5, s4
	v_lshlrev_b64 v[7:8], 4, v[7:8]
	v_add_co_ci_u32_e64 v6, null, s5, v6, vcc_lo
	v_add_co_u32 v9, vcc_lo, s2, v7
	v_add_co_ci_u32_e64 v10, null, s3, v8, vcc_lo
	flat_load_dwordx4 v[5:8], v[5:6]
	flat_load_dwordx4 v[9:12], v[9:10]
	s_waitcnt vmcnt(0) lgkmcnt(0)
	v_mul_f64 v[13:14], v[7:8], v[11:12]
	v_mul_f64 v[7:8], v[7:8], v[9:10]
	v_fma_f64 v[9:10], v[5:6], v[9:10], v[13:14]
	v_fma_f64 v[5:6], v[5:6], v[11:12], -v[7:8]
	v_add_f64 v[1:2], v[1:2], v[9:10]
	v_add_f64 v[3:4], v[3:4], v[5:6]
.LBB375_20:
	s_or_b32 exec_lo, exec_lo, s1
	v_lshlrev_b32_e32 v5, 4, v0
	s_mov_b32 s0, exec_lo
	ds_write_b128 v5, v[1:4]
	s_waitcnt lgkmcnt(0)
	s_barrier
	buffer_gl0_inv
	v_cmpx_gt_u32_e32 0x80, v0
	s_cbranch_execz .LBB375_22
; %bb.21:
	ds_read_b128 v[1:4], v5 offset:2048
	ds_read_b128 v[6:9], v5
	s_waitcnt lgkmcnt(0)
	v_add_f64 v[1:2], v[1:2], v[6:7]
	v_add_f64 v[3:4], v[3:4], v[8:9]
	ds_write_b128 v5, v[1:4]
.LBB375_22:
	s_or_b32 exec_lo, exec_lo, s0
	s_mov_b32 s0, exec_lo
	s_waitcnt lgkmcnt(0)
	s_barrier
	buffer_gl0_inv
	v_cmpx_gt_u32_e32 64, v0
	s_cbranch_execz .LBB375_24
; %bb.23:
	ds_read_b128 v[1:4], v5 offset:1024
	ds_read_b128 v[6:9], v5
	s_waitcnt lgkmcnt(0)
	v_add_f64 v[1:2], v[1:2], v[6:7]
	v_add_f64 v[3:4], v[3:4], v[8:9]
	ds_write_b128 v5, v[1:4]
.LBB375_24:
	s_or_b32 exec_lo, exec_lo, s0
	s_mov_b32 s0, exec_lo
	;; [unrolled: 15-line block ×6, first 2 shown]
	s_waitcnt lgkmcnt(0)
	s_barrier
	buffer_gl0_inv
	v_cmpx_gt_u32_e32 2, v0
	s_cbranch_execz .LBB375_34
; %bb.33:
	ds_read_b128 v[1:4], v5
	ds_read_b128 v[6:9], v5 offset:32
	s_waitcnt lgkmcnt(0)
	v_add_f64 v[1:2], v[6:7], v[1:2]
	v_add_f64 v[3:4], v[8:9], v[3:4]
	ds_write_b128 v5, v[1:4]
.LBB375_34:
	s_or_b32 exec_lo, exec_lo, s0
	v_cmp_eq_u32_e32 vcc_lo, 0, v0
	s_waitcnt lgkmcnt(0)
	s_barrier
	buffer_gl0_inv
	s_and_saveexec_b32 s0, vcc_lo
	s_cbranch_execz .LBB375_36
; %bb.35:
	v_mov_b32_e32 v8, 0
	ds_read_b128 v[0:3], v8
	ds_read_b128 v[4:7], v8 offset:16
	s_waitcnt lgkmcnt(0)
	v_add_f64 v[0:1], v[4:5], v[0:1]
	v_add_f64 v[2:3], v[6:7], v[2:3]
	ds_write_b128 v8, v[0:3]
.LBB375_36:
	s_or_b32 exec_lo, exec_lo, s0
	s_waitcnt lgkmcnt(0)
	s_barrier
	buffer_gl0_inv
                                        ; implicit-def: $vgpr3_vgpr4
                                        ; implicit-def: $sgpr18_sgpr19
	s_and_saveexec_b32 s0, vcc_lo
	s_cbranch_execz .LBB375_40
; %bb.37:
	v_mov_b32_e32 v0, 0
	v_cmp_neq_f64_e64 s1, s[8:9], 0
	v_cmp_neq_f64_e64 s2, s[10:11], 0
	s_mul_hi_i32 s19, s21, s6
	s_mul_i32 s18, s21, s6
	ds_read_b128 v[3:6], v0
	s_or_b32 s1, s1, s2
	s_waitcnt lgkmcnt(0)
	v_mul_f64 v[0:1], s[14:15], v[5:6]
	v_mul_f64 v[5:6], s[12:13], v[5:6]
	s_andn2_b32 vcc_lo, exec_lo, s1
	v_fma_f64 v[1:2], s[12:13], v[3:4], -v[0:1]
	v_fma_f64 v[3:4], s[14:15], v[3:4], v[5:6]
	s_cbranch_vccnz .LBB375_39
; %bb.38:
	s_lshl_b64 s[2:3], s[18:19], 4
	s_add_u32 s2, s7, s2
	s_addc_u32 s3, s20, s3
	v_mov_b32_e32 v6, s3
	v_mov_b32_e32 v5, s2
	flat_load_dwordx4 v[5:8], v[5:6]
	s_waitcnt vmcnt(0) lgkmcnt(0)
	v_mul_f64 v[9:10], s[10:11], v[7:8]
	v_mul_f64 v[7:8], s[8:9], v[7:8]
	v_fma_f64 v[9:10], s[8:9], v[5:6], -v[9:10]
	v_fma_f64 v[5:6], s[10:11], v[5:6], v[7:8]
	v_add_f64 v[1:2], v[1:2], v[9:10]
	v_add_f64 v[3:4], v[3:4], v[5:6]
.LBB375_39:
	s_or_b32 s22, s22, exec_lo
.LBB375_40:
	s_or_b32 exec_lo, exec_lo, s0
.LBB375_41:
	s_and_saveexec_b32 s0, s22
	s_cbranch_execz .LBB375_43
; %bb.42:
	s_lshl_b64 s[0:1], s[18:19], 4
	s_add_u32 s0, s7, s0
	s_addc_u32 s1, s20, s1
	v_mov_b32_e32 v6, s1
	v_mov_b32_e32 v5, s0
	flat_store_dwordx4 v[5:6], v[1:4]
.LBB375_43:
	s_endpgm
	.section	.rodata,"a",@progbits
	.p2align	6, 0x0
	.amdhsa_kernel _ZL20rocblas_gemvt_kernelILb1ELi256EPK19rocblas_complex_numIdES1_KPS1_EviiT2_lPKT1_lilS9_lilS6_lPT3_lili
		.amdhsa_group_segment_fixed_size 4096
		.amdhsa_private_segment_fixed_size 0
		.amdhsa_kernarg_size 156
		.amdhsa_user_sgpr_count 6
		.amdhsa_user_sgpr_private_segment_buffer 1
		.amdhsa_user_sgpr_dispatch_ptr 0
		.amdhsa_user_sgpr_queue_ptr 0
		.amdhsa_user_sgpr_kernarg_segment_ptr 1
		.amdhsa_user_sgpr_dispatch_id 0
		.amdhsa_user_sgpr_flat_scratch_init 0
		.amdhsa_user_sgpr_private_segment_size 0
		.amdhsa_wavefront_size32 1
		.amdhsa_uses_dynamic_stack 0
		.amdhsa_system_sgpr_private_segment_wavefront_offset 0
		.amdhsa_system_sgpr_workgroup_id_x 1
		.amdhsa_system_sgpr_workgroup_id_y 0
		.amdhsa_system_sgpr_workgroup_id_z 1
		.amdhsa_system_sgpr_workgroup_info 0
		.amdhsa_system_vgpr_workitem_id 0
		.amdhsa_next_free_vgpr 21
		.amdhsa_next_free_sgpr 28
		.amdhsa_reserve_vcc 1
		.amdhsa_reserve_flat_scratch 0
		.amdhsa_float_round_mode_32 0
		.amdhsa_float_round_mode_16_64 0
		.amdhsa_float_denorm_mode_32 3
		.amdhsa_float_denorm_mode_16_64 3
		.amdhsa_dx10_clamp 1
		.amdhsa_ieee_mode 1
		.amdhsa_fp16_overflow 0
		.amdhsa_workgroup_processor_mode 1
		.amdhsa_memory_ordered 1
		.amdhsa_forward_progress 1
		.amdhsa_shared_vgpr_count 0
		.amdhsa_exception_fp_ieee_invalid_op 0
		.amdhsa_exception_fp_denorm_src 0
		.amdhsa_exception_fp_ieee_div_zero 0
		.amdhsa_exception_fp_ieee_overflow 0
		.amdhsa_exception_fp_ieee_underflow 0
		.amdhsa_exception_fp_ieee_inexact 0
		.amdhsa_exception_int_div_zero 0
	.end_amdhsa_kernel
	.section	.text._ZL20rocblas_gemvt_kernelILb1ELi256EPK19rocblas_complex_numIdES1_KPS1_EviiT2_lPKT1_lilS9_lilS6_lPT3_lili,"axG",@progbits,_ZL20rocblas_gemvt_kernelILb1ELi256EPK19rocblas_complex_numIdES1_KPS1_EviiT2_lPKT1_lilS9_lilS6_lPT3_lili,comdat
.Lfunc_end375:
	.size	_ZL20rocblas_gemvt_kernelILb1ELi256EPK19rocblas_complex_numIdES1_KPS1_EviiT2_lPKT1_lilS9_lilS6_lPT3_lili, .Lfunc_end375-_ZL20rocblas_gemvt_kernelILb1ELi256EPK19rocblas_complex_numIdES1_KPS1_EviiT2_lPKT1_lilS9_lilS6_lPT3_lili
                                        ; -- End function
	.set _ZL20rocblas_gemvt_kernelILb1ELi256EPK19rocblas_complex_numIdES1_KPS1_EviiT2_lPKT1_lilS9_lilS6_lPT3_lili.num_vgpr, 21
	.set _ZL20rocblas_gemvt_kernelILb1ELi256EPK19rocblas_complex_numIdES1_KPS1_EviiT2_lPKT1_lilS9_lilS6_lPT3_lili.num_agpr, 0
	.set _ZL20rocblas_gemvt_kernelILb1ELi256EPK19rocblas_complex_numIdES1_KPS1_EviiT2_lPKT1_lilS9_lilS6_lPT3_lili.numbered_sgpr, 28
	.set _ZL20rocblas_gemvt_kernelILb1ELi256EPK19rocblas_complex_numIdES1_KPS1_EviiT2_lPKT1_lilS9_lilS6_lPT3_lili.num_named_barrier, 0
	.set _ZL20rocblas_gemvt_kernelILb1ELi256EPK19rocblas_complex_numIdES1_KPS1_EviiT2_lPKT1_lilS9_lilS6_lPT3_lili.private_seg_size, 0
	.set _ZL20rocblas_gemvt_kernelILb1ELi256EPK19rocblas_complex_numIdES1_KPS1_EviiT2_lPKT1_lilS9_lilS6_lPT3_lili.uses_vcc, 1
	.set _ZL20rocblas_gemvt_kernelILb1ELi256EPK19rocblas_complex_numIdES1_KPS1_EviiT2_lPKT1_lilS9_lilS6_lPT3_lili.uses_flat_scratch, 0
	.set _ZL20rocblas_gemvt_kernelILb1ELi256EPK19rocblas_complex_numIdES1_KPS1_EviiT2_lPKT1_lilS9_lilS6_lPT3_lili.has_dyn_sized_stack, 0
	.set _ZL20rocblas_gemvt_kernelILb1ELi256EPK19rocblas_complex_numIdES1_KPS1_EviiT2_lPKT1_lilS9_lilS6_lPT3_lili.has_recursion, 0
	.set _ZL20rocblas_gemvt_kernelILb1ELi256EPK19rocblas_complex_numIdES1_KPS1_EviiT2_lPKT1_lilS9_lilS6_lPT3_lili.has_indirect_call, 0
	.section	.AMDGPU.csdata,"",@progbits
; Kernel info:
; codeLenInByte = 1896
; TotalNumSgprs: 30
; NumVgprs: 21
; ScratchSize: 0
; MemoryBound: 0
; FloatMode: 240
; IeeeMode: 1
; LDSByteSize: 4096 bytes/workgroup (compile time only)
; SGPRBlocks: 0
; VGPRBlocks: 2
; NumSGPRsForWavesPerEU: 30
; NumVGPRsForWavesPerEU: 21
; Occupancy: 16
; WaveLimiterHint : 1
; COMPUTE_PGM_RSRC2:SCRATCH_EN: 0
; COMPUTE_PGM_RSRC2:USER_SGPR: 6
; COMPUTE_PGM_RSRC2:TRAP_HANDLER: 0
; COMPUTE_PGM_RSRC2:TGID_X_EN: 1
; COMPUTE_PGM_RSRC2:TGID_Y_EN: 0
; COMPUTE_PGM_RSRC2:TGID_Z_EN: 1
; COMPUTE_PGM_RSRC2:TIDIG_COMP_CNT: 0
	.section	.text._ZL32rocblas_gemvt_warp_reduce_kernelILb1ELi1024EiPK19rocblas_complex_numIdES3_KPS1_EviiT3_lPKT2_lT1_lS9_lSA_lS6_lPT4_lSA_li,"axG",@progbits,_ZL32rocblas_gemvt_warp_reduce_kernelILb1ELi1024EiPK19rocblas_complex_numIdES3_KPS1_EviiT3_lPKT2_lT1_lS9_lSA_lS6_lPT4_lSA_li,comdat
	.globl	_ZL32rocblas_gemvt_warp_reduce_kernelILb1ELi1024EiPK19rocblas_complex_numIdES3_KPS1_EviiT3_lPKT2_lT1_lS9_lSA_lS6_lPT4_lSA_li ; -- Begin function _ZL32rocblas_gemvt_warp_reduce_kernelILb1ELi1024EiPK19rocblas_complex_numIdES3_KPS1_EviiT3_lPKT2_lT1_lS9_lSA_lS6_lPT4_lSA_li
	.p2align	8
	.type	_ZL32rocblas_gemvt_warp_reduce_kernelILb1ELi1024EiPK19rocblas_complex_numIdES3_KPS1_EviiT3_lPKT2_lT1_lS9_lSA_lS6_lPT4_lSA_li,@function
_ZL32rocblas_gemvt_warp_reduce_kernelILb1ELi1024EiPK19rocblas_complex_numIdES3_KPS1_EviiT3_lPKT2_lT1_lS9_lSA_lS6_lPT4_lSA_li: ; @_ZL32rocblas_gemvt_warp_reduce_kernelILb1ELi1024EiPK19rocblas_complex_numIdES3_KPS1_EviiT3_lPKT2_lT1_lS9_lSA_lS6_lPT4_lSA_li
; %bb.0:
	s_clause 0x1
	s_load_dwordx8 s[16:23], s[4:5], 0x8
	s_load_dwordx8 s[8:15], s[4:5], 0x58
	s_mov_b32 s0, s7
	s_mov_b64 s[24:25], 0
	s_waitcnt lgkmcnt(0)
	s_mul_i32 s1, s19, s7
	s_mul_hi_u32 s3, s18, s7
	s_mul_i32 s2, s18, s7
	s_add_i32 s3, s3, s1
	s_mul_i32 s1, s11, s7
	s_lshl_b64 s[2:3], s[2:3], 4
	s_add_u32 s2, s16, s2
	s_addc_u32 s3, s17, s3
	s_load_dwordx4 s[16:19], s[2:3], 0x0
	s_mul_hi_u32 s2, s10, s7
	s_add_i32 s3, s2, s1
	s_mul_i32 s2, s10, s0
	s_mov_b32 s1, 0
	s_lshl_b64 s[2:3], s[2:3], 4
	s_add_u32 s2, s8, s2
	s_addc_u32 s3, s9, s3
	s_load_dwordx4 s[8:11], s[2:3], 0x0
	s_mov_b32 s3, s1
	s_waitcnt lgkmcnt(0)
	v_cmp_neq_f64_e64 s7, s[16:17], 0
	v_cmp_neq_f64_e64 s26, s[18:19], 0
	s_or_b32 s2, s7, s26
	s_mov_b32 s7, -1
	s_and_b32 vcc_lo, exec_lo, s2
	s_cbranch_vccz .LBB376_4
; %bb.1:
	s_andn2_b32 vcc_lo, exec_lo, s7
	s_cbranch_vccz .LBB376_5
.LBB376_2:
	s_andn2_b32 vcc_lo, exec_lo, s3
	s_cbranch_vccz .LBB376_6
.LBB376_3:
	s_endpgm
.LBB376_4:
	v_cmp_neq_f64_e64 s3, s[8:9], 1.0
	v_cmp_neq_f64_e64 s7, s[10:11], 0
	s_or_b32 s3, s3, s7
	s_cbranch_execnz .LBB376_2
.LBB376_5:
	s_lshl_b64 s[24:25], s[0:1], 3
	s_add_u32 s20, s20, s24
	s_addc_u32 s21, s21, s25
	s_lshl_b64 s[22:23], s[22:23], 4
	s_load_dwordx2 s[20:21], s[20:21], 0x0
	s_waitcnt lgkmcnt(0)
	s_add_u32 s24, s20, s22
	s_addc_u32 s25, s21, s23
.LBB376_6:
	v_cndmask_b32_e64 v1, 0, 1, s2
	s_xor_b32 s21, s2, -1
	s_mov_b64 s[2:3], 0
	v_cmp_ne_u32_e32 vcc_lo, 1, v1
	s_cbranch_vccnz .LBB376_8
; %bb.7:
	s_load_dwordx4 s[28:31], s[4:5], 0x38
	s_lshl_b64 s[2:3], s[0:1], 3
	s_waitcnt lgkmcnt(0)
	s_add_u32 s2, s28, s2
	s_addc_u32 s3, s29, s3
	s_lshl_b64 s[22:23], s[30:31], 4
	s_load_dwordx2 s[2:3], s[2:3], 0x0
	s_waitcnt lgkmcnt(0)
	s_add_u32 s2, s2, s22
	s_addc_u32 s3, s3, s23
.LBB376_8:
	s_lshl_b64 s[0:1], s[0:1], 3
	s_add_u32 s0, s12, s0
	s_addc_u32 s1, s13, s1
	s_lshl_b64 s[14:15], s[14:15], 4
	s_load_dwordx2 s[12:13], s[0:1], 0x0
	s_load_dword s20, s[4:5], 0x78
	v_cmp_eq_u32_e64 s0, 0, v0
	s_waitcnt lgkmcnt(0)
	s_add_u32 s1, s12, s14
	s_addc_u32 s7, s13, s15
	s_andn2_b32 vcc_lo, exec_lo, s21
	s_cbranch_vccnz .LBB376_13
; %bb.9:
	s_mov_b32 s15, 0
	s_mov_b32 s14, 0
                                        ; implicit-def: $vgpr3_vgpr4
                                        ; implicit-def: $sgpr12_sgpr13
	s_and_saveexec_b32 s21, s0
	s_cbranch_execz .LBB376_14
; %bb.10:
	v_cmp_neq_f64_e64 s0, s[8:9], 0
	v_cmp_neq_f64_e64 s12, s[10:11], 0
	v_mov_b32_e32 v3, 0
	v_mov_b32_e32 v1, 0
	v_mov_b32_e32 v4, 0
	v_mov_b32_e32 v2, 0
	s_or_b32 s0, s0, s12
	s_mul_i32 s12, s20, s6
	s_andn2_b32 vcc_lo, exec_lo, s0
	s_ashr_i32 s13, s12, 31
	s_cbranch_vccnz .LBB376_12
; %bb.11:
	s_lshl_b64 s[22:23], s[12:13], 4
	s_add_u32 s22, s1, s22
	s_addc_u32 s23, s7, s23
	v_mov_b32_e32 v1, s22
	v_mov_b32_e32 v2, s23
	flat_load_dwordx4 v[3:6], v[1:2]
	s_waitcnt vmcnt(0) lgkmcnt(0)
	v_mul_f64 v[1:2], s[10:11], v[5:6]
	v_mul_f64 v[5:6], s[8:9], v[5:6]
	v_fma_f64 v[1:2], s[8:9], v[3:4], -v[1:2]
	v_fma_f64 v[3:4], s[10:11], v[3:4], v[5:6]
.LBB376_12:
	s_mov_b32 s14, exec_lo
	s_or_b32 exec_lo, exec_lo, s21
	s_and_b32 vcc_lo, exec_lo, s15
	s_cbranch_vccnz .LBB376_15
	s_branch .LBB376_34
.LBB376_13:
	s_mov_b32 s14, 0
                                        ; implicit-def: $vgpr3_vgpr4
                                        ; implicit-def: $sgpr12_sgpr13
	s_cbranch_execnz .LBB376_15
	s_branch .LBB376_34
.LBB376_14:
	s_or_b32 exec_lo, exec_lo, s21
	s_and_b32 vcc_lo, exec_lo, s15
	s_cbranch_vccz .LBB376_34
.LBB376_15:
	s_clause 0x2
	s_load_dword s12, s[4:5], 0x0
	s_load_dword s0, s[4:5], 0x28
	;; [unrolled: 1-line block ×3, first 2 shown]
	v_mov_b32_e32 v1, 0
	v_mov_b32_e32 v3, 0
	;; [unrolled: 1-line block ×4, first 2 shown]
	s_mov_b32 s15, 0
	s_mov_b32 s13, exec_lo
	s_waitcnt lgkmcnt(0)
	v_cmp_gt_i32_e32 vcc_lo, s12, v0
	s_mul_i32 s22, s0, s6
	s_ashr_i32 s0, s12, 31
	s_ashr_i32 s23, s22, 31
	s_lshr_b32 s0, s0, 22
	v_cndmask_b32_e32 v5, 0, v0, vcc_lo
	s_lshl_b64 s[22:23], s[22:23], 4
	s_add_i32 s0, s12, s0
	v_lshlrev_b32_e32 v5, 4, v5
	v_add_co_u32 v5, s4, s24, v5
	v_add_co_ci_u32_e64 v6, null, s25, 0, s4
	s_and_b32 s4, s0, 0xfffffc00
	v_add_co_u32 v5, vcc_lo, v5, s22
	v_add_co_ci_u32_e64 v6, null, s23, v6, vcc_lo
	v_cmpx_gt_i32_e64 s4, v0
	s_cbranch_execz .LBB376_19
; %bb.16:
	v_mul_lo_u32 v7, v0, s5
	v_mov_b32_e32 v1, 0
	v_mov_b32_e32 v10, v6
	;; [unrolled: 1-line block ×7, first 2 shown]
	s_lshl_b32 s21, s5, 10
	s_inst_prefetch 0x1
	.p2align	6
.LBB376_17:                             ; =>This Inner Loop Header: Depth=1
	v_ashrrev_i32_e32 v8, 31, v7
	v_add_nc_u32_e32 v11, 0x400, v11
	v_lshlrev_b64 v[12:13], 4, v[7:8]
	v_cmp_le_i32_e64 s0, s4, v11
	v_add_nc_u32_e32 v7, s21, v7
	s_or_b32 s15, s0, s15
	v_add_co_u32 v16, vcc_lo, s2, v12
	v_add_co_ci_u32_e64 v17, null, s3, v13, vcc_lo
	flat_load_dwordx4 v[12:15], v[9:10]
	flat_load_dwordx4 v[16:19], v[16:17]
	v_add_co_u32 v9, vcc_lo, 0x4000, v9
	v_add_co_ci_u32_e64 v10, null, 0, v10, vcc_lo
	s_waitcnt vmcnt(0) lgkmcnt(0)
	v_mul_f64 v[20:21], v[14:15], v[18:19]
	v_mul_f64 v[14:15], v[14:15], v[16:17]
	v_fma_f64 v[16:17], v[12:13], v[16:17], v[20:21]
	v_fma_f64 v[12:13], v[12:13], v[18:19], -v[14:15]
	v_add_f64 v[3:4], v[3:4], v[16:17]
	v_add_f64 v[1:2], v[1:2], v[12:13]
	s_andn2_b32 exec_lo, exec_lo, s15
	s_cbranch_execnz .LBB376_17
; %bb.18:
	s_inst_prefetch 0x2
	s_or_b32 exec_lo, exec_lo, s15
.LBB376_19:
	s_or_b32 exec_lo, exec_lo, s13
	v_or_b32_e32 v7, s4, v0
	s_mov_b32 s0, exec_lo
	v_cmpx_gt_i32_e64 s12, v7
	s_cbranch_execz .LBB376_21
; %bb.20:
	v_mul_lo_u32 v7, s5, v7
	s_ashr_i32 s5, s4, 31
	s_lshl_b64 s[4:5], s[4:5], 4
	v_add_co_u32 v5, vcc_lo, v5, s4
	v_add_co_ci_u32_e64 v6, null, s5, v6, vcc_lo
	v_ashrrev_i32_e32 v8, 31, v7
	v_lshlrev_b64 v[7:8], 4, v[7:8]
	v_add_co_u32 v9, vcc_lo, s2, v7
	v_add_co_ci_u32_e64 v10, null, s3, v8, vcc_lo
	flat_load_dwordx4 v[5:8], v[5:6]
	flat_load_dwordx4 v[9:12], v[9:10]
	s_waitcnt vmcnt(0) lgkmcnt(0)
	v_mul_f64 v[13:14], v[7:8], v[11:12]
	v_mul_f64 v[7:8], v[7:8], v[9:10]
	v_fma_f64 v[9:10], v[5:6], v[9:10], v[13:14]
	v_fma_f64 v[5:6], v[5:6], v[11:12], -v[7:8]
	v_add_f64 v[3:4], v[3:4], v[9:10]
	v_add_f64 v[1:2], v[1:2], v[5:6]
.LBB376_21:
	s_or_b32 exec_lo, exec_lo, s0
	v_and_b32_e32 v15, 31, v0
	v_cmp_gt_u32_e32 vcc_lo, 32, v0
	v_lshlrev_b32_e32 v12, 4, v15
	s_and_saveexec_b32 s0, vcc_lo
	s_cbranch_execz .LBB376_23
; %bb.22:
	v_mov_b32_e32 v5, 0
	v_mov_b32_e32 v6, v5
	;; [unrolled: 1-line block ×4, first 2 shown]
	ds_write_b128 v12, v[5:8]
.LBB376_23:
	s_or_b32 exec_lo, exec_lo, s0
	v_mbcnt_lo_u32_b32 v14, -1, 0
	s_mov_b32 s2, exec_lo
	s_waitcnt lgkmcnt(0)
	s_barrier
	buffer_gl0_inv
	v_lshl_or_b32 v9, v14, 2, 64
	v_cmp_gt_u32_e64 s0, 24, v14
	ds_bpermute_b32 v5, v9, v3
	ds_bpermute_b32 v6, v9, v4
	;; [unrolled: 1-line block ×4, first 2 shown]
	s_waitcnt lgkmcnt(2)
	v_add_f64 v[3:4], v[3:4], v[5:6]
	v_cndmask_b32_e64 v5, 0, 8, s0
	s_waitcnt lgkmcnt(0)
	v_add_f64 v[1:2], v[1:2], v[7:8]
	v_cmp_gt_u32_e64 s0, 28, v14
	v_add_lshl_u32 v10, v5, v14, 2
	ds_bpermute_b32 v5, v10, v3
	ds_bpermute_b32 v6, v10, v4
	;; [unrolled: 1-line block ×4, first 2 shown]
	s_waitcnt lgkmcnt(2)
	v_add_f64 v[3:4], v[3:4], v[5:6]
	v_cndmask_b32_e64 v5, 0, 4, s0
	s_waitcnt lgkmcnt(0)
	v_add_f64 v[1:2], v[1:2], v[7:8]
	v_cmp_gt_u32_e64 s0, 30, v14
	v_add_lshl_u32 v11, v5, v14, 2
	ds_bpermute_b32 v5, v11, v3
	ds_bpermute_b32 v6, v11, v4
	;; [unrolled: 1-line block ×4, first 2 shown]
	s_waitcnt lgkmcnt(2)
	v_add_f64 v[3:4], v[3:4], v[5:6]
	s_waitcnt lgkmcnt(0)
	v_add_f64 v[5:6], v[1:2], v[7:8]
	v_cndmask_b32_e64 v1, 0, 2, s0
	v_cmp_ne_u32_e64 s0, 31, v14
	v_add_lshl_u32 v13, v1, v14, 2
	ds_bpermute_b32 v1, v13, v3
	ds_bpermute_b32 v2, v13, v4
	;; [unrolled: 1-line block ×4, first 2 shown]
	s_waitcnt lgkmcnt(2)
	v_add_f64 v[1:2], v[3:4], v[1:2]
	s_waitcnt lgkmcnt(0)
	v_add_f64 v[3:4], v[5:6], v[7:8]
	v_add_co_ci_u32_e64 v5, null, 0, v14, s0
	v_lshlrev_b32_e32 v14, 2, v5
	ds_bpermute_b32 v5, v14, v1
	ds_bpermute_b32 v6, v14, v2
	;; [unrolled: 1-line block ×4, first 2 shown]
	v_cmpx_eq_u32_e32 0, v15
	s_cbranch_execz .LBB376_25
; %bb.24:
	s_waitcnt lgkmcnt(0)
	v_add_f64 v[3:4], v[3:4], v[7:8]
	v_add_f64 v[1:2], v[1:2], v[5:6]
	v_lshrrev_b32_e32 v5, 1, v0
	v_and_b32_e32 v5, 0x1f0, v5
	ds_write_b128 v5, v[1:4]
.LBB376_25:
	s_or_b32 exec_lo, exec_lo, s2
	s_waitcnt lgkmcnt(0)
	v_mov_b32_e32 v7, 0
	v_mov_b32_e32 v5, 0
	;; [unrolled: 1-line block ×4, first 2 shown]
	s_barrier
	buffer_gl0_inv
	s_and_saveexec_b32 s0, vcc_lo
; %bb.26:
	ds_read_b128 v[5:8], v12
; %bb.27:
	s_or_b32 exec_lo, exec_lo, s0
	s_and_saveexec_b32 s0, vcc_lo
	s_cbranch_execz .LBB376_29
; %bb.28:
	s_waitcnt lgkmcnt(0)
	ds_bpermute_b32 v1, v9, v5
	ds_bpermute_b32 v2, v9, v6
	ds_bpermute_b32 v3, v9, v7
	ds_bpermute_b32 v4, v9, v8
	s_waitcnt lgkmcnt(2)
	v_add_f64 v[1:2], v[5:6], v[1:2]
	s_waitcnt lgkmcnt(0)
	v_add_f64 v[3:4], v[7:8], v[3:4]
	ds_bpermute_b32 v5, v10, v1
	ds_bpermute_b32 v6, v10, v2
	ds_bpermute_b32 v7, v10, v3
	ds_bpermute_b32 v8, v10, v4
	s_waitcnt lgkmcnt(2)
	v_add_f64 v[1:2], v[1:2], v[5:6]
	s_waitcnt lgkmcnt(0)
	v_add_f64 v[3:4], v[3:4], v[7:8]
	;; [unrolled: 8-line block ×5, first 2 shown]
.LBB376_29:
	s_or_b32 exec_lo, exec_lo, s0
	s_mov_b32 s0, exec_lo
                                        ; implicit-def: $vgpr3_vgpr4
                                        ; implicit-def: $sgpr12_sgpr13
	v_cmpx_eq_u32_e32 0, v0
	s_cbranch_execz .LBB376_33
; %bb.30:
	s_waitcnt lgkmcnt(0)
	v_mul_f64 v[0:1], s[18:19], v[7:8]
	v_mul_f64 v[3:4], s[16:17], v[7:8]
	v_cmp_neq_f64_e64 s2, s[8:9], 0
	v_cmp_neq_f64_e64 s3, s[10:11], 0
	s_mul_i32 s12, s20, s6
	s_ashr_i32 s13, s12, 31
	v_fma_f64 v[1:2], s[16:17], v[5:6], -v[0:1]
	v_fma_f64 v[3:4], s[18:19], v[5:6], v[3:4]
	s_or_b32 s2, s2, s3
	s_andn2_b32 vcc_lo, exec_lo, s2
	s_cbranch_vccnz .LBB376_32
; %bb.31:
	s_lshl_b64 s[2:3], s[12:13], 4
	s_add_u32 s2, s1, s2
	s_addc_u32 s3, s7, s3
	v_mov_b32_e32 v6, s3
	v_mov_b32_e32 v5, s2
	flat_load_dwordx4 v[5:8], v[5:6]
	s_waitcnt vmcnt(0) lgkmcnt(0)
	v_mul_f64 v[9:10], s[10:11], v[7:8]
	v_mul_f64 v[7:8], s[8:9], v[7:8]
	v_fma_f64 v[9:10], s[8:9], v[5:6], -v[9:10]
	v_fma_f64 v[5:6], s[10:11], v[5:6], v[7:8]
	v_add_f64 v[1:2], v[1:2], v[9:10]
	v_add_f64 v[3:4], v[3:4], v[5:6]
.LBB376_32:
	s_or_b32 s14, s14, exec_lo
.LBB376_33:
	s_or_b32 exec_lo, exec_lo, s0
.LBB376_34:
	s_and_saveexec_b32 s0, s14
	s_cbranch_execz .LBB376_3
; %bb.35:
	s_lshl_b64 s[2:3], s[12:13], 4
	s_add_u32 s0, s1, s2
	s_addc_u32 s1, s7, s3
	s_waitcnt lgkmcnt(0)
	v_mov_b32_e32 v6, s1
	v_mov_b32_e32 v5, s0
	flat_store_dwordx4 v[5:6], v[1:4]
	s_endpgm
	.section	.rodata,"a",@progbits
	.p2align	6, 0x0
	.amdhsa_kernel _ZL32rocblas_gemvt_warp_reduce_kernelILb1ELi1024EiPK19rocblas_complex_numIdES3_KPS1_EviiT3_lPKT2_lT1_lS9_lSA_lS6_lPT4_lSA_li
		.amdhsa_group_segment_fixed_size 512
		.amdhsa_private_segment_fixed_size 0
		.amdhsa_kernarg_size 140
		.amdhsa_user_sgpr_count 6
		.amdhsa_user_sgpr_private_segment_buffer 1
		.amdhsa_user_sgpr_dispatch_ptr 0
		.amdhsa_user_sgpr_queue_ptr 0
		.amdhsa_user_sgpr_kernarg_segment_ptr 1
		.amdhsa_user_sgpr_dispatch_id 0
		.amdhsa_user_sgpr_flat_scratch_init 0
		.amdhsa_user_sgpr_private_segment_size 0
		.amdhsa_wavefront_size32 1
		.amdhsa_uses_dynamic_stack 0
		.amdhsa_system_sgpr_private_segment_wavefront_offset 0
		.amdhsa_system_sgpr_workgroup_id_x 1
		.amdhsa_system_sgpr_workgroup_id_y 0
		.amdhsa_system_sgpr_workgroup_id_z 1
		.amdhsa_system_sgpr_workgroup_info 0
		.amdhsa_system_vgpr_workitem_id 0
		.amdhsa_next_free_vgpr 22
		.amdhsa_next_free_sgpr 32
		.amdhsa_reserve_vcc 1
		.amdhsa_reserve_flat_scratch 0
		.amdhsa_float_round_mode_32 0
		.amdhsa_float_round_mode_16_64 0
		.amdhsa_float_denorm_mode_32 3
		.amdhsa_float_denorm_mode_16_64 3
		.amdhsa_dx10_clamp 1
		.amdhsa_ieee_mode 1
		.amdhsa_fp16_overflow 0
		.amdhsa_workgroup_processor_mode 1
		.amdhsa_memory_ordered 1
		.amdhsa_forward_progress 1
		.amdhsa_shared_vgpr_count 0
		.amdhsa_exception_fp_ieee_invalid_op 0
		.amdhsa_exception_fp_denorm_src 0
		.amdhsa_exception_fp_ieee_div_zero 0
		.amdhsa_exception_fp_ieee_overflow 0
		.amdhsa_exception_fp_ieee_underflow 0
		.amdhsa_exception_fp_ieee_inexact 0
		.amdhsa_exception_int_div_zero 0
	.end_amdhsa_kernel
	.section	.text._ZL32rocblas_gemvt_warp_reduce_kernelILb1ELi1024EiPK19rocblas_complex_numIdES3_KPS1_EviiT3_lPKT2_lT1_lS9_lSA_lS6_lPT4_lSA_li,"axG",@progbits,_ZL32rocblas_gemvt_warp_reduce_kernelILb1ELi1024EiPK19rocblas_complex_numIdES3_KPS1_EviiT3_lPKT2_lT1_lS9_lSA_lS6_lPT4_lSA_li,comdat
.Lfunc_end376:
	.size	_ZL32rocblas_gemvt_warp_reduce_kernelILb1ELi1024EiPK19rocblas_complex_numIdES3_KPS1_EviiT3_lPKT2_lT1_lS9_lSA_lS6_lPT4_lSA_li, .Lfunc_end376-_ZL32rocblas_gemvt_warp_reduce_kernelILb1ELi1024EiPK19rocblas_complex_numIdES3_KPS1_EviiT3_lPKT2_lT1_lS9_lSA_lS6_lPT4_lSA_li
                                        ; -- End function
	.set _ZL32rocblas_gemvt_warp_reduce_kernelILb1ELi1024EiPK19rocblas_complex_numIdES3_KPS1_EviiT3_lPKT2_lT1_lS9_lSA_lS6_lPT4_lSA_li.num_vgpr, 22
	.set _ZL32rocblas_gemvt_warp_reduce_kernelILb1ELi1024EiPK19rocblas_complex_numIdES3_KPS1_EviiT3_lPKT2_lT1_lS9_lSA_lS6_lPT4_lSA_li.num_agpr, 0
	.set _ZL32rocblas_gemvt_warp_reduce_kernelILb1ELi1024EiPK19rocblas_complex_numIdES3_KPS1_EviiT3_lPKT2_lT1_lS9_lSA_lS6_lPT4_lSA_li.numbered_sgpr, 32
	.set _ZL32rocblas_gemvt_warp_reduce_kernelILb1ELi1024EiPK19rocblas_complex_numIdES3_KPS1_EviiT3_lPKT2_lT1_lS9_lSA_lS6_lPT4_lSA_li.num_named_barrier, 0
	.set _ZL32rocblas_gemvt_warp_reduce_kernelILb1ELi1024EiPK19rocblas_complex_numIdES3_KPS1_EviiT3_lPKT2_lT1_lS9_lSA_lS6_lPT4_lSA_li.private_seg_size, 0
	.set _ZL32rocblas_gemvt_warp_reduce_kernelILb1ELi1024EiPK19rocblas_complex_numIdES3_KPS1_EviiT3_lPKT2_lT1_lS9_lSA_lS6_lPT4_lSA_li.uses_vcc, 1
	.set _ZL32rocblas_gemvt_warp_reduce_kernelILb1ELi1024EiPK19rocblas_complex_numIdES3_KPS1_EviiT3_lPKT2_lT1_lS9_lSA_lS6_lPT4_lSA_li.uses_flat_scratch, 0
	.set _ZL32rocblas_gemvt_warp_reduce_kernelILb1ELi1024EiPK19rocblas_complex_numIdES3_KPS1_EviiT3_lPKT2_lT1_lS9_lSA_lS6_lPT4_lSA_li.has_dyn_sized_stack, 0
	.set _ZL32rocblas_gemvt_warp_reduce_kernelILb1ELi1024EiPK19rocblas_complex_numIdES3_KPS1_EviiT3_lPKT2_lT1_lS9_lSA_lS6_lPT4_lSA_li.has_recursion, 0
	.set _ZL32rocblas_gemvt_warp_reduce_kernelILb1ELi1024EiPK19rocblas_complex_numIdES3_KPS1_EviiT3_lPKT2_lT1_lS9_lSA_lS6_lPT4_lSA_li.has_indirect_call, 0
	.section	.AMDGPU.csdata,"",@progbits
; Kernel info:
; codeLenInByte = 2124
; TotalNumSgprs: 34
; NumVgprs: 22
; ScratchSize: 0
; MemoryBound: 0
; FloatMode: 240
; IeeeMode: 1
; LDSByteSize: 512 bytes/workgroup (compile time only)
; SGPRBlocks: 0
; VGPRBlocks: 2
; NumSGPRsForWavesPerEU: 34
; NumVGPRsForWavesPerEU: 22
; Occupancy: 16
; WaveLimiterHint : 1
; COMPUTE_PGM_RSRC2:SCRATCH_EN: 0
; COMPUTE_PGM_RSRC2:USER_SGPR: 6
; COMPUTE_PGM_RSRC2:TRAP_HANDLER: 0
; COMPUTE_PGM_RSRC2:TGID_X_EN: 1
; COMPUTE_PGM_RSRC2:TGID_Y_EN: 0
; COMPUTE_PGM_RSRC2:TGID_Z_EN: 1
; COMPUTE_PGM_RSRC2:TIDIG_COMP_CNT: 0
	.section	.text._ZL32rocblas_gemvt_warp_reduce_kernelILb1ELi1024ElPK19rocblas_complex_numIdES3_KPS1_EviiT3_lPKT2_lT1_lS9_lSA_lS6_lPT4_lSA_li,"axG",@progbits,_ZL32rocblas_gemvt_warp_reduce_kernelILb1ELi1024ElPK19rocblas_complex_numIdES3_KPS1_EviiT3_lPKT2_lT1_lS9_lSA_lS6_lPT4_lSA_li,comdat
	.globl	_ZL32rocblas_gemvt_warp_reduce_kernelILb1ELi1024ElPK19rocblas_complex_numIdES3_KPS1_EviiT3_lPKT2_lT1_lS9_lSA_lS6_lPT4_lSA_li ; -- Begin function _ZL32rocblas_gemvt_warp_reduce_kernelILb1ELi1024ElPK19rocblas_complex_numIdES3_KPS1_EviiT3_lPKT2_lT1_lS9_lSA_lS6_lPT4_lSA_li
	.p2align	8
	.type	_ZL32rocblas_gemvt_warp_reduce_kernelILb1ELi1024ElPK19rocblas_complex_numIdES3_KPS1_EviiT3_lPKT2_lT1_lS9_lSA_lS6_lPT4_lSA_li,@function
_ZL32rocblas_gemvt_warp_reduce_kernelILb1ELi1024ElPK19rocblas_complex_numIdES3_KPS1_EviiT3_lPKT2_lT1_lS9_lSA_lS6_lPT4_lSA_li: ; @_ZL32rocblas_gemvt_warp_reduce_kernelILb1ELi1024ElPK19rocblas_complex_numIdES3_KPS1_EviiT3_lPKT2_lT1_lS9_lSA_lS6_lPT4_lSA_li
; %bb.0:
	s_clause 0x1
	s_load_dwordx8 s[16:23], s[4:5], 0x8
	s_load_dwordx8 s[8:15], s[4:5], 0x58
	s_mov_b32 s30, s7
	s_mov_b32 s31, 0
	s_mov_b64 s[28:29], 0
	s_waitcnt lgkmcnt(0)
	s_mul_i32 s1, s19, s7
	s_mul_hi_u32 s2, s18, s7
	s_mul_i32 s0, s18, s7
	s_add_i32 s1, s2, s1
	s_lshl_b64 s[0:1], s[0:1], 4
	s_add_u32 s0, s16, s0
	s_addc_u32 s1, s17, s1
	s_load_dwordx4 s[16:19], s[0:1], 0x0
	s_mul_i32 s0, s11, s7
	s_mul_hi_u32 s1, s10, s7
	s_add_i32 s1, s1, s0
	s_mul_i32 s0, s10, s7
	s_lshl_b64 s[0:1], s[0:1], 4
	s_add_u32 s0, s8, s0
	s_addc_u32 s1, s9, s1
	s_load_dwordx2 s[26:27], s[4:5], 0x28
	s_load_dwordx4 s[8:11], s[0:1], 0x0
	s_mov_b32 s1, -1
	s_mov_b32 s0, s31
	s_waitcnt lgkmcnt(0)
	v_cmp_neq_f64_e64 s2, s[16:17], 0
	v_cmp_neq_f64_e64 s3, s[18:19], 0
	s_or_b32 s7, s2, s3
	s_and_b32 vcc_lo, exec_lo, s7
	s_cbranch_vccz .LBB377_4
; %bb.1:
	s_andn2_b32 vcc_lo, exec_lo, s1
	s_cbranch_vccz .LBB377_5
.LBB377_2:
	s_andn2_b32 vcc_lo, exec_lo, s0
	s_cbranch_vccz .LBB377_6
.LBB377_3:
	s_endpgm
.LBB377_4:
	v_cmp_neq_f64_e64 s0, s[8:9], 1.0
	v_cmp_neq_f64_e64 s1, s[10:11], 0
	s_or_b32 s0, s0, s1
	s_cbranch_execnz .LBB377_2
.LBB377_5:
	s_lshl_b64 s[0:1], s[30:31], 3
	s_add_u32 s0, s20, s0
	s_addc_u32 s1, s21, s1
	s_lshl_b64 s[2:3], s[22:23], 4
	s_load_dwordx2 s[0:1], s[0:1], 0x0
	s_waitcnt lgkmcnt(0)
	s_add_u32 s28, s0, s2
	s_addc_u32 s29, s1, s3
.LBB377_6:
	s_clause 0x2
	s_load_dwordx2 s[20:21], s[4:5], 0x78
	s_load_dwordx4 s[0:3], s[4:5], 0x38
	s_load_dwordx2 s[22:23], s[4:5], 0x48
	v_cndmask_b32_e64 v1, 0, 1, s7
	s_xor_b32 s33, s7, -1
	s_mov_b64 s[24:25], 0
	v_cmp_ne_u32_e32 vcc_lo, 1, v1
	s_cbranch_vccnz .LBB377_8
; %bb.7:
	s_lshl_b64 s[24:25], s[30:31], 3
	s_waitcnt lgkmcnt(0)
	s_add_u32 s0, s0, s24
	s_addc_u32 s1, s1, s25
	s_lshl_b64 s[2:3], s[2:3], 4
	s_load_dwordx2 s[0:1], s[0:1], 0x0
	s_waitcnt lgkmcnt(0)
	s_add_u32 s24, s0, s2
	s_addc_u32 s25, s1, s3
.LBB377_8:
	s_waitcnt lgkmcnt(0)
	s_lshl_b64 s[0:1], s[30:31], 3
	s_add_u32 s0, s12, s0
	s_addc_u32 s1, s13, s1
	s_lshl_b64 s[12:13], s[14:15], 4
	s_load_dwordx2 s[2:3], s[0:1], 0x0
	v_cmp_eq_u32_e64 s0, 0, v0
	s_waitcnt lgkmcnt(0)
	s_add_u32 s1, s2, s12
	s_addc_u32 s7, s3, s13
	s_andn2_b32 vcc_lo, exec_lo, s33
	s_cbranch_vccnz .LBB377_13
; %bb.9:
	s_mov_b32 s13, 0
	s_mov_b32 s12, 0
                                        ; implicit-def: $vgpr3_vgpr4
                                        ; implicit-def: $sgpr2_sgpr3
	s_and_saveexec_b32 s14, s0
	s_cbranch_execz .LBB377_14
; %bb.10:
	v_cmp_neq_f64_e64 s0, s[8:9], 0
	v_cmp_neq_f64_e64 s2, s[10:11], 0
	s_ashr_i32 s3, s6, 31
	v_mov_b32_e32 v3, 0
	s_mul_i32 s3, s20, s3
	v_mov_b32_e32 v1, 0
	v_mov_b32_e32 v4, 0
	;; [unrolled: 1-line block ×3, first 2 shown]
	s_or_b32 s0, s0, s2
	s_mul_hi_u32 s2, s20, s6
	s_andn2_b32 vcc_lo, exec_lo, s0
	s_add_i32 s2, s2, s3
	s_mul_i32 s3, s21, s6
	s_add_i32 s3, s2, s3
	s_mul_i32 s2, s20, s6
	s_cbranch_vccnz .LBB377_12
; %bb.11:
	s_lshl_b64 s[30:31], s[2:3], 4
	s_add_u32 s30, s1, s30
	s_addc_u32 s31, s7, s31
	v_mov_b32_e32 v1, s30
	v_mov_b32_e32 v2, s31
	flat_load_dwordx4 v[3:6], v[1:2]
	s_waitcnt vmcnt(0) lgkmcnt(0)
	v_mul_f64 v[1:2], s[10:11], v[5:6]
	v_mul_f64 v[5:6], s[8:9], v[5:6]
	v_fma_f64 v[1:2], s[8:9], v[3:4], -v[1:2]
	v_fma_f64 v[3:4], s[10:11], v[3:4], v[5:6]
.LBB377_12:
	s_mov_b32 s12, exec_lo
	s_or_b32 exec_lo, exec_lo, s14
	s_and_b32 vcc_lo, exec_lo, s13
	s_cbranch_vccnz .LBB377_15
	s_branch .LBB377_34
.LBB377_13:
	s_mov_b32 s12, 0
                                        ; implicit-def: $vgpr3_vgpr4
                                        ; implicit-def: $sgpr2_sgpr3
	s_cbranch_execnz .LBB377_15
	s_branch .LBB377_34
.LBB377_14:
	s_or_b32 exec_lo, exec_lo, s14
	s_and_b32 vcc_lo, exec_lo, s13
	s_cbranch_vccz .LBB377_34
.LBB377_15:
	s_load_dword s3, s[4:5], 0x0
	s_ashr_i32 s13, s6, 31
	s_mul_hi_u32 s0, s26, s6
	s_mul_i32 s5, s26, s13
	s_mul_i32 s2, s27, s6
	s_add_i32 s0, s0, s5
	s_mul_i32 s4, s26, s6
	s_add_i32 s5, s0, s2
	v_mov_b32_e32 v1, 0
	s_lshl_b64 s[4:5], s[4:5], 4
	v_mov_b32_e32 v3, 0
	v_mov_b32_e32 v2, 0
	;; [unrolled: 1-line block ×3, first 2 shown]
	s_mov_b32 s15, 0
	s_mov_b32 s14, exec_lo
	s_waitcnt lgkmcnt(0)
	v_cmp_gt_i32_e32 vcc_lo, s3, v0
	s_ashr_i32 s0, s3, 31
	s_lshr_b32 s0, s0, 22
	s_add_i32 s0, s3, s0
	v_cndmask_b32_e32 v5, 0, v0, vcc_lo
	v_lshlrev_b32_e32 v5, 4, v5
	v_add_co_u32 v5, s2, s28, v5
	v_add_co_ci_u32_e64 v6, null, s29, 0, s2
	s_and_b32 s2, s0, 0xfffffc00
	v_add_co_u32 v5, vcc_lo, v5, s4
	v_add_co_ci_u32_e64 v6, null, s5, v6, vcc_lo
	v_cmpx_gt_i32_e64 s2, v0
	s_cbranch_execz .LBB377_19
; %bb.16:
	v_mad_u64_u32 v[1:2], null, s22, v0, 0
	v_mov_b32_e32 v8, v6
	v_mov_b32_e32 v7, v5
	;; [unrolled: 1-line block ×3, first 2 shown]
	s_lshl_b64 s[4:5], s[22:23], 14
	v_mad_u64_u32 v[2:3], null, s23, v0, v[2:3]
	v_mov_b32_e32 v3, 0
	v_mov_b32_e32 v4, 0
	v_lshlrev_b64 v[9:10], 4, v[1:2]
	v_mov_b32_e32 v1, 0
	v_mov_b32_e32 v2, 0
	v_add_co_u32 v9, vcc_lo, s24, v9
	v_add_co_ci_u32_e64 v10, null, s25, v10, vcc_lo
	.p2align	6
.LBB377_17:                             ; =>This Inner Loop Header: Depth=1
	flat_load_dwordx4 v[12:15], v[7:8]
	flat_load_dwordx4 v[16:19], v[9:10]
	v_add_nc_u32_e32 v11, 0x400, v11
	v_add_co_u32 v7, vcc_lo, 0x4000, v7
	v_add_co_ci_u32_e64 v8, null, 0, v8, vcc_lo
	v_cmp_le_i32_e32 vcc_lo, s2, v11
	v_add_co_u32 v9, s0, v9, s4
	v_add_co_ci_u32_e64 v10, null, s5, v10, s0
	s_or_b32 s15, vcc_lo, s15
	s_waitcnt vmcnt(0) lgkmcnt(0)
	v_mul_f64 v[20:21], v[14:15], v[18:19]
	v_mul_f64 v[14:15], v[14:15], v[16:17]
	v_fma_f64 v[16:17], v[12:13], v[16:17], v[20:21]
	v_fma_f64 v[12:13], v[12:13], v[18:19], -v[14:15]
	v_add_f64 v[3:4], v[3:4], v[16:17]
	v_add_f64 v[1:2], v[1:2], v[12:13]
	s_andn2_b32 exec_lo, exec_lo, s15
	s_cbranch_execnz .LBB377_17
; %bb.18:
	s_or_b32 exec_lo, exec_lo, s15
.LBB377_19:
	s_or_b32 exec_lo, exec_lo, s14
	v_or_b32_e32 v7, s2, v0
	s_mov_b32 s0, exec_lo
	v_cmpx_gt_i32_e64 s3, v7
	s_cbranch_execz .LBB377_21
; %bb.20:
	v_ashrrev_i32_e32 v9, 31, v7
	v_mul_lo_u32 v10, s23, v7
	v_mad_u64_u32 v[7:8], null, s22, v7, 0
	s_ashr_i32 s3, s2, 31
	v_mul_lo_u32 v9, s22, v9
	s_lshl_b64 s[2:3], s[2:3], 4
	v_add_co_u32 v5, vcc_lo, v5, s2
	v_add_co_ci_u32_e64 v6, null, s3, v6, vcc_lo
	v_add3_u32 v8, v8, v9, v10
	v_lshlrev_b64 v[7:8], 4, v[7:8]
	v_add_co_u32 v9, vcc_lo, s24, v7
	v_add_co_ci_u32_e64 v10, null, s25, v8, vcc_lo
	flat_load_dwordx4 v[5:8], v[5:6]
	flat_load_dwordx4 v[9:12], v[9:10]
	s_waitcnt vmcnt(0) lgkmcnt(0)
	v_mul_f64 v[13:14], v[7:8], v[11:12]
	v_mul_f64 v[7:8], v[7:8], v[9:10]
	v_fma_f64 v[9:10], v[5:6], v[9:10], v[13:14]
	v_fma_f64 v[5:6], v[5:6], v[11:12], -v[7:8]
	v_add_f64 v[3:4], v[3:4], v[9:10]
	v_add_f64 v[1:2], v[1:2], v[5:6]
.LBB377_21:
	s_or_b32 exec_lo, exec_lo, s0
	v_and_b32_e32 v15, 31, v0
	v_cmp_gt_u32_e32 vcc_lo, 32, v0
	v_lshlrev_b32_e32 v12, 4, v15
	s_and_saveexec_b32 s0, vcc_lo
	s_cbranch_execz .LBB377_23
; %bb.22:
	v_mov_b32_e32 v5, 0
	v_mov_b32_e32 v6, v5
	;; [unrolled: 1-line block ×4, first 2 shown]
	ds_write_b128 v12, v[5:8]
.LBB377_23:
	s_or_b32 exec_lo, exec_lo, s0
	v_mbcnt_lo_u32_b32 v14, -1, 0
	s_mov_b32 s2, exec_lo
	s_waitcnt lgkmcnt(0)
	s_barrier
	buffer_gl0_inv
	v_lshl_or_b32 v9, v14, 2, 64
	v_cmp_gt_u32_e64 s0, 24, v14
	ds_bpermute_b32 v5, v9, v3
	ds_bpermute_b32 v6, v9, v4
	;; [unrolled: 1-line block ×4, first 2 shown]
	s_waitcnt lgkmcnt(2)
	v_add_f64 v[3:4], v[3:4], v[5:6]
	v_cndmask_b32_e64 v5, 0, 8, s0
	s_waitcnt lgkmcnt(0)
	v_add_f64 v[1:2], v[1:2], v[7:8]
	v_cmp_gt_u32_e64 s0, 28, v14
	v_add_lshl_u32 v10, v5, v14, 2
	ds_bpermute_b32 v5, v10, v3
	ds_bpermute_b32 v6, v10, v4
	;; [unrolled: 1-line block ×4, first 2 shown]
	s_waitcnt lgkmcnt(2)
	v_add_f64 v[3:4], v[3:4], v[5:6]
	v_cndmask_b32_e64 v5, 0, 4, s0
	s_waitcnt lgkmcnt(0)
	v_add_f64 v[1:2], v[1:2], v[7:8]
	v_cmp_gt_u32_e64 s0, 30, v14
	v_add_lshl_u32 v11, v5, v14, 2
	ds_bpermute_b32 v5, v11, v3
	ds_bpermute_b32 v6, v11, v4
	;; [unrolled: 1-line block ×4, first 2 shown]
	s_waitcnt lgkmcnt(2)
	v_add_f64 v[3:4], v[3:4], v[5:6]
	s_waitcnt lgkmcnt(0)
	v_add_f64 v[5:6], v[1:2], v[7:8]
	v_cndmask_b32_e64 v1, 0, 2, s0
	v_cmp_ne_u32_e64 s0, 31, v14
	v_add_lshl_u32 v13, v1, v14, 2
	ds_bpermute_b32 v1, v13, v3
	ds_bpermute_b32 v2, v13, v4
	;; [unrolled: 1-line block ×4, first 2 shown]
	s_waitcnt lgkmcnt(2)
	v_add_f64 v[1:2], v[3:4], v[1:2]
	s_waitcnt lgkmcnt(0)
	v_add_f64 v[3:4], v[5:6], v[7:8]
	v_add_co_ci_u32_e64 v5, null, 0, v14, s0
	v_lshlrev_b32_e32 v14, 2, v5
	ds_bpermute_b32 v5, v14, v1
	ds_bpermute_b32 v6, v14, v2
	;; [unrolled: 1-line block ×4, first 2 shown]
	v_cmpx_eq_u32_e32 0, v15
	s_cbranch_execz .LBB377_25
; %bb.24:
	s_waitcnt lgkmcnt(0)
	v_add_f64 v[3:4], v[3:4], v[7:8]
	v_add_f64 v[1:2], v[1:2], v[5:6]
	v_lshrrev_b32_e32 v5, 1, v0
	v_and_b32_e32 v5, 0x1f0, v5
	ds_write_b128 v5, v[1:4]
.LBB377_25:
	s_or_b32 exec_lo, exec_lo, s2
	s_waitcnt lgkmcnt(0)
	v_mov_b32_e32 v7, 0
	v_mov_b32_e32 v5, 0
	;; [unrolled: 1-line block ×4, first 2 shown]
	s_barrier
	buffer_gl0_inv
	s_and_saveexec_b32 s0, vcc_lo
; %bb.26:
	ds_read_b128 v[5:8], v12
; %bb.27:
	s_or_b32 exec_lo, exec_lo, s0
	s_and_saveexec_b32 s0, vcc_lo
	s_cbranch_execz .LBB377_29
; %bb.28:
	s_waitcnt lgkmcnt(0)
	ds_bpermute_b32 v1, v9, v5
	ds_bpermute_b32 v2, v9, v6
	ds_bpermute_b32 v3, v9, v7
	ds_bpermute_b32 v4, v9, v8
	s_waitcnt lgkmcnt(2)
	v_add_f64 v[1:2], v[5:6], v[1:2]
	s_waitcnt lgkmcnt(0)
	v_add_f64 v[3:4], v[7:8], v[3:4]
	ds_bpermute_b32 v5, v10, v1
	ds_bpermute_b32 v6, v10, v2
	ds_bpermute_b32 v7, v10, v3
	ds_bpermute_b32 v8, v10, v4
	s_waitcnt lgkmcnt(2)
	v_add_f64 v[1:2], v[1:2], v[5:6]
	s_waitcnt lgkmcnt(0)
	v_add_f64 v[3:4], v[3:4], v[7:8]
	;; [unrolled: 8-line block ×5, first 2 shown]
.LBB377_29:
	s_or_b32 exec_lo, exec_lo, s0
	s_mov_b32 s0, exec_lo
                                        ; implicit-def: $vgpr3_vgpr4
                                        ; implicit-def: $sgpr2_sgpr3
	v_cmpx_eq_u32_e32 0, v0
	s_cbranch_execz .LBB377_33
; %bb.30:
	s_waitcnt lgkmcnt(0)
	v_mul_f64 v[0:1], s[18:19], v[7:8]
	v_mul_f64 v[3:4], s[16:17], v[7:8]
	v_cmp_neq_f64_e64 s2, s[8:9], 0
	v_cmp_neq_f64_e64 s3, s[10:11], 0
	s_mul_hi_u32 s4, s20, s6
	v_fma_f64 v[1:2], s[16:17], v[5:6], -v[0:1]
	v_fma_f64 v[3:4], s[18:19], v[5:6], v[3:4]
	s_or_b32 s2, s2, s3
	s_mul_i32 s3, s20, s13
	s_andn2_b32 vcc_lo, exec_lo, s2
	s_add_i32 s3, s4, s3
	s_mul_i32 s4, s21, s6
	s_mul_i32 s2, s20, s6
	s_add_i32 s3, s3, s4
	s_cbranch_vccnz .LBB377_32
; %bb.31:
	s_lshl_b64 s[4:5], s[2:3], 4
	s_add_u32 s4, s1, s4
	s_addc_u32 s5, s7, s5
	v_mov_b32_e32 v6, s5
	v_mov_b32_e32 v5, s4
	flat_load_dwordx4 v[5:8], v[5:6]
	s_waitcnt vmcnt(0) lgkmcnt(0)
	v_mul_f64 v[9:10], s[10:11], v[7:8]
	v_mul_f64 v[7:8], s[8:9], v[7:8]
	v_fma_f64 v[9:10], s[8:9], v[5:6], -v[9:10]
	v_fma_f64 v[5:6], s[10:11], v[5:6], v[7:8]
	v_add_f64 v[1:2], v[1:2], v[9:10]
	v_add_f64 v[3:4], v[3:4], v[5:6]
.LBB377_32:
	s_or_b32 s12, s12, exec_lo
.LBB377_33:
	s_or_b32 exec_lo, exec_lo, s0
.LBB377_34:
	s_and_saveexec_b32 s0, s12
	s_cbranch_execz .LBB377_3
; %bb.35:
	s_lshl_b64 s[2:3], s[2:3], 4
	s_add_u32 s0, s1, s2
	s_addc_u32 s1, s7, s3
	s_waitcnt lgkmcnt(0)
	v_mov_b32_e32 v6, s1
	v_mov_b32_e32 v5, s0
	flat_store_dwordx4 v[5:6], v[1:4]
	s_endpgm
	.section	.rodata,"a",@progbits
	.p2align	6, 0x0
	.amdhsa_kernel _ZL32rocblas_gemvt_warp_reduce_kernelILb1ELi1024ElPK19rocblas_complex_numIdES3_KPS1_EviiT3_lPKT2_lT1_lS9_lSA_lS6_lPT4_lSA_li
		.amdhsa_group_segment_fixed_size 512
		.amdhsa_private_segment_fixed_size 0
		.amdhsa_kernarg_size 140
		.amdhsa_user_sgpr_count 6
		.amdhsa_user_sgpr_private_segment_buffer 1
		.amdhsa_user_sgpr_dispatch_ptr 0
		.amdhsa_user_sgpr_queue_ptr 0
		.amdhsa_user_sgpr_kernarg_segment_ptr 1
		.amdhsa_user_sgpr_dispatch_id 0
		.amdhsa_user_sgpr_flat_scratch_init 0
		.amdhsa_user_sgpr_private_segment_size 0
		.amdhsa_wavefront_size32 1
		.amdhsa_uses_dynamic_stack 0
		.amdhsa_system_sgpr_private_segment_wavefront_offset 0
		.amdhsa_system_sgpr_workgroup_id_x 1
		.amdhsa_system_sgpr_workgroup_id_y 0
		.amdhsa_system_sgpr_workgroup_id_z 1
		.amdhsa_system_sgpr_workgroup_info 0
		.amdhsa_system_vgpr_workitem_id 0
		.amdhsa_next_free_vgpr 22
		.amdhsa_next_free_sgpr 34
		.amdhsa_reserve_vcc 1
		.amdhsa_reserve_flat_scratch 0
		.amdhsa_float_round_mode_32 0
		.amdhsa_float_round_mode_16_64 0
		.amdhsa_float_denorm_mode_32 3
		.amdhsa_float_denorm_mode_16_64 3
		.amdhsa_dx10_clamp 1
		.amdhsa_ieee_mode 1
		.amdhsa_fp16_overflow 0
		.amdhsa_workgroup_processor_mode 1
		.amdhsa_memory_ordered 1
		.amdhsa_forward_progress 1
		.amdhsa_shared_vgpr_count 0
		.amdhsa_exception_fp_ieee_invalid_op 0
		.amdhsa_exception_fp_denorm_src 0
		.amdhsa_exception_fp_ieee_div_zero 0
		.amdhsa_exception_fp_ieee_overflow 0
		.amdhsa_exception_fp_ieee_underflow 0
		.amdhsa_exception_fp_ieee_inexact 0
		.amdhsa_exception_int_div_zero 0
	.end_amdhsa_kernel
	.section	.text._ZL32rocblas_gemvt_warp_reduce_kernelILb1ELi1024ElPK19rocblas_complex_numIdES3_KPS1_EviiT3_lPKT2_lT1_lS9_lSA_lS6_lPT4_lSA_li,"axG",@progbits,_ZL32rocblas_gemvt_warp_reduce_kernelILb1ELi1024ElPK19rocblas_complex_numIdES3_KPS1_EviiT3_lPKT2_lT1_lS9_lSA_lS6_lPT4_lSA_li,comdat
.Lfunc_end377:
	.size	_ZL32rocblas_gemvt_warp_reduce_kernelILb1ELi1024ElPK19rocblas_complex_numIdES3_KPS1_EviiT3_lPKT2_lT1_lS9_lSA_lS6_lPT4_lSA_li, .Lfunc_end377-_ZL32rocblas_gemvt_warp_reduce_kernelILb1ELi1024ElPK19rocblas_complex_numIdES3_KPS1_EviiT3_lPKT2_lT1_lS9_lSA_lS6_lPT4_lSA_li
                                        ; -- End function
	.set _ZL32rocblas_gemvt_warp_reduce_kernelILb1ELi1024ElPK19rocblas_complex_numIdES3_KPS1_EviiT3_lPKT2_lT1_lS9_lSA_lS6_lPT4_lSA_li.num_vgpr, 22
	.set _ZL32rocblas_gemvt_warp_reduce_kernelILb1ELi1024ElPK19rocblas_complex_numIdES3_KPS1_EviiT3_lPKT2_lT1_lS9_lSA_lS6_lPT4_lSA_li.num_agpr, 0
	.set _ZL32rocblas_gemvt_warp_reduce_kernelILb1ELi1024ElPK19rocblas_complex_numIdES3_KPS1_EviiT3_lPKT2_lT1_lS9_lSA_lS6_lPT4_lSA_li.numbered_sgpr, 34
	.set _ZL32rocblas_gemvt_warp_reduce_kernelILb1ELi1024ElPK19rocblas_complex_numIdES3_KPS1_EviiT3_lPKT2_lT1_lS9_lSA_lS6_lPT4_lSA_li.num_named_barrier, 0
	.set _ZL32rocblas_gemvt_warp_reduce_kernelILb1ELi1024ElPK19rocblas_complex_numIdES3_KPS1_EviiT3_lPKT2_lT1_lS9_lSA_lS6_lPT4_lSA_li.private_seg_size, 0
	.set _ZL32rocblas_gemvt_warp_reduce_kernelILb1ELi1024ElPK19rocblas_complex_numIdES3_KPS1_EviiT3_lPKT2_lT1_lS9_lSA_lS6_lPT4_lSA_li.uses_vcc, 1
	.set _ZL32rocblas_gemvt_warp_reduce_kernelILb1ELi1024ElPK19rocblas_complex_numIdES3_KPS1_EviiT3_lPKT2_lT1_lS9_lSA_lS6_lPT4_lSA_li.uses_flat_scratch, 0
	.set _ZL32rocblas_gemvt_warp_reduce_kernelILb1ELi1024ElPK19rocblas_complex_numIdES3_KPS1_EviiT3_lPKT2_lT1_lS9_lSA_lS6_lPT4_lSA_li.has_dyn_sized_stack, 0
	.set _ZL32rocblas_gemvt_warp_reduce_kernelILb1ELi1024ElPK19rocblas_complex_numIdES3_KPS1_EviiT3_lPKT2_lT1_lS9_lSA_lS6_lPT4_lSA_li.has_recursion, 0
	.set _ZL32rocblas_gemvt_warp_reduce_kernelILb1ELi1024ElPK19rocblas_complex_numIdES3_KPS1_EviiT3_lPKT2_lT1_lS9_lSA_lS6_lPT4_lSA_li.has_indirect_call, 0
	.section	.AMDGPU.csdata,"",@progbits
; Kernel info:
; codeLenInByte = 2204
; TotalNumSgprs: 36
; NumVgprs: 22
; ScratchSize: 0
; MemoryBound: 0
; FloatMode: 240
; IeeeMode: 1
; LDSByteSize: 512 bytes/workgroup (compile time only)
; SGPRBlocks: 0
; VGPRBlocks: 2
; NumSGPRsForWavesPerEU: 36
; NumVGPRsForWavesPerEU: 22
; Occupancy: 16
; WaveLimiterHint : 1
; COMPUTE_PGM_RSRC2:SCRATCH_EN: 0
; COMPUTE_PGM_RSRC2:USER_SGPR: 6
; COMPUTE_PGM_RSRC2:TRAP_HANDLER: 0
; COMPUTE_PGM_RSRC2:TGID_X_EN: 1
; COMPUTE_PGM_RSRC2:TGID_Y_EN: 0
; COMPUTE_PGM_RSRC2:TGID_Z_EN: 1
; COMPUTE_PGM_RSRC2:TIDIG_COMP_CNT: 0
	.section	.text._ZL32rocblas_gemvt_warp_reduce_kernelILb1ELi1024EiPK19rocblas_complex_numIdES1_KPS1_EviiT3_lPKT2_lT1_lS9_lSA_lS6_lPT4_lSA_li,"axG",@progbits,_ZL32rocblas_gemvt_warp_reduce_kernelILb1ELi1024EiPK19rocblas_complex_numIdES1_KPS1_EviiT3_lPKT2_lT1_lS9_lSA_lS6_lPT4_lSA_li,comdat
	.globl	_ZL32rocblas_gemvt_warp_reduce_kernelILb1ELi1024EiPK19rocblas_complex_numIdES1_KPS1_EviiT3_lPKT2_lT1_lS9_lSA_lS6_lPT4_lSA_li ; -- Begin function _ZL32rocblas_gemvt_warp_reduce_kernelILb1ELi1024EiPK19rocblas_complex_numIdES1_KPS1_EviiT3_lPKT2_lT1_lS9_lSA_lS6_lPT4_lSA_li
	.p2align	8
	.type	_ZL32rocblas_gemvt_warp_reduce_kernelILb1ELi1024EiPK19rocblas_complex_numIdES1_KPS1_EviiT3_lPKT2_lT1_lS9_lSA_lS6_lPT4_lSA_li,@function
_ZL32rocblas_gemvt_warp_reduce_kernelILb1ELi1024EiPK19rocblas_complex_numIdES1_KPS1_EviiT3_lPKT2_lT1_lS9_lSA_lS6_lPT4_lSA_li: ; @_ZL32rocblas_gemvt_warp_reduce_kernelILb1ELi1024EiPK19rocblas_complex_numIdES1_KPS1_EviiT3_lPKT2_lT1_lS9_lSA_lS6_lPT4_lSA_li
; %bb.0:
	s_clause 0x1
	s_load_dwordx4 s[12:15], s[4:5], 0x8
	s_load_dwordx4 s[8:11], s[4:5], 0x60
	s_mov_b32 s2, s7
	s_mov_b32 s3, 0
	s_mov_b64 s[16:17], 0
	s_mov_b32 s18, -1
	s_mov_b32 s19, s3
	s_waitcnt lgkmcnt(0)
	v_cmp_neq_f64_e64 s0, s[12:13], 0
	v_cmp_neq_f64_e64 s1, s[14:15], 0
	s_or_b32 s7, s0, s1
	s_mov_b64 s[0:1], s[2:3]
	s_and_b32 vcc_lo, exec_lo, s7
	s_cbranch_vccnz .LBB378_3
; %bb.1:
	v_cmp_eq_f64_e64 s0, s[8:9], 1.0
	v_cmp_eq_f64_e64 s1, s[10:11], 0
	s_mov_b32 s18, 0
	s_mov_b32 s19, 0
	s_and_b32 s0, s0, s1
	s_andn2_b32 vcc_lo, exec_lo, s0
                                        ; implicit-def: $sgpr0_sgpr1
	s_cbranch_vccz .LBB378_3
; %bb.2:
	s_mov_b32 s1, 0
	s_mov_b32 s0, s2
	s_mov_b32 s19, -1
.LBB378_3:
	s_and_b32 vcc_lo, exec_lo, s18
	s_cbranch_vccz .LBB378_5
; %bb.4:
	s_load_dwordx4 s[16:19], s[4:5], 0x20
	s_lshl_b64 s[2:3], s[2:3], 3
	s_waitcnt lgkmcnt(0)
	s_add_u32 s2, s16, s2
	s_addc_u32 s3, s17, s3
	s_lshl_b64 s[16:17], s[18:19], 4
	s_load_dwordx2 s[2:3], s[2:3], 0x0
	s_mov_b32 s19, -1
	s_waitcnt lgkmcnt(0)
	s_add_u32 s16, s2, s16
	s_addc_u32 s17, s3, s17
.LBB378_5:
	s_andn2_b32 vcc_lo, exec_lo, s19
	s_cbranch_vccnz .LBB378_36
; %bb.6:
	v_cndmask_b32_e64 v1, 0, 1, s7
	s_xor_b32 s18, s7, -1
	s_mov_b64 s[2:3], 0
	v_cmp_ne_u32_e32 vcc_lo, 1, v1
	s_cbranch_vccnz .LBB378_8
; %bb.7:
	s_load_dwordx4 s[20:23], s[4:5], 0x40
	s_lshl_b64 s[2:3], s[0:1], 3
	s_waitcnt lgkmcnt(0)
	s_add_u32 s2, s20, s2
	s_addc_u32 s3, s21, s3
	s_lshl_b64 s[20:21], s[22:23], 4
	s_load_dwordx2 s[2:3], s[2:3], 0x0
	s_waitcnt lgkmcnt(0)
	s_add_u32 s2, s2, s20
	s_addc_u32 s3, s3, s21
.LBB378_8:
	s_clause 0x1
	s_load_dwordx4 s[24:27], s[4:5], 0x78
	s_load_dword s20, s[4:5], 0x88
	s_lshl_b64 s[0:1], s[0:1], 3
	s_waitcnt lgkmcnt(0)
	s_add_u32 s0, s24, s0
	s_addc_u32 s1, s25, s1
	s_lshl_b64 s[24:25], s[26:27], 4
	s_load_dwordx2 s[22:23], s[0:1], 0x0
	v_cmp_eq_u32_e64 s0, 0, v0
	s_waitcnt lgkmcnt(0)
	s_add_u32 s1, s22, s24
	s_addc_u32 s7, s23, s25
	s_andn2_b32 vcc_lo, exec_lo, s18
	s_cbranch_vccnz .LBB378_13
; %bb.9:
	s_mov_b32 s22, 0
	s_mov_b32 s21, 0
                                        ; implicit-def: $vgpr3_vgpr4
                                        ; implicit-def: $sgpr18_sgpr19
	s_and_saveexec_b32 s23, s0
	s_cbranch_execz .LBB378_14
; %bb.10:
	v_cmp_neq_f64_e64 s0, s[8:9], 0
	v_cmp_neq_f64_e64 s18, s[10:11], 0
	v_mov_b32_e32 v3, 0
	v_mov_b32_e32 v1, 0
	v_mov_b32_e32 v4, 0
	v_mov_b32_e32 v2, 0
	s_or_b32 s0, s0, s18
	s_mul_i32 s18, s20, s6
	s_andn2_b32 vcc_lo, exec_lo, s0
	s_ashr_i32 s19, s18, 31
	s_cbranch_vccnz .LBB378_12
; %bb.11:
	s_lshl_b64 s[24:25], s[18:19], 4
	s_add_u32 s24, s1, s24
	s_addc_u32 s25, s7, s25
	v_mov_b32_e32 v1, s24
	v_mov_b32_e32 v2, s25
	flat_load_dwordx4 v[3:6], v[1:2]
	s_waitcnt vmcnt(0) lgkmcnt(0)
	v_mul_f64 v[1:2], s[10:11], v[5:6]
	v_mul_f64 v[5:6], s[8:9], v[5:6]
	v_fma_f64 v[1:2], s[8:9], v[3:4], -v[1:2]
	v_fma_f64 v[3:4], s[10:11], v[3:4], v[5:6]
.LBB378_12:
	s_mov_b32 s21, exec_lo
	s_or_b32 exec_lo, exec_lo, s23
	s_and_b32 vcc_lo, exec_lo, s22
	s_cbranch_vccnz .LBB378_15
	s_branch .LBB378_34
.LBB378_13:
	s_mov_b32 s21, 0
                                        ; implicit-def: $vgpr3_vgpr4
                                        ; implicit-def: $sgpr18_sgpr19
	s_cbranch_execnz .LBB378_15
	s_branch .LBB378_34
.LBB378_14:
	s_or_b32 exec_lo, exec_lo, s23
	s_and_b32 vcc_lo, exec_lo, s22
	s_cbranch_vccz .LBB378_34
.LBB378_15:
	s_clause 0x2
	s_load_dword s18, s[4:5], 0x0
	s_load_dword s0, s[4:5], 0x30
	;; [unrolled: 1-line block ×3, first 2 shown]
	v_mov_b32_e32 v1, 0
	v_mov_b32_e32 v3, 0
	;; [unrolled: 1-line block ×4, first 2 shown]
	s_waitcnt lgkmcnt(0)
	v_cmp_gt_i32_e32 vcc_lo, s18, v0
	s_mul_i32 s22, s0, s6
	s_ashr_i32 s0, s18, 31
	s_ashr_i32 s23, s22, 31
	s_lshr_b32 s0, s0, 22
	v_cndmask_b32_e32 v5, 0, v0, vcc_lo
	s_lshl_b64 s[22:23], s[22:23], 4
	s_add_i32 s0, s18, s0
	v_lshlrev_b32_e32 v5, 4, v5
	v_add_co_u32 v5, s4, s16, v5
	v_add_co_ci_u32_e64 v6, null, s17, 0, s4
	s_and_b32 s4, s0, 0xfffffc00
	v_add_co_u32 v5, vcc_lo, v5, s22
	v_add_co_ci_u32_e64 v6, null, s23, v6, vcc_lo
	s_mov_b32 s17, 0
	s_mov_b32 s16, exec_lo
	v_cmpx_gt_i32_e64 s4, v0
	s_cbranch_execz .LBB378_19
; %bb.16:
	v_mul_lo_u32 v7, v0, s5
	v_mov_b32_e32 v1, 0
	v_mov_b32_e32 v10, v6
	;; [unrolled: 1-line block ×7, first 2 shown]
	s_lshl_b32 s19, s5, 10
	s_inst_prefetch 0x1
	.p2align	6
.LBB378_17:                             ; =>This Inner Loop Header: Depth=1
	v_ashrrev_i32_e32 v8, 31, v7
	v_add_nc_u32_e32 v11, 0x400, v11
	v_lshlrev_b64 v[12:13], 4, v[7:8]
	v_cmp_le_i32_e64 s0, s4, v11
	v_add_nc_u32_e32 v7, s19, v7
	s_or_b32 s17, s0, s17
	v_add_co_u32 v16, vcc_lo, s2, v12
	v_add_co_ci_u32_e64 v17, null, s3, v13, vcc_lo
	flat_load_dwordx4 v[12:15], v[9:10]
	flat_load_dwordx4 v[16:19], v[16:17]
	v_add_co_u32 v9, vcc_lo, 0x4000, v9
	v_add_co_ci_u32_e64 v10, null, 0, v10, vcc_lo
	s_waitcnt vmcnt(0) lgkmcnt(0)
	v_mul_f64 v[20:21], v[14:15], v[18:19]
	v_mul_f64 v[14:15], v[14:15], v[16:17]
	v_fma_f64 v[16:17], v[12:13], v[16:17], v[20:21]
	v_fma_f64 v[12:13], v[12:13], v[18:19], -v[14:15]
	v_add_f64 v[3:4], v[3:4], v[16:17]
	v_add_f64 v[1:2], v[1:2], v[12:13]
	s_andn2_b32 exec_lo, exec_lo, s17
	s_cbranch_execnz .LBB378_17
; %bb.18:
	s_inst_prefetch 0x2
	s_or_b32 exec_lo, exec_lo, s17
.LBB378_19:
	s_or_b32 exec_lo, exec_lo, s16
	v_or_b32_e32 v7, s4, v0
	s_mov_b32 s0, exec_lo
	v_cmpx_gt_i32_e64 s18, v7
	s_cbranch_execz .LBB378_21
; %bb.20:
	v_mul_lo_u32 v7, s5, v7
	s_ashr_i32 s5, s4, 31
	s_lshl_b64 s[4:5], s[4:5], 4
	v_add_co_u32 v5, vcc_lo, v5, s4
	v_add_co_ci_u32_e64 v6, null, s5, v6, vcc_lo
	v_ashrrev_i32_e32 v8, 31, v7
	v_lshlrev_b64 v[7:8], 4, v[7:8]
	v_add_co_u32 v9, vcc_lo, s2, v7
	v_add_co_ci_u32_e64 v10, null, s3, v8, vcc_lo
	flat_load_dwordx4 v[5:8], v[5:6]
	flat_load_dwordx4 v[9:12], v[9:10]
	s_waitcnt vmcnt(0) lgkmcnt(0)
	v_mul_f64 v[13:14], v[7:8], v[11:12]
	v_mul_f64 v[7:8], v[7:8], v[9:10]
	v_fma_f64 v[9:10], v[5:6], v[9:10], v[13:14]
	v_fma_f64 v[5:6], v[5:6], v[11:12], -v[7:8]
	v_add_f64 v[3:4], v[3:4], v[9:10]
	v_add_f64 v[1:2], v[1:2], v[5:6]
.LBB378_21:
	s_or_b32 exec_lo, exec_lo, s0
	v_and_b32_e32 v15, 31, v0
	v_cmp_gt_u32_e32 vcc_lo, 32, v0
	v_lshlrev_b32_e32 v12, 4, v15
	s_and_saveexec_b32 s0, vcc_lo
	s_cbranch_execz .LBB378_23
; %bb.22:
	v_mov_b32_e32 v5, 0
	v_mov_b32_e32 v6, v5
	;; [unrolled: 1-line block ×4, first 2 shown]
	ds_write_b128 v12, v[5:8]
.LBB378_23:
	s_or_b32 exec_lo, exec_lo, s0
	v_mbcnt_lo_u32_b32 v14, -1, 0
	s_mov_b32 s2, exec_lo
	s_waitcnt lgkmcnt(0)
	s_barrier
	buffer_gl0_inv
	v_lshl_or_b32 v9, v14, 2, 64
	v_cmp_gt_u32_e64 s0, 24, v14
	ds_bpermute_b32 v5, v9, v3
	ds_bpermute_b32 v6, v9, v4
	;; [unrolled: 1-line block ×4, first 2 shown]
	s_waitcnt lgkmcnt(2)
	v_add_f64 v[3:4], v[3:4], v[5:6]
	v_cndmask_b32_e64 v5, 0, 8, s0
	s_waitcnt lgkmcnt(0)
	v_add_f64 v[1:2], v[1:2], v[7:8]
	v_cmp_gt_u32_e64 s0, 28, v14
	v_add_lshl_u32 v10, v5, v14, 2
	ds_bpermute_b32 v5, v10, v3
	ds_bpermute_b32 v6, v10, v4
	;; [unrolled: 1-line block ×4, first 2 shown]
	s_waitcnt lgkmcnt(2)
	v_add_f64 v[3:4], v[3:4], v[5:6]
	v_cndmask_b32_e64 v5, 0, 4, s0
	s_waitcnt lgkmcnt(0)
	v_add_f64 v[1:2], v[1:2], v[7:8]
	v_cmp_gt_u32_e64 s0, 30, v14
	v_add_lshl_u32 v11, v5, v14, 2
	ds_bpermute_b32 v5, v11, v3
	ds_bpermute_b32 v6, v11, v4
	;; [unrolled: 1-line block ×4, first 2 shown]
	s_waitcnt lgkmcnt(2)
	v_add_f64 v[3:4], v[3:4], v[5:6]
	s_waitcnt lgkmcnt(0)
	v_add_f64 v[5:6], v[1:2], v[7:8]
	v_cndmask_b32_e64 v1, 0, 2, s0
	v_cmp_ne_u32_e64 s0, 31, v14
	v_add_lshl_u32 v13, v1, v14, 2
	ds_bpermute_b32 v1, v13, v3
	ds_bpermute_b32 v2, v13, v4
	;; [unrolled: 1-line block ×4, first 2 shown]
	s_waitcnt lgkmcnt(2)
	v_add_f64 v[1:2], v[3:4], v[1:2]
	s_waitcnt lgkmcnt(0)
	v_add_f64 v[3:4], v[5:6], v[7:8]
	v_add_co_ci_u32_e64 v5, null, 0, v14, s0
	v_lshlrev_b32_e32 v14, 2, v5
	ds_bpermute_b32 v5, v14, v1
	ds_bpermute_b32 v6, v14, v2
	;; [unrolled: 1-line block ×4, first 2 shown]
	v_cmpx_eq_u32_e32 0, v15
	s_cbranch_execz .LBB378_25
; %bb.24:
	s_waitcnt lgkmcnt(0)
	v_add_f64 v[3:4], v[3:4], v[7:8]
	v_add_f64 v[1:2], v[1:2], v[5:6]
	v_lshrrev_b32_e32 v5, 1, v0
	v_and_b32_e32 v5, 0x1f0, v5
	ds_write_b128 v5, v[1:4]
.LBB378_25:
	s_or_b32 exec_lo, exec_lo, s2
	s_waitcnt lgkmcnt(0)
	v_mov_b32_e32 v7, 0
	v_mov_b32_e32 v5, 0
	;; [unrolled: 1-line block ×4, first 2 shown]
	s_barrier
	buffer_gl0_inv
	s_and_saveexec_b32 s0, vcc_lo
; %bb.26:
	ds_read_b128 v[5:8], v12
; %bb.27:
	s_or_b32 exec_lo, exec_lo, s0
	s_and_saveexec_b32 s0, vcc_lo
	s_cbranch_execz .LBB378_29
; %bb.28:
	s_waitcnt lgkmcnt(0)
	ds_bpermute_b32 v1, v9, v5
	ds_bpermute_b32 v2, v9, v6
	ds_bpermute_b32 v3, v9, v7
	ds_bpermute_b32 v4, v9, v8
	s_waitcnt lgkmcnt(2)
	v_add_f64 v[1:2], v[5:6], v[1:2]
	s_waitcnt lgkmcnt(0)
	v_add_f64 v[3:4], v[7:8], v[3:4]
	ds_bpermute_b32 v5, v10, v1
	ds_bpermute_b32 v6, v10, v2
	ds_bpermute_b32 v7, v10, v3
	ds_bpermute_b32 v8, v10, v4
	s_waitcnt lgkmcnt(2)
	v_add_f64 v[1:2], v[1:2], v[5:6]
	s_waitcnt lgkmcnt(0)
	v_add_f64 v[3:4], v[3:4], v[7:8]
	;; [unrolled: 8-line block ×5, first 2 shown]
.LBB378_29:
	s_or_b32 exec_lo, exec_lo, s0
	s_mov_b32 s0, exec_lo
                                        ; implicit-def: $vgpr3_vgpr4
                                        ; implicit-def: $sgpr18_sgpr19
	v_cmpx_eq_u32_e32 0, v0
	s_cbranch_execz .LBB378_33
; %bb.30:
	s_waitcnt lgkmcnt(0)
	v_mul_f64 v[0:1], s[14:15], v[7:8]
	v_mul_f64 v[3:4], s[12:13], v[7:8]
	v_cmp_neq_f64_e64 s2, s[8:9], 0
	v_cmp_neq_f64_e64 s3, s[10:11], 0
	s_mul_i32 s18, s20, s6
	s_ashr_i32 s19, s18, 31
	v_fma_f64 v[1:2], s[12:13], v[5:6], -v[0:1]
	v_fma_f64 v[3:4], s[14:15], v[5:6], v[3:4]
	s_or_b32 s2, s2, s3
	s_andn2_b32 vcc_lo, exec_lo, s2
	s_cbranch_vccnz .LBB378_32
; %bb.31:
	s_lshl_b64 s[2:3], s[18:19], 4
	s_add_u32 s2, s1, s2
	s_addc_u32 s3, s7, s3
	v_mov_b32_e32 v6, s3
	v_mov_b32_e32 v5, s2
	flat_load_dwordx4 v[5:8], v[5:6]
	s_waitcnt vmcnt(0) lgkmcnt(0)
	v_mul_f64 v[9:10], s[10:11], v[7:8]
	v_mul_f64 v[7:8], s[8:9], v[7:8]
	v_fma_f64 v[9:10], s[8:9], v[5:6], -v[9:10]
	v_fma_f64 v[5:6], s[10:11], v[5:6], v[7:8]
	v_add_f64 v[1:2], v[1:2], v[9:10]
	v_add_f64 v[3:4], v[3:4], v[5:6]
.LBB378_32:
	s_or_b32 s21, s21, exec_lo
.LBB378_33:
	s_or_b32 exec_lo, exec_lo, s0
.LBB378_34:
	s_and_saveexec_b32 s0, s21
	s_cbranch_execz .LBB378_36
; %bb.35:
	s_lshl_b64 s[2:3], s[18:19], 4
	s_add_u32 s0, s1, s2
	s_addc_u32 s1, s7, s3
	s_waitcnt lgkmcnt(0)
	v_mov_b32_e32 v6, s1
	v_mov_b32_e32 v5, s0
	flat_store_dwordx4 v[5:6], v[1:4]
.LBB378_36:
	s_endpgm
	.section	.rodata,"a",@progbits
	.p2align	6, 0x0
	.amdhsa_kernel _ZL32rocblas_gemvt_warp_reduce_kernelILb1ELi1024EiPK19rocblas_complex_numIdES1_KPS1_EviiT3_lPKT2_lT1_lS9_lSA_lS6_lPT4_lSA_li
		.amdhsa_group_segment_fixed_size 512
		.amdhsa_private_segment_fixed_size 0
		.amdhsa_kernarg_size 156
		.amdhsa_user_sgpr_count 6
		.amdhsa_user_sgpr_private_segment_buffer 1
		.amdhsa_user_sgpr_dispatch_ptr 0
		.amdhsa_user_sgpr_queue_ptr 0
		.amdhsa_user_sgpr_kernarg_segment_ptr 1
		.amdhsa_user_sgpr_dispatch_id 0
		.amdhsa_user_sgpr_flat_scratch_init 0
		.amdhsa_user_sgpr_private_segment_size 0
		.amdhsa_wavefront_size32 1
		.amdhsa_uses_dynamic_stack 0
		.amdhsa_system_sgpr_private_segment_wavefront_offset 0
		.amdhsa_system_sgpr_workgroup_id_x 1
		.amdhsa_system_sgpr_workgroup_id_y 0
		.amdhsa_system_sgpr_workgroup_id_z 1
		.amdhsa_system_sgpr_workgroup_info 0
		.amdhsa_system_vgpr_workitem_id 0
		.amdhsa_next_free_vgpr 22
		.amdhsa_next_free_sgpr 28
		.amdhsa_reserve_vcc 1
		.amdhsa_reserve_flat_scratch 0
		.amdhsa_float_round_mode_32 0
		.amdhsa_float_round_mode_16_64 0
		.amdhsa_float_denorm_mode_32 3
		.amdhsa_float_denorm_mode_16_64 3
		.amdhsa_dx10_clamp 1
		.amdhsa_ieee_mode 1
		.amdhsa_fp16_overflow 0
		.amdhsa_workgroup_processor_mode 1
		.amdhsa_memory_ordered 1
		.amdhsa_forward_progress 1
		.amdhsa_shared_vgpr_count 0
		.amdhsa_exception_fp_ieee_invalid_op 0
		.amdhsa_exception_fp_denorm_src 0
		.amdhsa_exception_fp_ieee_div_zero 0
		.amdhsa_exception_fp_ieee_overflow 0
		.amdhsa_exception_fp_ieee_underflow 0
		.amdhsa_exception_fp_ieee_inexact 0
		.amdhsa_exception_int_div_zero 0
	.end_amdhsa_kernel
	.section	.text._ZL32rocblas_gemvt_warp_reduce_kernelILb1ELi1024EiPK19rocblas_complex_numIdES1_KPS1_EviiT3_lPKT2_lT1_lS9_lSA_lS6_lPT4_lSA_li,"axG",@progbits,_ZL32rocblas_gemvt_warp_reduce_kernelILb1ELi1024EiPK19rocblas_complex_numIdES1_KPS1_EviiT3_lPKT2_lT1_lS9_lSA_lS6_lPT4_lSA_li,comdat
.Lfunc_end378:
	.size	_ZL32rocblas_gemvt_warp_reduce_kernelILb1ELi1024EiPK19rocblas_complex_numIdES1_KPS1_EviiT3_lPKT2_lT1_lS9_lSA_lS6_lPT4_lSA_li, .Lfunc_end378-_ZL32rocblas_gemvt_warp_reduce_kernelILb1ELi1024EiPK19rocblas_complex_numIdES1_KPS1_EviiT3_lPKT2_lT1_lS9_lSA_lS6_lPT4_lSA_li
                                        ; -- End function
	.set _ZL32rocblas_gemvt_warp_reduce_kernelILb1ELi1024EiPK19rocblas_complex_numIdES1_KPS1_EviiT3_lPKT2_lT1_lS9_lSA_lS6_lPT4_lSA_li.num_vgpr, 22
	.set _ZL32rocblas_gemvt_warp_reduce_kernelILb1ELi1024EiPK19rocblas_complex_numIdES1_KPS1_EviiT3_lPKT2_lT1_lS9_lSA_lS6_lPT4_lSA_li.num_agpr, 0
	.set _ZL32rocblas_gemvt_warp_reduce_kernelILb1ELi1024EiPK19rocblas_complex_numIdES1_KPS1_EviiT3_lPKT2_lT1_lS9_lSA_lS6_lPT4_lSA_li.numbered_sgpr, 28
	.set _ZL32rocblas_gemvt_warp_reduce_kernelILb1ELi1024EiPK19rocblas_complex_numIdES1_KPS1_EviiT3_lPKT2_lT1_lS9_lSA_lS6_lPT4_lSA_li.num_named_barrier, 0
	.set _ZL32rocblas_gemvt_warp_reduce_kernelILb1ELi1024EiPK19rocblas_complex_numIdES1_KPS1_EviiT3_lPKT2_lT1_lS9_lSA_lS6_lPT4_lSA_li.private_seg_size, 0
	.set _ZL32rocblas_gemvt_warp_reduce_kernelILb1ELi1024EiPK19rocblas_complex_numIdES1_KPS1_EviiT3_lPKT2_lT1_lS9_lSA_lS6_lPT4_lSA_li.uses_vcc, 1
	.set _ZL32rocblas_gemvt_warp_reduce_kernelILb1ELi1024EiPK19rocblas_complex_numIdES1_KPS1_EviiT3_lPKT2_lT1_lS9_lSA_lS6_lPT4_lSA_li.uses_flat_scratch, 0
	.set _ZL32rocblas_gemvt_warp_reduce_kernelILb1ELi1024EiPK19rocblas_complex_numIdES1_KPS1_EviiT3_lPKT2_lT1_lS9_lSA_lS6_lPT4_lSA_li.has_dyn_sized_stack, 0
	.set _ZL32rocblas_gemvt_warp_reduce_kernelILb1ELi1024EiPK19rocblas_complex_numIdES1_KPS1_EviiT3_lPKT2_lT1_lS9_lSA_lS6_lPT4_lSA_li.has_recursion, 0
	.set _ZL32rocblas_gemvt_warp_reduce_kernelILb1ELi1024EiPK19rocblas_complex_numIdES1_KPS1_EviiT3_lPKT2_lT1_lS9_lSA_lS6_lPT4_lSA_li.has_indirect_call, 0
	.section	.AMDGPU.csdata,"",@progbits
; Kernel info:
; codeLenInByte = 2060
; TotalNumSgprs: 30
; NumVgprs: 22
; ScratchSize: 0
; MemoryBound: 0
; FloatMode: 240
; IeeeMode: 1
; LDSByteSize: 512 bytes/workgroup (compile time only)
; SGPRBlocks: 0
; VGPRBlocks: 2
; NumSGPRsForWavesPerEU: 30
; NumVGPRsForWavesPerEU: 22
; Occupancy: 16
; WaveLimiterHint : 1
; COMPUTE_PGM_RSRC2:SCRATCH_EN: 0
; COMPUTE_PGM_RSRC2:USER_SGPR: 6
; COMPUTE_PGM_RSRC2:TRAP_HANDLER: 0
; COMPUTE_PGM_RSRC2:TGID_X_EN: 1
; COMPUTE_PGM_RSRC2:TGID_Y_EN: 0
; COMPUTE_PGM_RSRC2:TGID_Z_EN: 1
; COMPUTE_PGM_RSRC2:TIDIG_COMP_CNT: 0
	.section	.text._ZL32rocblas_gemvt_warp_reduce_kernelILb1ELi1024ElPK19rocblas_complex_numIdES1_KPS1_EviiT3_lPKT2_lT1_lS9_lSA_lS6_lPT4_lSA_li,"axG",@progbits,_ZL32rocblas_gemvt_warp_reduce_kernelILb1ELi1024ElPK19rocblas_complex_numIdES1_KPS1_EviiT3_lPKT2_lT1_lS9_lSA_lS6_lPT4_lSA_li,comdat
	.globl	_ZL32rocblas_gemvt_warp_reduce_kernelILb1ELi1024ElPK19rocblas_complex_numIdES1_KPS1_EviiT3_lPKT2_lT1_lS9_lSA_lS6_lPT4_lSA_li ; -- Begin function _ZL32rocblas_gemvt_warp_reduce_kernelILb1ELi1024ElPK19rocblas_complex_numIdES1_KPS1_EviiT3_lPKT2_lT1_lS9_lSA_lS6_lPT4_lSA_li
	.p2align	8
	.type	_ZL32rocblas_gemvt_warp_reduce_kernelILb1ELi1024ElPK19rocblas_complex_numIdES1_KPS1_EviiT3_lPKT2_lT1_lS9_lSA_lS6_lPT4_lSA_li,@function
_ZL32rocblas_gemvt_warp_reduce_kernelILb1ELi1024ElPK19rocblas_complex_numIdES1_KPS1_EviiT3_lPKT2_lT1_lS9_lSA_lS6_lPT4_lSA_li: ; @_ZL32rocblas_gemvt_warp_reduce_kernelILb1ELi1024ElPK19rocblas_complex_numIdES1_KPS1_EviiT3_lPKT2_lT1_lS9_lSA_lS6_lPT4_lSA_li
; %bb.0:
	s_clause 0x1
	s_load_dwordx4 s[12:15], s[4:5], 0x8
	s_load_dwordx4 s[0:3], s[4:5], 0x20
	s_mov_b32 s16, s7
	s_clause 0x1
	s_load_dwordx2 s[22:23], s[4:5], 0x30
	s_load_dwordx4 s[8:11], s[4:5], 0x60
	s_mov_b64 s[20:21], 0
	s_mov_b32 s18, -1
	s_waitcnt lgkmcnt(0)
	v_cmp_neq_f64_e64 s7, s[12:13], 0
	v_cmp_neq_f64_e64 s17, s[14:15], 0
	s_or_b32 s7, s7, s17
	s_mov_b32 s17, 0
	s_and_b32 vcc_lo, exec_lo, s7
	s_mov_b64 s[24:25], s[16:17]
	s_mov_b32 s19, s17
	s_cbranch_vccnz .LBB379_3
; %bb.1:
	v_cmp_eq_f64_e64 s18, s[8:9], 1.0
	v_cmp_eq_f64_e64 s19, s[10:11], 0
                                        ; implicit-def: $sgpr24_sgpr25
	s_and_b32 s19, s18, s19
	s_mov_b32 s18, 0
	s_andn2_b32 vcc_lo, exec_lo, s19
	s_mov_b32 s19, 0
	s_cbranch_vccz .LBB379_3
; %bb.2:
	s_mov_b32 s25, 0
	s_mov_b32 s24, s16
	s_mov_b32 s19, -1
.LBB379_3:
	s_and_b32 vcc_lo, exec_lo, s18
	s_cbranch_vccz .LBB379_5
; %bb.4:
	s_lshl_b64 s[16:17], s[16:17], 3
	s_mov_b32 s19, -1
	s_add_u32 s0, s0, s16
	s_addc_u32 s1, s1, s17
	s_lshl_b64 s[2:3], s[2:3], 4
	s_load_dwordx2 s[0:1], s[0:1], 0x0
	s_waitcnt lgkmcnt(0)
	s_add_u32 s20, s0, s2
	s_addc_u32 s21, s1, s3
.LBB379_5:
	s_andn2_b32 vcc_lo, exec_lo, s19
	s_cbranch_vccnz .LBB379_36
; %bb.6:
	s_clause 0x1
	s_load_dwordx4 s[0:3], s[4:5], 0x40
	s_load_dwordx2 s[16:17], s[4:5], 0x50
	v_cndmask_b32_e64 v1, 0, 1, s7
	s_xor_b32 s26, s7, -1
	s_mov_b64 s[18:19], 0
	v_cmp_ne_u32_e32 vcc_lo, 1, v1
	s_cbranch_vccnz .LBB379_8
; %bb.7:
	s_lshl_b64 s[18:19], s[24:25], 3
	s_waitcnt lgkmcnt(0)
	s_add_u32 s0, s0, s18
	s_addc_u32 s1, s1, s19
	s_lshl_b64 s[2:3], s[2:3], 4
	s_load_dwordx2 s[0:1], s[0:1], 0x0
	s_waitcnt lgkmcnt(0)
	s_add_u32 s18, s0, s2
	s_addc_u32 s19, s1, s3
.LBB379_8:
	s_load_dwordx4 s[28:31], s[4:5], 0x78
	s_waitcnt lgkmcnt(0)
	s_load_dwordx2 s[2:3], s[4:5], 0x88
	s_lshl_b64 s[0:1], s[24:25], 3
	s_add_u32 s0, s28, s0
	s_addc_u32 s1, s29, s1
	s_lshl_b64 s[28:29], s[30:31], 4
	s_load_dwordx2 s[24:25], s[0:1], 0x0
	v_cmp_eq_u32_e64 s0, 0, v0
	s_waitcnt lgkmcnt(0)
	s_add_u32 s1, s24, s28
	s_addc_u32 s7, s25, s29
	s_andn2_b32 vcc_lo, exec_lo, s26
	s_cbranch_vccnz .LBB379_13
; %bb.9:
	s_mov_b32 s27, 0
	s_mov_b32 s26, 0
                                        ; implicit-def: $vgpr3_vgpr4
                                        ; implicit-def: $sgpr24_sgpr25
	s_and_saveexec_b32 s28, s0
	s_cbranch_execz .LBB379_14
; %bb.10:
	v_cmp_neq_f64_e64 s0, s[8:9], 0
	v_cmp_neq_f64_e64 s24, s[10:11], 0
	s_ashr_i32 s25, s6, 31
	v_mov_b32_e32 v3, 0
	s_mul_i32 s25, s2, s25
	v_mov_b32_e32 v1, 0
	v_mov_b32_e32 v4, 0
	;; [unrolled: 1-line block ×3, first 2 shown]
	s_or_b32 s0, s0, s24
	s_mul_hi_u32 s24, s2, s6
	s_andn2_b32 vcc_lo, exec_lo, s0
	s_add_i32 s24, s24, s25
	s_mul_i32 s25, s3, s6
	s_add_i32 s25, s24, s25
	s_mul_i32 s24, s2, s6
	s_cbranch_vccnz .LBB379_12
; %bb.11:
	s_lshl_b64 s[30:31], s[24:25], 4
	s_add_u32 s30, s1, s30
	s_addc_u32 s31, s7, s31
	v_mov_b32_e32 v1, s30
	v_mov_b32_e32 v2, s31
	flat_load_dwordx4 v[3:6], v[1:2]
	s_waitcnt vmcnt(0) lgkmcnt(0)
	v_mul_f64 v[1:2], s[10:11], v[5:6]
	v_mul_f64 v[5:6], s[8:9], v[5:6]
	v_fma_f64 v[1:2], s[8:9], v[3:4], -v[1:2]
	v_fma_f64 v[3:4], s[10:11], v[3:4], v[5:6]
.LBB379_12:
	s_mov_b32 s26, exec_lo
	s_or_b32 exec_lo, exec_lo, s28
	s_and_b32 vcc_lo, exec_lo, s27
	s_cbranch_vccnz .LBB379_15
	s_branch .LBB379_34
.LBB379_13:
	s_mov_b32 s26, 0
                                        ; implicit-def: $vgpr3_vgpr4
                                        ; implicit-def: $sgpr24_sgpr25
	s_cbranch_execnz .LBB379_15
	s_branch .LBB379_34
.LBB379_14:
	s_or_b32 exec_lo, exec_lo, s28
	s_and_b32 vcc_lo, exec_lo, s27
	s_cbranch_vccz .LBB379_34
.LBB379_15:
	s_load_dword s5, s[4:5], 0x0
	s_ashr_i32 s27, s6, 31
	s_mul_hi_u32 s0, s22, s6
	s_mul_i32 s24, s22, s6
	s_mul_i32 s22, s22, s27
	;; [unrolled: 1-line block ×3, first 2 shown]
	s_add_i32 s0, s0, s22
	v_mov_b32_e32 v1, 0
	s_add_i32 s25, s0, s4
	v_mov_b32_e32 v3, 0
	s_lshl_b64 s[22:23], s[24:25], 4
	v_mov_b32_e32 v2, 0
	v_mov_b32_e32 v4, 0
	s_waitcnt lgkmcnt(0)
	v_cmp_gt_i32_e32 vcc_lo, s5, v0
	s_ashr_i32 s0, s5, 31
	s_lshr_b32 s0, s0, 22
	s_add_i32 s0, s5, s0
	v_cndmask_b32_e32 v5, 0, v0, vcc_lo
	v_lshlrev_b32_e32 v5, 4, v5
	v_add_co_u32 v5, s4, s20, v5
	v_add_co_ci_u32_e64 v6, null, s21, 0, s4
	s_and_b32 s4, s0, 0xfffffc00
	v_add_co_u32 v5, vcc_lo, v5, s22
	v_add_co_ci_u32_e64 v6, null, s23, v6, vcc_lo
	s_mov_b32 s23, 0
	s_mov_b32 s22, exec_lo
	v_cmpx_gt_i32_e64 s4, v0
	s_cbranch_execz .LBB379_19
; %bb.16:
	v_mad_u64_u32 v[1:2], null, s16, v0, 0
	v_mov_b32_e32 v8, v6
	v_mov_b32_e32 v7, v5
	;; [unrolled: 1-line block ×3, first 2 shown]
	s_lshl_b64 s[20:21], s[16:17], 14
	v_mad_u64_u32 v[2:3], null, s17, v0, v[2:3]
	v_mov_b32_e32 v3, 0
	v_mov_b32_e32 v4, 0
	v_lshlrev_b64 v[9:10], 4, v[1:2]
	v_mov_b32_e32 v1, 0
	v_mov_b32_e32 v2, 0
	v_add_co_u32 v9, vcc_lo, s18, v9
	v_add_co_ci_u32_e64 v10, null, s19, v10, vcc_lo
	.p2align	6
.LBB379_17:                             ; =>This Inner Loop Header: Depth=1
	flat_load_dwordx4 v[12:15], v[7:8]
	flat_load_dwordx4 v[16:19], v[9:10]
	v_add_nc_u32_e32 v11, 0x400, v11
	v_add_co_u32 v7, vcc_lo, 0x4000, v7
	v_add_co_ci_u32_e64 v8, null, 0, v8, vcc_lo
	v_cmp_le_i32_e32 vcc_lo, s4, v11
	v_add_co_u32 v9, s0, v9, s20
	v_add_co_ci_u32_e64 v10, null, s21, v10, s0
	s_or_b32 s23, vcc_lo, s23
	s_waitcnt vmcnt(0) lgkmcnt(0)
	v_mul_f64 v[20:21], v[14:15], v[18:19]
	v_mul_f64 v[14:15], v[14:15], v[16:17]
	v_fma_f64 v[16:17], v[12:13], v[16:17], v[20:21]
	v_fma_f64 v[12:13], v[12:13], v[18:19], -v[14:15]
	v_add_f64 v[3:4], v[3:4], v[16:17]
	v_add_f64 v[1:2], v[1:2], v[12:13]
	s_andn2_b32 exec_lo, exec_lo, s23
	s_cbranch_execnz .LBB379_17
; %bb.18:
	s_or_b32 exec_lo, exec_lo, s23
.LBB379_19:
	s_or_b32 exec_lo, exec_lo, s22
	v_or_b32_e32 v7, s4, v0
	s_mov_b32 s0, exec_lo
	v_cmpx_gt_i32_e64 s5, v7
	s_cbranch_execz .LBB379_21
; %bb.20:
	v_ashrrev_i32_e32 v9, 31, v7
	v_mul_lo_u32 v10, s17, v7
	v_mad_u64_u32 v[7:8], null, s16, v7, 0
	s_ashr_i32 s5, s4, 31
	v_mul_lo_u32 v9, s16, v9
	s_lshl_b64 s[4:5], s[4:5], 4
	v_add_co_u32 v5, vcc_lo, v5, s4
	v_add_co_ci_u32_e64 v6, null, s5, v6, vcc_lo
	v_add3_u32 v8, v8, v9, v10
	v_lshlrev_b64 v[7:8], 4, v[7:8]
	v_add_co_u32 v9, vcc_lo, s18, v7
	v_add_co_ci_u32_e64 v10, null, s19, v8, vcc_lo
	flat_load_dwordx4 v[5:8], v[5:6]
	flat_load_dwordx4 v[9:12], v[9:10]
	s_waitcnt vmcnt(0) lgkmcnt(0)
	v_mul_f64 v[13:14], v[7:8], v[11:12]
	v_mul_f64 v[7:8], v[7:8], v[9:10]
	v_fma_f64 v[9:10], v[5:6], v[9:10], v[13:14]
	v_fma_f64 v[5:6], v[5:6], v[11:12], -v[7:8]
	v_add_f64 v[3:4], v[3:4], v[9:10]
	v_add_f64 v[1:2], v[1:2], v[5:6]
.LBB379_21:
	s_or_b32 exec_lo, exec_lo, s0
	v_and_b32_e32 v15, 31, v0
	v_cmp_gt_u32_e32 vcc_lo, 32, v0
	v_lshlrev_b32_e32 v12, 4, v15
	s_and_saveexec_b32 s0, vcc_lo
	s_cbranch_execz .LBB379_23
; %bb.22:
	v_mov_b32_e32 v5, 0
	v_mov_b32_e32 v6, v5
	;; [unrolled: 1-line block ×4, first 2 shown]
	ds_write_b128 v12, v[5:8]
.LBB379_23:
	s_or_b32 exec_lo, exec_lo, s0
	v_mbcnt_lo_u32_b32 v14, -1, 0
	s_mov_b32 s4, exec_lo
	s_waitcnt lgkmcnt(0)
	s_barrier
	buffer_gl0_inv
	v_lshl_or_b32 v9, v14, 2, 64
	v_cmp_gt_u32_e64 s0, 24, v14
	ds_bpermute_b32 v5, v9, v3
	ds_bpermute_b32 v6, v9, v4
	;; [unrolled: 1-line block ×4, first 2 shown]
	s_waitcnt lgkmcnt(2)
	v_add_f64 v[3:4], v[3:4], v[5:6]
	v_cndmask_b32_e64 v5, 0, 8, s0
	s_waitcnt lgkmcnt(0)
	v_add_f64 v[1:2], v[1:2], v[7:8]
	v_cmp_gt_u32_e64 s0, 28, v14
	v_add_lshl_u32 v10, v5, v14, 2
	ds_bpermute_b32 v5, v10, v3
	ds_bpermute_b32 v6, v10, v4
	;; [unrolled: 1-line block ×4, first 2 shown]
	s_waitcnt lgkmcnt(2)
	v_add_f64 v[3:4], v[3:4], v[5:6]
	v_cndmask_b32_e64 v5, 0, 4, s0
	s_waitcnt lgkmcnt(0)
	v_add_f64 v[1:2], v[1:2], v[7:8]
	v_cmp_gt_u32_e64 s0, 30, v14
	v_add_lshl_u32 v11, v5, v14, 2
	ds_bpermute_b32 v5, v11, v3
	ds_bpermute_b32 v6, v11, v4
	;; [unrolled: 1-line block ×4, first 2 shown]
	s_waitcnt lgkmcnt(2)
	v_add_f64 v[3:4], v[3:4], v[5:6]
	s_waitcnt lgkmcnt(0)
	v_add_f64 v[5:6], v[1:2], v[7:8]
	v_cndmask_b32_e64 v1, 0, 2, s0
	v_cmp_ne_u32_e64 s0, 31, v14
	v_add_lshl_u32 v13, v1, v14, 2
	ds_bpermute_b32 v1, v13, v3
	ds_bpermute_b32 v2, v13, v4
	;; [unrolled: 1-line block ×4, first 2 shown]
	s_waitcnt lgkmcnt(2)
	v_add_f64 v[1:2], v[3:4], v[1:2]
	s_waitcnt lgkmcnt(0)
	v_add_f64 v[3:4], v[5:6], v[7:8]
	v_add_co_ci_u32_e64 v5, null, 0, v14, s0
	v_lshlrev_b32_e32 v14, 2, v5
	ds_bpermute_b32 v5, v14, v1
	ds_bpermute_b32 v6, v14, v2
	;; [unrolled: 1-line block ×4, first 2 shown]
	v_cmpx_eq_u32_e32 0, v15
	s_cbranch_execz .LBB379_25
; %bb.24:
	s_waitcnt lgkmcnt(0)
	v_add_f64 v[3:4], v[3:4], v[7:8]
	v_add_f64 v[1:2], v[1:2], v[5:6]
	v_lshrrev_b32_e32 v5, 1, v0
	v_and_b32_e32 v5, 0x1f0, v5
	ds_write_b128 v5, v[1:4]
.LBB379_25:
	s_or_b32 exec_lo, exec_lo, s4
	s_waitcnt lgkmcnt(0)
	v_mov_b32_e32 v7, 0
	v_mov_b32_e32 v5, 0
	;; [unrolled: 1-line block ×4, first 2 shown]
	s_barrier
	buffer_gl0_inv
	s_and_saveexec_b32 s0, vcc_lo
; %bb.26:
	ds_read_b128 v[5:8], v12
; %bb.27:
	s_or_b32 exec_lo, exec_lo, s0
	s_and_saveexec_b32 s0, vcc_lo
	s_cbranch_execz .LBB379_29
; %bb.28:
	s_waitcnt lgkmcnt(0)
	ds_bpermute_b32 v1, v9, v5
	ds_bpermute_b32 v2, v9, v6
	ds_bpermute_b32 v3, v9, v7
	ds_bpermute_b32 v4, v9, v8
	s_waitcnt lgkmcnt(2)
	v_add_f64 v[1:2], v[5:6], v[1:2]
	s_waitcnt lgkmcnt(0)
	v_add_f64 v[3:4], v[7:8], v[3:4]
	ds_bpermute_b32 v5, v10, v1
	ds_bpermute_b32 v6, v10, v2
	ds_bpermute_b32 v7, v10, v3
	ds_bpermute_b32 v8, v10, v4
	s_waitcnt lgkmcnt(2)
	v_add_f64 v[1:2], v[1:2], v[5:6]
	s_waitcnt lgkmcnt(0)
	v_add_f64 v[3:4], v[3:4], v[7:8]
	;; [unrolled: 8-line block ×5, first 2 shown]
.LBB379_29:
	s_or_b32 exec_lo, exec_lo, s0
	s_mov_b32 s0, exec_lo
                                        ; implicit-def: $vgpr3_vgpr4
                                        ; implicit-def: $sgpr24_sgpr25
	v_cmpx_eq_u32_e32 0, v0
	s_cbranch_execz .LBB379_33
; %bb.30:
	s_waitcnt lgkmcnt(0)
	v_mul_f64 v[0:1], s[14:15], v[7:8]
	v_mul_f64 v[3:4], s[12:13], v[7:8]
	v_cmp_neq_f64_e64 s4, s[8:9], 0
	v_cmp_neq_f64_e64 s5, s[10:11], 0
	s_mul_i32 s3, s3, s6
	s_mul_i32 s24, s2, s6
	v_fma_f64 v[1:2], s[12:13], v[5:6], -v[0:1]
	v_fma_f64 v[3:4], s[14:15], v[5:6], v[3:4]
	s_mul_hi_u32 s12, s2, s6
	s_or_b32 s4, s4, s5
	s_mul_i32 s5, s2, s27
	s_andn2_b32 vcc_lo, exec_lo, s4
	s_add_i32 s5, s12, s5
	s_add_i32 s25, s5, s3
	s_cbranch_vccnz .LBB379_32
; %bb.31:
	s_lshl_b64 s[2:3], s[24:25], 4
	s_add_u32 s2, s1, s2
	s_addc_u32 s3, s7, s3
	v_mov_b32_e32 v6, s3
	v_mov_b32_e32 v5, s2
	flat_load_dwordx4 v[5:8], v[5:6]
	s_waitcnt vmcnt(0) lgkmcnt(0)
	v_mul_f64 v[9:10], s[10:11], v[7:8]
	v_mul_f64 v[7:8], s[8:9], v[7:8]
	v_fma_f64 v[9:10], s[8:9], v[5:6], -v[9:10]
	v_fma_f64 v[5:6], s[10:11], v[5:6], v[7:8]
	v_add_f64 v[1:2], v[1:2], v[9:10]
	v_add_f64 v[3:4], v[3:4], v[5:6]
.LBB379_32:
	s_or_b32 s26, s26, exec_lo
.LBB379_33:
	s_or_b32 exec_lo, exec_lo, s0
.LBB379_34:
	s_and_saveexec_b32 s0, s26
	s_cbranch_execz .LBB379_36
; %bb.35:
	s_lshl_b64 s[2:3], s[24:25], 4
	s_add_u32 s0, s1, s2
	s_addc_u32 s1, s7, s3
	s_waitcnt lgkmcnt(0)
	v_mov_b32_e32 v6, s1
	v_mov_b32_e32 v5, s0
	flat_store_dwordx4 v[5:6], v[1:4]
.LBB379_36:
	s_endpgm
	.section	.rodata,"a",@progbits
	.p2align	6, 0x0
	.amdhsa_kernel _ZL32rocblas_gemvt_warp_reduce_kernelILb1ELi1024ElPK19rocblas_complex_numIdES1_KPS1_EviiT3_lPKT2_lT1_lS9_lSA_lS6_lPT4_lSA_li
		.amdhsa_group_segment_fixed_size 512
		.amdhsa_private_segment_fixed_size 0
		.amdhsa_kernarg_size 156
		.amdhsa_user_sgpr_count 6
		.amdhsa_user_sgpr_private_segment_buffer 1
		.amdhsa_user_sgpr_dispatch_ptr 0
		.amdhsa_user_sgpr_queue_ptr 0
		.amdhsa_user_sgpr_kernarg_segment_ptr 1
		.amdhsa_user_sgpr_dispatch_id 0
		.amdhsa_user_sgpr_flat_scratch_init 0
		.amdhsa_user_sgpr_private_segment_size 0
		.amdhsa_wavefront_size32 1
		.amdhsa_uses_dynamic_stack 0
		.amdhsa_system_sgpr_private_segment_wavefront_offset 0
		.amdhsa_system_sgpr_workgroup_id_x 1
		.amdhsa_system_sgpr_workgroup_id_y 0
		.amdhsa_system_sgpr_workgroup_id_z 1
		.amdhsa_system_sgpr_workgroup_info 0
		.amdhsa_system_vgpr_workitem_id 0
		.amdhsa_next_free_vgpr 22
		.amdhsa_next_free_sgpr 32
		.amdhsa_reserve_vcc 1
		.amdhsa_reserve_flat_scratch 0
		.amdhsa_float_round_mode_32 0
		.amdhsa_float_round_mode_16_64 0
		.amdhsa_float_denorm_mode_32 3
		.amdhsa_float_denorm_mode_16_64 3
		.amdhsa_dx10_clamp 1
		.amdhsa_ieee_mode 1
		.amdhsa_fp16_overflow 0
		.amdhsa_workgroup_processor_mode 1
		.amdhsa_memory_ordered 1
		.amdhsa_forward_progress 1
		.amdhsa_shared_vgpr_count 0
		.amdhsa_exception_fp_ieee_invalid_op 0
		.amdhsa_exception_fp_denorm_src 0
		.amdhsa_exception_fp_ieee_div_zero 0
		.amdhsa_exception_fp_ieee_overflow 0
		.amdhsa_exception_fp_ieee_underflow 0
		.amdhsa_exception_fp_ieee_inexact 0
		.amdhsa_exception_int_div_zero 0
	.end_amdhsa_kernel
	.section	.text._ZL32rocblas_gemvt_warp_reduce_kernelILb1ELi1024ElPK19rocblas_complex_numIdES1_KPS1_EviiT3_lPKT2_lT1_lS9_lSA_lS6_lPT4_lSA_li,"axG",@progbits,_ZL32rocblas_gemvt_warp_reduce_kernelILb1ELi1024ElPK19rocblas_complex_numIdES1_KPS1_EviiT3_lPKT2_lT1_lS9_lSA_lS6_lPT4_lSA_li,comdat
.Lfunc_end379:
	.size	_ZL32rocblas_gemvt_warp_reduce_kernelILb1ELi1024ElPK19rocblas_complex_numIdES1_KPS1_EviiT3_lPKT2_lT1_lS9_lSA_lS6_lPT4_lSA_li, .Lfunc_end379-_ZL32rocblas_gemvt_warp_reduce_kernelILb1ELi1024ElPK19rocblas_complex_numIdES1_KPS1_EviiT3_lPKT2_lT1_lS9_lSA_lS6_lPT4_lSA_li
                                        ; -- End function
	.set _ZL32rocblas_gemvt_warp_reduce_kernelILb1ELi1024ElPK19rocblas_complex_numIdES1_KPS1_EviiT3_lPKT2_lT1_lS9_lSA_lS6_lPT4_lSA_li.num_vgpr, 22
	.set _ZL32rocblas_gemvt_warp_reduce_kernelILb1ELi1024ElPK19rocblas_complex_numIdES1_KPS1_EviiT3_lPKT2_lT1_lS9_lSA_lS6_lPT4_lSA_li.num_agpr, 0
	.set _ZL32rocblas_gemvt_warp_reduce_kernelILb1ELi1024ElPK19rocblas_complex_numIdES1_KPS1_EviiT3_lPKT2_lT1_lS9_lSA_lS6_lPT4_lSA_li.numbered_sgpr, 32
	.set _ZL32rocblas_gemvt_warp_reduce_kernelILb1ELi1024ElPK19rocblas_complex_numIdES1_KPS1_EviiT3_lPKT2_lT1_lS9_lSA_lS6_lPT4_lSA_li.num_named_barrier, 0
	.set _ZL32rocblas_gemvt_warp_reduce_kernelILb1ELi1024ElPK19rocblas_complex_numIdES1_KPS1_EviiT3_lPKT2_lT1_lS9_lSA_lS6_lPT4_lSA_li.private_seg_size, 0
	.set _ZL32rocblas_gemvt_warp_reduce_kernelILb1ELi1024ElPK19rocblas_complex_numIdES1_KPS1_EviiT3_lPKT2_lT1_lS9_lSA_lS6_lPT4_lSA_li.uses_vcc, 1
	.set _ZL32rocblas_gemvt_warp_reduce_kernelILb1ELi1024ElPK19rocblas_complex_numIdES1_KPS1_EviiT3_lPKT2_lT1_lS9_lSA_lS6_lPT4_lSA_li.uses_flat_scratch, 0
	.set _ZL32rocblas_gemvt_warp_reduce_kernelILb1ELi1024ElPK19rocblas_complex_numIdES1_KPS1_EviiT3_lPKT2_lT1_lS9_lSA_lS6_lPT4_lSA_li.has_dyn_sized_stack, 0
	.set _ZL32rocblas_gemvt_warp_reduce_kernelILb1ELi1024ElPK19rocblas_complex_numIdES1_KPS1_EviiT3_lPKT2_lT1_lS9_lSA_lS6_lPT4_lSA_li.has_recursion, 0
	.set _ZL32rocblas_gemvt_warp_reduce_kernelILb1ELi1024ElPK19rocblas_complex_numIdES1_KPS1_EviiT3_lPKT2_lT1_lS9_lSA_lS6_lPT4_lSA_li.has_indirect_call, 0
	.section	.AMDGPU.csdata,"",@progbits
; Kernel info:
; codeLenInByte = 2140
; TotalNumSgprs: 34
; NumVgprs: 22
; ScratchSize: 0
; MemoryBound: 0
; FloatMode: 240
; IeeeMode: 1
; LDSByteSize: 512 bytes/workgroup (compile time only)
; SGPRBlocks: 0
; VGPRBlocks: 2
; NumSGPRsForWavesPerEU: 34
; NumVGPRsForWavesPerEU: 22
; Occupancy: 16
; WaveLimiterHint : 1
; COMPUTE_PGM_RSRC2:SCRATCH_EN: 0
; COMPUTE_PGM_RSRC2:USER_SGPR: 6
; COMPUTE_PGM_RSRC2:TRAP_HANDLER: 0
; COMPUTE_PGM_RSRC2:TGID_X_EN: 1
; COMPUTE_PGM_RSRC2:TGID_Y_EN: 0
; COMPUTE_PGM_RSRC2:TGID_Z_EN: 1
; COMPUTE_PGM_RSRC2:TIDIG_COMP_CNT: 0
	.section	.text._ZL34rocblas_gemvn_sm_mn_batched_kernelILi32ELi24EDF16_PKfDF16_EviiT2_lPKT1_lilS5_lilS2_lPT3_lili,"axG",@progbits,_ZL34rocblas_gemvn_sm_mn_batched_kernelILi32ELi24EDF16_PKfDF16_EviiT2_lPKT1_lilS5_lilS2_lPT3_lili,comdat
	.globl	_ZL34rocblas_gemvn_sm_mn_batched_kernelILi32ELi24EDF16_PKfDF16_EviiT2_lPKT1_lilS5_lilS2_lPT3_lili ; -- Begin function _ZL34rocblas_gemvn_sm_mn_batched_kernelILi32ELi24EDF16_PKfDF16_EviiT2_lPKT1_lilS5_lilS2_lPT3_lili
	.p2align	8
	.type	_ZL34rocblas_gemvn_sm_mn_batched_kernelILi32ELi24EDF16_PKfDF16_EviiT2_lPKT1_lilS5_lilS2_lPT3_lili,@function
_ZL34rocblas_gemvn_sm_mn_batched_kernelILi32ELi24EDF16_PKfDF16_EviiT2_lPKT1_lilS5_lilS2_lPT3_lili: ; @_ZL34rocblas_gemvn_sm_mn_batched_kernelILi32ELi24EDF16_PKfDF16_EviiT2_lPKT1_lilS5_lilS2_lPT3_lili
; %bb.0:
	s_endpgm
	.section	.rodata,"a",@progbits
	.p2align	6, 0x0
	.amdhsa_kernel _ZL34rocblas_gemvn_sm_mn_batched_kernelILi32ELi24EDF16_PKfDF16_EviiT2_lPKT1_lilS5_lilS2_lPT3_lili
		.amdhsa_group_segment_fixed_size 0
		.amdhsa_private_segment_fixed_size 0
		.amdhsa_kernarg_size 140
		.amdhsa_user_sgpr_count 6
		.amdhsa_user_sgpr_private_segment_buffer 1
		.amdhsa_user_sgpr_dispatch_ptr 0
		.amdhsa_user_sgpr_queue_ptr 0
		.amdhsa_user_sgpr_kernarg_segment_ptr 1
		.amdhsa_user_sgpr_dispatch_id 0
		.amdhsa_user_sgpr_flat_scratch_init 0
		.amdhsa_user_sgpr_private_segment_size 0
		.amdhsa_wavefront_size32 1
		.amdhsa_uses_dynamic_stack 0
		.amdhsa_system_sgpr_private_segment_wavefront_offset 0
		.amdhsa_system_sgpr_workgroup_id_x 1
		.amdhsa_system_sgpr_workgroup_id_y 0
		.amdhsa_system_sgpr_workgroup_id_z 0
		.amdhsa_system_sgpr_workgroup_info 0
		.amdhsa_system_vgpr_workitem_id 0
		.amdhsa_next_free_vgpr 1
		.amdhsa_next_free_sgpr 1
		.amdhsa_reserve_vcc 0
		.amdhsa_reserve_flat_scratch 0
		.amdhsa_float_round_mode_32 0
		.amdhsa_float_round_mode_16_64 0
		.amdhsa_float_denorm_mode_32 3
		.amdhsa_float_denorm_mode_16_64 3
		.amdhsa_dx10_clamp 1
		.amdhsa_ieee_mode 1
		.amdhsa_fp16_overflow 0
		.amdhsa_workgroup_processor_mode 1
		.amdhsa_memory_ordered 1
		.amdhsa_forward_progress 1
		.amdhsa_shared_vgpr_count 0
		.amdhsa_exception_fp_ieee_invalid_op 0
		.amdhsa_exception_fp_denorm_src 0
		.amdhsa_exception_fp_ieee_div_zero 0
		.amdhsa_exception_fp_ieee_overflow 0
		.amdhsa_exception_fp_ieee_underflow 0
		.amdhsa_exception_fp_ieee_inexact 0
		.amdhsa_exception_int_div_zero 0
	.end_amdhsa_kernel
	.section	.text._ZL34rocblas_gemvn_sm_mn_batched_kernelILi32ELi24EDF16_PKfDF16_EviiT2_lPKT1_lilS5_lilS2_lPT3_lili,"axG",@progbits,_ZL34rocblas_gemvn_sm_mn_batched_kernelILi32ELi24EDF16_PKfDF16_EviiT2_lPKT1_lilS5_lilS2_lPT3_lili,comdat
.Lfunc_end380:
	.size	_ZL34rocblas_gemvn_sm_mn_batched_kernelILi32ELi24EDF16_PKfDF16_EviiT2_lPKT1_lilS5_lilS2_lPT3_lili, .Lfunc_end380-_ZL34rocblas_gemvn_sm_mn_batched_kernelILi32ELi24EDF16_PKfDF16_EviiT2_lPKT1_lilS5_lilS2_lPT3_lili
                                        ; -- End function
	.set _ZL34rocblas_gemvn_sm_mn_batched_kernelILi32ELi24EDF16_PKfDF16_EviiT2_lPKT1_lilS5_lilS2_lPT3_lili.num_vgpr, 0
	.set _ZL34rocblas_gemvn_sm_mn_batched_kernelILi32ELi24EDF16_PKfDF16_EviiT2_lPKT1_lilS5_lilS2_lPT3_lili.num_agpr, 0
	.set _ZL34rocblas_gemvn_sm_mn_batched_kernelILi32ELi24EDF16_PKfDF16_EviiT2_lPKT1_lilS5_lilS2_lPT3_lili.numbered_sgpr, 0
	.set _ZL34rocblas_gemvn_sm_mn_batched_kernelILi32ELi24EDF16_PKfDF16_EviiT2_lPKT1_lilS5_lilS2_lPT3_lili.num_named_barrier, 0
	.set _ZL34rocblas_gemvn_sm_mn_batched_kernelILi32ELi24EDF16_PKfDF16_EviiT2_lPKT1_lilS5_lilS2_lPT3_lili.private_seg_size, 0
	.set _ZL34rocblas_gemvn_sm_mn_batched_kernelILi32ELi24EDF16_PKfDF16_EviiT2_lPKT1_lilS5_lilS2_lPT3_lili.uses_vcc, 0
	.set _ZL34rocblas_gemvn_sm_mn_batched_kernelILi32ELi24EDF16_PKfDF16_EviiT2_lPKT1_lilS5_lilS2_lPT3_lili.uses_flat_scratch, 0
	.set _ZL34rocblas_gemvn_sm_mn_batched_kernelILi32ELi24EDF16_PKfDF16_EviiT2_lPKT1_lilS5_lilS2_lPT3_lili.has_dyn_sized_stack, 0
	.set _ZL34rocblas_gemvn_sm_mn_batched_kernelILi32ELi24EDF16_PKfDF16_EviiT2_lPKT1_lilS5_lilS2_lPT3_lili.has_recursion, 0
	.set _ZL34rocblas_gemvn_sm_mn_batched_kernelILi32ELi24EDF16_PKfDF16_EviiT2_lPKT1_lilS5_lilS2_lPT3_lili.has_indirect_call, 0
	.section	.AMDGPU.csdata,"",@progbits
; Kernel info:
; codeLenInByte = 4
; TotalNumSgprs: 0
; NumVgprs: 0
; ScratchSize: 0
; MemoryBound: 0
; FloatMode: 240
; IeeeMode: 1
; LDSByteSize: 0 bytes/workgroup (compile time only)
; SGPRBlocks: 0
; VGPRBlocks: 0
; NumSGPRsForWavesPerEU: 1
; NumVGPRsForWavesPerEU: 1
; Occupancy: 16
; WaveLimiterHint : 0
; COMPUTE_PGM_RSRC2:SCRATCH_EN: 0
; COMPUTE_PGM_RSRC2:USER_SGPR: 6
; COMPUTE_PGM_RSRC2:TRAP_HANDLER: 0
; COMPUTE_PGM_RSRC2:TGID_X_EN: 1
; COMPUTE_PGM_RSRC2:TGID_Y_EN: 0
; COMPUTE_PGM_RSRC2:TGID_Z_EN: 0
; COMPUTE_PGM_RSRC2:TIDIG_COMP_CNT: 0
	.section	.text._ZL34rocblas_gemvn_sm_mn_batched_kernelILi32ELi24EDF16_fDF16_EviiT2_lPKT1_lilS3_lilS0_lPT3_lili,"axG",@progbits,_ZL34rocblas_gemvn_sm_mn_batched_kernelILi32ELi24EDF16_fDF16_EviiT2_lPKT1_lilS3_lilS0_lPT3_lili,comdat
	.globl	_ZL34rocblas_gemvn_sm_mn_batched_kernelILi32ELi24EDF16_fDF16_EviiT2_lPKT1_lilS3_lilS0_lPT3_lili ; -- Begin function _ZL34rocblas_gemvn_sm_mn_batched_kernelILi32ELi24EDF16_fDF16_EviiT2_lPKT1_lilS3_lilS0_lPT3_lili
	.p2align	8
	.type	_ZL34rocblas_gemvn_sm_mn_batched_kernelILi32ELi24EDF16_fDF16_EviiT2_lPKT1_lilS3_lilS0_lPT3_lili,@function
_ZL34rocblas_gemvn_sm_mn_batched_kernelILi32ELi24EDF16_fDF16_EviiT2_lPKT1_lilS3_lilS0_lPT3_lili: ; @_ZL34rocblas_gemvn_sm_mn_batched_kernelILi32ELi24EDF16_fDF16_EviiT2_lPKT1_lilS3_lilS0_lPT3_lili
; %bb.0:
	s_endpgm
	.section	.rodata,"a",@progbits
	.p2align	6, 0x0
	.amdhsa_kernel _ZL34rocblas_gemvn_sm_mn_batched_kernelILi32ELi24EDF16_fDF16_EviiT2_lPKT1_lilS3_lilS0_lPT3_lili
		.amdhsa_group_segment_fixed_size 0
		.amdhsa_private_segment_fixed_size 0
		.amdhsa_kernarg_size 140
		.amdhsa_user_sgpr_count 6
		.amdhsa_user_sgpr_private_segment_buffer 1
		.amdhsa_user_sgpr_dispatch_ptr 0
		.amdhsa_user_sgpr_queue_ptr 0
		.amdhsa_user_sgpr_kernarg_segment_ptr 1
		.amdhsa_user_sgpr_dispatch_id 0
		.amdhsa_user_sgpr_flat_scratch_init 0
		.amdhsa_user_sgpr_private_segment_size 0
		.amdhsa_wavefront_size32 1
		.amdhsa_uses_dynamic_stack 0
		.amdhsa_system_sgpr_private_segment_wavefront_offset 0
		.amdhsa_system_sgpr_workgroup_id_x 1
		.amdhsa_system_sgpr_workgroup_id_y 0
		.amdhsa_system_sgpr_workgroup_id_z 0
		.amdhsa_system_sgpr_workgroup_info 0
		.amdhsa_system_vgpr_workitem_id 0
		.amdhsa_next_free_vgpr 1
		.amdhsa_next_free_sgpr 1
		.amdhsa_reserve_vcc 0
		.amdhsa_reserve_flat_scratch 0
		.amdhsa_float_round_mode_32 0
		.amdhsa_float_round_mode_16_64 0
		.amdhsa_float_denorm_mode_32 3
		.amdhsa_float_denorm_mode_16_64 3
		.amdhsa_dx10_clamp 1
		.amdhsa_ieee_mode 1
		.amdhsa_fp16_overflow 0
		.amdhsa_workgroup_processor_mode 1
		.amdhsa_memory_ordered 1
		.amdhsa_forward_progress 1
		.amdhsa_shared_vgpr_count 0
		.amdhsa_exception_fp_ieee_invalid_op 0
		.amdhsa_exception_fp_denorm_src 0
		.amdhsa_exception_fp_ieee_div_zero 0
		.amdhsa_exception_fp_ieee_overflow 0
		.amdhsa_exception_fp_ieee_underflow 0
		.amdhsa_exception_fp_ieee_inexact 0
		.amdhsa_exception_int_div_zero 0
	.end_amdhsa_kernel
	.section	.text._ZL34rocblas_gemvn_sm_mn_batched_kernelILi32ELi24EDF16_fDF16_EviiT2_lPKT1_lilS3_lilS0_lPT3_lili,"axG",@progbits,_ZL34rocblas_gemvn_sm_mn_batched_kernelILi32ELi24EDF16_fDF16_EviiT2_lPKT1_lilS3_lilS0_lPT3_lili,comdat
.Lfunc_end381:
	.size	_ZL34rocblas_gemvn_sm_mn_batched_kernelILi32ELi24EDF16_fDF16_EviiT2_lPKT1_lilS3_lilS0_lPT3_lili, .Lfunc_end381-_ZL34rocblas_gemvn_sm_mn_batched_kernelILi32ELi24EDF16_fDF16_EviiT2_lPKT1_lilS3_lilS0_lPT3_lili
                                        ; -- End function
	.set _ZL34rocblas_gemvn_sm_mn_batched_kernelILi32ELi24EDF16_fDF16_EviiT2_lPKT1_lilS3_lilS0_lPT3_lili.num_vgpr, 0
	.set _ZL34rocblas_gemvn_sm_mn_batched_kernelILi32ELi24EDF16_fDF16_EviiT2_lPKT1_lilS3_lilS0_lPT3_lili.num_agpr, 0
	.set _ZL34rocblas_gemvn_sm_mn_batched_kernelILi32ELi24EDF16_fDF16_EviiT2_lPKT1_lilS3_lilS0_lPT3_lili.numbered_sgpr, 0
	.set _ZL34rocblas_gemvn_sm_mn_batched_kernelILi32ELi24EDF16_fDF16_EviiT2_lPKT1_lilS3_lilS0_lPT3_lili.num_named_barrier, 0
	.set _ZL34rocblas_gemvn_sm_mn_batched_kernelILi32ELi24EDF16_fDF16_EviiT2_lPKT1_lilS3_lilS0_lPT3_lili.private_seg_size, 0
	.set _ZL34rocblas_gemvn_sm_mn_batched_kernelILi32ELi24EDF16_fDF16_EviiT2_lPKT1_lilS3_lilS0_lPT3_lili.uses_vcc, 0
	.set _ZL34rocblas_gemvn_sm_mn_batched_kernelILi32ELi24EDF16_fDF16_EviiT2_lPKT1_lilS3_lilS0_lPT3_lili.uses_flat_scratch, 0
	.set _ZL34rocblas_gemvn_sm_mn_batched_kernelILi32ELi24EDF16_fDF16_EviiT2_lPKT1_lilS3_lilS0_lPT3_lili.has_dyn_sized_stack, 0
	.set _ZL34rocblas_gemvn_sm_mn_batched_kernelILi32ELi24EDF16_fDF16_EviiT2_lPKT1_lilS3_lilS0_lPT3_lili.has_recursion, 0
	.set _ZL34rocblas_gemvn_sm_mn_batched_kernelILi32ELi24EDF16_fDF16_EviiT2_lPKT1_lilS3_lilS0_lPT3_lili.has_indirect_call, 0
	.section	.AMDGPU.csdata,"",@progbits
; Kernel info:
; codeLenInByte = 4
; TotalNumSgprs: 0
; NumVgprs: 0
; ScratchSize: 0
; MemoryBound: 0
; FloatMode: 240
; IeeeMode: 1
; LDSByteSize: 0 bytes/workgroup (compile time only)
; SGPRBlocks: 0
; VGPRBlocks: 0
; NumSGPRsForWavesPerEU: 1
; NumVGPRsForWavesPerEU: 1
; Occupancy: 16
; WaveLimiterHint : 0
; COMPUTE_PGM_RSRC2:SCRATCH_EN: 0
; COMPUTE_PGM_RSRC2:USER_SGPR: 6
; COMPUTE_PGM_RSRC2:TRAP_HANDLER: 0
; COMPUTE_PGM_RSRC2:TGID_X_EN: 1
; COMPUTE_PGM_RSRC2:TGID_Y_EN: 0
; COMPUTE_PGM_RSRC2:TGID_Z_EN: 0
; COMPUTE_PGM_RSRC2:TIDIG_COMP_CNT: 0
	.section	.text._ZL20rocblas_gemvn_kernelILi64ELi4EiDF16_PKfDF16_EviiT3_lPKT2_lT1_lS5_lS6_lS2_lPT4_lS6_li,"axG",@progbits,_ZL20rocblas_gemvn_kernelILi64ELi4EiDF16_PKfDF16_EviiT3_lPKT2_lT1_lS5_lS6_lS2_lPT4_lS6_li,comdat
	.globl	_ZL20rocblas_gemvn_kernelILi64ELi4EiDF16_PKfDF16_EviiT3_lPKT2_lT1_lS5_lS6_lS2_lPT4_lS6_li ; -- Begin function _ZL20rocblas_gemvn_kernelILi64ELi4EiDF16_PKfDF16_EviiT3_lPKT2_lT1_lS5_lS6_lS2_lPT4_lS6_li
	.p2align	8
	.type	_ZL20rocblas_gemvn_kernelILi64ELi4EiDF16_PKfDF16_EviiT3_lPKT2_lT1_lS5_lS6_lS2_lPT4_lS6_li,@function
_ZL20rocblas_gemvn_kernelILi64ELi4EiDF16_PKfDF16_EviiT3_lPKT2_lT1_lS5_lS6_lS2_lPT4_lS6_li: ; @_ZL20rocblas_gemvn_kernelILi64ELi4EiDF16_PKfDF16_EviiT3_lPKT2_lT1_lS5_lS6_lS2_lPT4_lS6_li
; %bb.0:
	s_load_dwordx2 s[0:1], s[4:5], 0x9c
	s_waitcnt lgkmcnt(0)
	s_lshr_b32 s2, s0, 16
	s_and_b32 s0, s0, 0xffff
	s_and_b32 s1, s1, 0xffff
	s_mul_i32 s0, s2, s0
	s_mul_i32 s0, s0, s1
	s_cmpk_lg_i32 s0, 0x100
	s_cbranch_scc1 .LBB382_50
; %bb.1:
	s_clause 0x1
	s_load_dwordx8 s[16:23], s[4:5], 0x8
	s_load_dwordx8 s[8:15], s[4:5], 0x50
	s_waitcnt lgkmcnt(0)
	s_mul_i32 s1, s19, s7
	s_mul_hi_u32 s2, s18, s7
	s_mul_i32 s0, s18, s7
	s_add_i32 s1, s2, s1
	s_mul_i32 s2, s13, s7
	s_lshl_b64 s[0:1], s[0:1], 2
	s_mul_hi_u32 s3, s12, s7
	s_add_u32 s0, s16, s0
	s_addc_u32 s1, s17, s1
	s_add_i32 s3, s3, s2
	s_mul_i32 s2, s12, s7
	s_mov_b32 s18, 0
	s_lshl_b64 s[2:3], s[2:3], 2
	s_add_u32 s2, s10, s2
	s_addc_u32 s3, s11, s3
	s_load_dword s17, s[0:1], 0x0
	s_load_dword s16, s[2:3], 0x0
	s_waitcnt lgkmcnt(0)
	v_cmp_eq_f32_e64 s0, s17, 0
	v_cmp_eq_f32_e64 s1, s16, 1.0
	s_and_b32 s0, s0, s1
	s_and_b32 vcc_lo, exec_lo, s0
	s_cbranch_vccnz .LBB382_50
; %bb.2:
	s_clause 0x3
	s_load_dwordx2 s[0:1], s[4:5], 0x80
	s_load_dwordx2 s[2:3], s[4:5], 0x70
	s_load_dword s19, s[4:5], 0x78
	s_load_dwordx2 s[10:11], s[4:5], 0x0
	v_lshlrev_b32_e32 v13, 6, v1
	v_cmp_neq_f32_e64 s24, s17, 0
	v_add_nc_u32_e32 v14, v13, v0
	s_waitcnt lgkmcnt(0)
	s_mul_i32 s1, s1, s7
	s_mul_hi_u32 s12, s0, s7
	s_mul_i32 s0, s0, s7
	s_add_i32 s1, s12, s1
	s_lshl_b64 s[0:1], s[0:1], 1
	s_add_u32 s12, s14, s0
	s_addc_u32 s13, s15, s1
	s_lshl_b64 s[0:1], s[2:3], 1
	s_add_u32 s12, s12, s0
	v_cmp_gt_u32_e64 s0, 0x100, v14
	s_addc_u32 s13, s13, s1
	s_and_b32 vcc_lo, exec_lo, s24
	s_cbranch_vccnz .LBB382_9
; %bb.3:
	s_mov_b32 s1, 0
                                        ; implicit-def: $vgpr5
                                        ; implicit-def: $vgpr2_vgpr3
	s_and_saveexec_b32 s2, s0
	s_cbranch_execz .LBB382_10
; %bb.4:
	v_lshl_or_b32 v4, s6, 8, v14
	v_mov_b32_e32 v5, 0
	s_ashr_i32 s15, s10, 31
	s_mov_b32 s14, s10
	s_mov_b32 s3, 0
	s_mov_b32 s0, exec_lo
                                        ; implicit-def: $vgpr2_vgpr3
	v_cmpx_gt_i64_e64 s[14:15], v[4:5]
	s_cbranch_execz .LBB382_8
; %bb.5:
	v_mad_u64_u32 v[2:3], null, s19, v4, 0
	s_ashr_i32 s3, s19, 31
	v_mad_u64_u32 v[3:4], null, s3, v4, v[3:4]
	v_cmp_eq_f32_e64 s3, s16, 0
	s_and_b32 vcc_lo, exec_lo, s3
	s_cbranch_vccnz .LBB382_7
; %bb.6:
	v_lshlrev_b64 v[4:5], 1, v[2:3]
	v_add_co_u32 v4, vcc_lo, s12, v4
	v_add_co_ci_u32_e64 v5, null, s13, v5, vcc_lo
	global_load_ushort v4, v[4:5], off
	s_waitcnt vmcnt(0)
	v_fma_mixlo_f16 v5, s16, v4, 0 op_sel_hi:[0,1,0]
.LBB382_7:
	s_mov_b32 s3, exec_lo
.LBB382_8:
	s_or_b32 exec_lo, exec_lo, s0
	s_and_b32 s18, s3, exec_lo
	s_or_b32 exec_lo, exec_lo, s2
	s_and_b32 vcc_lo, exec_lo, s1
	s_cbranch_vccnz .LBB382_11
	s_branch .LBB382_48
.LBB382_9:
                                        ; implicit-def: $vgpr5
                                        ; implicit-def: $vgpr2_vgpr3
	s_cbranch_execnz .LBB382_11
	s_branch .LBB382_48
.LBB382_10:
	s_or_b32 exec_lo, exec_lo, s2
	s_and_b32 vcc_lo, exec_lo, s1
	s_cbranch_vccz .LBB382_48
.LBB382_11:
	s_clause 0x3
	s_load_dwordx4 s[0:3], s[4:5], 0x30
	s_load_dword s14, s[4:5], 0x28
	s_load_dwordx2 s[24:25], s[4:5], 0x40
	s_load_dword s4, s[4:5], 0x48
	s_mul_i32 s9, s9, s7
	v_lshlrev_b32_e32 v20, 2, v1
	v_mov_b32_e32 v19, 0
	v_mov_b32_e32 v18, 0
	;; [unrolled: 1-line block ×4, first 2 shown]
	s_waitcnt lgkmcnt(0)
	s_mul_i32 s1, s1, s7
	s_mul_hi_u32 s15, s0, s7
	s_mul_i32 s0, s0, s7
	s_add_i32 s1, s15, s1
	s_mul_hi_u32 s15, s8, s7
	s_lshl_b64 s[0:1], s[0:1], 1
	s_add_u32 s26, s20, s0
	s_addc_u32 s21, s21, s1
	s_lshl_b64 s[0:1], s[22:23], 1
	s_mul_i32 s20, s8, s7
	s_add_u32 s7, s26, s0
	s_addc_u32 s8, s21, s1
	s_add_i32 s21, s15, s9
	s_lshl_b64 s[0:1], s[20:21], 1
	s_mov_b32 s20, exec_lo
	s_add_u32 s2, s2, s0
	s_addc_u32 s3, s3, s1
	s_lshl_b64 s[0:1], s[24:25], 1
	s_add_u32 s9, s2, s0
	s_addc_u32 s15, s3, s1
	s_ashr_i32 s0, s11, 31
	s_lshl_b32 s5, s6, 8
	s_lshr_b32 s0, s0, 28
	v_or_b32_e32 v17, s5, v0
	s_add_i32 s0, s11, s0
	s_and_b32 s6, s0, -16
	v_cmpx_gt_i32_e64 s6, v20
	s_cbranch_execz .LBB382_23
; %bb.12:
	v_add_nc_u32_e32 v5, 0xc0, v17
	v_mul_lo_u32 v3, s14, v20
	v_add_nc_u32_e32 v2, 64, v17
	v_add_nc_u32_e32 v6, 2, v20
	;; [unrolled: 1-line block ×3, first 2 shown]
	v_cmp_gt_i32_e64 s2, s10, v5
	v_mul_lo_u32 v5, v1, s14
	v_add_nc_u32_e32 v7, 3, v20
	v_mul_lo_u32 v8, v1, s4
	v_cmp_gt_i32_e64 s0, s10, v2
	v_add3_u32 v21, v3, s14, v0
	v_mad_u64_u32 v[2:3], null, s14, v6, v[0:1]
	v_cmp_gt_i32_e64 s1, s10, v4
	v_mad_u64_u32 v[3:4], null, s14, v7, v[0:1]
	v_lshl_add_u32 v22, v5, 2, v0
	v_mad_u64_u32 v[4:5], null, s4, v20, s[4:5]
	v_mul_lo_u32 v23, s4, v6
	v_mul_lo_u32 v24, s4, v7
	v_lshlrev_b32_e32 v25, 2, v8
	v_mov_b32_e32 v19, 0
	v_mov_b32_e32 v18, 0
	;; [unrolled: 1-line block ×4, first 2 shown]
	s_lshl_b32 s21, s14, 4
	s_lshl_b32 s23, s4, 4
	s_mov_b32 s22, 0
	s_mov_b32 s24, 0
	v_cmp_gt_i32_e32 vcc_lo, s10, v17
	s_branch .LBB382_17
.LBB382_13:                             ;   in Loop: Header=BB382_17 Depth=1
	s_or_b32 exec_lo, exec_lo, s27
	s_waitcnt vmcnt(3)
	v_fma_mix_f32 v5, v38, v42, v16 op_sel_hi:[0,1,0]
	s_waitcnt vmcnt(2)
	v_fma_mix_f32 v5, v39, v43, v5 op_sel_hi:[0,1,0]
	;; [unrolled: 2-line block ×4, first 2 shown]
.LBB382_14:                             ;   in Loop: Header=BB382_17 Depth=1
	s_or_b32 exec_lo, exec_lo, s26
	s_waitcnt vmcnt(3)
	v_fma_mix_f32 v5, v38, v34, v18 op_sel_hi:[0,1,0]
	s_waitcnt vmcnt(2)
	v_fma_mix_f32 v5, v39, v35, v5 op_sel_hi:[0,1,0]
	;; [unrolled: 2-line block ×4, first 2 shown]
.LBB382_15:                             ;   in Loop: Header=BB382_17 Depth=1
	s_or_b32 exec_lo, exec_lo, s3
	s_waitcnt vmcnt(3)
	v_fma_mix_f32 v5, v26, v30, v19 op_sel_hi:[1,1,0]
	s_waitcnt vmcnt(2)
	v_fma_mix_f32 v5, v27, v31, v5 op_sel_hi:[1,1,0]
	;; [unrolled: 2-line block ×4, first 2 shown]
.LBB382_16:                             ;   in Loop: Header=BB382_17 Depth=1
	s_or_b32 exec_lo, exec_lo, s25
	v_add_nc_u32_e32 v20, 16, v20
	v_add_nc_u32_e32 v21, s21, v21
	;; [unrolled: 1-line block ×5, first 2 shown]
	v_cmp_le_i32_e64 s3, s6, v20
	s_add_i32 s24, s24, s23
	s_or_b32 s22, s3, s22
	s_andn2_b32 exec_lo, exec_lo, s22
	s_cbranch_execz .LBB382_22
.LBB382_17:                             ; =>This Inner Loop Header: Depth=1
	s_and_saveexec_b32 s25, vcc_lo
	s_cbranch_execz .LBB382_16
; %bb.18:                               ;   in Loop: Header=BB382_17 Depth=1
	v_add_nc_u32_e32 v5, s24, v25
	v_add_nc_u32_e32 v7, s24, v4
	;; [unrolled: 1-line block ×5, first 2 shown]
	v_ashrrev_i32_e32 v6, 31, v5
	v_ashrrev_i32_e32 v8, 31, v7
	;; [unrolled: 1-line block ×5, first 2 shown]
	v_lshlrev_b64 v[5:6], 1, v[5:6]
	v_lshlrev_b64 v[7:8], 1, v[7:8]
	;; [unrolled: 1-line block ×3, first 2 shown]
	v_add_co_u32 v28, s3, s9, v5
	v_add_co_ci_u32_e64 v29, null, s15, v6, s3
	v_add_co_u32 v30, s3, s9, v7
	v_add_nc_u32_e32 v7, s5, v21
	v_add_co_ci_u32_e64 v31, null, s15, v8, s3
	v_lshlrev_b64 v[5:6], 1, v[11:12]
	v_add_co_u32 v32, s3, s9, v9
	v_add_nc_u32_e32 v11, s5, v2
	v_add_co_ci_u32_e64 v33, null, s15, v10, s3
	v_lshlrev_b64 v[9:10], 1, v[26:27]
	v_add_nc_u32_e32 v26, s5, v3
	v_ashrrev_i32_e32 v8, 31, v7
	v_ashrrev_i32_e32 v12, 31, v11
	v_add_co_u32 v34, s3, s9, v5
	v_ashrrev_i32_e32 v27, 31, v26
	v_add_co_ci_u32_e64 v35, null, s15, v6, s3
	v_lshlrev_b64 v[7:8], 1, v[7:8]
	v_add_co_u32 v5, s3, s7, v9
	v_add_co_ci_u32_e64 v6, null, s8, v10, s3
	v_lshlrev_b64 v[9:10], 1, v[11:12]
	v_lshlrev_b64 v[11:12], 1, v[26:27]
	v_add_co_u32 v7, s3, s7, v7
	v_add_co_ci_u32_e64 v8, null, s8, v8, s3
	v_add_co_u32 v9, s3, s7, v9
	v_add_co_ci_u32_e64 v10, null, s8, v10, s3
	;; [unrolled: 2-line block ×3, first 2 shown]
	s_clause 0x3
	global_load_ushort v26, v[28:29], off
	global_load_ushort v27, v[30:31], off
	;; [unrolled: 1-line block ×4, first 2 shown]
	s_clause 0x3
	global_load_ushort v30, v[5:6], off
	global_load_ushort v31, v[7:8], off
	;; [unrolled: 1-line block ×4, first 2 shown]
	s_and_saveexec_b32 s3, s0
	s_cbranch_execz .LBB382_15
; %bb.19:                               ;   in Loop: Header=BB382_17 Depth=1
	s_clause 0x3
	global_load_ushort v34, v[5:6], off offset:128
	global_load_ushort v35, v[7:8], off offset:128
	;; [unrolled: 1-line block ×4, first 2 shown]
	s_waitcnt vmcnt(11)
	v_cvt_f32_f16_e32 v38, v26
	s_waitcnt vmcnt(10)
	v_cvt_f32_f16_e32 v39, v27
	;; [unrolled: 2-line block ×4, first 2 shown]
	s_and_saveexec_b32 s26, s1
	s_cbranch_execz .LBB382_14
; %bb.20:                               ;   in Loop: Header=BB382_17 Depth=1
	s_clause 0x3
	global_load_ushort v42, v[5:6], off offset:256
	global_load_ushort v43, v[7:8], off offset:256
	;; [unrolled: 1-line block ×4, first 2 shown]
	s_and_saveexec_b32 s27, s2
	s_cbranch_execz .LBB382_13
; %bb.21:                               ;   in Loop: Header=BB382_17 Depth=1
	s_clause 0x3
	global_load_ushort v5, v[5:6], off offset:384
	global_load_ushort v6, v[7:8], off offset:384
	;; [unrolled: 1-line block ×4, first 2 shown]
	s_waitcnt vmcnt(3)
	v_fma_mix_f32 v5, v38, v5, v15 op_sel_hi:[0,1,0]
	s_waitcnt vmcnt(2)
	v_fma_mix_f32 v5, v39, v6, v5 op_sel_hi:[0,1,0]
	;; [unrolled: 2-line block ×4, first 2 shown]
	s_branch .LBB382_13
.LBB382_22:
	s_or_b32 exec_lo, exec_lo, s22
.LBB382_23:
	s_or_b32 exec_lo, exec_lo, s20
	s_sub_i32 s0, s11, s6
	s_cmp_lt_i32 s0, 1
	s_cbranch_scc1 .LBB382_41
; %bb.24:
	v_cmp_gt_i32_e32 vcc_lo, s11, v20
	v_mov_b32_e32 v10, 0
	v_or_b32_e32 v2, 1, v20
	v_mov_b32_e32 v11, 0
	v_mov_b32_e32 v12, 0
	;; [unrolled: 1-line block ×3, first 2 shown]
	s_and_saveexec_b32 s1, vcc_lo
	s_cbranch_execz .LBB382_32
; %bb.25:
	v_mul_lo_u32 v3, v20, s4
	v_mov_b32_e32 v12, 0
	v_mov_b32_e32 v11, 0
	;; [unrolled: 1-line block ×3, first 2 shown]
	s_mov_b32 s2, exec_lo
	v_ashrrev_i32_e32 v4, 31, v3
	v_lshlrev_b64 v[3:4], 1, v[3:4]
	v_add_co_u32 v3, s0, s9, v3
	v_add_co_ci_u32_e64 v4, null, s15, v4, s0
	global_load_ushort v3, v[3:4], off
	v_cmpx_gt_i32_e64 s11, v2
	s_cbranch_execz .LBB382_31
; %bb.26:
	v_mul_lo_u32 v4, v2, s4
	v_mov_b32_e32 v11, 0
	v_mov_b32_e32 v10, 0
	s_mov_b32 s3, exec_lo
	v_ashrrev_i32_e32 v5, 31, v4
	v_lshlrev_b64 v[4:5], 1, v[4:5]
	v_add_co_u32 v4, s0, s9, v4
	v_add_co_ci_u32_e64 v5, null, s15, v5, s0
	global_load_ushort v4, v[4:5], off
	v_or_b32_e32 v5, 2, v20
	v_cmpx_gt_i32_e64 s11, v5
	s_cbranch_execz .LBB382_30
; %bb.27:
	v_mul_lo_u32 v5, v5, s4
	v_mov_b32_e32 v10, 0
	s_mov_b32 s6, exec_lo
	v_ashrrev_i32_e32 v6, 31, v5
	v_lshlrev_b64 v[5:6], 1, v[5:6]
	v_add_co_u32 v5, s0, s9, v5
	v_add_co_ci_u32_e64 v6, null, s15, v6, s0
	global_load_ushort v5, v[5:6], off
	v_or_b32_e32 v6, 3, v20
	v_cmpx_gt_i32_e64 s11, v6
	s_cbranch_execz .LBB382_29
; %bb.28:
	v_mul_lo_u32 v6, v6, s4
	v_ashrrev_i32_e32 v7, 31, v6
	v_lshlrev_b64 v[6:7], 1, v[6:7]
	v_add_co_u32 v6, s0, s9, v6
	v_add_co_ci_u32_e64 v7, null, s15, v7, s0
	global_load_ushort v6, v[6:7], off
	s_waitcnt vmcnt(0)
	v_cvt_f32_f16_e32 v10, v6
.LBB382_29:
	s_or_b32 exec_lo, exec_lo, s6
	s_waitcnt vmcnt(0)
	v_cvt_f32_f16_e32 v11, v5
.LBB382_30:
	s_or_b32 exec_lo, exec_lo, s3
	s_waitcnt vmcnt(0)
	v_cvt_f32_f16_e32 v12, v4
.LBB382_31:
	s_or_b32 exec_lo, exec_lo, s2
	s_waitcnt vmcnt(0)
	v_cvt_f32_f16_e32 v21, v3
.LBB382_32:
	s_or_b32 exec_lo, exec_lo, s1
	s_mov_b32 s1, exec_lo
	v_cmpx_gt_i32_e64 s10, v17
	s_cbranch_execz .LBB382_40
; %bb.33:
	v_mul_lo_u32 v3, v20, s14
	v_or_b32_e32 v4, 2, v20
	v_mul_lo_u32 v5, v2, s14
	v_or_b32_e32 v6, 3, v20
	s_mov_b32 s0, exec_lo
	v_mul_lo_u32 v7, v4, s14
	v_mul_lo_u32 v8, v6, s14
	v_cndmask_b32_e32 v3, 0, v3, vcc_lo
	v_cmp_gt_i32_e32 vcc_lo, s11, v2
	v_add_nc_u32_e32 v2, v3, v17
	v_cndmask_b32_e32 v5, 0, v5, vcc_lo
	v_cmp_gt_i32_e32 vcc_lo, s11, v4
	v_ashrrev_i32_e32 v3, 31, v2
	v_add_nc_u32_e32 v4, v5, v17
	v_cndmask_b32_e32 v7, 0, v7, vcc_lo
	v_cmp_gt_i32_e32 vcc_lo, s11, v6
	v_lshlrev_b64 v[2:3], 1, v[2:3]
	v_ashrrev_i32_e32 v5, 31, v4
	v_add_nc_u32_e32 v6, v7, v17
	v_cndmask_b32_e32 v8, 0, v8, vcc_lo
	v_lshlrev_b64 v[4:5], 1, v[4:5]
	v_ashrrev_i32_e32 v7, 31, v6
	v_add_nc_u32_e32 v8, v8, v17
	v_add_co_u32 v2, vcc_lo, s7, v2
	v_add_co_ci_u32_e64 v3, null, s8, v3, vcc_lo
	v_lshlrev_b64 v[6:7], 1, v[6:7]
	v_ashrrev_i32_e32 v9, 31, v8
	v_add_co_u32 v4, vcc_lo, s7, v4
	v_add_co_ci_u32_e64 v5, null, s8, v5, vcc_lo
	global_load_ushort v22, v[2:3], off
	v_add_co_u32 v6, vcc_lo, s7, v6
	v_add_co_ci_u32_e64 v7, null, s8, v7, vcc_lo
	v_lshlrev_b64 v[8:9], 1, v[8:9]
	s_clause 0x1
	global_load_ushort v23, v[4:5], off
	global_load_ushort v24, v[6:7], off
	v_add_co_u32 v8, vcc_lo, s7, v8
	v_add_co_ci_u32_e64 v9, null, s8, v9, vcc_lo
	global_load_ushort v20, v[8:9], off
	s_waitcnt vmcnt(3)
	v_fma_mix_f32 v19, v21, v22, v19 op_sel_hi:[0,1,0]
	v_add_nc_u32_e32 v22, 64, v17
	s_waitcnt vmcnt(2)
	v_fma_mix_f32 v19, v12, v23, v19 op_sel_hi:[0,1,0]
	s_waitcnt vmcnt(1)
	v_fma_mix_f32 v19, v11, v24, v19 op_sel_hi:[0,1,0]
	v_cmpx_gt_i32_e64 s10, v22
	s_cbranch_execz .LBB382_39
; %bb.34:
	s_clause 0x3
	global_load_ushort v23, v[2:3], off offset:128
	global_load_ushort v24, v[4:5], off offset:128
	;; [unrolled: 1-line block ×4, first 2 shown]
	s_mov_b32 s2, exec_lo
	s_waitcnt vmcnt(3)
	v_fma_mix_f32 v18, v21, v23, v18 op_sel_hi:[0,1,0]
	v_add_nc_u32_e32 v23, 0x80, v17
	s_waitcnt vmcnt(2)
	v_fma_mix_f32 v18, v12, v24, v18 op_sel_hi:[0,1,0]
	s_waitcnt vmcnt(1)
	v_fma_mix_f32 v18, v11, v25, v18 op_sel_hi:[0,1,0]
	v_cmpx_gt_i32_e64 s10, v23
	s_cbranch_execz .LBB382_38
; %bb.35:
	s_clause 0x3
	global_load_ushort v24, v[2:3], off offset:256
	global_load_ushort v25, v[4:5], off offset:256
	;; [unrolled: 1-line block ×4, first 2 shown]
	v_add_nc_u32_e32 v17, 0xc0, v17
	s_mov_b32 s3, exec_lo
	s_waitcnt vmcnt(3)
	v_fma_mix_f32 v16, v21, v24, v16 op_sel_hi:[0,1,0]
	s_waitcnt vmcnt(2)
	v_fma_mix_f32 v16, v12, v25, v16 op_sel_hi:[0,1,0]
	;; [unrolled: 2-line block ×3, first 2 shown]
	v_cmpx_gt_i32_e64 s10, v17
	s_cbranch_execz .LBB382_37
; %bb.36:
	s_clause 0x3
	global_load_ushort v2, v[2:3], off offset:384
	global_load_ushort v3, v[4:5], off offset:384
	;; [unrolled: 1-line block ×4, first 2 shown]
	s_waitcnt vmcnt(3)
	v_fma_mix_f32 v2, v21, v2, v15 op_sel_hi:[0,1,0]
	s_waitcnt vmcnt(2)
	v_fma_mix_f32 v2, v12, v3, v2 op_sel_hi:[0,1,0]
	;; [unrolled: 2-line block ×4, first 2 shown]
.LBB382_37:
	s_or_b32 exec_lo, exec_lo, s3
	s_waitcnt vmcnt(0)
	v_fma_mix_f32 v16, v10, v23, v16 op_sel_hi:[0,1,0]
.LBB382_38:
	s_or_b32 exec_lo, exec_lo, s2
	s_waitcnt vmcnt(0)
	v_fma_mix_f32 v18, v10, v22, v18 op_sel_hi:[0,1,0]
.LBB382_39:
	s_or_b32 exec_lo, exec_lo, s0
	s_waitcnt vmcnt(0)
	v_fma_mix_f32 v19, v10, v20, v19 op_sel_hi:[0,1,0]
.LBB382_40:
	s_or_b32 exec_lo, exec_lo, s1
.LBB382_41:
	v_lshlrev_b32_e32 v0, 2, v0
	s_mov_b32 s0, exec_lo
                                        ; implicit-def: $vgpr5
                                        ; implicit-def: $vgpr2_vgpr3
	v_lshl_or_b32 v1, v1, 10, v0
	ds_write2st64_b32 v1, v19, v18 offset1:1
	ds_write2st64_b32 v1, v16, v15 offset0:2 offset1:3
	s_waitcnt lgkmcnt(0)
	s_barrier
	buffer_gl0_inv
	v_cmpx_gt_u32_e32 0x100, v14
	s_cbranch_execz .LBB382_47
; %bb.42:
	v_lshl_add_u32 v4, v13, 2, v0
	s_mov_b32 s2, s18
	s_mov_b32 s1, exec_lo
                                        ; implicit-def: $vgpr5
	ds_read2st64_b32 v[0:1], v4 offset1:4
	ds_read2st64_b32 v[2:3], v4 offset0:8 offset1:12
	s_waitcnt lgkmcnt(1)
	v_add_f32_e32 v0, v0, v1
	v_or_b32_e32 v1, s5, v14
	s_waitcnt lgkmcnt(0)
	v_add_f32_e32 v0, v2, v0
	v_add_f32_e32 v0, v3, v0
                                        ; implicit-def: $vgpr2_vgpr3
	ds_write_b32 v4, v0
	v_cmpx_gt_i32_e64 s10, v1
	s_cbranch_execz .LBB382_46
; %bb.43:
	v_mul_lo_u32 v2, s19, v1
	v_cmp_eq_f32_e64 s2, s16, 0
	v_mul_f32_e32 v0, s17, v0
	s_and_b32 vcc_lo, exec_lo, s2
	v_ashrrev_i32_e32 v3, 31, v2
	s_cbranch_vccnz .LBB382_45
; %bb.44:
	v_lshlrev_b64 v[4:5], 1, v[2:3]
	v_add_co_u32 v4, vcc_lo, s12, v4
	v_add_co_ci_u32_e64 v5, null, s13, v5, vcc_lo
	global_load_ushort v1, v[4:5], off
	s_waitcnt vmcnt(0)
	v_fma_mix_f32 v0, s16, v1, v0 op_sel_hi:[0,1,0]
.LBB382_45:
	v_cvt_f16_f32_e32 v5, v0
	s_or_b32 s2, s18, exec_lo
.LBB382_46:
	s_or_b32 exec_lo, exec_lo, s1
	s_andn2_b32 s1, s18, exec_lo
	s_and_b32 s2, s2, exec_lo
	s_or_b32 s18, s1, s2
.LBB382_47:
	s_or_b32 exec_lo, exec_lo, s0
.LBB382_48:
	s_and_saveexec_b32 s0, s18
	s_cbranch_execz .LBB382_50
; %bb.49:
	v_lshlrev_b64 v[0:1], 1, v[2:3]
	v_add_co_u32 v0, vcc_lo, s12, v0
	v_add_co_ci_u32_e64 v1, null, s13, v1, vcc_lo
	global_store_short v[0:1], v5, off
.LBB382_50:
	s_endpgm
	.section	.rodata,"a",@progbits
	.p2align	6, 0x0
	.amdhsa_kernel _ZL20rocblas_gemvn_kernelILi64ELi4EiDF16_PKfDF16_EviiT3_lPKT2_lT1_lS5_lS6_lS2_lPT4_lS6_li
		.amdhsa_group_segment_fixed_size 4096
		.amdhsa_private_segment_fixed_size 0
		.amdhsa_kernarg_size 400
		.amdhsa_user_sgpr_count 6
		.amdhsa_user_sgpr_private_segment_buffer 1
		.amdhsa_user_sgpr_dispatch_ptr 0
		.amdhsa_user_sgpr_queue_ptr 0
		.amdhsa_user_sgpr_kernarg_segment_ptr 1
		.amdhsa_user_sgpr_dispatch_id 0
		.amdhsa_user_sgpr_flat_scratch_init 0
		.amdhsa_user_sgpr_private_segment_size 0
		.amdhsa_wavefront_size32 1
		.amdhsa_uses_dynamic_stack 0
		.amdhsa_system_sgpr_private_segment_wavefront_offset 0
		.amdhsa_system_sgpr_workgroup_id_x 1
		.amdhsa_system_sgpr_workgroup_id_y 0
		.amdhsa_system_sgpr_workgroup_id_z 1
		.amdhsa_system_sgpr_workgroup_info 0
		.amdhsa_system_vgpr_workitem_id 1
		.amdhsa_next_free_vgpr 46
		.amdhsa_next_free_sgpr 28
		.amdhsa_reserve_vcc 1
		.amdhsa_reserve_flat_scratch 0
		.amdhsa_float_round_mode_32 0
		.amdhsa_float_round_mode_16_64 0
		.amdhsa_float_denorm_mode_32 3
		.amdhsa_float_denorm_mode_16_64 3
		.amdhsa_dx10_clamp 1
		.amdhsa_ieee_mode 1
		.amdhsa_fp16_overflow 0
		.amdhsa_workgroup_processor_mode 1
		.amdhsa_memory_ordered 1
		.amdhsa_forward_progress 1
		.amdhsa_shared_vgpr_count 0
		.amdhsa_exception_fp_ieee_invalid_op 0
		.amdhsa_exception_fp_denorm_src 0
		.amdhsa_exception_fp_ieee_div_zero 0
		.amdhsa_exception_fp_ieee_overflow 0
		.amdhsa_exception_fp_ieee_underflow 0
		.amdhsa_exception_fp_ieee_inexact 0
		.amdhsa_exception_int_div_zero 0
	.end_amdhsa_kernel
	.section	.text._ZL20rocblas_gemvn_kernelILi64ELi4EiDF16_PKfDF16_EviiT3_lPKT2_lT1_lS5_lS6_lS2_lPT4_lS6_li,"axG",@progbits,_ZL20rocblas_gemvn_kernelILi64ELi4EiDF16_PKfDF16_EviiT3_lPKT2_lT1_lS5_lS6_lS2_lPT4_lS6_li,comdat
.Lfunc_end382:
	.size	_ZL20rocblas_gemvn_kernelILi64ELi4EiDF16_PKfDF16_EviiT3_lPKT2_lT1_lS5_lS6_lS2_lPT4_lS6_li, .Lfunc_end382-_ZL20rocblas_gemvn_kernelILi64ELi4EiDF16_PKfDF16_EviiT3_lPKT2_lT1_lS5_lS6_lS2_lPT4_lS6_li
                                        ; -- End function
	.set _ZL20rocblas_gemvn_kernelILi64ELi4EiDF16_PKfDF16_EviiT3_lPKT2_lT1_lS5_lS6_lS2_lPT4_lS6_li.num_vgpr, 46
	.set _ZL20rocblas_gemvn_kernelILi64ELi4EiDF16_PKfDF16_EviiT3_lPKT2_lT1_lS5_lS6_lS2_lPT4_lS6_li.num_agpr, 0
	.set _ZL20rocblas_gemvn_kernelILi64ELi4EiDF16_PKfDF16_EviiT3_lPKT2_lT1_lS5_lS6_lS2_lPT4_lS6_li.numbered_sgpr, 28
	.set _ZL20rocblas_gemvn_kernelILi64ELi4EiDF16_PKfDF16_EviiT3_lPKT2_lT1_lS5_lS6_lS2_lPT4_lS6_li.num_named_barrier, 0
	.set _ZL20rocblas_gemvn_kernelILi64ELi4EiDF16_PKfDF16_EviiT3_lPKT2_lT1_lS5_lS6_lS2_lPT4_lS6_li.private_seg_size, 0
	.set _ZL20rocblas_gemvn_kernelILi64ELi4EiDF16_PKfDF16_EviiT3_lPKT2_lT1_lS5_lS6_lS2_lPT4_lS6_li.uses_vcc, 1
	.set _ZL20rocblas_gemvn_kernelILi64ELi4EiDF16_PKfDF16_EviiT3_lPKT2_lT1_lS5_lS6_lS2_lPT4_lS6_li.uses_flat_scratch, 0
	.set _ZL20rocblas_gemvn_kernelILi64ELi4EiDF16_PKfDF16_EviiT3_lPKT2_lT1_lS5_lS6_lS2_lPT4_lS6_li.has_dyn_sized_stack, 0
	.set _ZL20rocblas_gemvn_kernelILi64ELi4EiDF16_PKfDF16_EviiT3_lPKT2_lT1_lS5_lS6_lS2_lPT4_lS6_li.has_recursion, 0
	.set _ZL20rocblas_gemvn_kernelILi64ELi4EiDF16_PKfDF16_EviiT3_lPKT2_lT1_lS5_lS6_lS2_lPT4_lS6_li.has_indirect_call, 0
	.section	.AMDGPU.csdata,"",@progbits
; Kernel info:
; codeLenInByte = 2860
; TotalNumSgprs: 30
; NumVgprs: 46
; ScratchSize: 0
; MemoryBound: 0
; FloatMode: 240
; IeeeMode: 1
; LDSByteSize: 4096 bytes/workgroup (compile time only)
; SGPRBlocks: 0
; VGPRBlocks: 5
; NumSGPRsForWavesPerEU: 30
; NumVGPRsForWavesPerEU: 46
; Occupancy: 16
; WaveLimiterHint : 1
; COMPUTE_PGM_RSRC2:SCRATCH_EN: 0
; COMPUTE_PGM_RSRC2:USER_SGPR: 6
; COMPUTE_PGM_RSRC2:TRAP_HANDLER: 0
; COMPUTE_PGM_RSRC2:TGID_X_EN: 1
; COMPUTE_PGM_RSRC2:TGID_Y_EN: 0
; COMPUTE_PGM_RSRC2:TGID_Z_EN: 1
; COMPUTE_PGM_RSRC2:TIDIG_COMP_CNT: 1
	.section	.text._ZL20rocblas_gemvn_kernelILi64ELi4ElDF16_PKfDF16_EviiT3_lPKT2_lT1_lS5_lS6_lS2_lPT4_lS6_li,"axG",@progbits,_ZL20rocblas_gemvn_kernelILi64ELi4ElDF16_PKfDF16_EviiT3_lPKT2_lT1_lS5_lS6_lS2_lPT4_lS6_li,comdat
	.globl	_ZL20rocblas_gemvn_kernelILi64ELi4ElDF16_PKfDF16_EviiT3_lPKT2_lT1_lS5_lS6_lS2_lPT4_lS6_li ; -- Begin function _ZL20rocblas_gemvn_kernelILi64ELi4ElDF16_PKfDF16_EviiT3_lPKT2_lT1_lS5_lS6_lS2_lPT4_lS6_li
	.p2align	8
	.type	_ZL20rocblas_gemvn_kernelILi64ELi4ElDF16_PKfDF16_EviiT3_lPKT2_lT1_lS5_lS6_lS2_lPT4_lS6_li,@function
_ZL20rocblas_gemvn_kernelILi64ELi4ElDF16_PKfDF16_EviiT3_lPKT2_lT1_lS5_lS6_lS2_lPT4_lS6_li: ; @_ZL20rocblas_gemvn_kernelILi64ELi4ElDF16_PKfDF16_EviiT3_lPKT2_lT1_lS5_lS6_lS2_lPT4_lS6_li
; %bb.0:
	s_load_dwordx2 s[0:1], s[4:5], 0x9c
	s_waitcnt lgkmcnt(0)
	s_lshr_b32 s2, s0, 16
	s_and_b32 s0, s0, 0xffff
	s_and_b32 s1, s1, 0xffff
	s_mul_i32 s0, s2, s0
	s_mul_i32 s0, s0, s1
	s_cmpk_lg_i32 s0, 0x100
	s_cbranch_scc1 .LBB383_50
; %bb.1:
	s_clause 0x1
	s_load_dwordx16 s[36:51], s[4:5], 0x8
	s_load_dwordx16 s[8:23], s[4:5], 0x48
	s_mov_b32 s26, 0
	s_waitcnt lgkmcnt(0)
	s_mul_i32 s1, s39, s7
	s_mul_hi_u32 s2, s38, s7
	s_mul_i32 s0, s38, s7
	s_add_i32 s1, s2, s1
	s_mul_i32 s2, s15, s7
	s_lshl_b64 s[0:1], s[0:1], 2
	s_mul_hi_u32 s3, s14, s7
	s_add_u32 s0, s36, s0
	s_addc_u32 s1, s37, s1
	s_add_i32 s3, s3, s2
	s_mul_i32 s2, s14, s7
	s_lshl_b64 s[2:3], s[2:3], 2
	s_add_u32 s2, s12, s2
	s_addc_u32 s3, s13, s3
	s_load_dword s25, s[0:1], 0x0
	s_load_dword s24, s[2:3], 0x0
	s_waitcnt lgkmcnt(0)
	v_cmp_eq_f32_e64 s0, s25, 0
	v_cmp_eq_f32_e64 s1, s24, 1.0
	s_and_b32 s0, s0, s1
	s_and_b32 vcc_lo, exec_lo, s0
	s_cbranch_vccnz .LBB383_50
; %bb.2:
	s_load_dwordx2 s[12:13], s[4:5], 0x0
	v_lshlrev_b32_e32 v14, 6, v1
	s_mul_i32 s0, s23, s7
	s_mul_hi_u32 s1, s22, s7
	v_cmp_neq_f32_e64 s4, s25, 0
	s_add_i32 s1, s1, s0
	s_mul_i32 s0, s22, s7
	v_add_nc_u32_e32 v13, v14, v0
	s_lshl_b64 s[0:1], s[0:1], 1
	s_add_u32 s2, s16, s0
	s_addc_u32 s3, s17, s1
	s_lshl_b64 s[0:1], s[18:19], 1
	s_add_u32 s5, s2, s0
	v_cmp_gt_u32_e64 s0, 0x100, v13
	s_addc_u32 s22, s3, s1
	s_and_b32 vcc_lo, exec_lo, s4
	s_cbranch_vccnz .LBB383_9
; %bb.3:
	s_mov_b32 s1, 0
                                        ; implicit-def: $vgpr5
                                        ; implicit-def: $vgpr2_vgpr3
	s_and_saveexec_b32 s2, s0
	s_cbranch_execz .LBB383_10
; %bb.4:
	v_lshl_or_b32 v4, s6, 8, v13
	v_mov_b32_e32 v5, 0
	s_waitcnt lgkmcnt(0)
	s_ashr_i32 s15, s12, 31
	s_mov_b32 s14, s12
	s_mov_b32 s3, 0
	s_mov_b32 s0, exec_lo
                                        ; implicit-def: $vgpr2_vgpr3
	v_cmpx_gt_i64_e64 s[14:15], v[4:5]
	s_cbranch_execz .LBB383_8
; %bb.5:
	v_mad_u64_u32 v[2:3], null, s20, v4, 0
	v_cmp_eq_f32_e64 s3, s24, 0
	s_and_b32 vcc_lo, exec_lo, s3
	v_mad_u64_u32 v[3:4], null, s21, v4, v[3:4]
	s_cbranch_vccnz .LBB383_7
; %bb.6:
	v_lshlrev_b64 v[4:5], 1, v[2:3]
	v_add_co_u32 v4, vcc_lo, s5, v4
	v_add_co_ci_u32_e64 v5, null, s22, v5, vcc_lo
	global_load_ushort v4, v[4:5], off
	s_waitcnt vmcnt(0)
	v_fma_mixlo_f16 v5, s24, v4, 0 op_sel_hi:[0,1,0]
.LBB383_7:
	s_mov_b32 s3, exec_lo
.LBB383_8:
	s_or_b32 exec_lo, exec_lo, s0
	s_and_b32 s26, s3, exec_lo
	s_or_b32 exec_lo, exec_lo, s2
	s_and_b32 vcc_lo, exec_lo, s1
	s_cbranch_vccnz .LBB383_11
	s_branch .LBB383_48
.LBB383_9:
                                        ; implicit-def: $vgpr5
                                        ; implicit-def: $vgpr2_vgpr3
	s_cbranch_execnz .LBB383_11
	s_branch .LBB383_48
.LBB383_10:
	s_or_b32 exec_lo, exec_lo, s2
	s_and_b32 vcc_lo, exec_lo, s1
	s_cbranch_vccz .LBB383_48
.LBB383_11:
	s_mul_i32 s0, s47, s7
	s_mul_hi_u32 s1, s46, s7
	s_lshl_b32 s23, s6, 8
	s_add_i32 s15, s1, s0
	s_waitcnt lgkmcnt(0)
	s_ashr_i32 s1, s13, 31
	v_lshlrev_b32_e32 v15, 2, v1
	s_lshr_b32 s1, s1, 28
	v_or_b32_e32 v2, s23, v0
	v_mov_b32_e32 v19, 0
	v_mov_b32_e32 v18, 0
	;; [unrolled: 1-line block ×4, first 2 shown]
	s_mul_i32 s0, s11, s7
	s_mul_hi_u32 s2, s10, s7
	s_add_i32 s1, s13, s1
	s_mul_i32 s14, s46, s7
	s_and_b32 s27, s1, -16
	s_add_i32 s11, s2, s0
	s_mul_i32 s10, s10, s7
	s_mov_b32 s28, exec_lo
	v_cmpx_gt_i32_e64 s27, v15
	s_cbranch_execz .LBB383_23
; %bb.12:
	v_lshlrev_b32_e32 v30, 2, v1
	v_mad_u64_u32 v[4:5], null, s8, v1, 0
	v_add_nc_u32_e32 v11, 64, v2
	v_add_nc_u32_e32 v12, 0x80, v2
	v_or_b32_e32 v16, 3, v30
	s_lshl_b64 s[0:1], s[10:11], 1
	s_lshl_b64 s[6:7], s[50:51], 1
	s_add_u32 s4, s48, s0
	s_addc_u32 s29, s49, s1
	v_mad_u64_u32 v[6:7], null, s44, v16, 0
	v_cmp_gt_i32_e64 s0, s12, v11
	v_cmp_gt_i32_e64 s1, s12, v12
	v_add_nc_u32_e32 v17, 0xc0, v2
	v_or_b32_e32 v24, 2, v30
	s_lshl_b64 s[18:19], s[42:43], 1
	s_lshl_b64 s[16:17], s[8:9], 5
	v_mad_u64_u32 v[8:9], null, s9, v1, v[5:6]
	v_mad_u64_u32 v[9:10], null, s8, v16, 0
	v_cmp_gt_i32_e64 s2, s12, v17
	s_lshl_b64 s[30:31], s[14:15], 1
	v_mad_u64_u32 v[28:29], null, s8, v24, 0
	v_mov_b32_e32 v5, v8
	v_mad_u64_u32 v[7:8], null, s45, v16, v[7:8]
	v_mad_u64_u32 v[32:33], null, s44, v30, s[44:45]
	v_lshlrev_b64 v[11:12], 3, v[4:5]
	v_mov_b32_e32 v5, v10
	v_mov_b32_e32 v8, v29
	v_ashrrev_i32_e32 v3, 31, v2
	v_lshlrev_b64 v[6:7], 1, v[6:7]
	v_cmp_gt_i32_e32 vcc_lo, s12, v2
	v_add_co_u32 v20, s3, s4, v11
	v_add_co_ci_u32_e64 v21, null, s29, v12, s3
	v_mad_u64_u32 v[16:17], null, s9, v16, v[5:6]
	v_mad_u64_u32 v[11:12], null, s44, v1, 0
	s_add_u32 s3, s40, s18
	s_addc_u32 s18, s41, s19
	s_add_u32 s19, s3, s30
	s_addc_u32 s18, s18, s31
	v_mov_b32_e32 v10, v16
	v_mad_u64_u32 v[16:17], null, s44, v24, 0
	v_mov_b32_e32 v5, v12
	v_add_co_u32 v22, s3, s19, v6
	v_add_co_ci_u32_e64 v23, null, s18, v7, s3
	v_mad_u64_u32 v[18:19], null, s45, v1, v[5:6]
	v_lshlrev_b64 v[6:7], 1, v[9:10]
	v_mov_b32_e32 v5, v17
	v_lshlrev_b64 v[3:4], 1, v[2:3]
	v_mad_u64_u32 v[9:10], null, s45, v24, v[5:6]
	v_mov_b32_e32 v12, v18
	v_mad_u64_u32 v[18:19], null, s8, v30, s[8:9]
	v_mad_u64_u32 v[26:27], null, s9, v24, v[8:9]
	v_add_co_u32 v24, s3, s4, v6
	v_add_co_ci_u32_e64 v25, null, s29, v7, s3
	v_lshlrev_b64 v[6:7], 3, v[11:12]
	v_mov_b32_e32 v5, v19
	v_mov_b32_e32 v17, v9
	v_mov_b32_e32 v29, v26
	v_add_co_u32 v26, s3, s19, v6
	v_mad_u64_u32 v[8:9], null, s9, v30, v[5:6]
	v_add_co_ci_u32_e64 v27, null, s18, v7, s3
	v_lshlrev_b64 v[6:7], 1, v[16:17]
	v_mov_b32_e32 v5, v33
	v_mov_b32_e32 v17, 0
	;; [unrolled: 1-line block ×4, first 2 shown]
	v_mad_u64_u32 v[9:10], null, s45, v30, v[5:6]
	v_lshlrev_b64 v[10:11], 1, v[28:29]
	v_add_co_u32 v28, s3, s19, v6
	v_lshlrev_b64 v[5:6], 1, v[18:19]
	v_add_co_ci_u32_e64 v29, null, s18, v7, s3
	v_mov_b32_e32 v33, v9
	v_add_co_u32 v30, s3, s4, v10
	v_add_co_ci_u32_e64 v31, null, s29, v11, s3
	v_lshlrev_b64 v[7:8], 1, v[32:33]
	v_add_co_u32 v32, s3, s4, v5
	v_add_co_ci_u32_e64 v33, null, s29, v6, s3
	v_mov_b32_e32 v19, 0
	v_add_co_u32 v34, s3, s19, v7
	v_add_co_ci_u32_e64 v35, null, s18, v8, s3
	v_mov_b32_e32 v18, 0
	s_lshl_b64 s[18:19], s[44:45], 5
	s_mov_b32 s29, 0
	s_branch .LBB383_17
.LBB383_13:                             ;   in Loop: Header=BB383_17 Depth=1
	s_or_b32 exec_lo, exec_lo, s31
	s_waitcnt vmcnt(3)
	v_fma_mix_f32 v5, v48, v52, v17 op_sel_hi:[0,1,0]
	s_waitcnt vmcnt(2)
	v_fma_mix_f32 v5, v49, v53, v5 op_sel_hi:[0,1,0]
	;; [unrolled: 2-line block ×4, first 2 shown]
.LBB383_14:                             ;   in Loop: Header=BB383_17 Depth=1
	s_or_b32 exec_lo, exec_lo, s30
	s_waitcnt vmcnt(3)
	v_fma_mix_f32 v5, v48, v44, v18 op_sel_hi:[0,1,0]
	s_waitcnt vmcnt(2)
	v_fma_mix_f32 v5, v49, v45, v5 op_sel_hi:[0,1,0]
	s_waitcnt vmcnt(1)
	v_fma_mix_f32 v5, v50, v46, v5 op_sel_hi:[0,1,0]
	s_waitcnt vmcnt(0)
	v_fma_mix_f32 v18, v51, v47, v5 op_sel_hi:[0,1,0]
.LBB383_15:                             ;   in Loop: Header=BB383_17 Depth=1
	s_or_b32 exec_lo, exec_lo, s3
	s_waitcnt vmcnt(3)
	v_fma_mix_f32 v5, v36, v40, v19 op_sel_hi:[1,1,0]
	s_waitcnt vmcnt(2)
	v_fma_mix_f32 v5, v37, v41, v5 op_sel_hi:[1,1,0]
	;; [unrolled: 2-line block ×4, first 2 shown]
.LBB383_16:                             ;   in Loop: Header=BB383_17 Depth=1
	s_or_b32 exec_lo, exec_lo, s4
	v_add_co_u32 v20, s3, v20, s16
	v_add_co_ci_u32_e64 v21, null, s17, v21, s3
	v_add_co_u32 v22, s3, v22, s18
	v_add_co_ci_u32_e64 v23, null, s19, v23, s3
	;; [unrolled: 2-line block ×4, first 2 shown]
	v_add_co_u32 v28, s3, v28, s18
	v_add_nc_u32_e32 v15, 16, v15
	v_add_co_ci_u32_e64 v29, null, s19, v29, s3
	v_add_co_u32 v30, s3, v30, s16
	v_add_co_ci_u32_e64 v31, null, s17, v31, s3
	v_add_co_u32 v32, s3, v32, s16
	v_add_co_ci_u32_e64 v33, null, s17, v33, s3
	v_cmp_le_i32_e64 s3, s27, v15
	v_add_co_u32 v34, s4, v34, s18
	v_add_co_ci_u32_e64 v35, null, s19, v35, s4
	s_or_b32 s29, s3, s29
	s_andn2_b32 exec_lo, exec_lo, s29
	s_cbranch_execz .LBB383_22
.LBB383_17:                             ; =>This Inner Loop Header: Depth=1
	s_and_saveexec_b32 s4, vcc_lo
	s_cbranch_execz .LBB383_16
; %bb.18:                               ;   in Loop: Header=BB383_17 Depth=1
	v_add_co_u32 v5, s3, v20, s6
	v_add_co_ci_u32_e64 v6, null, s7, v21, s3
	v_add_co_u32 v7, s3, v32, s6
	v_add_co_ci_u32_e64 v8, null, s7, v33, s3
	;; [unrolled: 2-line block ×3, first 2 shown]
	v_add_co_u32 v39, s3, v24, s6
	global_load_ushort v36, v[5:6], off
	global_load_ushort v37, v[7:8], off
	;; [unrolled: 1-line block ×3, first 2 shown]
	v_add_co_ci_u32_e64 v40, null, s7, v25, s3
	v_add_co_u32 v5, s3, v26, v3
	v_add_co_ci_u32_e64 v6, null, v27, v4, s3
	v_add_co_u32 v7, s3, v34, v3
	;; [unrolled: 2-line block ×4, first 2 shown]
	v_add_co_ci_u32_e64 v12, null, v23, v4, s3
	global_load_ushort v39, v[39:40], off
	global_load_ushort v40, v[5:6], off
	;; [unrolled: 1-line block ×5, first 2 shown]
	s_and_saveexec_b32 s3, s0
	s_cbranch_execz .LBB383_15
; %bb.19:                               ;   in Loop: Header=BB383_17 Depth=1
	global_load_ushort v44, v[5:6], off offset:128
	global_load_ushort v45, v[7:8], off offset:128
	;; [unrolled: 1-line block ×4, first 2 shown]
	s_waitcnt vmcnt(11)
	v_cvt_f32_f16_e32 v48, v36
	s_waitcnt vmcnt(10)
	v_cvt_f32_f16_e32 v49, v37
	;; [unrolled: 2-line block ×4, first 2 shown]
	s_and_saveexec_b32 s30, s1
	s_cbranch_execz .LBB383_14
; %bb.20:                               ;   in Loop: Header=BB383_17 Depth=1
	global_load_ushort v52, v[5:6], off offset:256
	global_load_ushort v53, v[7:8], off offset:256
	;; [unrolled: 1-line block ×4, first 2 shown]
	s_and_saveexec_b32 s31, s2
	s_cbranch_execz .LBB383_13
; %bb.21:                               ;   in Loop: Header=BB383_17 Depth=1
	global_load_ushort v5, v[5:6], off offset:384
	global_load_ushort v6, v[7:8], off offset:384
	;; [unrolled: 1-line block ×4, first 2 shown]
	s_waitcnt vmcnt(3)
	v_fma_mix_f32 v5, v48, v5, v16 op_sel_hi:[0,1,0]
	s_waitcnt vmcnt(2)
	v_fma_mix_f32 v5, v49, v6, v5 op_sel_hi:[0,1,0]
	;; [unrolled: 2-line block ×4, first 2 shown]
	s_branch .LBB383_13
.LBB383_22:
	s_or_b32 exec_lo, exec_lo, s29
.LBB383_23:
	s_or_b32 exec_lo, exec_lo, s28
	s_sub_i32 s0, s13, s27
	s_cmp_lt_i32 s0, 1
	s_cbranch_scc1 .LBB383_41
; %bb.24:
	v_cmp_gt_i32_e32 vcc_lo, s13, v15
	v_mov_b32_e32 v11, 0
	v_or_b32_e32 v4, 1, v15
	v_mov_b32_e32 v12, 0
	v_mov_b32_e32 v20, 0
	;; [unrolled: 1-line block ×3, first 2 shown]
	s_and_saveexec_b32 s1, vcc_lo
	s_cbranch_execz .LBB383_32
; %bb.25:
	v_mad_u64_u32 v[5:6], null, s8, v15, 0
	s_lshl_b64 s[2:3], s[10:11], 1
	v_mov_b32_e32 v20, 0
	s_add_u32 s0, s48, s2
	s_addc_u32 s2, s49, s3
	s_lshl_b64 s[6:7], s[50:51], 1
	v_mov_b32_e32 v12, 0
	v_mov_b32_e32 v3, v6
	s_add_u32 s3, s0, s6
	s_addc_u32 s4, s2, s7
	v_mov_b32_e32 v11, 0
	s_mov_b32 s2, exec_lo
	v_mad_u64_u32 v[6:7], null, s9, v15, v[3:4]
	v_lshlrev_b64 v[5:6], 1, v[5:6]
	v_add_co_u32 v5, s0, s3, v5
	v_add_co_ci_u32_e64 v6, null, s4, v6, s0
	global_load_ushort v3, v[5:6], off
	v_cmpx_gt_i32_e64 s13, v4
	s_cbranch_execz .LBB383_31
; %bb.26:
	v_mad_u64_u32 v[5:6], null, s8, v4, 0
	v_mov_b32_e32 v12, 0
	v_mov_b32_e32 v11, 0
	s_mov_b32 s6, exec_lo
	v_mad_u64_u32 v[6:7], null, s9, v4, v[6:7]
	v_lshlrev_b64 v[5:6], 1, v[5:6]
	v_add_co_u32 v5, s0, s3, v5
	v_add_co_ci_u32_e64 v6, null, s4, v6, s0
	global_load_ushort v5, v[5:6], off
	v_or_b32_e32 v6, 2, v15
	v_cmpx_gt_i32_e64 s13, v6
	s_cbranch_execz .LBB383_30
; %bb.27:
	v_mad_u64_u32 v[7:8], null, s8, v6, 0
	v_mov_b32_e32 v11, 0
	s_mov_b32 s7, exec_lo
	v_mad_u64_u32 v[8:9], null, s9, v6, v[8:9]
	v_lshlrev_b64 v[6:7], 1, v[7:8]
	v_add_co_u32 v6, s0, s3, v6
	v_add_co_ci_u32_e64 v7, null, s4, v7, s0
	global_load_ushort v6, v[6:7], off
	v_or_b32_e32 v7, 3, v15
	v_cmpx_gt_i32_e64 s13, v7
	s_cbranch_execz .LBB383_29
; %bb.28:
	v_mad_u64_u32 v[8:9], null, s8, v7, 0
	v_mad_u64_u32 v[9:10], null, s9, v7, v[9:10]
	v_lshlrev_b64 v[7:8], 1, v[8:9]
	v_add_co_u32 v7, s0, s3, v7
	v_add_co_ci_u32_e64 v8, null, s4, v8, s0
	global_load_ushort v7, v[7:8], off
	s_waitcnt vmcnt(0)
	v_cvt_f32_f16_e32 v11, v7
.LBB383_29:
	s_or_b32 exec_lo, exec_lo, s7
	s_waitcnt vmcnt(0)
	v_cvt_f32_f16_e32 v12, v6
.LBB383_30:
	s_or_b32 exec_lo, exec_lo, s6
	s_waitcnt vmcnt(0)
	v_cvt_f32_f16_e32 v20, v5
.LBB383_31:
	s_or_b32 exec_lo, exec_lo, s2
	s_waitcnt vmcnt(0)
	v_cvt_f32_f16_e32 v21, v3
.LBB383_32:
	s_or_b32 exec_lo, exec_lo, s1
	s_mov_b32 s1, exec_lo
	v_cmpx_gt_i32_e64 s12, v2
	s_cbranch_execz .LBB383_40
; %bb.33:
	v_mad_u64_u32 v[5:6], null, s44, v15, 0
	v_mad_u64_u32 v[7:8], null, s44, v4, 0
	v_ashrrev_i32_e32 v3, 31, v2
	v_or_b32_e32 v29, 2, v15
	s_lshl_b64 s[2:3], s[14:15], 1
	s_add_u32 s0, s40, s2
	v_lshlrev_b64 v[22:23], 1, v[2:3]
	v_mad_u64_u32 v[9:10], null, s45, v15, v[6:7]
	v_mov_b32_e32 v3, v8
	v_cndmask_b32_e32 v5, 0, v5, vcc_lo
	v_or_b32_e32 v15, 3, v15
	v_mad_u64_u32 v[24:25], null, s44, v29, 0
	v_mad_u64_u32 v[26:27], null, s45, v4, v[3:4]
	v_cndmask_b32_e32 v6, 0, v9, vcc_lo
	v_cmp_gt_i32_e32 vcc_lo, s13, v4
	s_addc_u32 s4, s41, s3
	s_lshl_b64 s[2:3], s[42:43], 1
	v_mad_u64_u32 v[8:9], null, s44, v15, 0
	v_lshlrev_b64 v[5:6], 1, v[5:6]
	v_cndmask_b32_e32 v27, 0, v7, vcc_lo
	v_cndmask_b32_e32 v28, 0, v26, vcc_lo
	s_add_u32 s2, s0, s2
	v_mov_b32_e32 v7, v25
	s_addc_u32 s3, s4, s3
	v_add_co_u32 v3, s0, s2, v5
	v_add_co_ci_u32_e64 v4, null, s3, v6, s0
	v_lshlrev_b64 v[5:6], 1, v[27:28]
	v_mad_u64_u32 v[25:26], null, s45, v29, v[7:8]
	v_add_co_u32 v3, vcc_lo, v3, v22
	v_add_co_ci_u32_e64 v4, null, v4, v23, vcc_lo
	v_cmp_gt_i32_e32 vcc_lo, s13, v29
	v_mov_b32_e32 v7, v9
	v_add_co_u32 v5, s0, s2, v5
	v_add_co_ci_u32_e64 v6, null, s3, v6, s0
	v_cndmask_b32_e32 v9, 0, v24, vcc_lo
	v_cndmask_b32_e32 v10, 0, v25, vcc_lo
	v_mad_u64_u32 v[24:25], null, s45, v15, v[7:8]
	v_add_co_u32 v5, vcc_lo, v5, v22
	v_add_co_ci_u32_e64 v6, null, v6, v23, vcc_lo
	v_cmp_gt_i32_e32 vcc_lo, s13, v15
	v_lshlrev_b64 v[9:10], 1, v[9:10]
	s_clause 0x1
	global_load_ushort v25, v[3:4], off
	global_load_ushort v26, v[5:6], off
	s_mov_b32 s0, exec_lo
	v_cndmask_b32_e32 v7, 0, v8, vcc_lo
	v_cndmask_b32_e32 v8, 0, v24, vcc_lo
	v_add_co_u32 v15, vcc_lo, s2, v9
	v_add_co_ci_u32_e64 v24, null, s3, v10, vcc_lo
	v_lshlrev_b64 v[9:10], 1, v[7:8]
	v_add_co_u32 v7, vcc_lo, v15, v22
	v_add_co_ci_u32_e64 v8, null, v24, v23, vcc_lo
	v_add_co_u32 v9, vcc_lo, s2, v9
	v_add_co_ci_u32_e64 v10, null, s3, v10, vcc_lo
	global_load_ushort v24, v[7:8], off
	v_add_co_u32 v9, vcc_lo, v9, v22
	v_add_co_ci_u32_e64 v10, null, v10, v23, vcc_lo
	v_add_nc_u32_e32 v22, 64, v2
	global_load_ushort v15, v[9:10], off
	s_waitcnt vmcnt(3)
	v_fma_mix_f32 v19, v21, v25, v19 op_sel_hi:[0,1,0]
	s_waitcnt vmcnt(2)
	v_fma_mix_f32 v19, v20, v26, v19 op_sel_hi:[0,1,0]
	;; [unrolled: 2-line block ×3, first 2 shown]
	v_cmpx_gt_i32_e64 s12, v22
	s_cbranch_execz .LBB383_39
; %bb.34:
	s_clause 0x3
	global_load_ushort v23, v[3:4], off offset:128
	global_load_ushort v24, v[5:6], off offset:128
	;; [unrolled: 1-line block ×4, first 2 shown]
	s_mov_b32 s2, exec_lo
	s_waitcnt vmcnt(3)
	v_fma_mix_f32 v18, v21, v23, v18 op_sel_hi:[0,1,0]
	v_add_nc_u32_e32 v23, 0x80, v2
	s_waitcnt vmcnt(2)
	v_fma_mix_f32 v18, v20, v24, v18 op_sel_hi:[0,1,0]
	s_waitcnt vmcnt(1)
	v_fma_mix_f32 v18, v12, v25, v18 op_sel_hi:[0,1,0]
	v_cmpx_gt_i32_e64 s12, v23
	s_cbranch_execz .LBB383_38
; %bb.35:
	s_clause 0x3
	global_load_ushort v24, v[3:4], off offset:256
	global_load_ushort v25, v[5:6], off offset:256
	;; [unrolled: 1-line block ×4, first 2 shown]
	s_mov_b32 s3, exec_lo
	s_waitcnt vmcnt(3)
	v_fma_mix_f32 v17, v21, v24, v17 op_sel_hi:[0,1,0]
	v_add_nc_u32_e32 v24, 0xc0, v2
	s_waitcnt vmcnt(2)
	v_fma_mix_f32 v17, v20, v25, v17 op_sel_hi:[0,1,0]
	s_waitcnt vmcnt(1)
	v_fma_mix_f32 v2, v12, v26, v17 op_sel_hi:[0,1,0]
	v_cmpx_gt_i32_e64 s12, v24
	s_cbranch_execz .LBB383_37
; %bb.36:
	s_clause 0x3
	global_load_ushort v3, v[3:4], off offset:384
	global_load_ushort v4, v[5:6], off offset:384
	;; [unrolled: 1-line block ×4, first 2 shown]
	s_waitcnt vmcnt(3)
	v_fma_mix_f32 v3, v21, v3, v16 op_sel_hi:[0,1,0]
	s_waitcnt vmcnt(2)
	v_fma_mix_f32 v3, v20, v4, v3 op_sel_hi:[0,1,0]
	;; [unrolled: 2-line block ×4, first 2 shown]
.LBB383_37:
	s_or_b32 exec_lo, exec_lo, s3
	s_waitcnt vmcnt(0)
	v_fma_mix_f32 v17, v11, v23, v2 op_sel_hi:[0,1,0]
.LBB383_38:
	s_or_b32 exec_lo, exec_lo, s2
	s_waitcnt vmcnt(0)
	v_fma_mix_f32 v18, v11, v22, v18 op_sel_hi:[0,1,0]
.LBB383_39:
	s_or_b32 exec_lo, exec_lo, s0
	s_waitcnt vmcnt(0)
	v_fma_mix_f32 v19, v11, v15, v19 op_sel_hi:[0,1,0]
.LBB383_40:
	s_or_b32 exec_lo, exec_lo, s1
.LBB383_41:
	v_lshlrev_b32_e32 v0, 2, v0
	s_mov_b32 s0, exec_lo
                                        ; implicit-def: $vgpr5
                                        ; implicit-def: $vgpr2_vgpr3
	v_lshl_or_b32 v1, v1, 10, v0
	ds_write2st64_b32 v1, v19, v18 offset1:1
	ds_write2st64_b32 v1, v17, v16 offset0:2 offset1:3
	s_waitcnt lgkmcnt(0)
	s_barrier
	buffer_gl0_inv
	v_cmpx_gt_u32_e32 0x100, v13
	s_cbranch_execz .LBB383_47
; %bb.42:
	v_lshl_add_u32 v4, v14, 2, v0
	s_mov_b32 s2, s26
	s_mov_b32 s1, exec_lo
                                        ; implicit-def: $vgpr5
	ds_read2st64_b32 v[0:1], v4 offset1:4
	ds_read2st64_b32 v[2:3], v4 offset0:8 offset1:12
	s_waitcnt lgkmcnt(1)
	v_add_f32_e32 v0, v0, v1
	v_or_b32_e32 v1, s23, v13
	s_waitcnt lgkmcnt(0)
	v_add_f32_e32 v0, v2, v0
	v_add_f32_e32 v0, v3, v0
                                        ; implicit-def: $vgpr2_vgpr3
	ds_write_b32 v4, v0
	v_cmpx_gt_i32_e64 s12, v1
	s_cbranch_execz .LBB383_46
; %bb.43:
	v_ashrrev_i32_e32 v4, 31, v1
	v_mul_lo_u32 v5, s21, v1
	v_mad_u64_u32 v[2:3], null, s20, v1, 0
	v_cmp_eq_f32_e64 s2, s24, 0
	v_mul_lo_u32 v1, s20, v4
	v_mul_f32_e32 v0, s25, v0
	s_and_b32 vcc_lo, exec_lo, s2
	v_add3_u32 v3, v3, v1, v5
	s_cbranch_vccnz .LBB383_45
; %bb.44:
	v_lshlrev_b64 v[4:5], 1, v[2:3]
	v_add_co_u32 v4, vcc_lo, s5, v4
	v_add_co_ci_u32_e64 v5, null, s22, v5, vcc_lo
	global_load_ushort v1, v[4:5], off
	s_waitcnt vmcnt(0)
	v_fma_mix_f32 v0, s24, v1, v0 op_sel_hi:[0,1,0]
.LBB383_45:
	v_cvt_f16_f32_e32 v5, v0
	s_or_b32 s2, s26, exec_lo
.LBB383_46:
	s_or_b32 exec_lo, exec_lo, s1
	s_andn2_b32 s1, s26, exec_lo
	s_and_b32 s2, s2, exec_lo
	s_or_b32 s26, s1, s2
.LBB383_47:
	s_or_b32 exec_lo, exec_lo, s0
.LBB383_48:
	s_and_saveexec_b32 s0, s26
	s_cbranch_execz .LBB383_50
; %bb.49:
	v_lshlrev_b64 v[0:1], 1, v[2:3]
	v_add_co_u32 v0, vcc_lo, s5, v0
	v_add_co_ci_u32_e64 v1, null, s22, v1, vcc_lo
	global_store_short v[0:1], v5, off
.LBB383_50:
	s_endpgm
	.section	.rodata,"a",@progbits
	.p2align	6, 0x0
	.amdhsa_kernel _ZL20rocblas_gemvn_kernelILi64ELi4ElDF16_PKfDF16_EviiT3_lPKT2_lT1_lS5_lS6_lS2_lPT4_lS6_li
		.amdhsa_group_segment_fixed_size 4096
		.amdhsa_private_segment_fixed_size 0
		.amdhsa_kernarg_size 400
		.amdhsa_user_sgpr_count 6
		.amdhsa_user_sgpr_private_segment_buffer 1
		.amdhsa_user_sgpr_dispatch_ptr 0
		.amdhsa_user_sgpr_queue_ptr 0
		.amdhsa_user_sgpr_kernarg_segment_ptr 1
		.amdhsa_user_sgpr_dispatch_id 0
		.amdhsa_user_sgpr_flat_scratch_init 0
		.amdhsa_user_sgpr_private_segment_size 0
		.amdhsa_wavefront_size32 1
		.amdhsa_uses_dynamic_stack 0
		.amdhsa_system_sgpr_private_segment_wavefront_offset 0
		.amdhsa_system_sgpr_workgroup_id_x 1
		.amdhsa_system_sgpr_workgroup_id_y 0
		.amdhsa_system_sgpr_workgroup_id_z 1
		.amdhsa_system_sgpr_workgroup_info 0
		.amdhsa_system_vgpr_workitem_id 1
		.amdhsa_next_free_vgpr 56
		.amdhsa_next_free_sgpr 52
		.amdhsa_reserve_vcc 1
		.amdhsa_reserve_flat_scratch 0
		.amdhsa_float_round_mode_32 0
		.amdhsa_float_round_mode_16_64 0
		.amdhsa_float_denorm_mode_32 3
		.amdhsa_float_denorm_mode_16_64 3
		.amdhsa_dx10_clamp 1
		.amdhsa_ieee_mode 1
		.amdhsa_fp16_overflow 0
		.amdhsa_workgroup_processor_mode 1
		.amdhsa_memory_ordered 1
		.amdhsa_forward_progress 1
		.amdhsa_shared_vgpr_count 0
		.amdhsa_exception_fp_ieee_invalid_op 0
		.amdhsa_exception_fp_denorm_src 0
		.amdhsa_exception_fp_ieee_div_zero 0
		.amdhsa_exception_fp_ieee_overflow 0
		.amdhsa_exception_fp_ieee_underflow 0
		.amdhsa_exception_fp_ieee_inexact 0
		.amdhsa_exception_int_div_zero 0
	.end_amdhsa_kernel
	.section	.text._ZL20rocblas_gemvn_kernelILi64ELi4ElDF16_PKfDF16_EviiT3_lPKT2_lT1_lS5_lS6_lS2_lPT4_lS6_li,"axG",@progbits,_ZL20rocblas_gemvn_kernelILi64ELi4ElDF16_PKfDF16_EviiT3_lPKT2_lT1_lS5_lS6_lS2_lPT4_lS6_li,comdat
.Lfunc_end383:
	.size	_ZL20rocblas_gemvn_kernelILi64ELi4ElDF16_PKfDF16_EviiT3_lPKT2_lT1_lS5_lS6_lS2_lPT4_lS6_li, .Lfunc_end383-_ZL20rocblas_gemvn_kernelILi64ELi4ElDF16_PKfDF16_EviiT3_lPKT2_lT1_lS5_lS6_lS2_lPT4_lS6_li
                                        ; -- End function
	.set _ZL20rocblas_gemvn_kernelILi64ELi4ElDF16_PKfDF16_EviiT3_lPKT2_lT1_lS5_lS6_lS2_lPT4_lS6_li.num_vgpr, 56
	.set _ZL20rocblas_gemvn_kernelILi64ELi4ElDF16_PKfDF16_EviiT3_lPKT2_lT1_lS5_lS6_lS2_lPT4_lS6_li.num_agpr, 0
	.set _ZL20rocblas_gemvn_kernelILi64ELi4ElDF16_PKfDF16_EviiT3_lPKT2_lT1_lS5_lS6_lS2_lPT4_lS6_li.numbered_sgpr, 52
	.set _ZL20rocblas_gemvn_kernelILi64ELi4ElDF16_PKfDF16_EviiT3_lPKT2_lT1_lS5_lS6_lS2_lPT4_lS6_li.num_named_barrier, 0
	.set _ZL20rocblas_gemvn_kernelILi64ELi4ElDF16_PKfDF16_EviiT3_lPKT2_lT1_lS5_lS6_lS2_lPT4_lS6_li.private_seg_size, 0
	.set _ZL20rocblas_gemvn_kernelILi64ELi4ElDF16_PKfDF16_EviiT3_lPKT2_lT1_lS5_lS6_lS2_lPT4_lS6_li.uses_vcc, 1
	.set _ZL20rocblas_gemvn_kernelILi64ELi4ElDF16_PKfDF16_EviiT3_lPKT2_lT1_lS5_lS6_lS2_lPT4_lS6_li.uses_flat_scratch, 0
	.set _ZL20rocblas_gemvn_kernelILi64ELi4ElDF16_PKfDF16_EviiT3_lPKT2_lT1_lS5_lS6_lS2_lPT4_lS6_li.has_dyn_sized_stack, 0
	.set _ZL20rocblas_gemvn_kernelILi64ELi4ElDF16_PKfDF16_EviiT3_lPKT2_lT1_lS5_lS6_lS2_lPT4_lS6_li.has_recursion, 0
	.set _ZL20rocblas_gemvn_kernelILi64ELi4ElDF16_PKfDF16_EviiT3_lPKT2_lT1_lS5_lS6_lS2_lPT4_lS6_li.has_indirect_call, 0
	.section	.AMDGPU.csdata,"",@progbits
; Kernel info:
; codeLenInByte = 3240
; TotalNumSgprs: 54
; NumVgprs: 56
; ScratchSize: 0
; MemoryBound: 0
; FloatMode: 240
; IeeeMode: 1
; LDSByteSize: 4096 bytes/workgroup (compile time only)
; SGPRBlocks: 0
; VGPRBlocks: 6
; NumSGPRsForWavesPerEU: 54
; NumVGPRsForWavesPerEU: 56
; Occupancy: 16
; WaveLimiterHint : 0
; COMPUTE_PGM_RSRC2:SCRATCH_EN: 0
; COMPUTE_PGM_RSRC2:USER_SGPR: 6
; COMPUTE_PGM_RSRC2:TRAP_HANDLER: 0
; COMPUTE_PGM_RSRC2:TGID_X_EN: 1
; COMPUTE_PGM_RSRC2:TGID_Y_EN: 0
; COMPUTE_PGM_RSRC2:TGID_Z_EN: 1
; COMPUTE_PGM_RSRC2:TIDIG_COMP_CNT: 1
	.section	.text._ZL20rocblas_gemvn_kernelILi64ELi4EiDF16_fDF16_EviiT3_lPKT2_lT1_lS3_lS4_lS0_lPT4_lS4_li,"axG",@progbits,_ZL20rocblas_gemvn_kernelILi64ELi4EiDF16_fDF16_EviiT3_lPKT2_lT1_lS3_lS4_lS0_lPT4_lS4_li,comdat
	.globl	_ZL20rocblas_gemvn_kernelILi64ELi4EiDF16_fDF16_EviiT3_lPKT2_lT1_lS3_lS4_lS0_lPT4_lS4_li ; -- Begin function _ZL20rocblas_gemvn_kernelILi64ELi4EiDF16_fDF16_EviiT3_lPKT2_lT1_lS3_lS4_lS0_lPT4_lS4_li
	.p2align	8
	.type	_ZL20rocblas_gemvn_kernelILi64ELi4EiDF16_fDF16_EviiT3_lPKT2_lT1_lS3_lS4_lS0_lPT4_lS4_li,@function
_ZL20rocblas_gemvn_kernelILi64ELi4EiDF16_fDF16_EviiT3_lPKT2_lT1_lS3_lS4_lS0_lPT4_lS4_li: ; @_ZL20rocblas_gemvn_kernelILi64ELi4EiDF16_fDF16_EviiT3_lPKT2_lT1_lS3_lS4_lS0_lPT4_lS4_li
; %bb.0:
	s_load_dwordx2 s[0:1], s[4:5], 0x9c
	s_waitcnt lgkmcnt(0)
	s_lshr_b32 s2, s0, 16
	s_and_b32 s0, s0, 0xffff
	s_and_b32 s1, s1, 0xffff
	s_mul_i32 s0, s2, s0
	s_mul_i32 s0, s0, s1
	s_cmpk_lg_i32 s0, 0x100
	s_cbranch_scc1 .LBB384_50
; %bb.1:
	s_clause 0x1
	s_load_dwordx4 s[8:11], s[4:5], 0x0
	s_load_dword s13, s[4:5], 0x58
	s_mov_b32 s14, 0
	s_waitcnt lgkmcnt(0)
	v_cmp_eq_f32_e64 s0, s10, 0
	v_cmp_eq_f32_e64 s1, s13, 1.0
	s_and_b32 s0, s0, s1
	s_and_b32 vcc_lo, exec_lo, s0
	s_cbranch_vccnz .LBB384_50
; %bb.2:
	s_clause 0x2
	s_load_dwordx2 s[16:17], s[4:5], 0x80
	s_load_dwordx4 s[0:3], s[4:5], 0x68
	s_load_dword s15, s[4:5], 0x78
	v_lshlrev_b32_e32 v13, 6, v1
	v_cmp_neq_f32_e64 s18, s10, 0
	v_add_nc_u32_e32 v14, v13, v0
	s_waitcnt lgkmcnt(0)
	s_mul_i32 s11, s17, s7
	s_mul_hi_u32 s12, s16, s7
	s_mul_i32 s16, s16, s7
	s_add_i32 s17, s12, s11
	s_lshl_b64 s[16:17], s[16:17], 1
	s_add_u32 s11, s0, s16
	s_addc_u32 s12, s1, s17
	s_lshl_b64 s[0:1], s[2:3], 1
	s_add_u32 s11, s11, s0
	v_cmp_gt_u32_e64 s0, 0x100, v14
	s_addc_u32 s12, s12, s1
	s_and_b32 vcc_lo, exec_lo, s18
	s_cbranch_vccnz .LBB384_9
; %bb.3:
	s_mov_b32 s1, 0
                                        ; implicit-def: $vgpr5
                                        ; implicit-def: $vgpr2_vgpr3
	s_and_saveexec_b32 s2, s0
	s_cbranch_execz .LBB384_10
; %bb.4:
	v_lshl_or_b32 v4, s6, 8, v14
	v_mov_b32_e32 v5, 0
	s_ashr_i32 s17, s8, 31
	s_mov_b32 s16, s8
	s_mov_b32 s3, 0
	s_mov_b32 s0, exec_lo
                                        ; implicit-def: $vgpr2_vgpr3
	v_cmpx_gt_i64_e64 s[16:17], v[4:5]
	s_cbranch_execz .LBB384_8
; %bb.5:
	v_mad_u64_u32 v[2:3], null, s15, v4, 0
	s_ashr_i32 s3, s15, 31
	v_mad_u64_u32 v[3:4], null, s3, v4, v[3:4]
	v_cmp_eq_f32_e64 s3, s13, 0
	s_and_b32 vcc_lo, exec_lo, s3
	s_cbranch_vccnz .LBB384_7
; %bb.6:
	v_lshlrev_b64 v[4:5], 1, v[2:3]
	v_add_co_u32 v4, vcc_lo, s11, v4
	v_add_co_ci_u32_e64 v5, null, s12, v5, vcc_lo
	global_load_ushort v4, v[4:5], off
	s_waitcnt vmcnt(0)
	v_fma_mixlo_f16 v5, s13, v4, 0 op_sel_hi:[0,1,0]
.LBB384_7:
	s_mov_b32 s3, exec_lo
.LBB384_8:
	s_or_b32 exec_lo, exec_lo, s0
	s_and_b32 s14, s3, exec_lo
	s_or_b32 exec_lo, exec_lo, s2
	s_and_b32 vcc_lo, exec_lo, s1
	s_cbranch_vccnz .LBB384_11
	s_branch .LBB384_48
.LBB384_9:
                                        ; implicit-def: $vgpr5
                                        ; implicit-def: $vgpr2_vgpr3
	s_cbranch_execnz .LBB384_11
	s_branch .LBB384_48
.LBB384_10:
	s_or_b32 exec_lo, exec_lo, s2
	s_and_b32 vcc_lo, exec_lo, s1
	s_cbranch_vccz .LBB384_48
.LBB384_11:
	s_clause 0x5
	s_load_dwordx4 s[0:3], s[4:5], 0x30
	s_load_dwordx2 s[18:19], s[4:5], 0x50
	s_load_dwordx4 s[20:23], s[4:5], 0x18
	s_load_dword s17, s[4:5], 0x28
	s_load_dwordx2 s[24:25], s[4:5], 0x40
	s_load_dword s4, s[4:5], 0x48
	v_lshlrev_b32_e32 v20, 2, v1
	v_mov_b32_e32 v19, 0
	v_mov_b32_e32 v18, 0
	;; [unrolled: 1-line block ×4, first 2 shown]
	s_waitcnt lgkmcnt(0)
	s_mul_i32 s1, s1, s7
	s_mul_hi_u32 s16, s0, s7
	s_mul_i32 s0, s0, s7
	s_add_i32 s1, s16, s1
	s_mul_i32 s19, s19, s7
	s_lshl_b64 s[0:1], s[0:1], 1
	s_mul_hi_u32 s26, s18, s7
	s_add_u32 s16, s20, s0
	s_addc_u32 s20, s21, s1
	s_lshl_b64 s[0:1], s[22:23], 1
	s_mul_i32 s18, s18, s7
	s_add_u32 s7, s16, s0
	s_addc_u32 s16, s20, s1
	s_add_i32 s19, s26, s19
	s_mov_b32 s20, exec_lo
	s_lshl_b64 s[0:1], s[18:19], 1
	s_add_u32 s2, s2, s0
	s_addc_u32 s3, s3, s1
	s_lshl_b64 s[0:1], s[24:25], 1
	s_add_u32 s18, s2, s0
	s_addc_u32 s19, s3, s1
	s_ashr_i32 s0, s9, 31
	s_lshl_b32 s5, s6, 8
	s_lshr_b32 s0, s0, 28
	v_or_b32_e32 v17, s5, v0
	s_add_i32 s0, s9, s0
	s_and_b32 s6, s0, -16
	v_cmpx_gt_i32_e64 s6, v20
	s_cbranch_execz .LBB384_23
; %bb.12:
	v_add_nc_u32_e32 v5, 0xc0, v17
	v_mul_lo_u32 v3, s17, v20
	v_add_nc_u32_e32 v2, 64, v17
	v_add_nc_u32_e32 v6, 2, v20
	;; [unrolled: 1-line block ×3, first 2 shown]
	v_cmp_gt_i32_e64 s2, s8, v5
	v_mul_lo_u32 v5, v1, s17
	v_add_nc_u32_e32 v7, 3, v20
	v_mul_lo_u32 v8, v1, s4
	v_cmp_gt_i32_e64 s0, s8, v2
	v_add3_u32 v21, v3, s17, v0
	v_mad_u64_u32 v[2:3], null, s17, v6, v[0:1]
	v_cmp_gt_i32_e64 s1, s8, v4
	v_mad_u64_u32 v[3:4], null, s17, v7, v[0:1]
	v_lshl_add_u32 v22, v5, 2, v0
	v_mad_u64_u32 v[4:5], null, s4, v20, s[4:5]
	v_mul_lo_u32 v23, s4, v6
	v_mul_lo_u32 v24, s4, v7
	v_lshlrev_b32_e32 v25, 2, v8
	v_mov_b32_e32 v19, 0
	v_mov_b32_e32 v18, 0
	;; [unrolled: 1-line block ×4, first 2 shown]
	s_lshl_b32 s21, s17, 4
	s_lshl_b32 s23, s4, 4
	s_mov_b32 s22, 0
	s_mov_b32 s24, 0
	v_cmp_gt_i32_e32 vcc_lo, s8, v17
	s_branch .LBB384_17
.LBB384_13:                             ;   in Loop: Header=BB384_17 Depth=1
	s_or_b32 exec_lo, exec_lo, s27
	s_waitcnt vmcnt(3)
	v_fma_mix_f32 v5, v38, v42, v16 op_sel_hi:[0,1,0]
	s_waitcnt vmcnt(2)
	v_fma_mix_f32 v5, v39, v43, v5 op_sel_hi:[0,1,0]
	;; [unrolled: 2-line block ×4, first 2 shown]
.LBB384_14:                             ;   in Loop: Header=BB384_17 Depth=1
	s_or_b32 exec_lo, exec_lo, s26
	s_waitcnt vmcnt(3)
	v_fma_mix_f32 v5, v38, v34, v18 op_sel_hi:[0,1,0]
	s_waitcnt vmcnt(2)
	v_fma_mix_f32 v5, v39, v35, v5 op_sel_hi:[0,1,0]
	s_waitcnt vmcnt(1)
	v_fma_mix_f32 v5, v40, v36, v5 op_sel_hi:[0,1,0]
	s_waitcnt vmcnt(0)
	v_fma_mix_f32 v18, v41, v37, v5 op_sel_hi:[0,1,0]
.LBB384_15:                             ;   in Loop: Header=BB384_17 Depth=1
	s_or_b32 exec_lo, exec_lo, s3
	s_waitcnt vmcnt(3)
	v_fma_mix_f32 v5, v26, v30, v19 op_sel_hi:[1,1,0]
	s_waitcnt vmcnt(2)
	v_fma_mix_f32 v5, v27, v31, v5 op_sel_hi:[1,1,0]
	;; [unrolled: 2-line block ×4, first 2 shown]
.LBB384_16:                             ;   in Loop: Header=BB384_17 Depth=1
	s_or_b32 exec_lo, exec_lo, s25
	v_add_nc_u32_e32 v20, 16, v20
	v_add_nc_u32_e32 v21, s21, v21
	;; [unrolled: 1-line block ×5, first 2 shown]
	v_cmp_le_i32_e64 s3, s6, v20
	s_add_i32 s24, s24, s23
	s_or_b32 s22, s3, s22
	s_andn2_b32 exec_lo, exec_lo, s22
	s_cbranch_execz .LBB384_22
.LBB384_17:                             ; =>This Inner Loop Header: Depth=1
	s_and_saveexec_b32 s25, vcc_lo
	s_cbranch_execz .LBB384_16
; %bb.18:                               ;   in Loop: Header=BB384_17 Depth=1
	v_add_nc_u32_e32 v5, s24, v25
	v_add_nc_u32_e32 v7, s24, v4
	;; [unrolled: 1-line block ×5, first 2 shown]
	v_ashrrev_i32_e32 v6, 31, v5
	v_ashrrev_i32_e32 v8, 31, v7
	;; [unrolled: 1-line block ×5, first 2 shown]
	v_lshlrev_b64 v[5:6], 1, v[5:6]
	v_lshlrev_b64 v[7:8], 1, v[7:8]
	v_lshlrev_b64 v[9:10], 1, v[9:10]
	v_add_co_u32 v28, s3, s18, v5
	v_add_co_ci_u32_e64 v29, null, s19, v6, s3
	v_add_co_u32 v30, s3, s18, v7
	v_add_nc_u32_e32 v7, s5, v21
	v_add_co_ci_u32_e64 v31, null, s19, v8, s3
	v_lshlrev_b64 v[5:6], 1, v[11:12]
	v_add_co_u32 v32, s3, s18, v9
	v_add_nc_u32_e32 v11, s5, v2
	v_add_co_ci_u32_e64 v33, null, s19, v10, s3
	v_lshlrev_b64 v[9:10], 1, v[26:27]
	v_add_nc_u32_e32 v26, s5, v3
	v_ashrrev_i32_e32 v8, 31, v7
	v_ashrrev_i32_e32 v12, 31, v11
	v_add_co_u32 v34, s3, s18, v5
	v_ashrrev_i32_e32 v27, 31, v26
	v_add_co_ci_u32_e64 v35, null, s19, v6, s3
	v_lshlrev_b64 v[7:8], 1, v[7:8]
	v_add_co_u32 v5, s3, s7, v9
	v_add_co_ci_u32_e64 v6, null, s16, v10, s3
	v_lshlrev_b64 v[9:10], 1, v[11:12]
	v_lshlrev_b64 v[11:12], 1, v[26:27]
	v_add_co_u32 v7, s3, s7, v7
	v_add_co_ci_u32_e64 v8, null, s16, v8, s3
	v_add_co_u32 v9, s3, s7, v9
	v_add_co_ci_u32_e64 v10, null, s16, v10, s3
	;; [unrolled: 2-line block ×3, first 2 shown]
	s_clause 0x3
	global_load_ushort v26, v[28:29], off
	global_load_ushort v27, v[30:31], off
	;; [unrolled: 1-line block ×4, first 2 shown]
	s_clause 0x3
	global_load_ushort v30, v[5:6], off
	global_load_ushort v31, v[7:8], off
	;; [unrolled: 1-line block ×4, first 2 shown]
	s_and_saveexec_b32 s3, s0
	s_cbranch_execz .LBB384_15
; %bb.19:                               ;   in Loop: Header=BB384_17 Depth=1
	s_clause 0x3
	global_load_ushort v34, v[5:6], off offset:128
	global_load_ushort v35, v[7:8], off offset:128
	;; [unrolled: 1-line block ×4, first 2 shown]
	s_waitcnt vmcnt(11)
	v_cvt_f32_f16_e32 v38, v26
	s_waitcnt vmcnt(10)
	v_cvt_f32_f16_e32 v39, v27
	;; [unrolled: 2-line block ×4, first 2 shown]
	s_and_saveexec_b32 s26, s1
	s_cbranch_execz .LBB384_14
; %bb.20:                               ;   in Loop: Header=BB384_17 Depth=1
	s_clause 0x3
	global_load_ushort v42, v[5:6], off offset:256
	global_load_ushort v43, v[7:8], off offset:256
	;; [unrolled: 1-line block ×4, first 2 shown]
	s_and_saveexec_b32 s27, s2
	s_cbranch_execz .LBB384_13
; %bb.21:                               ;   in Loop: Header=BB384_17 Depth=1
	s_clause 0x3
	global_load_ushort v5, v[5:6], off offset:384
	global_load_ushort v6, v[7:8], off offset:384
	;; [unrolled: 1-line block ×4, first 2 shown]
	s_waitcnt vmcnt(3)
	v_fma_mix_f32 v5, v38, v5, v15 op_sel_hi:[0,1,0]
	s_waitcnt vmcnt(2)
	v_fma_mix_f32 v5, v39, v6, v5 op_sel_hi:[0,1,0]
	s_waitcnt vmcnt(1)
	v_fma_mix_f32 v5, v40, v7, v5 op_sel_hi:[0,1,0]
	s_waitcnt vmcnt(0)
	v_fma_mix_f32 v15, v41, v8, v5 op_sel_hi:[0,1,0]
	s_branch .LBB384_13
.LBB384_22:
	s_or_b32 exec_lo, exec_lo, s22
.LBB384_23:
	s_or_b32 exec_lo, exec_lo, s20
	s_sub_i32 s0, s9, s6
	s_cmp_lt_i32 s0, 1
	s_cbranch_scc1 .LBB384_41
; %bb.24:
	v_cmp_gt_i32_e32 vcc_lo, s9, v20
	v_mov_b32_e32 v10, 0
	v_or_b32_e32 v2, 1, v20
	v_mov_b32_e32 v11, 0
	v_mov_b32_e32 v12, 0
	;; [unrolled: 1-line block ×3, first 2 shown]
	s_and_saveexec_b32 s1, vcc_lo
	s_cbranch_execz .LBB384_32
; %bb.25:
	v_mul_lo_u32 v3, v20, s4
	v_mov_b32_e32 v12, 0
	v_mov_b32_e32 v11, 0
	;; [unrolled: 1-line block ×3, first 2 shown]
	s_mov_b32 s2, exec_lo
	v_ashrrev_i32_e32 v4, 31, v3
	v_lshlrev_b64 v[3:4], 1, v[3:4]
	v_add_co_u32 v3, s0, s18, v3
	v_add_co_ci_u32_e64 v4, null, s19, v4, s0
	global_load_ushort v3, v[3:4], off
	v_cmpx_gt_i32_e64 s9, v2
	s_cbranch_execz .LBB384_31
; %bb.26:
	v_mul_lo_u32 v4, v2, s4
	v_mov_b32_e32 v11, 0
	v_mov_b32_e32 v10, 0
	s_mov_b32 s3, exec_lo
	v_ashrrev_i32_e32 v5, 31, v4
	v_lshlrev_b64 v[4:5], 1, v[4:5]
	v_add_co_u32 v4, s0, s18, v4
	v_add_co_ci_u32_e64 v5, null, s19, v5, s0
	global_load_ushort v4, v[4:5], off
	v_or_b32_e32 v5, 2, v20
	v_cmpx_gt_i32_e64 s9, v5
	s_cbranch_execz .LBB384_30
; %bb.27:
	v_mul_lo_u32 v5, v5, s4
	v_mov_b32_e32 v10, 0
	s_mov_b32 s6, exec_lo
	v_ashrrev_i32_e32 v6, 31, v5
	v_lshlrev_b64 v[5:6], 1, v[5:6]
	v_add_co_u32 v5, s0, s18, v5
	v_add_co_ci_u32_e64 v6, null, s19, v6, s0
	global_load_ushort v5, v[5:6], off
	v_or_b32_e32 v6, 3, v20
	v_cmpx_gt_i32_e64 s9, v6
	s_cbranch_execz .LBB384_29
; %bb.28:
	v_mul_lo_u32 v6, v6, s4
	v_ashrrev_i32_e32 v7, 31, v6
	v_lshlrev_b64 v[6:7], 1, v[6:7]
	v_add_co_u32 v6, s0, s18, v6
	v_add_co_ci_u32_e64 v7, null, s19, v7, s0
	global_load_ushort v6, v[6:7], off
	s_waitcnt vmcnt(0)
	v_cvt_f32_f16_e32 v10, v6
.LBB384_29:
	s_or_b32 exec_lo, exec_lo, s6
	s_waitcnt vmcnt(0)
	v_cvt_f32_f16_e32 v11, v5
.LBB384_30:
	s_or_b32 exec_lo, exec_lo, s3
	s_waitcnt vmcnt(0)
	v_cvt_f32_f16_e32 v12, v4
.LBB384_31:
	s_or_b32 exec_lo, exec_lo, s2
	s_waitcnt vmcnt(0)
	v_cvt_f32_f16_e32 v21, v3
.LBB384_32:
	s_or_b32 exec_lo, exec_lo, s1
	s_mov_b32 s1, exec_lo
	v_cmpx_gt_i32_e64 s8, v17
	s_cbranch_execz .LBB384_40
; %bb.33:
	v_mul_lo_u32 v3, v20, s17
	v_or_b32_e32 v4, 2, v20
	v_mul_lo_u32 v5, v2, s17
	v_or_b32_e32 v6, 3, v20
	s_mov_b32 s0, exec_lo
	v_mul_lo_u32 v7, v4, s17
	v_mul_lo_u32 v8, v6, s17
	v_cndmask_b32_e32 v3, 0, v3, vcc_lo
	v_cmp_gt_i32_e32 vcc_lo, s9, v2
	v_add_nc_u32_e32 v2, v3, v17
	v_cndmask_b32_e32 v5, 0, v5, vcc_lo
	v_cmp_gt_i32_e32 vcc_lo, s9, v4
	v_ashrrev_i32_e32 v3, 31, v2
	v_add_nc_u32_e32 v4, v5, v17
	v_cndmask_b32_e32 v7, 0, v7, vcc_lo
	v_cmp_gt_i32_e32 vcc_lo, s9, v6
	v_lshlrev_b64 v[2:3], 1, v[2:3]
	v_ashrrev_i32_e32 v5, 31, v4
	v_add_nc_u32_e32 v6, v7, v17
	v_cndmask_b32_e32 v8, 0, v8, vcc_lo
	v_lshlrev_b64 v[4:5], 1, v[4:5]
	v_ashrrev_i32_e32 v7, 31, v6
	v_add_nc_u32_e32 v8, v8, v17
	v_add_co_u32 v2, vcc_lo, s7, v2
	v_add_co_ci_u32_e64 v3, null, s16, v3, vcc_lo
	v_lshlrev_b64 v[6:7], 1, v[6:7]
	v_ashrrev_i32_e32 v9, 31, v8
	v_add_co_u32 v4, vcc_lo, s7, v4
	v_add_co_ci_u32_e64 v5, null, s16, v5, vcc_lo
	global_load_ushort v22, v[2:3], off
	v_add_co_u32 v6, vcc_lo, s7, v6
	v_add_co_ci_u32_e64 v7, null, s16, v7, vcc_lo
	v_lshlrev_b64 v[8:9], 1, v[8:9]
	s_clause 0x1
	global_load_ushort v23, v[4:5], off
	global_load_ushort v24, v[6:7], off
	v_add_co_u32 v8, vcc_lo, s7, v8
	v_add_co_ci_u32_e64 v9, null, s16, v9, vcc_lo
	global_load_ushort v20, v[8:9], off
	s_waitcnt vmcnt(3)
	v_fma_mix_f32 v19, v21, v22, v19 op_sel_hi:[0,1,0]
	v_add_nc_u32_e32 v22, 64, v17
	s_waitcnt vmcnt(2)
	v_fma_mix_f32 v19, v12, v23, v19 op_sel_hi:[0,1,0]
	s_waitcnt vmcnt(1)
	v_fma_mix_f32 v19, v11, v24, v19 op_sel_hi:[0,1,0]
	v_cmpx_gt_i32_e64 s8, v22
	s_cbranch_execz .LBB384_39
; %bb.34:
	s_clause 0x3
	global_load_ushort v23, v[2:3], off offset:128
	global_load_ushort v24, v[4:5], off offset:128
	;; [unrolled: 1-line block ×4, first 2 shown]
	s_mov_b32 s2, exec_lo
	s_waitcnt vmcnt(3)
	v_fma_mix_f32 v18, v21, v23, v18 op_sel_hi:[0,1,0]
	v_add_nc_u32_e32 v23, 0x80, v17
	s_waitcnt vmcnt(2)
	v_fma_mix_f32 v18, v12, v24, v18 op_sel_hi:[0,1,0]
	s_waitcnt vmcnt(1)
	v_fma_mix_f32 v18, v11, v25, v18 op_sel_hi:[0,1,0]
	v_cmpx_gt_i32_e64 s8, v23
	s_cbranch_execz .LBB384_38
; %bb.35:
	s_clause 0x3
	global_load_ushort v24, v[2:3], off offset:256
	global_load_ushort v25, v[4:5], off offset:256
	;; [unrolled: 1-line block ×4, first 2 shown]
	v_add_nc_u32_e32 v17, 0xc0, v17
	s_mov_b32 s3, exec_lo
	s_waitcnt vmcnt(3)
	v_fma_mix_f32 v16, v21, v24, v16 op_sel_hi:[0,1,0]
	s_waitcnt vmcnt(2)
	v_fma_mix_f32 v16, v12, v25, v16 op_sel_hi:[0,1,0]
	;; [unrolled: 2-line block ×3, first 2 shown]
	v_cmpx_gt_i32_e64 s8, v17
	s_cbranch_execz .LBB384_37
; %bb.36:
	s_clause 0x3
	global_load_ushort v2, v[2:3], off offset:384
	global_load_ushort v3, v[4:5], off offset:384
	;; [unrolled: 1-line block ×4, first 2 shown]
	s_waitcnt vmcnt(3)
	v_fma_mix_f32 v2, v21, v2, v15 op_sel_hi:[0,1,0]
	s_waitcnt vmcnt(2)
	v_fma_mix_f32 v2, v12, v3, v2 op_sel_hi:[0,1,0]
	;; [unrolled: 2-line block ×4, first 2 shown]
.LBB384_37:
	s_or_b32 exec_lo, exec_lo, s3
	s_waitcnt vmcnt(0)
	v_fma_mix_f32 v16, v10, v23, v16 op_sel_hi:[0,1,0]
.LBB384_38:
	s_or_b32 exec_lo, exec_lo, s2
	s_waitcnt vmcnt(0)
	v_fma_mix_f32 v18, v10, v22, v18 op_sel_hi:[0,1,0]
.LBB384_39:
	s_or_b32 exec_lo, exec_lo, s0
	s_waitcnt vmcnt(0)
	v_fma_mix_f32 v19, v10, v20, v19 op_sel_hi:[0,1,0]
.LBB384_40:
	s_or_b32 exec_lo, exec_lo, s1
.LBB384_41:
	v_lshlrev_b32_e32 v0, 2, v0
	s_mov_b32 s0, exec_lo
                                        ; implicit-def: $vgpr5
                                        ; implicit-def: $vgpr2_vgpr3
	v_lshl_or_b32 v1, v1, 10, v0
	ds_write2st64_b32 v1, v19, v18 offset1:1
	ds_write2st64_b32 v1, v16, v15 offset0:2 offset1:3
	s_waitcnt lgkmcnt(0)
	s_barrier
	buffer_gl0_inv
	v_cmpx_gt_u32_e32 0x100, v14
	s_cbranch_execz .LBB384_47
; %bb.42:
	v_lshl_add_u32 v4, v13, 2, v0
	s_mov_b32 s2, s14
	s_mov_b32 s1, exec_lo
                                        ; implicit-def: $vgpr5
	ds_read2st64_b32 v[0:1], v4 offset1:4
	ds_read2st64_b32 v[2:3], v4 offset0:8 offset1:12
	s_waitcnt lgkmcnt(1)
	v_add_f32_e32 v0, v0, v1
	v_or_b32_e32 v1, s5, v14
	s_waitcnt lgkmcnt(0)
	v_add_f32_e32 v0, v2, v0
	v_add_f32_e32 v0, v3, v0
                                        ; implicit-def: $vgpr2_vgpr3
	ds_write_b32 v4, v0
	v_cmpx_gt_i32_e64 s8, v1
	s_cbranch_execz .LBB384_46
; %bb.43:
	v_mul_lo_u32 v2, s15, v1
	v_cmp_eq_f32_e64 s2, s13, 0
	v_mul_f32_e32 v0, s10, v0
	s_and_b32 vcc_lo, exec_lo, s2
	v_ashrrev_i32_e32 v3, 31, v2
	s_cbranch_vccnz .LBB384_45
; %bb.44:
	v_lshlrev_b64 v[4:5], 1, v[2:3]
	v_add_co_u32 v4, vcc_lo, s11, v4
	v_add_co_ci_u32_e64 v5, null, s12, v5, vcc_lo
	global_load_ushort v1, v[4:5], off
	s_waitcnt vmcnt(0)
	v_fma_mix_f32 v0, s13, v1, v0 op_sel_hi:[0,1,0]
.LBB384_45:
	v_cvt_f16_f32_e32 v5, v0
	s_or_b32 s2, s14, exec_lo
.LBB384_46:
	s_or_b32 exec_lo, exec_lo, s1
	s_andn2_b32 s1, s14, exec_lo
	s_and_b32 s2, s2, exec_lo
	s_or_b32 s14, s1, s2
.LBB384_47:
	s_or_b32 exec_lo, exec_lo, s0
.LBB384_48:
	s_and_saveexec_b32 s0, s14
	s_cbranch_execz .LBB384_50
; %bb.49:
	v_lshlrev_b64 v[0:1], 1, v[2:3]
	v_add_co_u32 v0, vcc_lo, s11, v0
	v_add_co_ci_u32_e64 v1, null, s12, v1, vcc_lo
	global_store_short v[0:1], v5, off
.LBB384_50:
	s_endpgm
	.section	.rodata,"a",@progbits
	.p2align	6, 0x0
	.amdhsa_kernel _ZL20rocblas_gemvn_kernelILi64ELi4EiDF16_fDF16_EviiT3_lPKT2_lT1_lS3_lS4_lS0_lPT4_lS4_li
		.amdhsa_group_segment_fixed_size 4096
		.amdhsa_private_segment_fixed_size 0
		.amdhsa_kernarg_size 400
		.amdhsa_user_sgpr_count 6
		.amdhsa_user_sgpr_private_segment_buffer 1
		.amdhsa_user_sgpr_dispatch_ptr 0
		.amdhsa_user_sgpr_queue_ptr 0
		.amdhsa_user_sgpr_kernarg_segment_ptr 1
		.amdhsa_user_sgpr_dispatch_id 0
		.amdhsa_user_sgpr_flat_scratch_init 0
		.amdhsa_user_sgpr_private_segment_size 0
		.amdhsa_wavefront_size32 1
		.amdhsa_uses_dynamic_stack 0
		.amdhsa_system_sgpr_private_segment_wavefront_offset 0
		.amdhsa_system_sgpr_workgroup_id_x 1
		.amdhsa_system_sgpr_workgroup_id_y 0
		.amdhsa_system_sgpr_workgroup_id_z 1
		.amdhsa_system_sgpr_workgroup_info 0
		.amdhsa_system_vgpr_workitem_id 1
		.amdhsa_next_free_vgpr 46
		.amdhsa_next_free_sgpr 28
		.amdhsa_reserve_vcc 1
		.amdhsa_reserve_flat_scratch 0
		.amdhsa_float_round_mode_32 0
		.amdhsa_float_round_mode_16_64 0
		.amdhsa_float_denorm_mode_32 3
		.amdhsa_float_denorm_mode_16_64 3
		.amdhsa_dx10_clamp 1
		.amdhsa_ieee_mode 1
		.amdhsa_fp16_overflow 0
		.amdhsa_workgroup_processor_mode 1
		.amdhsa_memory_ordered 1
		.amdhsa_forward_progress 1
		.amdhsa_shared_vgpr_count 0
		.amdhsa_exception_fp_ieee_invalid_op 0
		.amdhsa_exception_fp_denorm_src 0
		.amdhsa_exception_fp_ieee_div_zero 0
		.amdhsa_exception_fp_ieee_overflow 0
		.amdhsa_exception_fp_ieee_underflow 0
		.amdhsa_exception_fp_ieee_inexact 0
		.amdhsa_exception_int_div_zero 0
	.end_amdhsa_kernel
	.section	.text._ZL20rocblas_gemvn_kernelILi64ELi4EiDF16_fDF16_EviiT3_lPKT2_lT1_lS3_lS4_lS0_lPT4_lS4_li,"axG",@progbits,_ZL20rocblas_gemvn_kernelILi64ELi4EiDF16_fDF16_EviiT3_lPKT2_lT1_lS3_lS4_lS0_lPT4_lS4_li,comdat
.Lfunc_end384:
	.size	_ZL20rocblas_gemvn_kernelILi64ELi4EiDF16_fDF16_EviiT3_lPKT2_lT1_lS3_lS4_lS0_lPT4_lS4_li, .Lfunc_end384-_ZL20rocblas_gemvn_kernelILi64ELi4EiDF16_fDF16_EviiT3_lPKT2_lT1_lS3_lS4_lS0_lPT4_lS4_li
                                        ; -- End function
	.set _ZL20rocblas_gemvn_kernelILi64ELi4EiDF16_fDF16_EviiT3_lPKT2_lT1_lS3_lS4_lS0_lPT4_lS4_li.num_vgpr, 46
	.set _ZL20rocblas_gemvn_kernelILi64ELi4EiDF16_fDF16_EviiT3_lPKT2_lT1_lS3_lS4_lS0_lPT4_lS4_li.num_agpr, 0
	.set _ZL20rocblas_gemvn_kernelILi64ELi4EiDF16_fDF16_EviiT3_lPKT2_lT1_lS3_lS4_lS0_lPT4_lS4_li.numbered_sgpr, 28
	.set _ZL20rocblas_gemvn_kernelILi64ELi4EiDF16_fDF16_EviiT3_lPKT2_lT1_lS3_lS4_lS0_lPT4_lS4_li.num_named_barrier, 0
	.set _ZL20rocblas_gemvn_kernelILi64ELi4EiDF16_fDF16_EviiT3_lPKT2_lT1_lS3_lS4_lS0_lPT4_lS4_li.private_seg_size, 0
	.set _ZL20rocblas_gemvn_kernelILi64ELi4EiDF16_fDF16_EviiT3_lPKT2_lT1_lS3_lS4_lS0_lPT4_lS4_li.uses_vcc, 1
	.set _ZL20rocblas_gemvn_kernelILi64ELi4EiDF16_fDF16_EviiT3_lPKT2_lT1_lS3_lS4_lS0_lPT4_lS4_li.uses_flat_scratch, 0
	.set _ZL20rocblas_gemvn_kernelILi64ELi4EiDF16_fDF16_EviiT3_lPKT2_lT1_lS3_lS4_lS0_lPT4_lS4_li.has_dyn_sized_stack, 0
	.set _ZL20rocblas_gemvn_kernelILi64ELi4EiDF16_fDF16_EviiT3_lPKT2_lT1_lS3_lS4_lS0_lPT4_lS4_li.has_recursion, 0
	.set _ZL20rocblas_gemvn_kernelILi64ELi4EiDF16_fDF16_EviiT3_lPKT2_lT1_lS3_lS4_lS0_lPT4_lS4_li.has_indirect_call, 0
	.section	.AMDGPU.csdata,"",@progbits
; Kernel info:
; codeLenInByte = 2792
; TotalNumSgprs: 30
; NumVgprs: 46
; ScratchSize: 0
; MemoryBound: 0
; FloatMode: 240
; IeeeMode: 1
; LDSByteSize: 4096 bytes/workgroup (compile time only)
; SGPRBlocks: 0
; VGPRBlocks: 5
; NumSGPRsForWavesPerEU: 30
; NumVGPRsForWavesPerEU: 46
; Occupancy: 16
; WaveLimiterHint : 1
; COMPUTE_PGM_RSRC2:SCRATCH_EN: 0
; COMPUTE_PGM_RSRC2:USER_SGPR: 6
; COMPUTE_PGM_RSRC2:TRAP_HANDLER: 0
; COMPUTE_PGM_RSRC2:TGID_X_EN: 1
; COMPUTE_PGM_RSRC2:TGID_Y_EN: 0
; COMPUTE_PGM_RSRC2:TGID_Z_EN: 1
; COMPUTE_PGM_RSRC2:TIDIG_COMP_CNT: 1
	.section	.text._ZL20rocblas_gemvn_kernelILi64ELi4ElDF16_fDF16_EviiT3_lPKT2_lT1_lS3_lS4_lS0_lPT4_lS4_li,"axG",@progbits,_ZL20rocblas_gemvn_kernelILi64ELi4ElDF16_fDF16_EviiT3_lPKT2_lT1_lS3_lS4_lS0_lPT4_lS4_li,comdat
	.globl	_ZL20rocblas_gemvn_kernelILi64ELi4ElDF16_fDF16_EviiT3_lPKT2_lT1_lS3_lS4_lS0_lPT4_lS4_li ; -- Begin function _ZL20rocblas_gemvn_kernelILi64ELi4ElDF16_fDF16_EviiT3_lPKT2_lT1_lS3_lS4_lS0_lPT4_lS4_li
	.p2align	8
	.type	_ZL20rocblas_gemvn_kernelILi64ELi4ElDF16_fDF16_EviiT3_lPKT2_lT1_lS3_lS4_lS0_lPT4_lS4_li,@function
_ZL20rocblas_gemvn_kernelILi64ELi4ElDF16_fDF16_EviiT3_lPKT2_lT1_lS3_lS4_lS0_lPT4_lS4_li: ; @_ZL20rocblas_gemvn_kernelILi64ELi4ElDF16_fDF16_EviiT3_lPKT2_lT1_lS3_lS4_lS0_lPT4_lS4_li
; %bb.0:
	s_load_dwordx2 s[0:1], s[4:5], 0x9c
	s_waitcnt lgkmcnt(0)
	s_lshr_b32 s2, s0, 16
	s_and_b32 s0, s0, 0xffff
	s_and_b32 s1, s1, 0xffff
	s_mul_i32 s0, s2, s0
	s_mul_i32 s0, s0, s1
	s_cmpk_lg_i32 s0, 0x100
	s_cbranch_scc1 .LBB385_50
; %bb.1:
	s_clause 0x1
	s_load_dwordx4 s[28:31], s[4:5], 0x0
	s_load_dword s36, s[4:5], 0x58
	s_mov_b32 s37, 0
	s_waitcnt lgkmcnt(0)
	v_cmp_eq_f32_e64 s0, s30, 0
	v_cmp_eq_f32_e64 s1, s36, 1.0
	s_and_b32 s0, s0, s1
	s_and_b32 vcc_lo, exec_lo, s0
	s_cbranch_vccnz .LBB385_50
; %bb.2:
	s_load_dwordx8 s[20:27], s[4:5], 0x68
	v_lshlrev_b32_e32 v13, 6, v1
	v_add_nc_u32_e32 v14, v13, v0
	s_waitcnt lgkmcnt(0)
	s_mul_i32 s1, s27, s7
	s_mul_hi_u32 s2, s26, s7
	s_mul_i32 s0, s26, s7
	s_add_i32 s1, s2, s1
	v_cmp_neq_f32_e64 s2, s30, 0
	s_lshl_b64 s[0:1], s[0:1], 1
	s_add_u32 s3, s20, s0
	s_addc_u32 s8, s21, s1
	s_lshl_b64 s[0:1], s[22:23], 1
	s_add_u32 s31, s3, s0
	v_cmp_gt_u32_e64 s0, 0x100, v14
	s_addc_u32 s33, s8, s1
	s_and_b32 vcc_lo, exec_lo, s2
	s_cbranch_vccnz .LBB385_9
; %bb.3:
	s_mov_b32 s1, 0
                                        ; implicit-def: $vgpr5
                                        ; implicit-def: $vgpr2_vgpr3
	s_and_saveexec_b32 s2, s0
	s_cbranch_execz .LBB385_10
; %bb.4:
	v_lshl_or_b32 v4, s6, 8, v14
	v_mov_b32_e32 v5, 0
	s_ashr_i32 s9, s28, 31
	s_mov_b32 s8, s28
	s_mov_b32 s3, 0
	s_mov_b32 s0, exec_lo
                                        ; implicit-def: $vgpr2_vgpr3
	v_cmpx_gt_i64_e64 s[8:9], v[4:5]
	s_cbranch_execz .LBB385_8
; %bb.5:
	v_mad_u64_u32 v[2:3], null, s24, v4, 0
	v_cmp_eq_f32_e64 s3, s36, 0
	s_and_b32 vcc_lo, exec_lo, s3
	v_mad_u64_u32 v[3:4], null, s25, v4, v[3:4]
	s_cbranch_vccnz .LBB385_7
; %bb.6:
	v_lshlrev_b64 v[4:5], 1, v[2:3]
	v_add_co_u32 v4, vcc_lo, s31, v4
	v_add_co_ci_u32_e64 v5, null, s33, v5, vcc_lo
	global_load_ushort v4, v[4:5], off
	s_waitcnt vmcnt(0)
	v_fma_mixlo_f16 v5, s36, v4, 0 op_sel_hi:[0,1,0]
.LBB385_7:
	s_mov_b32 s3, exec_lo
.LBB385_8:
	s_or_b32 exec_lo, exec_lo, s0
	s_and_b32 s37, s3, exec_lo
	s_or_b32 exec_lo, exec_lo, s2
	s_and_b32 vcc_lo, exec_lo, s1
	s_cbranch_vccnz .LBB385_11
	s_branch .LBB385_48
.LBB385_9:
                                        ; implicit-def: $vgpr5
                                        ; implicit-def: $vgpr2_vgpr3
	s_cbranch_execnz .LBB385_11
	s_branch .LBB385_48
.LBB385_10:
	s_or_b32 exec_lo, exec_lo, s2
	s_and_b32 vcc_lo, exec_lo, s1
	s_cbranch_vccz .LBB385_48
.LBB385_11:
	s_load_dwordx16 s[8:23], s[4:5], 0x18
	s_ashr_i32 s0, s29, 31
	s_lshl_b32 s5, s6, 8
	s_lshr_b32 s0, s0, 28
	v_lshlrev_b32_e32 v15, 2, v1
	s_add_i32 s0, s29, s0
	v_mov_b32_e32 v19, 0
	v_mov_b32_e32 v18, 0
	;; [unrolled: 1-line block ×4, first 2 shown]
	v_or_b32_e32 v2, s5, v0
	s_and_b32 s38, s0, -16
	s_mov_b32 s39, exec_lo
	s_waitcnt lgkmcnt(0)
	s_mul_i32 s0, s15, s7
	s_mul_hi_u32 s1, s14, s7
	s_mul_i32 s2, s23, s7
	s_mul_hi_u32 s3, s22, s7
	s_mul_i32 s14, s14, s7
	s_add_i32 s15, s1, s0
	s_add_i32 s23, s3, s2
	s_mul_i32 s22, s22, s7
	v_cmpx_gt_i32_e64 s38, v15
	s_cbranch_execz .LBB385_23
; %bb.12:
	v_lshlrev_b32_e32 v30, 2, v1
	v_mad_u64_u32 v[4:5], null, s20, v1, 0
	v_add_nc_u32_e32 v11, 64, v2
	v_add_nc_u32_e32 v12, 0x80, v2
	v_or_b32_e32 v16, 3, v30
	s_lshl_b64 s[0:1], s[22:23], 1
	s_lshl_b64 s[6:7], s[18:19], 1
	s_add_u32 s4, s16, s0
	s_addc_u32 s42, s17, s1
	v_mad_u64_u32 v[6:7], null, s12, v16, 0
	v_cmp_gt_i32_e64 s0, s28, v11
	v_cmp_gt_i32_e64 s1, s28, v12
	v_add_nc_u32_e32 v17, 0xc0, v2
	v_or_b32_e32 v24, 2, v30
	s_lshl_b64 s[34:35], s[10:11], 1
	s_lshl_b64 s[26:27], s[20:21], 5
	v_mad_u64_u32 v[8:9], null, s21, v1, v[5:6]
	v_mad_u64_u32 v[9:10], null, s20, v16, 0
	v_cmp_gt_i32_e64 s2, s28, v17
	s_lshl_b64 s[40:41], s[14:15], 1
	v_mad_u64_u32 v[28:29], null, s20, v24, 0
	v_mov_b32_e32 v5, v8
	v_mad_u64_u32 v[7:8], null, s13, v16, v[7:8]
	v_mad_u64_u32 v[32:33], null, s12, v30, s[12:13]
	v_lshlrev_b64 v[11:12], 3, v[4:5]
	v_mov_b32_e32 v5, v10
	v_mov_b32_e32 v8, v29
	v_ashrrev_i32_e32 v3, 31, v2
	v_lshlrev_b64 v[6:7], 1, v[6:7]
	v_cmp_gt_i32_e32 vcc_lo, s28, v2
	v_add_co_u32 v20, s3, s4, v11
	v_add_co_ci_u32_e64 v21, null, s42, v12, s3
	v_mad_u64_u32 v[16:17], null, s21, v16, v[5:6]
	v_mad_u64_u32 v[11:12], null, s12, v1, 0
	s_add_u32 s3, s8, s34
	s_addc_u32 s34, s9, s35
	s_add_u32 s35, s3, s40
	s_addc_u32 s34, s34, s41
	v_mov_b32_e32 v10, v16
	v_mad_u64_u32 v[16:17], null, s12, v24, 0
	v_mov_b32_e32 v5, v12
	v_add_co_u32 v22, s3, s35, v6
	v_add_co_ci_u32_e64 v23, null, s34, v7, s3
	v_mad_u64_u32 v[18:19], null, s13, v1, v[5:6]
	v_lshlrev_b64 v[6:7], 1, v[9:10]
	v_mov_b32_e32 v5, v17
	v_lshlrev_b64 v[3:4], 1, v[2:3]
	s_mov_b32 s40, 0
	v_mad_u64_u32 v[9:10], null, s13, v24, v[5:6]
	v_mov_b32_e32 v12, v18
	v_mad_u64_u32 v[18:19], null, s20, v30, s[20:21]
	v_mad_u64_u32 v[26:27], null, s21, v24, v[8:9]
	v_add_co_u32 v24, s3, s4, v6
	v_add_co_ci_u32_e64 v25, null, s42, v7, s3
	v_lshlrev_b64 v[6:7], 3, v[11:12]
	v_mov_b32_e32 v5, v19
	v_mov_b32_e32 v17, v9
	;; [unrolled: 1-line block ×3, first 2 shown]
	v_add_co_u32 v26, s3, s35, v6
	v_mad_u64_u32 v[8:9], null, s21, v30, v[5:6]
	v_add_co_ci_u32_e64 v27, null, s34, v7, s3
	v_lshlrev_b64 v[6:7], 1, v[16:17]
	v_mov_b32_e32 v5, v33
	v_mov_b32_e32 v17, 0
	;; [unrolled: 1-line block ×4, first 2 shown]
	v_mad_u64_u32 v[9:10], null, s13, v30, v[5:6]
	v_lshlrev_b64 v[10:11], 1, v[28:29]
	v_add_co_u32 v28, s3, s35, v6
	v_lshlrev_b64 v[5:6], 1, v[18:19]
	v_add_co_ci_u32_e64 v29, null, s34, v7, s3
	v_mov_b32_e32 v33, v9
	v_add_co_u32 v30, s3, s4, v10
	v_add_co_ci_u32_e64 v31, null, s42, v11, s3
	v_lshlrev_b64 v[7:8], 1, v[32:33]
	v_add_co_u32 v32, s3, s4, v5
	v_add_co_ci_u32_e64 v33, null, s42, v6, s3
	v_mov_b32_e32 v19, 0
	v_add_co_u32 v34, s3, s35, v7
	v_add_co_ci_u32_e64 v35, null, s34, v8, s3
	v_mov_b32_e32 v18, 0
	s_lshl_b64 s[34:35], s[12:13], 5
	s_branch .LBB385_17
.LBB385_13:                             ;   in Loop: Header=BB385_17 Depth=1
	s_or_b32 exec_lo, exec_lo, s42
	s_waitcnt vmcnt(3)
	v_fma_mix_f32 v5, v48, v52, v17 op_sel_hi:[0,1,0]
	s_waitcnt vmcnt(2)
	v_fma_mix_f32 v5, v49, v53, v5 op_sel_hi:[0,1,0]
	;; [unrolled: 2-line block ×4, first 2 shown]
.LBB385_14:                             ;   in Loop: Header=BB385_17 Depth=1
	s_or_b32 exec_lo, exec_lo, s41
	s_waitcnt vmcnt(3)
	v_fma_mix_f32 v5, v48, v44, v18 op_sel_hi:[0,1,0]
	s_waitcnt vmcnt(2)
	v_fma_mix_f32 v5, v49, v45, v5 op_sel_hi:[0,1,0]
	;; [unrolled: 2-line block ×4, first 2 shown]
.LBB385_15:                             ;   in Loop: Header=BB385_17 Depth=1
	s_or_b32 exec_lo, exec_lo, s3
	s_waitcnt vmcnt(3)
	v_fma_mix_f32 v5, v36, v40, v19 op_sel_hi:[1,1,0]
	s_waitcnt vmcnt(2)
	v_fma_mix_f32 v5, v37, v41, v5 op_sel_hi:[1,1,0]
	;; [unrolled: 2-line block ×4, first 2 shown]
.LBB385_16:                             ;   in Loop: Header=BB385_17 Depth=1
	s_or_b32 exec_lo, exec_lo, s4
	v_add_co_u32 v20, s3, v20, s26
	v_add_co_ci_u32_e64 v21, null, s27, v21, s3
	v_add_co_u32 v22, s3, v22, s34
	v_add_co_ci_u32_e64 v23, null, s35, v23, s3
	v_add_co_u32 v24, s3, v24, s26
	v_add_co_ci_u32_e64 v25, null, s27, v25, s3
	v_add_co_u32 v26, s3, v26, s34
	v_add_co_ci_u32_e64 v27, null, s35, v27, s3
	v_add_co_u32 v28, s3, v28, s34
	v_add_nc_u32_e32 v15, 16, v15
	v_add_co_ci_u32_e64 v29, null, s35, v29, s3
	v_add_co_u32 v30, s3, v30, s26
	v_add_co_ci_u32_e64 v31, null, s27, v31, s3
	v_add_co_u32 v32, s3, v32, s26
	v_add_co_ci_u32_e64 v33, null, s27, v33, s3
	v_cmp_le_i32_e64 s3, s38, v15
	v_add_co_u32 v34, s4, v34, s34
	v_add_co_ci_u32_e64 v35, null, s35, v35, s4
	s_or_b32 s40, s3, s40
	s_andn2_b32 exec_lo, exec_lo, s40
	s_cbranch_execz .LBB385_22
.LBB385_17:                             ; =>This Inner Loop Header: Depth=1
	s_and_saveexec_b32 s4, vcc_lo
	s_cbranch_execz .LBB385_16
; %bb.18:                               ;   in Loop: Header=BB385_17 Depth=1
	v_add_co_u32 v5, s3, v20, s6
	v_add_co_ci_u32_e64 v6, null, s7, v21, s3
	v_add_co_u32 v7, s3, v32, s6
	v_add_co_ci_u32_e64 v8, null, s7, v33, s3
	;; [unrolled: 2-line block ×3, first 2 shown]
	v_add_co_u32 v39, s3, v24, s6
	global_load_ushort v36, v[5:6], off
	global_load_ushort v37, v[7:8], off
	;; [unrolled: 1-line block ×3, first 2 shown]
	v_add_co_ci_u32_e64 v40, null, s7, v25, s3
	v_add_co_u32 v5, s3, v26, v3
	v_add_co_ci_u32_e64 v6, null, v27, v4, s3
	v_add_co_u32 v7, s3, v34, v3
	;; [unrolled: 2-line block ×4, first 2 shown]
	v_add_co_ci_u32_e64 v12, null, v23, v4, s3
	global_load_ushort v39, v[39:40], off
	global_load_ushort v40, v[5:6], off
	;; [unrolled: 1-line block ×5, first 2 shown]
	s_and_saveexec_b32 s3, s0
	s_cbranch_execz .LBB385_15
; %bb.19:                               ;   in Loop: Header=BB385_17 Depth=1
	global_load_ushort v44, v[5:6], off offset:128
	global_load_ushort v45, v[7:8], off offset:128
	;; [unrolled: 1-line block ×4, first 2 shown]
	s_waitcnt vmcnt(11)
	v_cvt_f32_f16_e32 v48, v36
	s_waitcnt vmcnt(10)
	v_cvt_f32_f16_e32 v49, v37
	;; [unrolled: 2-line block ×4, first 2 shown]
	s_and_saveexec_b32 s41, s1
	s_cbranch_execz .LBB385_14
; %bb.20:                               ;   in Loop: Header=BB385_17 Depth=1
	global_load_ushort v52, v[5:6], off offset:256
	global_load_ushort v53, v[7:8], off offset:256
	;; [unrolled: 1-line block ×4, first 2 shown]
	s_and_saveexec_b32 s42, s2
	s_cbranch_execz .LBB385_13
; %bb.21:                               ;   in Loop: Header=BB385_17 Depth=1
	global_load_ushort v5, v[5:6], off offset:384
	global_load_ushort v6, v[7:8], off offset:384
	;; [unrolled: 1-line block ×4, first 2 shown]
	s_waitcnt vmcnt(3)
	v_fma_mix_f32 v5, v48, v5, v16 op_sel_hi:[0,1,0]
	s_waitcnt vmcnt(2)
	v_fma_mix_f32 v5, v49, v6, v5 op_sel_hi:[0,1,0]
	s_waitcnt vmcnt(1)
	v_fma_mix_f32 v5, v50, v7, v5 op_sel_hi:[0,1,0]
	s_waitcnt vmcnt(0)
	v_fma_mix_f32 v16, v51, v8, v5 op_sel_hi:[0,1,0]
	s_branch .LBB385_13
.LBB385_22:
	s_or_b32 exec_lo, exec_lo, s40
.LBB385_23:
	s_or_b32 exec_lo, exec_lo, s39
	s_sub_i32 s0, s29, s38
	s_cmp_lt_i32 s0, 1
	s_cbranch_scc1 .LBB385_41
; %bb.24:
	v_cmp_gt_i32_e32 vcc_lo, s29, v15
	v_mov_b32_e32 v11, 0
	v_or_b32_e32 v4, 1, v15
	v_mov_b32_e32 v12, 0
	v_mov_b32_e32 v20, 0
	;; [unrolled: 1-line block ×3, first 2 shown]
	s_and_saveexec_b32 s1, vcc_lo
	s_cbranch_execz .LBB385_32
; %bb.25:
	v_mad_u64_u32 v[5:6], null, s20, v15, 0
	s_lshl_b64 s[2:3], s[22:23], 1
	v_mov_b32_e32 v20, 0
	s_add_u32 s0, s16, s2
	s_addc_u32 s2, s17, s3
	s_lshl_b64 s[6:7], s[18:19], 1
	v_mov_b32_e32 v12, 0
	v_mov_b32_e32 v3, v6
	s_add_u32 s3, s0, s6
	s_addc_u32 s4, s2, s7
	v_mov_b32_e32 v11, 0
	s_mov_b32 s2, exec_lo
	v_mad_u64_u32 v[6:7], null, s21, v15, v[3:4]
	v_lshlrev_b64 v[5:6], 1, v[5:6]
	v_add_co_u32 v5, s0, s3, v5
	v_add_co_ci_u32_e64 v6, null, s4, v6, s0
	global_load_ushort v3, v[5:6], off
	v_cmpx_gt_i32_e64 s29, v4
	s_cbranch_execz .LBB385_31
; %bb.26:
	v_mad_u64_u32 v[5:6], null, s20, v4, 0
	v_mov_b32_e32 v12, 0
	v_mov_b32_e32 v11, 0
	s_mov_b32 s6, exec_lo
	v_mad_u64_u32 v[6:7], null, s21, v4, v[6:7]
	v_lshlrev_b64 v[5:6], 1, v[5:6]
	v_add_co_u32 v5, s0, s3, v5
	v_add_co_ci_u32_e64 v6, null, s4, v6, s0
	global_load_ushort v5, v[5:6], off
	v_or_b32_e32 v6, 2, v15
	v_cmpx_gt_i32_e64 s29, v6
	s_cbranch_execz .LBB385_30
; %bb.27:
	v_mad_u64_u32 v[7:8], null, s20, v6, 0
	v_mov_b32_e32 v11, 0
	s_mov_b32 s7, exec_lo
	v_mad_u64_u32 v[8:9], null, s21, v6, v[8:9]
	v_lshlrev_b64 v[6:7], 1, v[7:8]
	v_add_co_u32 v6, s0, s3, v6
	v_add_co_ci_u32_e64 v7, null, s4, v7, s0
	global_load_ushort v6, v[6:7], off
	v_or_b32_e32 v7, 3, v15
	v_cmpx_gt_i32_e64 s29, v7
	s_cbranch_execz .LBB385_29
; %bb.28:
	v_mad_u64_u32 v[8:9], null, s20, v7, 0
	v_mad_u64_u32 v[9:10], null, s21, v7, v[9:10]
	v_lshlrev_b64 v[7:8], 1, v[8:9]
	v_add_co_u32 v7, s0, s3, v7
	v_add_co_ci_u32_e64 v8, null, s4, v8, s0
	global_load_ushort v7, v[7:8], off
	s_waitcnt vmcnt(0)
	v_cvt_f32_f16_e32 v11, v7
.LBB385_29:
	s_or_b32 exec_lo, exec_lo, s7
	s_waitcnt vmcnt(0)
	v_cvt_f32_f16_e32 v12, v6
.LBB385_30:
	s_or_b32 exec_lo, exec_lo, s6
	s_waitcnt vmcnt(0)
	v_cvt_f32_f16_e32 v20, v5
.LBB385_31:
	s_or_b32 exec_lo, exec_lo, s2
	s_waitcnt vmcnt(0)
	v_cvt_f32_f16_e32 v21, v3
.LBB385_32:
	s_or_b32 exec_lo, exec_lo, s1
	s_mov_b32 s1, exec_lo
	v_cmpx_gt_i32_e64 s28, v2
	s_cbranch_execz .LBB385_40
; %bb.33:
	v_mad_u64_u32 v[5:6], null, s12, v15, 0
	v_mad_u64_u32 v[7:8], null, s12, v4, 0
	v_ashrrev_i32_e32 v3, 31, v2
	v_or_b32_e32 v29, 2, v15
	s_lshl_b64 s[2:3], s[14:15], 1
	s_add_u32 s0, s8, s2
	v_lshlrev_b64 v[22:23], 1, v[2:3]
	v_mad_u64_u32 v[9:10], null, s13, v15, v[6:7]
	v_mov_b32_e32 v3, v8
	v_cndmask_b32_e32 v5, 0, v5, vcc_lo
	v_or_b32_e32 v15, 3, v15
	v_mad_u64_u32 v[24:25], null, s12, v29, 0
	v_mad_u64_u32 v[26:27], null, s13, v4, v[3:4]
	v_cndmask_b32_e32 v6, 0, v9, vcc_lo
	v_cmp_gt_i32_e32 vcc_lo, s29, v4
	s_addc_u32 s4, s9, s3
	s_lshl_b64 s[2:3], s[10:11], 1
	v_mad_u64_u32 v[8:9], null, s12, v15, 0
	v_lshlrev_b64 v[5:6], 1, v[5:6]
	v_cndmask_b32_e32 v27, 0, v7, vcc_lo
	v_cndmask_b32_e32 v28, 0, v26, vcc_lo
	s_add_u32 s2, s0, s2
	v_mov_b32_e32 v7, v25
	s_addc_u32 s3, s4, s3
	v_add_co_u32 v3, s0, s2, v5
	v_add_co_ci_u32_e64 v4, null, s3, v6, s0
	v_lshlrev_b64 v[5:6], 1, v[27:28]
	v_mad_u64_u32 v[25:26], null, s13, v29, v[7:8]
	v_add_co_u32 v3, vcc_lo, v3, v22
	v_add_co_ci_u32_e64 v4, null, v4, v23, vcc_lo
	v_cmp_gt_i32_e32 vcc_lo, s29, v29
	v_mov_b32_e32 v7, v9
	v_add_co_u32 v5, s0, s2, v5
	v_add_co_ci_u32_e64 v6, null, s3, v6, s0
	v_cndmask_b32_e32 v9, 0, v24, vcc_lo
	v_cndmask_b32_e32 v10, 0, v25, vcc_lo
	v_mad_u64_u32 v[24:25], null, s13, v15, v[7:8]
	v_add_co_u32 v5, vcc_lo, v5, v22
	v_add_co_ci_u32_e64 v6, null, v6, v23, vcc_lo
	v_cmp_gt_i32_e32 vcc_lo, s29, v15
	v_lshlrev_b64 v[9:10], 1, v[9:10]
	s_clause 0x1
	global_load_ushort v25, v[3:4], off
	global_load_ushort v26, v[5:6], off
	s_mov_b32 s0, exec_lo
	v_cndmask_b32_e32 v7, 0, v8, vcc_lo
	v_cndmask_b32_e32 v8, 0, v24, vcc_lo
	v_add_co_u32 v15, vcc_lo, s2, v9
	v_add_co_ci_u32_e64 v24, null, s3, v10, vcc_lo
	v_lshlrev_b64 v[9:10], 1, v[7:8]
	v_add_co_u32 v7, vcc_lo, v15, v22
	v_add_co_ci_u32_e64 v8, null, v24, v23, vcc_lo
	v_add_co_u32 v9, vcc_lo, s2, v9
	v_add_co_ci_u32_e64 v10, null, s3, v10, vcc_lo
	global_load_ushort v24, v[7:8], off
	v_add_co_u32 v9, vcc_lo, v9, v22
	v_add_co_ci_u32_e64 v10, null, v10, v23, vcc_lo
	v_add_nc_u32_e32 v22, 64, v2
	global_load_ushort v15, v[9:10], off
	s_waitcnt vmcnt(3)
	v_fma_mix_f32 v19, v21, v25, v19 op_sel_hi:[0,1,0]
	s_waitcnt vmcnt(2)
	v_fma_mix_f32 v19, v20, v26, v19 op_sel_hi:[0,1,0]
	;; [unrolled: 2-line block ×3, first 2 shown]
	v_cmpx_gt_i32_e64 s28, v22
	s_cbranch_execz .LBB385_39
; %bb.34:
	s_clause 0x3
	global_load_ushort v23, v[3:4], off offset:128
	global_load_ushort v24, v[5:6], off offset:128
	;; [unrolled: 1-line block ×4, first 2 shown]
	s_mov_b32 s2, exec_lo
	s_waitcnt vmcnt(3)
	v_fma_mix_f32 v18, v21, v23, v18 op_sel_hi:[0,1,0]
	v_add_nc_u32_e32 v23, 0x80, v2
	s_waitcnt vmcnt(2)
	v_fma_mix_f32 v18, v20, v24, v18 op_sel_hi:[0,1,0]
	s_waitcnt vmcnt(1)
	v_fma_mix_f32 v18, v12, v25, v18 op_sel_hi:[0,1,0]
	v_cmpx_gt_i32_e64 s28, v23
	s_cbranch_execz .LBB385_38
; %bb.35:
	s_clause 0x3
	global_load_ushort v24, v[3:4], off offset:256
	global_load_ushort v25, v[5:6], off offset:256
	;; [unrolled: 1-line block ×4, first 2 shown]
	s_mov_b32 s3, exec_lo
	s_waitcnt vmcnt(3)
	v_fma_mix_f32 v17, v21, v24, v17 op_sel_hi:[0,1,0]
	v_add_nc_u32_e32 v24, 0xc0, v2
	s_waitcnt vmcnt(2)
	v_fma_mix_f32 v17, v20, v25, v17 op_sel_hi:[0,1,0]
	s_waitcnt vmcnt(1)
	v_fma_mix_f32 v2, v12, v26, v17 op_sel_hi:[0,1,0]
	v_cmpx_gt_i32_e64 s28, v24
	s_cbranch_execz .LBB385_37
; %bb.36:
	s_clause 0x3
	global_load_ushort v3, v[3:4], off offset:384
	global_load_ushort v4, v[5:6], off offset:384
	global_load_ushort v5, v[7:8], off offset:384
	global_load_ushort v6, v[9:10], off offset:384
	s_waitcnt vmcnt(3)
	v_fma_mix_f32 v3, v21, v3, v16 op_sel_hi:[0,1,0]
	s_waitcnt vmcnt(2)
	v_fma_mix_f32 v3, v20, v4, v3 op_sel_hi:[0,1,0]
	;; [unrolled: 2-line block ×4, first 2 shown]
.LBB385_37:
	s_or_b32 exec_lo, exec_lo, s3
	s_waitcnt vmcnt(0)
	v_fma_mix_f32 v17, v11, v23, v2 op_sel_hi:[0,1,0]
.LBB385_38:
	s_or_b32 exec_lo, exec_lo, s2
	s_waitcnt vmcnt(0)
	v_fma_mix_f32 v18, v11, v22, v18 op_sel_hi:[0,1,0]
.LBB385_39:
	s_or_b32 exec_lo, exec_lo, s0
	s_waitcnt vmcnt(0)
	v_fma_mix_f32 v19, v11, v15, v19 op_sel_hi:[0,1,0]
.LBB385_40:
	s_or_b32 exec_lo, exec_lo, s1
.LBB385_41:
	v_lshlrev_b32_e32 v0, 2, v0
	s_mov_b32 s0, exec_lo
                                        ; implicit-def: $vgpr5
                                        ; implicit-def: $vgpr2_vgpr3
	v_lshl_or_b32 v1, v1, 10, v0
	ds_write2st64_b32 v1, v19, v18 offset1:1
	ds_write2st64_b32 v1, v17, v16 offset0:2 offset1:3
	s_waitcnt lgkmcnt(0)
	s_barrier
	buffer_gl0_inv
	v_cmpx_gt_u32_e32 0x100, v14
	s_cbranch_execz .LBB385_47
; %bb.42:
	v_lshl_add_u32 v4, v13, 2, v0
	s_mov_b32 s2, s37
	s_mov_b32 s1, exec_lo
                                        ; implicit-def: $vgpr5
	ds_read2st64_b32 v[0:1], v4 offset1:4
	ds_read2st64_b32 v[2:3], v4 offset0:8 offset1:12
	s_waitcnt lgkmcnt(1)
	v_add_f32_e32 v0, v0, v1
	v_or_b32_e32 v1, s5, v14
	s_waitcnt lgkmcnt(0)
	v_add_f32_e32 v0, v2, v0
	v_add_f32_e32 v0, v3, v0
                                        ; implicit-def: $vgpr2_vgpr3
	ds_write_b32 v4, v0
	v_cmpx_gt_i32_e64 s28, v1
	s_cbranch_execz .LBB385_46
; %bb.43:
	v_ashrrev_i32_e32 v4, 31, v1
	v_mul_lo_u32 v5, s25, v1
	v_mad_u64_u32 v[2:3], null, s24, v1, 0
	v_cmp_eq_f32_e64 s2, s36, 0
	v_mul_lo_u32 v1, s24, v4
	v_mul_f32_e32 v0, s30, v0
	s_and_b32 vcc_lo, exec_lo, s2
	v_add3_u32 v3, v3, v1, v5
	s_cbranch_vccnz .LBB385_45
; %bb.44:
	v_lshlrev_b64 v[4:5], 1, v[2:3]
	v_add_co_u32 v4, vcc_lo, s31, v4
	v_add_co_ci_u32_e64 v5, null, s33, v5, vcc_lo
	global_load_ushort v1, v[4:5], off
	s_waitcnt vmcnt(0)
	v_fma_mix_f32 v0, s36, v1, v0 op_sel_hi:[0,1,0]
.LBB385_45:
	v_cvt_f16_f32_e32 v5, v0
	s_or_b32 s2, s37, exec_lo
.LBB385_46:
	s_or_b32 exec_lo, exec_lo, s1
	s_andn2_b32 s1, s37, exec_lo
	s_and_b32 s2, s2, exec_lo
	s_or_b32 s37, s1, s2
.LBB385_47:
	s_or_b32 exec_lo, exec_lo, s0
.LBB385_48:
	s_and_saveexec_b32 s0, s37
	s_cbranch_execz .LBB385_50
; %bb.49:
	v_lshlrev_b64 v[0:1], 1, v[2:3]
	v_add_co_u32 v0, vcc_lo, s31, v0
	v_add_co_ci_u32_e64 v1, null, s33, v1, vcc_lo
	global_store_short v[0:1], v5, off
.LBB385_50:
	s_endpgm
	.section	.rodata,"a",@progbits
	.p2align	6, 0x0
	.amdhsa_kernel _ZL20rocblas_gemvn_kernelILi64ELi4ElDF16_fDF16_EviiT3_lPKT2_lT1_lS3_lS4_lS0_lPT4_lS4_li
		.amdhsa_group_segment_fixed_size 4096
		.amdhsa_private_segment_fixed_size 0
		.amdhsa_kernarg_size 400
		.amdhsa_user_sgpr_count 6
		.amdhsa_user_sgpr_private_segment_buffer 1
		.amdhsa_user_sgpr_dispatch_ptr 0
		.amdhsa_user_sgpr_queue_ptr 0
		.amdhsa_user_sgpr_kernarg_segment_ptr 1
		.amdhsa_user_sgpr_dispatch_id 0
		.amdhsa_user_sgpr_flat_scratch_init 0
		.amdhsa_user_sgpr_private_segment_size 0
		.amdhsa_wavefront_size32 1
		.amdhsa_uses_dynamic_stack 0
		.amdhsa_system_sgpr_private_segment_wavefront_offset 0
		.amdhsa_system_sgpr_workgroup_id_x 1
		.amdhsa_system_sgpr_workgroup_id_y 0
		.amdhsa_system_sgpr_workgroup_id_z 1
		.amdhsa_system_sgpr_workgroup_info 0
		.amdhsa_system_vgpr_workitem_id 1
		.amdhsa_next_free_vgpr 56
		.amdhsa_next_free_sgpr 43
		.amdhsa_reserve_vcc 1
		.amdhsa_reserve_flat_scratch 0
		.amdhsa_float_round_mode_32 0
		.amdhsa_float_round_mode_16_64 0
		.amdhsa_float_denorm_mode_32 3
		.amdhsa_float_denorm_mode_16_64 3
		.amdhsa_dx10_clamp 1
		.amdhsa_ieee_mode 1
		.amdhsa_fp16_overflow 0
		.amdhsa_workgroup_processor_mode 1
		.amdhsa_memory_ordered 1
		.amdhsa_forward_progress 1
		.amdhsa_shared_vgpr_count 0
		.amdhsa_exception_fp_ieee_invalid_op 0
		.amdhsa_exception_fp_denorm_src 0
		.amdhsa_exception_fp_ieee_div_zero 0
		.amdhsa_exception_fp_ieee_overflow 0
		.amdhsa_exception_fp_ieee_underflow 0
		.amdhsa_exception_fp_ieee_inexact 0
		.amdhsa_exception_int_div_zero 0
	.end_amdhsa_kernel
	.section	.text._ZL20rocblas_gemvn_kernelILi64ELi4ElDF16_fDF16_EviiT3_lPKT2_lT1_lS3_lS4_lS0_lPT4_lS4_li,"axG",@progbits,_ZL20rocblas_gemvn_kernelILi64ELi4ElDF16_fDF16_EviiT3_lPKT2_lT1_lS3_lS4_lS0_lPT4_lS4_li,comdat
.Lfunc_end385:
	.size	_ZL20rocblas_gemvn_kernelILi64ELi4ElDF16_fDF16_EviiT3_lPKT2_lT1_lS3_lS4_lS0_lPT4_lS4_li, .Lfunc_end385-_ZL20rocblas_gemvn_kernelILi64ELi4ElDF16_fDF16_EviiT3_lPKT2_lT1_lS3_lS4_lS0_lPT4_lS4_li
                                        ; -- End function
	.set _ZL20rocblas_gemvn_kernelILi64ELi4ElDF16_fDF16_EviiT3_lPKT2_lT1_lS3_lS4_lS0_lPT4_lS4_li.num_vgpr, 56
	.set _ZL20rocblas_gemvn_kernelILi64ELi4ElDF16_fDF16_EviiT3_lPKT2_lT1_lS3_lS4_lS0_lPT4_lS4_li.num_agpr, 0
	.set _ZL20rocblas_gemvn_kernelILi64ELi4ElDF16_fDF16_EviiT3_lPKT2_lT1_lS3_lS4_lS0_lPT4_lS4_li.numbered_sgpr, 43
	.set _ZL20rocblas_gemvn_kernelILi64ELi4ElDF16_fDF16_EviiT3_lPKT2_lT1_lS3_lS4_lS0_lPT4_lS4_li.num_named_barrier, 0
	.set _ZL20rocblas_gemvn_kernelILi64ELi4ElDF16_fDF16_EviiT3_lPKT2_lT1_lS3_lS4_lS0_lPT4_lS4_li.private_seg_size, 0
	.set _ZL20rocblas_gemvn_kernelILi64ELi4ElDF16_fDF16_EviiT3_lPKT2_lT1_lS3_lS4_lS0_lPT4_lS4_li.uses_vcc, 1
	.set _ZL20rocblas_gemvn_kernelILi64ELi4ElDF16_fDF16_EviiT3_lPKT2_lT1_lS3_lS4_lS0_lPT4_lS4_li.uses_flat_scratch, 0
	.set _ZL20rocblas_gemvn_kernelILi64ELi4ElDF16_fDF16_EviiT3_lPKT2_lT1_lS3_lS4_lS0_lPT4_lS4_li.has_dyn_sized_stack, 0
	.set _ZL20rocblas_gemvn_kernelILi64ELi4ElDF16_fDF16_EviiT3_lPKT2_lT1_lS3_lS4_lS0_lPT4_lS4_li.has_recursion, 0
	.set _ZL20rocblas_gemvn_kernelILi64ELi4ElDF16_fDF16_EviiT3_lPKT2_lT1_lS3_lS4_lS0_lPT4_lS4_li.has_indirect_call, 0
	.section	.AMDGPU.csdata,"",@progbits
; Kernel info:
; codeLenInByte = 3172
; TotalNumSgprs: 45
; NumVgprs: 56
; ScratchSize: 0
; MemoryBound: 0
; FloatMode: 240
; IeeeMode: 1
; LDSByteSize: 4096 bytes/workgroup (compile time only)
; SGPRBlocks: 0
; VGPRBlocks: 6
; NumSGPRsForWavesPerEU: 45
; NumVGPRsForWavesPerEU: 56
; Occupancy: 16
; WaveLimiterHint : 1
; COMPUTE_PGM_RSRC2:SCRATCH_EN: 0
; COMPUTE_PGM_RSRC2:USER_SGPR: 6
; COMPUTE_PGM_RSRC2:TRAP_HANDLER: 0
; COMPUTE_PGM_RSRC2:TGID_X_EN: 1
; COMPUTE_PGM_RSRC2:TGID_Y_EN: 0
; COMPUTE_PGM_RSRC2:TGID_Z_EN: 1
; COMPUTE_PGM_RSRC2:TIDIG_COMP_CNT: 1
	.section	.text._ZL20rocblas_gemvn_kernelILi32ELi16EiDF16_PKfDF16_EviiT3_lPKT2_lT1_lS5_lS6_lS2_lPT4_lS6_li,"axG",@progbits,_ZL20rocblas_gemvn_kernelILi32ELi16EiDF16_PKfDF16_EviiT3_lPKT2_lT1_lS5_lS6_lS2_lPT4_lS6_li,comdat
	.globl	_ZL20rocblas_gemvn_kernelILi32ELi16EiDF16_PKfDF16_EviiT3_lPKT2_lT1_lS5_lS6_lS2_lPT4_lS6_li ; -- Begin function _ZL20rocblas_gemvn_kernelILi32ELi16EiDF16_PKfDF16_EviiT3_lPKT2_lT1_lS5_lS6_lS2_lPT4_lS6_li
	.p2align	8
	.type	_ZL20rocblas_gemvn_kernelILi32ELi16EiDF16_PKfDF16_EviiT3_lPKT2_lT1_lS5_lS6_lS2_lPT4_lS6_li,@function
_ZL20rocblas_gemvn_kernelILi32ELi16EiDF16_PKfDF16_EviiT3_lPKT2_lT1_lS5_lS6_lS2_lPT4_lS6_li: ; @_ZL20rocblas_gemvn_kernelILi32ELi16EiDF16_PKfDF16_EviiT3_lPKT2_lT1_lS5_lS6_lS2_lPT4_lS6_li
; %bb.0:
	s_load_dwordx2 s[0:1], s[4:5], 0x9c
	s_waitcnt lgkmcnt(0)
	s_lshr_b32 s2, s0, 16
	s_and_b32 s0, s0, 0xffff
	s_and_b32 s1, s1, 0xffff
	s_mul_i32 s0, s2, s0
	s_mul_i32 s0, s0, s1
	s_cmpk_lg_i32 s0, 0x200
	s_cbranch_scc1 .LBB386_50
; %bb.1:
	s_clause 0x1
	s_load_dwordx8 s[16:23], s[4:5], 0x8
	s_load_dwordx8 s[8:15], s[4:5], 0x50
	s_waitcnt lgkmcnt(0)
	s_mul_i32 s1, s19, s7
	s_mul_hi_u32 s2, s18, s7
	s_mul_i32 s0, s18, s7
	s_add_i32 s1, s2, s1
	s_mul_i32 s2, s13, s7
	s_lshl_b64 s[0:1], s[0:1], 2
	s_mul_hi_u32 s3, s12, s7
	s_add_u32 s0, s16, s0
	s_addc_u32 s1, s17, s1
	s_add_i32 s3, s3, s2
	s_mul_i32 s2, s12, s7
	s_mov_b32 s18, 0
	s_lshl_b64 s[2:3], s[2:3], 2
	s_add_u32 s2, s10, s2
	s_addc_u32 s3, s11, s3
	s_load_dword s17, s[0:1], 0x0
	s_load_dword s16, s[2:3], 0x0
	s_waitcnt lgkmcnt(0)
	v_cmp_eq_f32_e64 s0, s17, 0
	v_cmp_eq_f32_e64 s1, s16, 1.0
	s_and_b32 s0, s0, s1
	s_and_b32 vcc_lo, exec_lo, s0
	s_cbranch_vccnz .LBB386_50
; %bb.2:
	s_clause 0x3
	s_load_dwordx2 s[0:1], s[4:5], 0x80
	s_load_dwordx2 s[2:3], s[4:5], 0x70
	s_load_dword s19, s[4:5], 0x78
	s_load_dwordx2 s[10:11], s[4:5], 0x0
	v_lshlrev_b32_e32 v14, 5, v1
	v_cmp_neq_f32_e64 s24, s17, 0
	v_add_nc_u32_e32 v13, v14, v0
	s_waitcnt lgkmcnt(0)
	s_mul_i32 s1, s1, s7
	s_mul_hi_u32 s12, s0, s7
	s_mul_i32 s0, s0, s7
	s_add_i32 s1, s12, s1
	s_lshl_b64 s[0:1], s[0:1], 1
	s_add_u32 s12, s14, s0
	s_addc_u32 s13, s15, s1
	s_lshl_b64 s[0:1], s[2:3], 1
	s_add_u32 s12, s12, s0
	v_cmp_gt_u32_e64 s0, 0x80, v13
	s_addc_u32 s13, s13, s1
	s_and_b32 vcc_lo, exec_lo, s24
	s_cbranch_vccnz .LBB386_9
; %bb.3:
	s_mov_b32 s1, 0
                                        ; implicit-def: $vgpr5
                                        ; implicit-def: $vgpr2_vgpr3
	s_and_saveexec_b32 s2, s0
	s_cbranch_execz .LBB386_10
; %bb.4:
	v_lshl_or_b32 v4, s6, 7, v13
	v_mov_b32_e32 v5, 0
	s_ashr_i32 s15, s10, 31
	s_mov_b32 s14, s10
	s_mov_b32 s3, 0
	s_mov_b32 s0, exec_lo
                                        ; implicit-def: $vgpr2_vgpr3
	v_cmpx_gt_i64_e64 s[14:15], v[4:5]
	s_cbranch_execz .LBB386_8
; %bb.5:
	v_mad_u64_u32 v[2:3], null, s19, v4, 0
	s_ashr_i32 s3, s19, 31
	v_mad_u64_u32 v[3:4], null, s3, v4, v[3:4]
	v_cmp_eq_f32_e64 s3, s16, 0
	s_and_b32 vcc_lo, exec_lo, s3
	s_cbranch_vccnz .LBB386_7
; %bb.6:
	v_lshlrev_b64 v[4:5], 1, v[2:3]
	v_add_co_u32 v4, vcc_lo, s12, v4
	v_add_co_ci_u32_e64 v5, null, s13, v5, vcc_lo
	global_load_ushort v4, v[4:5], off
	s_waitcnt vmcnt(0)
	v_fma_mixlo_f16 v5, s16, v4, 0 op_sel_hi:[0,1,0]
.LBB386_7:
	s_mov_b32 s3, exec_lo
.LBB386_8:
	s_or_b32 exec_lo, exec_lo, s0
	s_and_b32 s18, s3, exec_lo
	s_or_b32 exec_lo, exec_lo, s2
	s_and_b32 vcc_lo, exec_lo, s1
	s_cbranch_vccnz .LBB386_11
	s_branch .LBB386_48
.LBB386_9:
                                        ; implicit-def: $vgpr5
                                        ; implicit-def: $vgpr2_vgpr3
	s_cbranch_execnz .LBB386_11
	s_branch .LBB386_48
.LBB386_10:
	s_or_b32 exec_lo, exec_lo, s2
	s_and_b32 vcc_lo, exec_lo, s1
	s_cbranch_vccz .LBB386_48
.LBB386_11:
	s_clause 0x3
	s_load_dwordx4 s[0:3], s[4:5], 0x30
	s_load_dword s14, s[4:5], 0x28
	s_load_dwordx2 s[24:25], s[4:5], 0x40
	s_load_dword s4, s[4:5], 0x48
	s_mul_i32 s9, s9, s7
	v_lshlrev_b32_e32 v20, 2, v1
	v_mov_b32_e32 v19, 0
	v_mov_b32_e32 v18, 0
	;; [unrolled: 1-line block ×4, first 2 shown]
	s_waitcnt lgkmcnt(0)
	s_mul_i32 s1, s1, s7
	s_mul_hi_u32 s15, s0, s7
	s_mul_i32 s0, s0, s7
	s_add_i32 s1, s15, s1
	s_mul_hi_u32 s15, s8, s7
	s_lshl_b64 s[0:1], s[0:1], 1
	s_add_u32 s26, s20, s0
	s_addc_u32 s21, s21, s1
	s_lshl_b64 s[0:1], s[22:23], 1
	s_mul_i32 s20, s8, s7
	s_add_u32 s7, s26, s0
	s_addc_u32 s8, s21, s1
	s_add_i32 s21, s15, s9
	s_lshl_b64 s[0:1], s[20:21], 1
	s_mov_b32 s20, exec_lo
	s_add_u32 s2, s2, s0
	s_addc_u32 s3, s3, s1
	s_lshl_b64 s[0:1], s[24:25], 1
	s_add_u32 s9, s2, s0
	s_addc_u32 s15, s3, s1
	s_ashr_i32 s0, s11, 31
	s_lshl_b32 s5, s6, 7
	s_lshr_b32 s0, s0, 26
	v_add_nc_u32_e32 v17, s5, v0
	s_add_i32 s0, s11, s0
	s_and_b32 s6, s0, 0xffffffc0
	v_cmpx_gt_i32_e64 s6, v20
	s_cbranch_execz .LBB386_23
; %bb.12:
	v_add_nc_u32_e32 v5, 0x60, v17
	v_mul_lo_u32 v3, s14, v20
	v_add_nc_u32_e32 v2, 32, v17
	v_add_nc_u32_e32 v6, 2, v20
	;; [unrolled: 1-line block ×3, first 2 shown]
	v_cmp_gt_i32_e64 s2, s10, v5
	v_mul_lo_u32 v5, v1, s14
	v_add_nc_u32_e32 v7, 3, v20
	v_mul_lo_u32 v8, v1, s4
	v_cmp_gt_i32_e64 s0, s10, v2
	v_add3_u32 v21, v3, s14, v0
	v_mad_u64_u32 v[2:3], null, s14, v6, v[0:1]
	v_cmp_gt_i32_e64 s1, s10, v4
	v_mad_u64_u32 v[3:4], null, s14, v7, v[0:1]
	v_lshl_add_u32 v22, v5, 2, v0
	v_mad_u64_u32 v[4:5], null, s4, v20, s[4:5]
	v_mul_lo_u32 v23, s4, v6
	v_mul_lo_u32 v24, s4, v7
	v_lshlrev_b32_e32 v25, 2, v8
	v_mov_b32_e32 v19, 0
	v_mov_b32_e32 v18, 0
	;; [unrolled: 1-line block ×4, first 2 shown]
	s_lshl_b32 s21, s14, 6
	s_lshl_b32 s23, s4, 6
	s_mov_b32 s22, 0
	s_mov_b32 s24, 0
	v_cmp_gt_i32_e32 vcc_lo, s10, v17
	s_branch .LBB386_17
.LBB386_13:                             ;   in Loop: Header=BB386_17 Depth=1
	s_or_b32 exec_lo, exec_lo, s27
	s_waitcnt vmcnt(3)
	v_fma_mix_f32 v5, v38, v42, v16 op_sel_hi:[0,1,0]
	s_waitcnt vmcnt(2)
	v_fma_mix_f32 v5, v39, v43, v5 op_sel_hi:[0,1,0]
	;; [unrolled: 2-line block ×4, first 2 shown]
.LBB386_14:                             ;   in Loop: Header=BB386_17 Depth=1
	s_or_b32 exec_lo, exec_lo, s26
	s_waitcnt vmcnt(3)
	v_fma_mix_f32 v5, v38, v34, v18 op_sel_hi:[0,1,0]
	s_waitcnt vmcnt(2)
	v_fma_mix_f32 v5, v39, v35, v5 op_sel_hi:[0,1,0]
	;; [unrolled: 2-line block ×4, first 2 shown]
.LBB386_15:                             ;   in Loop: Header=BB386_17 Depth=1
	s_or_b32 exec_lo, exec_lo, s3
	s_waitcnt vmcnt(3)
	v_fma_mix_f32 v5, v26, v30, v19 op_sel_hi:[1,1,0]
	s_waitcnt vmcnt(2)
	v_fma_mix_f32 v5, v27, v31, v5 op_sel_hi:[1,1,0]
	;; [unrolled: 2-line block ×4, first 2 shown]
.LBB386_16:                             ;   in Loop: Header=BB386_17 Depth=1
	s_or_b32 exec_lo, exec_lo, s25
	v_add_nc_u32_e32 v20, 64, v20
	v_add_nc_u32_e32 v21, s21, v21
	;; [unrolled: 1-line block ×5, first 2 shown]
	v_cmp_le_i32_e64 s3, s6, v20
	s_add_i32 s24, s24, s23
	s_or_b32 s22, s3, s22
	s_andn2_b32 exec_lo, exec_lo, s22
	s_cbranch_execz .LBB386_22
.LBB386_17:                             ; =>This Inner Loop Header: Depth=1
	s_and_saveexec_b32 s25, vcc_lo
	s_cbranch_execz .LBB386_16
; %bb.18:                               ;   in Loop: Header=BB386_17 Depth=1
	v_add_nc_u32_e32 v5, s24, v25
	v_add_nc_u32_e32 v7, s24, v4
	;; [unrolled: 1-line block ×5, first 2 shown]
	v_ashrrev_i32_e32 v6, 31, v5
	v_ashrrev_i32_e32 v8, 31, v7
	;; [unrolled: 1-line block ×5, first 2 shown]
	v_lshlrev_b64 v[5:6], 1, v[5:6]
	v_lshlrev_b64 v[7:8], 1, v[7:8]
	;; [unrolled: 1-line block ×3, first 2 shown]
	v_add_co_u32 v28, s3, s9, v5
	v_add_co_ci_u32_e64 v29, null, s15, v6, s3
	v_add_co_u32 v30, s3, s9, v7
	v_add_nc_u32_e32 v7, s5, v21
	v_add_co_ci_u32_e64 v31, null, s15, v8, s3
	v_lshlrev_b64 v[5:6], 1, v[11:12]
	v_add_co_u32 v32, s3, s9, v9
	v_add_nc_u32_e32 v11, s5, v2
	v_add_co_ci_u32_e64 v33, null, s15, v10, s3
	v_lshlrev_b64 v[9:10], 1, v[26:27]
	v_add_nc_u32_e32 v26, s5, v3
	v_ashrrev_i32_e32 v8, 31, v7
	v_ashrrev_i32_e32 v12, 31, v11
	v_add_co_u32 v34, s3, s9, v5
	v_ashrrev_i32_e32 v27, 31, v26
	v_add_co_ci_u32_e64 v35, null, s15, v6, s3
	v_lshlrev_b64 v[7:8], 1, v[7:8]
	v_add_co_u32 v5, s3, s7, v9
	v_add_co_ci_u32_e64 v6, null, s8, v10, s3
	v_lshlrev_b64 v[9:10], 1, v[11:12]
	v_lshlrev_b64 v[11:12], 1, v[26:27]
	v_add_co_u32 v7, s3, s7, v7
	v_add_co_ci_u32_e64 v8, null, s8, v8, s3
	v_add_co_u32 v9, s3, s7, v9
	v_add_co_ci_u32_e64 v10, null, s8, v10, s3
	;; [unrolled: 2-line block ×3, first 2 shown]
	s_clause 0x3
	global_load_ushort v26, v[28:29], off
	global_load_ushort v27, v[30:31], off
	;; [unrolled: 1-line block ×4, first 2 shown]
	s_clause 0x3
	global_load_ushort v30, v[5:6], off
	global_load_ushort v31, v[7:8], off
	;; [unrolled: 1-line block ×4, first 2 shown]
	s_and_saveexec_b32 s3, s0
	s_cbranch_execz .LBB386_15
; %bb.19:                               ;   in Loop: Header=BB386_17 Depth=1
	s_clause 0x3
	global_load_ushort v34, v[5:6], off offset:64
	global_load_ushort v35, v[7:8], off offset:64
	;; [unrolled: 1-line block ×4, first 2 shown]
	s_waitcnt vmcnt(11)
	v_cvt_f32_f16_e32 v38, v26
	s_waitcnt vmcnt(10)
	v_cvt_f32_f16_e32 v39, v27
	s_waitcnt vmcnt(9)
	v_cvt_f32_f16_e32 v40, v28
	s_waitcnt vmcnt(8)
	v_cvt_f32_f16_e32 v41, v29
	s_and_saveexec_b32 s26, s1
	s_cbranch_execz .LBB386_14
; %bb.20:                               ;   in Loop: Header=BB386_17 Depth=1
	s_clause 0x3
	global_load_ushort v42, v[5:6], off offset:128
	global_load_ushort v43, v[7:8], off offset:128
	;; [unrolled: 1-line block ×4, first 2 shown]
	s_and_saveexec_b32 s27, s2
	s_cbranch_execz .LBB386_13
; %bb.21:                               ;   in Loop: Header=BB386_17 Depth=1
	s_clause 0x3
	global_load_ushort v5, v[5:6], off offset:192
	global_load_ushort v6, v[7:8], off offset:192
	;; [unrolled: 1-line block ×4, first 2 shown]
	s_waitcnt vmcnt(3)
	v_fma_mix_f32 v5, v38, v5, v15 op_sel_hi:[0,1,0]
	s_waitcnt vmcnt(2)
	v_fma_mix_f32 v5, v39, v6, v5 op_sel_hi:[0,1,0]
	;; [unrolled: 2-line block ×4, first 2 shown]
	s_branch .LBB386_13
.LBB386_22:
	s_or_b32 exec_lo, exec_lo, s22
.LBB386_23:
	s_or_b32 exec_lo, exec_lo, s20
	s_sub_i32 s0, s11, s6
	s_cmp_lt_i32 s0, 1
	s_cbranch_scc1 .LBB386_41
; %bb.24:
	v_cmp_gt_i32_e32 vcc_lo, s11, v20
	v_mov_b32_e32 v10, 0
	v_or_b32_e32 v2, 1, v20
	v_mov_b32_e32 v11, 0
	v_mov_b32_e32 v12, 0
	;; [unrolled: 1-line block ×3, first 2 shown]
	s_and_saveexec_b32 s1, vcc_lo
	s_cbranch_execz .LBB386_32
; %bb.25:
	v_mul_lo_u32 v3, v20, s4
	v_mov_b32_e32 v12, 0
	v_mov_b32_e32 v11, 0
	;; [unrolled: 1-line block ×3, first 2 shown]
	s_mov_b32 s2, exec_lo
	v_ashrrev_i32_e32 v4, 31, v3
	v_lshlrev_b64 v[3:4], 1, v[3:4]
	v_add_co_u32 v3, s0, s9, v3
	v_add_co_ci_u32_e64 v4, null, s15, v4, s0
	global_load_ushort v3, v[3:4], off
	v_cmpx_gt_i32_e64 s11, v2
	s_cbranch_execz .LBB386_31
; %bb.26:
	v_mul_lo_u32 v4, v2, s4
	v_mov_b32_e32 v11, 0
	v_mov_b32_e32 v10, 0
	s_mov_b32 s3, exec_lo
	v_ashrrev_i32_e32 v5, 31, v4
	v_lshlrev_b64 v[4:5], 1, v[4:5]
	v_add_co_u32 v4, s0, s9, v4
	v_add_co_ci_u32_e64 v5, null, s15, v5, s0
	global_load_ushort v4, v[4:5], off
	v_or_b32_e32 v5, 2, v20
	v_cmpx_gt_i32_e64 s11, v5
	s_cbranch_execz .LBB386_30
; %bb.27:
	v_mul_lo_u32 v5, v5, s4
	v_mov_b32_e32 v10, 0
	s_mov_b32 s6, exec_lo
	v_ashrrev_i32_e32 v6, 31, v5
	v_lshlrev_b64 v[5:6], 1, v[5:6]
	v_add_co_u32 v5, s0, s9, v5
	v_add_co_ci_u32_e64 v6, null, s15, v6, s0
	global_load_ushort v5, v[5:6], off
	v_or_b32_e32 v6, 3, v20
	v_cmpx_gt_i32_e64 s11, v6
	s_cbranch_execz .LBB386_29
; %bb.28:
	v_mul_lo_u32 v6, v6, s4
	v_ashrrev_i32_e32 v7, 31, v6
	v_lshlrev_b64 v[6:7], 1, v[6:7]
	v_add_co_u32 v6, s0, s9, v6
	v_add_co_ci_u32_e64 v7, null, s15, v7, s0
	global_load_ushort v6, v[6:7], off
	s_waitcnt vmcnt(0)
	v_cvt_f32_f16_e32 v10, v6
.LBB386_29:
	s_or_b32 exec_lo, exec_lo, s6
	s_waitcnt vmcnt(0)
	v_cvt_f32_f16_e32 v11, v5
.LBB386_30:
	s_or_b32 exec_lo, exec_lo, s3
	s_waitcnt vmcnt(0)
	v_cvt_f32_f16_e32 v12, v4
.LBB386_31:
	s_or_b32 exec_lo, exec_lo, s2
	s_waitcnt vmcnt(0)
	v_cvt_f32_f16_e32 v21, v3
.LBB386_32:
	s_or_b32 exec_lo, exec_lo, s1
	s_mov_b32 s1, exec_lo
	v_cmpx_gt_i32_e64 s10, v17
	s_cbranch_execz .LBB386_40
; %bb.33:
	v_mul_lo_u32 v3, v20, s14
	v_or_b32_e32 v4, 2, v20
	v_mul_lo_u32 v5, v2, s14
	v_or_b32_e32 v6, 3, v20
	s_mov_b32 s0, exec_lo
	v_mul_lo_u32 v7, v4, s14
	v_mul_lo_u32 v8, v6, s14
	v_cndmask_b32_e32 v3, 0, v3, vcc_lo
	v_cmp_gt_i32_e32 vcc_lo, s11, v2
	v_add_nc_u32_e32 v2, v3, v17
	v_cndmask_b32_e32 v5, 0, v5, vcc_lo
	v_cmp_gt_i32_e32 vcc_lo, s11, v4
	v_ashrrev_i32_e32 v3, 31, v2
	v_add_nc_u32_e32 v4, v5, v17
	v_cndmask_b32_e32 v7, 0, v7, vcc_lo
	v_cmp_gt_i32_e32 vcc_lo, s11, v6
	v_lshlrev_b64 v[2:3], 1, v[2:3]
	v_ashrrev_i32_e32 v5, 31, v4
	v_add_nc_u32_e32 v6, v7, v17
	v_cndmask_b32_e32 v8, 0, v8, vcc_lo
	v_lshlrev_b64 v[4:5], 1, v[4:5]
	v_ashrrev_i32_e32 v7, 31, v6
	v_add_nc_u32_e32 v8, v8, v17
	v_add_co_u32 v2, vcc_lo, s7, v2
	v_add_co_ci_u32_e64 v3, null, s8, v3, vcc_lo
	v_lshlrev_b64 v[6:7], 1, v[6:7]
	v_ashrrev_i32_e32 v9, 31, v8
	v_add_co_u32 v4, vcc_lo, s7, v4
	v_add_co_ci_u32_e64 v5, null, s8, v5, vcc_lo
	global_load_ushort v22, v[2:3], off
	v_add_co_u32 v6, vcc_lo, s7, v6
	v_add_co_ci_u32_e64 v7, null, s8, v7, vcc_lo
	v_lshlrev_b64 v[8:9], 1, v[8:9]
	s_clause 0x1
	global_load_ushort v23, v[4:5], off
	global_load_ushort v24, v[6:7], off
	v_add_co_u32 v8, vcc_lo, s7, v8
	v_add_co_ci_u32_e64 v9, null, s8, v9, vcc_lo
	global_load_ushort v20, v[8:9], off
	s_waitcnt vmcnt(3)
	v_fma_mix_f32 v19, v21, v22, v19 op_sel_hi:[0,1,0]
	v_add_nc_u32_e32 v22, 32, v17
	s_waitcnt vmcnt(2)
	v_fma_mix_f32 v19, v12, v23, v19 op_sel_hi:[0,1,0]
	s_waitcnt vmcnt(1)
	v_fma_mix_f32 v19, v11, v24, v19 op_sel_hi:[0,1,0]
	v_cmpx_gt_i32_e64 s10, v22
	s_cbranch_execz .LBB386_39
; %bb.34:
	s_clause 0x3
	global_load_ushort v23, v[2:3], off offset:64
	global_load_ushort v24, v[4:5], off offset:64
	;; [unrolled: 1-line block ×4, first 2 shown]
	s_mov_b32 s2, exec_lo
	s_waitcnt vmcnt(3)
	v_fma_mix_f32 v18, v21, v23, v18 op_sel_hi:[0,1,0]
	v_add_nc_u32_e32 v23, 64, v17
	s_waitcnt vmcnt(2)
	v_fma_mix_f32 v18, v12, v24, v18 op_sel_hi:[0,1,0]
	s_waitcnt vmcnt(1)
	v_fma_mix_f32 v18, v11, v25, v18 op_sel_hi:[0,1,0]
	v_cmpx_gt_i32_e64 s10, v23
	s_cbranch_execz .LBB386_38
; %bb.35:
	s_clause 0x3
	global_load_ushort v24, v[2:3], off offset:128
	global_load_ushort v25, v[4:5], off offset:128
	;; [unrolled: 1-line block ×4, first 2 shown]
	v_add_nc_u32_e32 v17, 0x60, v17
	s_mov_b32 s3, exec_lo
	s_waitcnt vmcnt(3)
	v_fma_mix_f32 v16, v21, v24, v16 op_sel_hi:[0,1,0]
	s_waitcnt vmcnt(2)
	v_fma_mix_f32 v16, v12, v25, v16 op_sel_hi:[0,1,0]
	;; [unrolled: 2-line block ×3, first 2 shown]
	v_cmpx_gt_i32_e64 s10, v17
	s_cbranch_execz .LBB386_37
; %bb.36:
	s_clause 0x3
	global_load_ushort v2, v[2:3], off offset:192
	global_load_ushort v3, v[4:5], off offset:192
	;; [unrolled: 1-line block ×4, first 2 shown]
	s_waitcnt vmcnt(3)
	v_fma_mix_f32 v2, v21, v2, v15 op_sel_hi:[0,1,0]
	s_waitcnt vmcnt(2)
	v_fma_mix_f32 v2, v12, v3, v2 op_sel_hi:[0,1,0]
	;; [unrolled: 2-line block ×4, first 2 shown]
.LBB386_37:
	s_or_b32 exec_lo, exec_lo, s3
	s_waitcnt vmcnt(0)
	v_fma_mix_f32 v16, v10, v23, v16 op_sel_hi:[0,1,0]
.LBB386_38:
	s_or_b32 exec_lo, exec_lo, s2
	s_waitcnt vmcnt(0)
	v_fma_mix_f32 v18, v10, v22, v18 op_sel_hi:[0,1,0]
.LBB386_39:
	s_or_b32 exec_lo, exec_lo, s0
	s_waitcnt vmcnt(0)
	v_fma_mix_f32 v19, v10, v20, v19 op_sel_hi:[0,1,0]
.LBB386_40:
	s_or_b32 exec_lo, exec_lo, s1
.LBB386_41:
	v_lshlrev_b32_e32 v0, 2, v0
	s_mov_b32 s0, exec_lo
                                        ; implicit-def: $vgpr5
                                        ; implicit-def: $vgpr2_vgpr3
	v_lshl_add_u32 v1, v1, 9, v0
	ds_write2_b32 v1, v19, v18 offset1:32
	ds_write2_b32 v1, v16, v15 offset0:64 offset1:96
	s_waitcnt lgkmcnt(0)
	s_barrier
	buffer_gl0_inv
	v_cmpx_gt_u32_e32 0x80, v13
	s_cbranch_execz .LBB386_47
; %bb.42:
	v_lshl_add_u32 v6, v14, 2, v0
	s_mov_b32 s2, s18
	s_mov_b32 s1, exec_lo
	ds_read2st64_b32 v[0:1], v6 offset1:2
	ds_read2st64_b32 v[2:3], v6 offset0:4 offset1:6
	ds_read2st64_b32 v[4:5], v6 offset0:8 offset1:10
	s_waitcnt lgkmcnt(2)
	v_add_f32_e32 v7, v0, v1
	ds_read2st64_b32 v[0:1], v6 offset0:12 offset1:14
	s_waitcnt lgkmcnt(2)
	v_add_f32_e32 v2, v2, v7
	v_add_f32_e32 v7, v3, v2
	ds_read2st64_b32 v[2:3], v6 offset0:16 offset1:18
	s_waitcnt lgkmcnt(2)
	v_add_f32_e32 v4, v4, v7
	;; [unrolled: 4-line block ×3, first 2 shown]
	v_add_f32_e32 v0, v1, v0
	s_waitcnt lgkmcnt(1)
	v_add_f32_e32 v2, v2, v0
	ds_read2st64_b32 v[0:1], v6 offset0:24 offset1:26
	v_add_f32_e32 v2, v3, v2
	s_waitcnt lgkmcnt(1)
	v_add_f32_e32 v4, v4, v2
	ds_read2st64_b32 v[2:3], v6 offset0:28 offset1:30
	v_add_f32_e32 v4, v5, v4
                                        ; implicit-def: $vgpr5
	s_waitcnt lgkmcnt(1)
	v_add_f32_e32 v0, v0, v4
	v_add_f32_e32 v0, v1, v0
	v_or_b32_e32 v1, s5, v13
	s_waitcnt lgkmcnt(0)
	v_add_f32_e32 v0, v2, v0
	v_add_f32_e32 v0, v3, v0
                                        ; implicit-def: $vgpr2_vgpr3
	ds_write_b32 v6, v0
	v_cmpx_gt_i32_e64 s10, v1
	s_cbranch_execz .LBB386_46
; %bb.43:
	v_mul_lo_u32 v2, s19, v1
	v_cmp_eq_f32_e64 s2, s16, 0
	v_mul_f32_e32 v0, s17, v0
	s_and_b32 vcc_lo, exec_lo, s2
	v_ashrrev_i32_e32 v3, 31, v2
	s_cbranch_vccnz .LBB386_45
; %bb.44:
	v_lshlrev_b64 v[4:5], 1, v[2:3]
	v_add_co_u32 v4, vcc_lo, s12, v4
	v_add_co_ci_u32_e64 v5, null, s13, v5, vcc_lo
	global_load_ushort v1, v[4:5], off
	s_waitcnt vmcnt(0)
	v_fma_mix_f32 v0, s16, v1, v0 op_sel_hi:[0,1,0]
.LBB386_45:
	v_cvt_f16_f32_e32 v5, v0
	s_or_b32 s2, s18, exec_lo
.LBB386_46:
	s_or_b32 exec_lo, exec_lo, s1
	s_andn2_b32 s1, s18, exec_lo
	s_and_b32 s2, s2, exec_lo
	s_or_b32 s18, s1, s2
.LBB386_47:
	s_or_b32 exec_lo, exec_lo, s0
.LBB386_48:
	s_and_saveexec_b32 s0, s18
	s_cbranch_execz .LBB386_50
; %bb.49:
	v_lshlrev_b64 v[0:1], 1, v[2:3]
	v_add_co_u32 v0, vcc_lo, s12, v0
	v_add_co_ci_u32_e64 v1, null, s13, v1, vcc_lo
	global_store_short v[0:1], v5, off
.LBB386_50:
	s_endpgm
	.section	.rodata,"a",@progbits
	.p2align	6, 0x0
	.amdhsa_kernel _ZL20rocblas_gemvn_kernelILi32ELi16EiDF16_PKfDF16_EviiT3_lPKT2_lT1_lS5_lS6_lS2_lPT4_lS6_li
		.amdhsa_group_segment_fixed_size 8192
		.amdhsa_private_segment_fixed_size 0
		.amdhsa_kernarg_size 400
		.amdhsa_user_sgpr_count 6
		.amdhsa_user_sgpr_private_segment_buffer 1
		.amdhsa_user_sgpr_dispatch_ptr 0
		.amdhsa_user_sgpr_queue_ptr 0
		.amdhsa_user_sgpr_kernarg_segment_ptr 1
		.amdhsa_user_sgpr_dispatch_id 0
		.amdhsa_user_sgpr_flat_scratch_init 0
		.amdhsa_user_sgpr_private_segment_size 0
		.amdhsa_wavefront_size32 1
		.amdhsa_uses_dynamic_stack 0
		.amdhsa_system_sgpr_private_segment_wavefront_offset 0
		.amdhsa_system_sgpr_workgroup_id_x 1
		.amdhsa_system_sgpr_workgroup_id_y 0
		.amdhsa_system_sgpr_workgroup_id_z 1
		.amdhsa_system_sgpr_workgroup_info 0
		.amdhsa_system_vgpr_workitem_id 1
		.amdhsa_next_free_vgpr 46
		.amdhsa_next_free_sgpr 28
		.amdhsa_reserve_vcc 1
		.amdhsa_reserve_flat_scratch 0
		.amdhsa_float_round_mode_32 0
		.amdhsa_float_round_mode_16_64 0
		.amdhsa_float_denorm_mode_32 3
		.amdhsa_float_denorm_mode_16_64 3
		.amdhsa_dx10_clamp 1
		.amdhsa_ieee_mode 1
		.amdhsa_fp16_overflow 0
		.amdhsa_workgroup_processor_mode 1
		.amdhsa_memory_ordered 1
		.amdhsa_forward_progress 1
		.amdhsa_shared_vgpr_count 0
		.amdhsa_exception_fp_ieee_invalid_op 0
		.amdhsa_exception_fp_denorm_src 0
		.amdhsa_exception_fp_ieee_div_zero 0
		.amdhsa_exception_fp_ieee_overflow 0
		.amdhsa_exception_fp_ieee_underflow 0
		.amdhsa_exception_fp_ieee_inexact 0
		.amdhsa_exception_int_div_zero 0
	.end_amdhsa_kernel
	.section	.text._ZL20rocblas_gemvn_kernelILi32ELi16EiDF16_PKfDF16_EviiT3_lPKT2_lT1_lS5_lS6_lS2_lPT4_lS6_li,"axG",@progbits,_ZL20rocblas_gemvn_kernelILi32ELi16EiDF16_PKfDF16_EviiT3_lPKT2_lT1_lS5_lS6_lS2_lPT4_lS6_li,comdat
.Lfunc_end386:
	.size	_ZL20rocblas_gemvn_kernelILi32ELi16EiDF16_PKfDF16_EviiT3_lPKT2_lT1_lS5_lS6_lS2_lPT4_lS6_li, .Lfunc_end386-_ZL20rocblas_gemvn_kernelILi32ELi16EiDF16_PKfDF16_EviiT3_lPKT2_lT1_lS5_lS6_lS2_lPT4_lS6_li
                                        ; -- End function
	.set _ZL20rocblas_gemvn_kernelILi32ELi16EiDF16_PKfDF16_EviiT3_lPKT2_lT1_lS5_lS6_lS2_lPT4_lS6_li.num_vgpr, 46
	.set _ZL20rocblas_gemvn_kernelILi32ELi16EiDF16_PKfDF16_EviiT3_lPKT2_lT1_lS5_lS6_lS2_lPT4_lS6_li.num_agpr, 0
	.set _ZL20rocblas_gemvn_kernelILi32ELi16EiDF16_PKfDF16_EviiT3_lPKT2_lT1_lS5_lS6_lS2_lPT4_lS6_li.numbered_sgpr, 28
	.set _ZL20rocblas_gemvn_kernelILi32ELi16EiDF16_PKfDF16_EviiT3_lPKT2_lT1_lS5_lS6_lS2_lPT4_lS6_li.num_named_barrier, 0
	.set _ZL20rocblas_gemvn_kernelILi32ELi16EiDF16_PKfDF16_EviiT3_lPKT2_lT1_lS5_lS6_lS2_lPT4_lS6_li.private_seg_size, 0
	.set _ZL20rocblas_gemvn_kernelILi32ELi16EiDF16_PKfDF16_EviiT3_lPKT2_lT1_lS5_lS6_lS2_lPT4_lS6_li.uses_vcc, 1
	.set _ZL20rocblas_gemvn_kernelILi32ELi16EiDF16_PKfDF16_EviiT3_lPKT2_lT1_lS5_lS6_lS2_lPT4_lS6_li.uses_flat_scratch, 0
	.set _ZL20rocblas_gemvn_kernelILi32ELi16EiDF16_PKfDF16_EviiT3_lPKT2_lT1_lS5_lS6_lS2_lPT4_lS6_li.has_dyn_sized_stack, 0
	.set _ZL20rocblas_gemvn_kernelILi32ELi16EiDF16_PKfDF16_EviiT3_lPKT2_lT1_lS5_lS6_lS2_lPT4_lS6_li.has_recursion, 0
	.set _ZL20rocblas_gemvn_kernelILi32ELi16EiDF16_PKfDF16_EviiT3_lPKT2_lT1_lS5_lS6_lS2_lPT4_lS6_li.has_indirect_call, 0
	.section	.AMDGPU.csdata,"",@progbits
; Kernel info:
; codeLenInByte = 2976
; TotalNumSgprs: 30
; NumVgprs: 46
; ScratchSize: 0
; MemoryBound: 0
; FloatMode: 240
; IeeeMode: 1
; LDSByteSize: 8192 bytes/workgroup (compile time only)
; SGPRBlocks: 0
; VGPRBlocks: 5
; NumSGPRsForWavesPerEU: 30
; NumVGPRsForWavesPerEU: 46
; Occupancy: 16
; WaveLimiterHint : 1
; COMPUTE_PGM_RSRC2:SCRATCH_EN: 0
; COMPUTE_PGM_RSRC2:USER_SGPR: 6
; COMPUTE_PGM_RSRC2:TRAP_HANDLER: 0
; COMPUTE_PGM_RSRC2:TGID_X_EN: 1
; COMPUTE_PGM_RSRC2:TGID_Y_EN: 0
; COMPUTE_PGM_RSRC2:TGID_Z_EN: 1
; COMPUTE_PGM_RSRC2:TIDIG_COMP_CNT: 1
	.section	.text._ZL20rocblas_gemvn_kernelILi32ELi16ElDF16_PKfDF16_EviiT3_lPKT2_lT1_lS5_lS6_lS2_lPT4_lS6_li,"axG",@progbits,_ZL20rocblas_gemvn_kernelILi32ELi16ElDF16_PKfDF16_EviiT3_lPKT2_lT1_lS5_lS6_lS2_lPT4_lS6_li,comdat
	.globl	_ZL20rocblas_gemvn_kernelILi32ELi16ElDF16_PKfDF16_EviiT3_lPKT2_lT1_lS5_lS6_lS2_lPT4_lS6_li ; -- Begin function _ZL20rocblas_gemvn_kernelILi32ELi16ElDF16_PKfDF16_EviiT3_lPKT2_lT1_lS5_lS6_lS2_lPT4_lS6_li
	.p2align	8
	.type	_ZL20rocblas_gemvn_kernelILi32ELi16ElDF16_PKfDF16_EviiT3_lPKT2_lT1_lS5_lS6_lS2_lPT4_lS6_li,@function
_ZL20rocblas_gemvn_kernelILi32ELi16ElDF16_PKfDF16_EviiT3_lPKT2_lT1_lS5_lS6_lS2_lPT4_lS6_li: ; @_ZL20rocblas_gemvn_kernelILi32ELi16ElDF16_PKfDF16_EviiT3_lPKT2_lT1_lS5_lS6_lS2_lPT4_lS6_li
; %bb.0:
	s_load_dwordx2 s[0:1], s[4:5], 0x9c
	s_waitcnt lgkmcnt(0)
	s_lshr_b32 s2, s0, 16
	s_and_b32 s0, s0, 0xffff
	s_and_b32 s1, s1, 0xffff
	s_mul_i32 s0, s2, s0
	s_mul_i32 s0, s0, s1
	s_cmpk_lg_i32 s0, 0x200
	s_cbranch_scc1 .LBB387_50
; %bb.1:
	s_clause 0x1
	s_load_dwordx16 s[36:51], s[4:5], 0x8
	s_load_dwordx16 s[8:23], s[4:5], 0x48
	s_mov_b32 s26, 0
	s_waitcnt lgkmcnt(0)
	s_mul_i32 s1, s39, s7
	s_mul_hi_u32 s2, s38, s7
	s_mul_i32 s0, s38, s7
	s_add_i32 s1, s2, s1
	s_mul_i32 s2, s15, s7
	s_lshl_b64 s[0:1], s[0:1], 2
	s_mul_hi_u32 s3, s14, s7
	s_add_u32 s0, s36, s0
	s_addc_u32 s1, s37, s1
	s_add_i32 s3, s3, s2
	s_mul_i32 s2, s14, s7
	s_lshl_b64 s[2:3], s[2:3], 2
	s_add_u32 s2, s12, s2
	s_addc_u32 s3, s13, s3
	s_load_dword s25, s[0:1], 0x0
	s_load_dword s24, s[2:3], 0x0
	s_waitcnt lgkmcnt(0)
	v_cmp_eq_f32_e64 s0, s25, 0
	v_cmp_eq_f32_e64 s1, s24, 1.0
	s_and_b32 s0, s0, s1
	s_and_b32 vcc_lo, exec_lo, s0
	s_cbranch_vccnz .LBB387_50
; %bb.2:
	s_load_dwordx2 s[12:13], s[4:5], 0x0
	v_lshlrev_b32_e32 v14, 5, v1
	s_mul_i32 s0, s23, s7
	s_mul_hi_u32 s1, s22, s7
	v_cmp_neq_f32_e64 s4, s25, 0
	s_add_i32 s1, s1, s0
	s_mul_i32 s0, s22, s7
	v_add_nc_u32_e32 v13, v14, v0
	s_lshl_b64 s[0:1], s[0:1], 1
	s_add_u32 s2, s16, s0
	s_addc_u32 s3, s17, s1
	s_lshl_b64 s[0:1], s[18:19], 1
	s_add_u32 s5, s2, s0
	v_cmp_gt_u32_e64 s0, 0x80, v13
	s_addc_u32 s22, s3, s1
	s_and_b32 vcc_lo, exec_lo, s4
	s_cbranch_vccnz .LBB387_9
; %bb.3:
	s_mov_b32 s1, 0
                                        ; implicit-def: $vgpr5
                                        ; implicit-def: $vgpr2_vgpr3
	s_and_saveexec_b32 s2, s0
	s_cbranch_execz .LBB387_10
; %bb.4:
	v_lshl_or_b32 v4, s6, 7, v13
	v_mov_b32_e32 v5, 0
	s_waitcnt lgkmcnt(0)
	s_ashr_i32 s15, s12, 31
	s_mov_b32 s14, s12
	s_mov_b32 s3, 0
	s_mov_b32 s0, exec_lo
                                        ; implicit-def: $vgpr2_vgpr3
	v_cmpx_gt_i64_e64 s[14:15], v[4:5]
	s_cbranch_execz .LBB387_8
; %bb.5:
	v_mad_u64_u32 v[2:3], null, s20, v4, 0
	v_cmp_eq_f32_e64 s3, s24, 0
	s_and_b32 vcc_lo, exec_lo, s3
	v_mad_u64_u32 v[3:4], null, s21, v4, v[3:4]
	s_cbranch_vccnz .LBB387_7
; %bb.6:
	v_lshlrev_b64 v[4:5], 1, v[2:3]
	v_add_co_u32 v4, vcc_lo, s5, v4
	v_add_co_ci_u32_e64 v5, null, s22, v5, vcc_lo
	global_load_ushort v4, v[4:5], off
	s_waitcnt vmcnt(0)
	v_fma_mixlo_f16 v5, s24, v4, 0 op_sel_hi:[0,1,0]
.LBB387_7:
	s_mov_b32 s3, exec_lo
.LBB387_8:
	s_or_b32 exec_lo, exec_lo, s0
	s_and_b32 s26, s3, exec_lo
	s_or_b32 exec_lo, exec_lo, s2
	s_and_b32 vcc_lo, exec_lo, s1
	s_cbranch_vccnz .LBB387_11
	s_branch .LBB387_48
.LBB387_9:
                                        ; implicit-def: $vgpr5
                                        ; implicit-def: $vgpr2_vgpr3
	s_cbranch_execnz .LBB387_11
	s_branch .LBB387_48
.LBB387_10:
	s_or_b32 exec_lo, exec_lo, s2
	s_and_b32 vcc_lo, exec_lo, s1
	s_cbranch_vccz .LBB387_48
.LBB387_11:
	s_mul_i32 s0, s47, s7
	s_mul_hi_u32 s1, s46, s7
	s_lshl_b32 s23, s6, 7
	s_add_i32 s15, s1, s0
	s_waitcnt lgkmcnt(0)
	s_ashr_i32 s1, s13, 31
	v_lshlrev_b32_e32 v15, 2, v1
	s_lshr_b32 s1, s1, 26
	v_add_nc_u32_e32 v2, s23, v0
	v_mov_b32_e32 v19, 0
	v_mov_b32_e32 v18, 0
	;; [unrolled: 1-line block ×4, first 2 shown]
	s_mul_i32 s0, s11, s7
	s_mul_hi_u32 s2, s10, s7
	s_add_i32 s27, s13, s1
	s_mul_i32 s14, s46, s7
	s_andn2_b32 s27, s27, 63
	s_add_i32 s11, s2, s0
	s_mul_i32 s10, s10, s7
	s_mov_b32 s28, exec_lo
	v_cmpx_gt_i32_e64 s27, v15
	s_cbranch_execz .LBB387_23
; %bb.12:
	v_lshlrev_b32_e32 v30, 2, v1
	v_mad_u64_u32 v[4:5], null, s8, v1, 0
	v_add_nc_u32_e32 v11, 32, v2
	v_add_nc_u32_e32 v12, 64, v2
	v_or_b32_e32 v16, 3, v30
	s_lshl_b64 s[0:1], s[10:11], 1
	s_lshl_b64 s[6:7], s[50:51], 1
	s_add_u32 s4, s48, s0
	s_addc_u32 s29, s49, s1
	v_mad_u64_u32 v[6:7], null, s44, v16, 0
	v_cmp_gt_i32_e64 s0, s12, v11
	v_cmp_gt_i32_e64 s1, s12, v12
	v_add_nc_u32_e32 v17, 0x60, v2
	v_or_b32_e32 v24, 2, v30
	s_lshl_b64 s[18:19], s[42:43], 1
	s_lshl_b64 s[16:17], s[8:9], 7
	v_mad_u64_u32 v[8:9], null, s9, v1, v[5:6]
	v_mad_u64_u32 v[9:10], null, s8, v16, 0
	v_cmp_gt_i32_e64 s2, s12, v17
	s_lshl_b64 s[30:31], s[14:15], 1
	v_mad_u64_u32 v[28:29], null, s8, v24, 0
	v_mov_b32_e32 v5, v8
	v_mad_u64_u32 v[7:8], null, s45, v16, v[7:8]
	v_mad_u64_u32 v[32:33], null, s44, v30, s[44:45]
	v_lshlrev_b64 v[11:12], 3, v[4:5]
	v_mov_b32_e32 v5, v10
	v_mov_b32_e32 v8, v29
	v_ashrrev_i32_e32 v3, 31, v2
	v_lshlrev_b64 v[6:7], 1, v[6:7]
	v_cmp_gt_i32_e32 vcc_lo, s12, v2
	v_add_co_u32 v20, s3, s4, v11
	v_add_co_ci_u32_e64 v21, null, s29, v12, s3
	v_mad_u64_u32 v[16:17], null, s9, v16, v[5:6]
	v_mad_u64_u32 v[11:12], null, s44, v1, 0
	s_add_u32 s3, s40, s18
	s_addc_u32 s18, s41, s19
	s_add_u32 s19, s3, s30
	s_addc_u32 s18, s18, s31
	v_mov_b32_e32 v10, v16
	v_mad_u64_u32 v[16:17], null, s44, v24, 0
	v_mov_b32_e32 v5, v12
	v_add_co_u32 v22, s3, s19, v6
	v_add_co_ci_u32_e64 v23, null, s18, v7, s3
	v_mad_u64_u32 v[18:19], null, s45, v1, v[5:6]
	v_lshlrev_b64 v[6:7], 1, v[9:10]
	v_mov_b32_e32 v5, v17
	v_lshlrev_b64 v[3:4], 1, v[2:3]
	v_mad_u64_u32 v[9:10], null, s45, v24, v[5:6]
	v_mov_b32_e32 v12, v18
	v_mad_u64_u32 v[18:19], null, s8, v30, s[8:9]
	v_mad_u64_u32 v[26:27], null, s9, v24, v[8:9]
	v_add_co_u32 v24, s3, s4, v6
	v_add_co_ci_u32_e64 v25, null, s29, v7, s3
	v_lshlrev_b64 v[6:7], 3, v[11:12]
	v_mov_b32_e32 v5, v19
	v_mov_b32_e32 v17, v9
	;; [unrolled: 1-line block ×3, first 2 shown]
	v_add_co_u32 v26, s3, s19, v6
	v_mad_u64_u32 v[8:9], null, s9, v30, v[5:6]
	v_add_co_ci_u32_e64 v27, null, s18, v7, s3
	v_lshlrev_b64 v[6:7], 1, v[16:17]
	v_mov_b32_e32 v5, v33
	v_mov_b32_e32 v17, 0
	v_mov_b32_e32 v16, 0
	v_mov_b32_e32 v19, v8
	v_mad_u64_u32 v[9:10], null, s45, v30, v[5:6]
	v_lshlrev_b64 v[10:11], 1, v[28:29]
	v_add_co_u32 v28, s3, s19, v6
	v_lshlrev_b64 v[5:6], 1, v[18:19]
	v_add_co_ci_u32_e64 v29, null, s18, v7, s3
	v_mov_b32_e32 v33, v9
	v_add_co_u32 v30, s3, s4, v10
	v_add_co_ci_u32_e64 v31, null, s29, v11, s3
	v_lshlrev_b64 v[7:8], 1, v[32:33]
	v_add_co_u32 v32, s3, s4, v5
	v_add_co_ci_u32_e64 v33, null, s29, v6, s3
	v_mov_b32_e32 v19, 0
	v_add_co_u32 v34, s3, s19, v7
	v_add_co_ci_u32_e64 v35, null, s18, v8, s3
	v_mov_b32_e32 v18, 0
	s_lshl_b64 s[18:19], s[44:45], 7
	s_mov_b32 s29, 0
	s_branch .LBB387_17
.LBB387_13:                             ;   in Loop: Header=BB387_17 Depth=1
	s_or_b32 exec_lo, exec_lo, s31
	s_waitcnt vmcnt(3)
	v_fma_mix_f32 v5, v48, v52, v17 op_sel_hi:[0,1,0]
	s_waitcnt vmcnt(2)
	v_fma_mix_f32 v5, v49, v53, v5 op_sel_hi:[0,1,0]
	;; [unrolled: 2-line block ×4, first 2 shown]
.LBB387_14:                             ;   in Loop: Header=BB387_17 Depth=1
	s_or_b32 exec_lo, exec_lo, s30
	s_waitcnt vmcnt(3)
	v_fma_mix_f32 v5, v48, v44, v18 op_sel_hi:[0,1,0]
	s_waitcnt vmcnt(2)
	v_fma_mix_f32 v5, v49, v45, v5 op_sel_hi:[0,1,0]
	;; [unrolled: 2-line block ×4, first 2 shown]
.LBB387_15:                             ;   in Loop: Header=BB387_17 Depth=1
	s_or_b32 exec_lo, exec_lo, s3
	s_waitcnt vmcnt(3)
	v_fma_mix_f32 v5, v36, v40, v19 op_sel_hi:[1,1,0]
	s_waitcnt vmcnt(2)
	v_fma_mix_f32 v5, v37, v41, v5 op_sel_hi:[1,1,0]
	;; [unrolled: 2-line block ×4, first 2 shown]
.LBB387_16:                             ;   in Loop: Header=BB387_17 Depth=1
	s_or_b32 exec_lo, exec_lo, s4
	v_add_co_u32 v20, s3, v20, s16
	v_add_co_ci_u32_e64 v21, null, s17, v21, s3
	v_add_co_u32 v22, s3, v22, s18
	v_add_co_ci_u32_e64 v23, null, s19, v23, s3
	;; [unrolled: 2-line block ×4, first 2 shown]
	v_add_co_u32 v28, s3, v28, s18
	v_add_nc_u32_e32 v15, 64, v15
	v_add_co_ci_u32_e64 v29, null, s19, v29, s3
	v_add_co_u32 v30, s3, v30, s16
	v_add_co_ci_u32_e64 v31, null, s17, v31, s3
	v_add_co_u32 v32, s3, v32, s16
	v_add_co_ci_u32_e64 v33, null, s17, v33, s3
	v_cmp_le_i32_e64 s3, s27, v15
	v_add_co_u32 v34, s4, v34, s18
	v_add_co_ci_u32_e64 v35, null, s19, v35, s4
	s_or_b32 s29, s3, s29
	s_andn2_b32 exec_lo, exec_lo, s29
	s_cbranch_execz .LBB387_22
.LBB387_17:                             ; =>This Inner Loop Header: Depth=1
	s_and_saveexec_b32 s4, vcc_lo
	s_cbranch_execz .LBB387_16
; %bb.18:                               ;   in Loop: Header=BB387_17 Depth=1
	v_add_co_u32 v5, s3, v20, s6
	v_add_co_ci_u32_e64 v6, null, s7, v21, s3
	v_add_co_u32 v7, s3, v32, s6
	v_add_co_ci_u32_e64 v8, null, s7, v33, s3
	v_add_co_u32 v9, s3, v30, s6
	v_add_co_ci_u32_e64 v10, null, s7, v31, s3
	v_add_co_u32 v39, s3, v24, s6
	global_load_ushort v36, v[5:6], off
	global_load_ushort v37, v[7:8], off
	;; [unrolled: 1-line block ×3, first 2 shown]
	v_add_co_ci_u32_e64 v40, null, s7, v25, s3
	v_add_co_u32 v5, s3, v26, v3
	v_add_co_ci_u32_e64 v6, null, v27, v4, s3
	v_add_co_u32 v7, s3, v34, v3
	;; [unrolled: 2-line block ×4, first 2 shown]
	v_add_co_ci_u32_e64 v12, null, v23, v4, s3
	global_load_ushort v39, v[39:40], off
	global_load_ushort v40, v[5:6], off
	;; [unrolled: 1-line block ×5, first 2 shown]
	s_and_saveexec_b32 s3, s0
	s_cbranch_execz .LBB387_15
; %bb.19:                               ;   in Loop: Header=BB387_17 Depth=1
	global_load_ushort v44, v[5:6], off offset:64
	global_load_ushort v45, v[7:8], off offset:64
	;; [unrolled: 1-line block ×4, first 2 shown]
	s_waitcnt vmcnt(11)
	v_cvt_f32_f16_e32 v48, v36
	s_waitcnt vmcnt(10)
	v_cvt_f32_f16_e32 v49, v37
	;; [unrolled: 2-line block ×4, first 2 shown]
	s_and_saveexec_b32 s30, s1
	s_cbranch_execz .LBB387_14
; %bb.20:                               ;   in Loop: Header=BB387_17 Depth=1
	global_load_ushort v52, v[5:6], off offset:128
	global_load_ushort v53, v[7:8], off offset:128
	;; [unrolled: 1-line block ×4, first 2 shown]
	s_and_saveexec_b32 s31, s2
	s_cbranch_execz .LBB387_13
; %bb.21:                               ;   in Loop: Header=BB387_17 Depth=1
	global_load_ushort v5, v[5:6], off offset:192
	global_load_ushort v6, v[7:8], off offset:192
	;; [unrolled: 1-line block ×4, first 2 shown]
	s_waitcnt vmcnt(3)
	v_fma_mix_f32 v5, v48, v5, v16 op_sel_hi:[0,1,0]
	s_waitcnt vmcnt(2)
	v_fma_mix_f32 v5, v49, v6, v5 op_sel_hi:[0,1,0]
	;; [unrolled: 2-line block ×4, first 2 shown]
	s_branch .LBB387_13
.LBB387_22:
	s_or_b32 exec_lo, exec_lo, s29
.LBB387_23:
	s_or_b32 exec_lo, exec_lo, s28
	s_sub_i32 s0, s13, s27
	s_cmp_lt_i32 s0, 1
	s_cbranch_scc1 .LBB387_41
; %bb.24:
	v_cmp_gt_i32_e32 vcc_lo, s13, v15
	v_mov_b32_e32 v11, 0
	v_or_b32_e32 v4, 1, v15
	v_mov_b32_e32 v12, 0
	v_mov_b32_e32 v20, 0
	;; [unrolled: 1-line block ×3, first 2 shown]
	s_and_saveexec_b32 s1, vcc_lo
	s_cbranch_execz .LBB387_32
; %bb.25:
	v_mad_u64_u32 v[5:6], null, s8, v15, 0
	s_lshl_b64 s[2:3], s[10:11], 1
	v_mov_b32_e32 v20, 0
	s_add_u32 s0, s48, s2
	s_addc_u32 s2, s49, s3
	s_lshl_b64 s[6:7], s[50:51], 1
	v_mov_b32_e32 v12, 0
	v_mov_b32_e32 v3, v6
	s_add_u32 s3, s0, s6
	s_addc_u32 s4, s2, s7
	v_mov_b32_e32 v11, 0
	s_mov_b32 s2, exec_lo
	v_mad_u64_u32 v[6:7], null, s9, v15, v[3:4]
	v_lshlrev_b64 v[5:6], 1, v[5:6]
	v_add_co_u32 v5, s0, s3, v5
	v_add_co_ci_u32_e64 v6, null, s4, v6, s0
	global_load_ushort v3, v[5:6], off
	v_cmpx_gt_i32_e64 s13, v4
	s_cbranch_execz .LBB387_31
; %bb.26:
	v_mad_u64_u32 v[5:6], null, s8, v4, 0
	v_mov_b32_e32 v12, 0
	v_mov_b32_e32 v11, 0
	s_mov_b32 s6, exec_lo
	v_mad_u64_u32 v[6:7], null, s9, v4, v[6:7]
	v_lshlrev_b64 v[5:6], 1, v[5:6]
	v_add_co_u32 v5, s0, s3, v5
	v_add_co_ci_u32_e64 v6, null, s4, v6, s0
	global_load_ushort v5, v[5:6], off
	v_or_b32_e32 v6, 2, v15
	v_cmpx_gt_i32_e64 s13, v6
	s_cbranch_execz .LBB387_30
; %bb.27:
	v_mad_u64_u32 v[7:8], null, s8, v6, 0
	v_mov_b32_e32 v11, 0
	s_mov_b32 s7, exec_lo
	v_mad_u64_u32 v[8:9], null, s9, v6, v[8:9]
	v_lshlrev_b64 v[6:7], 1, v[7:8]
	v_add_co_u32 v6, s0, s3, v6
	v_add_co_ci_u32_e64 v7, null, s4, v7, s0
	global_load_ushort v6, v[6:7], off
	v_or_b32_e32 v7, 3, v15
	v_cmpx_gt_i32_e64 s13, v7
	s_cbranch_execz .LBB387_29
; %bb.28:
	v_mad_u64_u32 v[8:9], null, s8, v7, 0
	v_mad_u64_u32 v[9:10], null, s9, v7, v[9:10]
	v_lshlrev_b64 v[7:8], 1, v[8:9]
	v_add_co_u32 v7, s0, s3, v7
	v_add_co_ci_u32_e64 v8, null, s4, v8, s0
	global_load_ushort v7, v[7:8], off
	s_waitcnt vmcnt(0)
	v_cvt_f32_f16_e32 v11, v7
.LBB387_29:
	s_or_b32 exec_lo, exec_lo, s7
	s_waitcnt vmcnt(0)
	v_cvt_f32_f16_e32 v12, v6
.LBB387_30:
	s_or_b32 exec_lo, exec_lo, s6
	s_waitcnt vmcnt(0)
	v_cvt_f32_f16_e32 v20, v5
.LBB387_31:
	s_or_b32 exec_lo, exec_lo, s2
	s_waitcnt vmcnt(0)
	v_cvt_f32_f16_e32 v21, v3
.LBB387_32:
	s_or_b32 exec_lo, exec_lo, s1
	s_mov_b32 s1, exec_lo
	v_cmpx_gt_i32_e64 s12, v2
	s_cbranch_execz .LBB387_40
; %bb.33:
	v_mad_u64_u32 v[5:6], null, s44, v15, 0
	v_mad_u64_u32 v[7:8], null, s44, v4, 0
	v_ashrrev_i32_e32 v3, 31, v2
	v_or_b32_e32 v29, 2, v15
	s_lshl_b64 s[2:3], s[14:15], 1
	s_add_u32 s0, s40, s2
	v_lshlrev_b64 v[22:23], 1, v[2:3]
	v_mad_u64_u32 v[9:10], null, s45, v15, v[6:7]
	v_mov_b32_e32 v3, v8
	v_cndmask_b32_e32 v5, 0, v5, vcc_lo
	v_or_b32_e32 v15, 3, v15
	v_mad_u64_u32 v[24:25], null, s44, v29, 0
	v_mad_u64_u32 v[26:27], null, s45, v4, v[3:4]
	v_cndmask_b32_e32 v6, 0, v9, vcc_lo
	v_cmp_gt_i32_e32 vcc_lo, s13, v4
	s_addc_u32 s4, s41, s3
	s_lshl_b64 s[2:3], s[42:43], 1
	v_mad_u64_u32 v[8:9], null, s44, v15, 0
	v_lshlrev_b64 v[5:6], 1, v[5:6]
	v_cndmask_b32_e32 v27, 0, v7, vcc_lo
	v_cndmask_b32_e32 v28, 0, v26, vcc_lo
	s_add_u32 s2, s0, s2
	v_mov_b32_e32 v7, v25
	s_addc_u32 s3, s4, s3
	v_add_co_u32 v3, s0, s2, v5
	v_add_co_ci_u32_e64 v4, null, s3, v6, s0
	v_lshlrev_b64 v[5:6], 1, v[27:28]
	v_mad_u64_u32 v[25:26], null, s45, v29, v[7:8]
	v_add_co_u32 v3, vcc_lo, v3, v22
	v_add_co_ci_u32_e64 v4, null, v4, v23, vcc_lo
	v_cmp_gt_i32_e32 vcc_lo, s13, v29
	v_mov_b32_e32 v7, v9
	v_add_co_u32 v5, s0, s2, v5
	v_add_co_ci_u32_e64 v6, null, s3, v6, s0
	v_cndmask_b32_e32 v9, 0, v24, vcc_lo
	v_cndmask_b32_e32 v10, 0, v25, vcc_lo
	v_mad_u64_u32 v[24:25], null, s45, v15, v[7:8]
	v_add_co_u32 v5, vcc_lo, v5, v22
	v_add_co_ci_u32_e64 v6, null, v6, v23, vcc_lo
	v_cmp_gt_i32_e32 vcc_lo, s13, v15
	v_lshlrev_b64 v[9:10], 1, v[9:10]
	s_clause 0x1
	global_load_ushort v25, v[3:4], off
	global_load_ushort v26, v[5:6], off
	s_mov_b32 s0, exec_lo
	v_cndmask_b32_e32 v7, 0, v8, vcc_lo
	v_cndmask_b32_e32 v8, 0, v24, vcc_lo
	v_add_co_u32 v15, vcc_lo, s2, v9
	v_add_co_ci_u32_e64 v24, null, s3, v10, vcc_lo
	v_lshlrev_b64 v[9:10], 1, v[7:8]
	v_add_co_u32 v7, vcc_lo, v15, v22
	v_add_co_ci_u32_e64 v8, null, v24, v23, vcc_lo
	v_add_co_u32 v9, vcc_lo, s2, v9
	v_add_co_ci_u32_e64 v10, null, s3, v10, vcc_lo
	global_load_ushort v24, v[7:8], off
	v_add_co_u32 v9, vcc_lo, v9, v22
	v_add_co_ci_u32_e64 v10, null, v10, v23, vcc_lo
	v_add_nc_u32_e32 v22, 32, v2
	global_load_ushort v15, v[9:10], off
	s_waitcnt vmcnt(3)
	v_fma_mix_f32 v19, v21, v25, v19 op_sel_hi:[0,1,0]
	s_waitcnt vmcnt(2)
	v_fma_mix_f32 v19, v20, v26, v19 op_sel_hi:[0,1,0]
	;; [unrolled: 2-line block ×3, first 2 shown]
	v_cmpx_gt_i32_e64 s12, v22
	s_cbranch_execz .LBB387_39
; %bb.34:
	s_clause 0x3
	global_load_ushort v23, v[3:4], off offset:64
	global_load_ushort v24, v[5:6], off offset:64
	;; [unrolled: 1-line block ×4, first 2 shown]
	s_mov_b32 s2, exec_lo
	s_waitcnt vmcnt(3)
	v_fma_mix_f32 v18, v21, v23, v18 op_sel_hi:[0,1,0]
	v_add_nc_u32_e32 v23, 64, v2
	s_waitcnt vmcnt(2)
	v_fma_mix_f32 v18, v20, v24, v18 op_sel_hi:[0,1,0]
	s_waitcnt vmcnt(1)
	v_fma_mix_f32 v18, v12, v25, v18 op_sel_hi:[0,1,0]
	v_cmpx_gt_i32_e64 s12, v23
	s_cbranch_execz .LBB387_38
; %bb.35:
	s_clause 0x3
	global_load_ushort v24, v[3:4], off offset:128
	global_load_ushort v25, v[5:6], off offset:128
	;; [unrolled: 1-line block ×4, first 2 shown]
	s_mov_b32 s3, exec_lo
	s_waitcnt vmcnt(3)
	v_fma_mix_f32 v17, v21, v24, v17 op_sel_hi:[0,1,0]
	v_add_nc_u32_e32 v24, 0x60, v2
	s_waitcnt vmcnt(2)
	v_fma_mix_f32 v17, v20, v25, v17 op_sel_hi:[0,1,0]
	s_waitcnt vmcnt(1)
	v_fma_mix_f32 v2, v12, v26, v17 op_sel_hi:[0,1,0]
	v_cmpx_gt_i32_e64 s12, v24
	s_cbranch_execz .LBB387_37
; %bb.36:
	s_clause 0x3
	global_load_ushort v3, v[3:4], off offset:192
	global_load_ushort v4, v[5:6], off offset:192
	;; [unrolled: 1-line block ×4, first 2 shown]
	s_waitcnt vmcnt(3)
	v_fma_mix_f32 v3, v21, v3, v16 op_sel_hi:[0,1,0]
	s_waitcnt vmcnt(2)
	v_fma_mix_f32 v3, v20, v4, v3 op_sel_hi:[0,1,0]
	s_waitcnt vmcnt(1)
	v_fma_mix_f32 v3, v12, v5, v3 op_sel_hi:[0,1,0]
	s_waitcnt vmcnt(0)
	v_fma_mix_f32 v16, v11, v6, v3 op_sel_hi:[0,1,0]
.LBB387_37:
	s_or_b32 exec_lo, exec_lo, s3
	s_waitcnt vmcnt(0)
	v_fma_mix_f32 v17, v11, v23, v2 op_sel_hi:[0,1,0]
.LBB387_38:
	s_or_b32 exec_lo, exec_lo, s2
	s_waitcnt vmcnt(0)
	v_fma_mix_f32 v18, v11, v22, v18 op_sel_hi:[0,1,0]
.LBB387_39:
	s_or_b32 exec_lo, exec_lo, s0
	s_waitcnt vmcnt(0)
	v_fma_mix_f32 v19, v11, v15, v19 op_sel_hi:[0,1,0]
.LBB387_40:
	s_or_b32 exec_lo, exec_lo, s1
.LBB387_41:
	v_lshlrev_b32_e32 v0, 2, v0
	s_mov_b32 s0, exec_lo
                                        ; implicit-def: $vgpr5
                                        ; implicit-def: $vgpr2_vgpr3
	v_lshl_add_u32 v1, v1, 9, v0
	ds_write2_b32 v1, v19, v18 offset1:32
	ds_write2_b32 v1, v17, v16 offset0:64 offset1:96
	s_waitcnt lgkmcnt(0)
	s_barrier
	buffer_gl0_inv
	v_cmpx_gt_u32_e32 0x80, v13
	s_cbranch_execz .LBB387_47
; %bb.42:
	v_lshl_add_u32 v6, v14, 2, v0
	s_mov_b32 s2, s26
	s_mov_b32 s1, exec_lo
	ds_read2st64_b32 v[0:1], v6 offset1:2
	ds_read2st64_b32 v[2:3], v6 offset0:4 offset1:6
	ds_read2st64_b32 v[4:5], v6 offset0:8 offset1:10
	s_waitcnt lgkmcnt(2)
	v_add_f32_e32 v7, v0, v1
	ds_read2st64_b32 v[0:1], v6 offset0:12 offset1:14
	s_waitcnt lgkmcnt(2)
	v_add_f32_e32 v2, v2, v7
	v_add_f32_e32 v7, v3, v2
	ds_read2st64_b32 v[2:3], v6 offset0:16 offset1:18
	s_waitcnt lgkmcnt(2)
	v_add_f32_e32 v4, v4, v7
	;; [unrolled: 4-line block ×3, first 2 shown]
	v_add_f32_e32 v0, v1, v0
	s_waitcnt lgkmcnt(1)
	v_add_f32_e32 v2, v2, v0
	ds_read2st64_b32 v[0:1], v6 offset0:24 offset1:26
	v_add_f32_e32 v2, v3, v2
	s_waitcnt lgkmcnt(1)
	v_add_f32_e32 v4, v4, v2
	ds_read2st64_b32 v[2:3], v6 offset0:28 offset1:30
	v_add_f32_e32 v4, v5, v4
                                        ; implicit-def: $vgpr5
	s_waitcnt lgkmcnt(1)
	v_add_f32_e32 v0, v0, v4
	v_add_f32_e32 v0, v1, v0
	v_or_b32_e32 v1, s23, v13
	s_waitcnt lgkmcnt(0)
	v_add_f32_e32 v0, v2, v0
	v_add_f32_e32 v0, v3, v0
                                        ; implicit-def: $vgpr2_vgpr3
	ds_write_b32 v6, v0
	v_cmpx_gt_i32_e64 s12, v1
	s_cbranch_execz .LBB387_46
; %bb.43:
	v_ashrrev_i32_e32 v4, 31, v1
	v_mul_lo_u32 v5, s21, v1
	v_mad_u64_u32 v[2:3], null, s20, v1, 0
	v_cmp_eq_f32_e64 s2, s24, 0
	v_mul_lo_u32 v1, s20, v4
	v_mul_f32_e32 v0, s25, v0
	s_and_b32 vcc_lo, exec_lo, s2
	v_add3_u32 v3, v3, v1, v5
	s_cbranch_vccnz .LBB387_45
; %bb.44:
	v_lshlrev_b64 v[4:5], 1, v[2:3]
	v_add_co_u32 v4, vcc_lo, s5, v4
	v_add_co_ci_u32_e64 v5, null, s22, v5, vcc_lo
	global_load_ushort v1, v[4:5], off
	s_waitcnt vmcnt(0)
	v_fma_mix_f32 v0, s24, v1, v0 op_sel_hi:[0,1,0]
.LBB387_45:
	v_cvt_f16_f32_e32 v5, v0
	s_or_b32 s2, s26, exec_lo
.LBB387_46:
	s_or_b32 exec_lo, exec_lo, s1
	s_andn2_b32 s1, s26, exec_lo
	s_and_b32 s2, s2, exec_lo
	s_or_b32 s26, s1, s2
.LBB387_47:
	s_or_b32 exec_lo, exec_lo, s0
.LBB387_48:
	s_and_saveexec_b32 s0, s26
	s_cbranch_execz .LBB387_50
; %bb.49:
	v_lshlrev_b64 v[0:1], 1, v[2:3]
	v_add_co_u32 v0, vcc_lo, s5, v0
	v_add_co_ci_u32_e64 v1, null, s22, v1, vcc_lo
	global_store_short v[0:1], v5, off
.LBB387_50:
	s_endpgm
	.section	.rodata,"a",@progbits
	.p2align	6, 0x0
	.amdhsa_kernel _ZL20rocblas_gemvn_kernelILi32ELi16ElDF16_PKfDF16_EviiT3_lPKT2_lT1_lS5_lS6_lS2_lPT4_lS6_li
		.amdhsa_group_segment_fixed_size 8192
		.amdhsa_private_segment_fixed_size 0
		.amdhsa_kernarg_size 400
		.amdhsa_user_sgpr_count 6
		.amdhsa_user_sgpr_private_segment_buffer 1
		.amdhsa_user_sgpr_dispatch_ptr 0
		.amdhsa_user_sgpr_queue_ptr 0
		.amdhsa_user_sgpr_kernarg_segment_ptr 1
		.amdhsa_user_sgpr_dispatch_id 0
		.amdhsa_user_sgpr_flat_scratch_init 0
		.amdhsa_user_sgpr_private_segment_size 0
		.amdhsa_wavefront_size32 1
		.amdhsa_uses_dynamic_stack 0
		.amdhsa_system_sgpr_private_segment_wavefront_offset 0
		.amdhsa_system_sgpr_workgroup_id_x 1
		.amdhsa_system_sgpr_workgroup_id_y 0
		.amdhsa_system_sgpr_workgroup_id_z 1
		.amdhsa_system_sgpr_workgroup_info 0
		.amdhsa_system_vgpr_workitem_id 1
		.amdhsa_next_free_vgpr 56
		.amdhsa_next_free_sgpr 52
		.amdhsa_reserve_vcc 1
		.amdhsa_reserve_flat_scratch 0
		.amdhsa_float_round_mode_32 0
		.amdhsa_float_round_mode_16_64 0
		.amdhsa_float_denorm_mode_32 3
		.amdhsa_float_denorm_mode_16_64 3
		.amdhsa_dx10_clamp 1
		.amdhsa_ieee_mode 1
		.amdhsa_fp16_overflow 0
		.amdhsa_workgroup_processor_mode 1
		.amdhsa_memory_ordered 1
		.amdhsa_forward_progress 1
		.amdhsa_shared_vgpr_count 0
		.amdhsa_exception_fp_ieee_invalid_op 0
		.amdhsa_exception_fp_denorm_src 0
		.amdhsa_exception_fp_ieee_div_zero 0
		.amdhsa_exception_fp_ieee_overflow 0
		.amdhsa_exception_fp_ieee_underflow 0
		.amdhsa_exception_fp_ieee_inexact 0
		.amdhsa_exception_int_div_zero 0
	.end_amdhsa_kernel
	.section	.text._ZL20rocblas_gemvn_kernelILi32ELi16ElDF16_PKfDF16_EviiT3_lPKT2_lT1_lS5_lS6_lS2_lPT4_lS6_li,"axG",@progbits,_ZL20rocblas_gemvn_kernelILi32ELi16ElDF16_PKfDF16_EviiT3_lPKT2_lT1_lS5_lS6_lS2_lPT4_lS6_li,comdat
.Lfunc_end387:
	.size	_ZL20rocblas_gemvn_kernelILi32ELi16ElDF16_PKfDF16_EviiT3_lPKT2_lT1_lS5_lS6_lS2_lPT4_lS6_li, .Lfunc_end387-_ZL20rocblas_gemvn_kernelILi32ELi16ElDF16_PKfDF16_EviiT3_lPKT2_lT1_lS5_lS6_lS2_lPT4_lS6_li
                                        ; -- End function
	.set _ZL20rocblas_gemvn_kernelILi32ELi16ElDF16_PKfDF16_EviiT3_lPKT2_lT1_lS5_lS6_lS2_lPT4_lS6_li.num_vgpr, 56
	.set _ZL20rocblas_gemvn_kernelILi32ELi16ElDF16_PKfDF16_EviiT3_lPKT2_lT1_lS5_lS6_lS2_lPT4_lS6_li.num_agpr, 0
	.set _ZL20rocblas_gemvn_kernelILi32ELi16ElDF16_PKfDF16_EviiT3_lPKT2_lT1_lS5_lS6_lS2_lPT4_lS6_li.numbered_sgpr, 52
	.set _ZL20rocblas_gemvn_kernelILi32ELi16ElDF16_PKfDF16_EviiT3_lPKT2_lT1_lS5_lS6_lS2_lPT4_lS6_li.num_named_barrier, 0
	.set _ZL20rocblas_gemvn_kernelILi32ELi16ElDF16_PKfDF16_EviiT3_lPKT2_lT1_lS5_lS6_lS2_lPT4_lS6_li.private_seg_size, 0
	.set _ZL20rocblas_gemvn_kernelILi32ELi16ElDF16_PKfDF16_EviiT3_lPKT2_lT1_lS5_lS6_lS2_lPT4_lS6_li.uses_vcc, 1
	.set _ZL20rocblas_gemvn_kernelILi32ELi16ElDF16_PKfDF16_EviiT3_lPKT2_lT1_lS5_lS6_lS2_lPT4_lS6_li.uses_flat_scratch, 0
	.set _ZL20rocblas_gemvn_kernelILi32ELi16ElDF16_PKfDF16_EviiT3_lPKT2_lT1_lS5_lS6_lS2_lPT4_lS6_li.has_dyn_sized_stack, 0
	.set _ZL20rocblas_gemvn_kernelILi32ELi16ElDF16_PKfDF16_EviiT3_lPKT2_lT1_lS5_lS6_lS2_lPT4_lS6_li.has_recursion, 0
	.set _ZL20rocblas_gemvn_kernelILi32ELi16ElDF16_PKfDF16_EviiT3_lPKT2_lT1_lS5_lS6_lS2_lPT4_lS6_li.has_indirect_call, 0
	.section	.AMDGPU.csdata,"",@progbits
; Kernel info:
; codeLenInByte = 3352
; TotalNumSgprs: 54
; NumVgprs: 56
; ScratchSize: 0
; MemoryBound: 0
; FloatMode: 240
; IeeeMode: 1
; LDSByteSize: 8192 bytes/workgroup (compile time only)
; SGPRBlocks: 0
; VGPRBlocks: 6
; NumSGPRsForWavesPerEU: 54
; NumVGPRsForWavesPerEU: 56
; Occupancy: 16
; WaveLimiterHint : 0
; COMPUTE_PGM_RSRC2:SCRATCH_EN: 0
; COMPUTE_PGM_RSRC2:USER_SGPR: 6
; COMPUTE_PGM_RSRC2:TRAP_HANDLER: 0
; COMPUTE_PGM_RSRC2:TGID_X_EN: 1
; COMPUTE_PGM_RSRC2:TGID_Y_EN: 0
; COMPUTE_PGM_RSRC2:TGID_Z_EN: 1
; COMPUTE_PGM_RSRC2:TIDIG_COMP_CNT: 1
	.section	.text._ZL20rocblas_gemvn_kernelILi32ELi16EiDF16_fDF16_EviiT3_lPKT2_lT1_lS3_lS4_lS0_lPT4_lS4_li,"axG",@progbits,_ZL20rocblas_gemvn_kernelILi32ELi16EiDF16_fDF16_EviiT3_lPKT2_lT1_lS3_lS4_lS0_lPT4_lS4_li,comdat
	.globl	_ZL20rocblas_gemvn_kernelILi32ELi16EiDF16_fDF16_EviiT3_lPKT2_lT1_lS3_lS4_lS0_lPT4_lS4_li ; -- Begin function _ZL20rocblas_gemvn_kernelILi32ELi16EiDF16_fDF16_EviiT3_lPKT2_lT1_lS3_lS4_lS0_lPT4_lS4_li
	.p2align	8
	.type	_ZL20rocblas_gemvn_kernelILi32ELi16EiDF16_fDF16_EviiT3_lPKT2_lT1_lS3_lS4_lS0_lPT4_lS4_li,@function
_ZL20rocblas_gemvn_kernelILi32ELi16EiDF16_fDF16_EviiT3_lPKT2_lT1_lS3_lS4_lS0_lPT4_lS4_li: ; @_ZL20rocblas_gemvn_kernelILi32ELi16EiDF16_fDF16_EviiT3_lPKT2_lT1_lS3_lS4_lS0_lPT4_lS4_li
; %bb.0:
	s_load_dwordx2 s[0:1], s[4:5], 0x9c
	s_waitcnt lgkmcnt(0)
	s_lshr_b32 s2, s0, 16
	s_and_b32 s0, s0, 0xffff
	s_and_b32 s1, s1, 0xffff
	s_mul_i32 s0, s2, s0
	s_mul_i32 s0, s0, s1
	s_cmpk_lg_i32 s0, 0x200
	s_cbranch_scc1 .LBB388_50
; %bb.1:
	s_clause 0x1
	s_load_dwordx4 s[8:11], s[4:5], 0x0
	s_load_dword s13, s[4:5], 0x58
	s_mov_b32 s14, 0
	s_waitcnt lgkmcnt(0)
	v_cmp_eq_f32_e64 s0, s10, 0
	v_cmp_eq_f32_e64 s1, s13, 1.0
	s_and_b32 s0, s0, s1
	s_and_b32 vcc_lo, exec_lo, s0
	s_cbranch_vccnz .LBB388_50
; %bb.2:
	s_clause 0x2
	s_load_dwordx2 s[16:17], s[4:5], 0x80
	s_load_dwordx4 s[0:3], s[4:5], 0x68
	s_load_dword s15, s[4:5], 0x78
	v_lshlrev_b32_e32 v14, 5, v1
	v_cmp_neq_f32_e64 s18, s10, 0
	v_add_nc_u32_e32 v13, v14, v0
	s_waitcnt lgkmcnt(0)
	s_mul_i32 s11, s17, s7
	s_mul_hi_u32 s12, s16, s7
	s_mul_i32 s16, s16, s7
	s_add_i32 s17, s12, s11
	s_lshl_b64 s[16:17], s[16:17], 1
	s_add_u32 s11, s0, s16
	s_addc_u32 s12, s1, s17
	s_lshl_b64 s[0:1], s[2:3], 1
	s_add_u32 s11, s11, s0
	v_cmp_gt_u32_e64 s0, 0x80, v13
	s_addc_u32 s12, s12, s1
	s_and_b32 vcc_lo, exec_lo, s18
	s_cbranch_vccnz .LBB388_9
; %bb.3:
	s_mov_b32 s1, 0
                                        ; implicit-def: $vgpr5
                                        ; implicit-def: $vgpr2_vgpr3
	s_and_saveexec_b32 s2, s0
	s_cbranch_execz .LBB388_10
; %bb.4:
	v_lshl_or_b32 v4, s6, 7, v13
	v_mov_b32_e32 v5, 0
	s_ashr_i32 s17, s8, 31
	s_mov_b32 s16, s8
	s_mov_b32 s3, 0
	s_mov_b32 s0, exec_lo
                                        ; implicit-def: $vgpr2_vgpr3
	v_cmpx_gt_i64_e64 s[16:17], v[4:5]
	s_cbranch_execz .LBB388_8
; %bb.5:
	v_mad_u64_u32 v[2:3], null, s15, v4, 0
	s_ashr_i32 s3, s15, 31
	v_mad_u64_u32 v[3:4], null, s3, v4, v[3:4]
	v_cmp_eq_f32_e64 s3, s13, 0
	s_and_b32 vcc_lo, exec_lo, s3
	s_cbranch_vccnz .LBB388_7
; %bb.6:
	v_lshlrev_b64 v[4:5], 1, v[2:3]
	v_add_co_u32 v4, vcc_lo, s11, v4
	v_add_co_ci_u32_e64 v5, null, s12, v5, vcc_lo
	global_load_ushort v4, v[4:5], off
	s_waitcnt vmcnt(0)
	v_fma_mixlo_f16 v5, s13, v4, 0 op_sel_hi:[0,1,0]
.LBB388_7:
	s_mov_b32 s3, exec_lo
.LBB388_8:
	s_or_b32 exec_lo, exec_lo, s0
	s_and_b32 s14, s3, exec_lo
	s_or_b32 exec_lo, exec_lo, s2
	s_and_b32 vcc_lo, exec_lo, s1
	s_cbranch_vccnz .LBB388_11
	s_branch .LBB388_48
.LBB388_9:
                                        ; implicit-def: $vgpr5
                                        ; implicit-def: $vgpr2_vgpr3
	s_cbranch_execnz .LBB388_11
	s_branch .LBB388_48
.LBB388_10:
	s_or_b32 exec_lo, exec_lo, s2
	s_and_b32 vcc_lo, exec_lo, s1
	s_cbranch_vccz .LBB388_48
.LBB388_11:
	s_clause 0x5
	s_load_dwordx4 s[0:3], s[4:5], 0x30
	s_load_dwordx2 s[18:19], s[4:5], 0x50
	s_load_dwordx4 s[20:23], s[4:5], 0x18
	s_load_dword s17, s[4:5], 0x28
	s_load_dwordx2 s[24:25], s[4:5], 0x40
	s_load_dword s4, s[4:5], 0x48
	v_lshlrev_b32_e32 v20, 2, v1
	v_mov_b32_e32 v19, 0
	v_mov_b32_e32 v18, 0
	;; [unrolled: 1-line block ×4, first 2 shown]
	s_waitcnt lgkmcnt(0)
	s_mul_i32 s1, s1, s7
	s_mul_hi_u32 s16, s0, s7
	s_mul_i32 s0, s0, s7
	s_add_i32 s1, s16, s1
	s_mul_i32 s19, s19, s7
	s_lshl_b64 s[0:1], s[0:1], 1
	s_mul_hi_u32 s26, s18, s7
	s_add_u32 s16, s20, s0
	s_addc_u32 s20, s21, s1
	s_lshl_b64 s[0:1], s[22:23], 1
	s_mul_i32 s18, s18, s7
	s_add_u32 s7, s16, s0
	s_addc_u32 s16, s20, s1
	s_add_i32 s19, s26, s19
	s_mov_b32 s20, exec_lo
	s_lshl_b64 s[0:1], s[18:19], 1
	s_add_u32 s2, s2, s0
	s_addc_u32 s3, s3, s1
	s_lshl_b64 s[0:1], s[24:25], 1
	s_add_u32 s18, s2, s0
	s_addc_u32 s19, s3, s1
	s_ashr_i32 s0, s9, 31
	s_lshl_b32 s5, s6, 7
	s_lshr_b32 s0, s0, 26
	v_add_nc_u32_e32 v17, s5, v0
	s_add_i32 s0, s9, s0
	s_and_b32 s6, s0, 0xffffffc0
	v_cmpx_gt_i32_e64 s6, v20
	s_cbranch_execz .LBB388_23
; %bb.12:
	v_add_nc_u32_e32 v5, 0x60, v17
	v_mul_lo_u32 v3, s17, v20
	v_add_nc_u32_e32 v2, 32, v17
	v_add_nc_u32_e32 v6, 2, v20
	;; [unrolled: 1-line block ×3, first 2 shown]
	v_cmp_gt_i32_e64 s2, s8, v5
	v_mul_lo_u32 v5, v1, s17
	v_add_nc_u32_e32 v7, 3, v20
	v_mul_lo_u32 v8, v1, s4
	v_cmp_gt_i32_e64 s0, s8, v2
	v_add3_u32 v21, v3, s17, v0
	v_mad_u64_u32 v[2:3], null, s17, v6, v[0:1]
	v_cmp_gt_i32_e64 s1, s8, v4
	v_mad_u64_u32 v[3:4], null, s17, v7, v[0:1]
	v_lshl_add_u32 v22, v5, 2, v0
	v_mad_u64_u32 v[4:5], null, s4, v20, s[4:5]
	v_mul_lo_u32 v23, s4, v6
	v_mul_lo_u32 v24, s4, v7
	v_lshlrev_b32_e32 v25, 2, v8
	v_mov_b32_e32 v19, 0
	v_mov_b32_e32 v18, 0
	;; [unrolled: 1-line block ×4, first 2 shown]
	s_lshl_b32 s21, s17, 6
	s_lshl_b32 s23, s4, 6
	s_mov_b32 s22, 0
	s_mov_b32 s24, 0
	v_cmp_gt_i32_e32 vcc_lo, s8, v17
	s_branch .LBB388_17
.LBB388_13:                             ;   in Loop: Header=BB388_17 Depth=1
	s_or_b32 exec_lo, exec_lo, s27
	s_waitcnt vmcnt(3)
	v_fma_mix_f32 v5, v38, v42, v16 op_sel_hi:[0,1,0]
	s_waitcnt vmcnt(2)
	v_fma_mix_f32 v5, v39, v43, v5 op_sel_hi:[0,1,0]
	;; [unrolled: 2-line block ×4, first 2 shown]
.LBB388_14:                             ;   in Loop: Header=BB388_17 Depth=1
	s_or_b32 exec_lo, exec_lo, s26
	s_waitcnt vmcnt(3)
	v_fma_mix_f32 v5, v38, v34, v18 op_sel_hi:[0,1,0]
	s_waitcnt vmcnt(2)
	v_fma_mix_f32 v5, v39, v35, v5 op_sel_hi:[0,1,0]
	;; [unrolled: 2-line block ×4, first 2 shown]
.LBB388_15:                             ;   in Loop: Header=BB388_17 Depth=1
	s_or_b32 exec_lo, exec_lo, s3
	s_waitcnt vmcnt(3)
	v_fma_mix_f32 v5, v26, v30, v19 op_sel_hi:[1,1,0]
	s_waitcnt vmcnt(2)
	v_fma_mix_f32 v5, v27, v31, v5 op_sel_hi:[1,1,0]
	s_waitcnt vmcnt(1)
	v_fma_mix_f32 v5, v28, v32, v5 op_sel_hi:[1,1,0]
	s_waitcnt vmcnt(0)
	v_fma_mix_f32 v19, v29, v33, v5 op_sel_hi:[1,1,0]
.LBB388_16:                             ;   in Loop: Header=BB388_17 Depth=1
	s_or_b32 exec_lo, exec_lo, s25
	v_add_nc_u32_e32 v20, 64, v20
	v_add_nc_u32_e32 v21, s21, v21
	v_add_nc_u32_e32 v2, s21, v2
	v_add_nc_u32_e32 v3, s21, v3
	v_add_nc_u32_e32 v22, s21, v22
	v_cmp_le_i32_e64 s3, s6, v20
	s_add_i32 s24, s24, s23
	s_or_b32 s22, s3, s22
	s_andn2_b32 exec_lo, exec_lo, s22
	s_cbranch_execz .LBB388_22
.LBB388_17:                             ; =>This Inner Loop Header: Depth=1
	s_and_saveexec_b32 s25, vcc_lo
	s_cbranch_execz .LBB388_16
; %bb.18:                               ;   in Loop: Header=BB388_17 Depth=1
	v_add_nc_u32_e32 v5, s24, v25
	v_add_nc_u32_e32 v7, s24, v4
	;; [unrolled: 1-line block ×5, first 2 shown]
	v_ashrrev_i32_e32 v6, 31, v5
	v_ashrrev_i32_e32 v8, 31, v7
	;; [unrolled: 1-line block ×5, first 2 shown]
	v_lshlrev_b64 v[5:6], 1, v[5:6]
	v_lshlrev_b64 v[7:8], 1, v[7:8]
	;; [unrolled: 1-line block ×3, first 2 shown]
	v_add_co_u32 v28, s3, s18, v5
	v_add_co_ci_u32_e64 v29, null, s19, v6, s3
	v_add_co_u32 v30, s3, s18, v7
	v_add_nc_u32_e32 v7, s5, v21
	v_add_co_ci_u32_e64 v31, null, s19, v8, s3
	v_lshlrev_b64 v[5:6], 1, v[11:12]
	v_add_co_u32 v32, s3, s18, v9
	v_add_nc_u32_e32 v11, s5, v2
	v_add_co_ci_u32_e64 v33, null, s19, v10, s3
	v_lshlrev_b64 v[9:10], 1, v[26:27]
	v_add_nc_u32_e32 v26, s5, v3
	v_ashrrev_i32_e32 v8, 31, v7
	v_ashrrev_i32_e32 v12, 31, v11
	v_add_co_u32 v34, s3, s18, v5
	v_ashrrev_i32_e32 v27, 31, v26
	v_add_co_ci_u32_e64 v35, null, s19, v6, s3
	v_lshlrev_b64 v[7:8], 1, v[7:8]
	v_add_co_u32 v5, s3, s7, v9
	v_add_co_ci_u32_e64 v6, null, s16, v10, s3
	v_lshlrev_b64 v[9:10], 1, v[11:12]
	v_lshlrev_b64 v[11:12], 1, v[26:27]
	v_add_co_u32 v7, s3, s7, v7
	v_add_co_ci_u32_e64 v8, null, s16, v8, s3
	v_add_co_u32 v9, s3, s7, v9
	v_add_co_ci_u32_e64 v10, null, s16, v10, s3
	;; [unrolled: 2-line block ×3, first 2 shown]
	s_clause 0x3
	global_load_ushort v26, v[28:29], off
	global_load_ushort v27, v[30:31], off
	;; [unrolled: 1-line block ×4, first 2 shown]
	s_clause 0x3
	global_load_ushort v30, v[5:6], off
	global_load_ushort v31, v[7:8], off
	global_load_ushort v32, v[9:10], off
	global_load_ushort v33, v[11:12], off
	s_and_saveexec_b32 s3, s0
	s_cbranch_execz .LBB388_15
; %bb.19:                               ;   in Loop: Header=BB388_17 Depth=1
	s_clause 0x3
	global_load_ushort v34, v[5:6], off offset:64
	global_load_ushort v35, v[7:8], off offset:64
	;; [unrolled: 1-line block ×4, first 2 shown]
	s_waitcnt vmcnt(11)
	v_cvt_f32_f16_e32 v38, v26
	s_waitcnt vmcnt(10)
	v_cvt_f32_f16_e32 v39, v27
	;; [unrolled: 2-line block ×4, first 2 shown]
	s_and_saveexec_b32 s26, s1
	s_cbranch_execz .LBB388_14
; %bb.20:                               ;   in Loop: Header=BB388_17 Depth=1
	s_clause 0x3
	global_load_ushort v42, v[5:6], off offset:128
	global_load_ushort v43, v[7:8], off offset:128
	;; [unrolled: 1-line block ×4, first 2 shown]
	s_and_saveexec_b32 s27, s2
	s_cbranch_execz .LBB388_13
; %bb.21:                               ;   in Loop: Header=BB388_17 Depth=1
	s_clause 0x3
	global_load_ushort v5, v[5:6], off offset:192
	global_load_ushort v6, v[7:8], off offset:192
	;; [unrolled: 1-line block ×4, first 2 shown]
	s_waitcnt vmcnt(3)
	v_fma_mix_f32 v5, v38, v5, v15 op_sel_hi:[0,1,0]
	s_waitcnt vmcnt(2)
	v_fma_mix_f32 v5, v39, v6, v5 op_sel_hi:[0,1,0]
	;; [unrolled: 2-line block ×4, first 2 shown]
	s_branch .LBB388_13
.LBB388_22:
	s_or_b32 exec_lo, exec_lo, s22
.LBB388_23:
	s_or_b32 exec_lo, exec_lo, s20
	s_sub_i32 s0, s9, s6
	s_cmp_lt_i32 s0, 1
	s_cbranch_scc1 .LBB388_41
; %bb.24:
	v_cmp_gt_i32_e32 vcc_lo, s9, v20
	v_mov_b32_e32 v10, 0
	v_or_b32_e32 v2, 1, v20
	v_mov_b32_e32 v11, 0
	v_mov_b32_e32 v12, 0
	;; [unrolled: 1-line block ×3, first 2 shown]
	s_and_saveexec_b32 s1, vcc_lo
	s_cbranch_execz .LBB388_32
; %bb.25:
	v_mul_lo_u32 v3, v20, s4
	v_mov_b32_e32 v12, 0
	v_mov_b32_e32 v11, 0
	;; [unrolled: 1-line block ×3, first 2 shown]
	s_mov_b32 s2, exec_lo
	v_ashrrev_i32_e32 v4, 31, v3
	v_lshlrev_b64 v[3:4], 1, v[3:4]
	v_add_co_u32 v3, s0, s18, v3
	v_add_co_ci_u32_e64 v4, null, s19, v4, s0
	global_load_ushort v3, v[3:4], off
	v_cmpx_gt_i32_e64 s9, v2
	s_cbranch_execz .LBB388_31
; %bb.26:
	v_mul_lo_u32 v4, v2, s4
	v_mov_b32_e32 v11, 0
	v_mov_b32_e32 v10, 0
	s_mov_b32 s3, exec_lo
	v_ashrrev_i32_e32 v5, 31, v4
	v_lshlrev_b64 v[4:5], 1, v[4:5]
	v_add_co_u32 v4, s0, s18, v4
	v_add_co_ci_u32_e64 v5, null, s19, v5, s0
	global_load_ushort v4, v[4:5], off
	v_or_b32_e32 v5, 2, v20
	v_cmpx_gt_i32_e64 s9, v5
	s_cbranch_execz .LBB388_30
; %bb.27:
	v_mul_lo_u32 v5, v5, s4
	v_mov_b32_e32 v10, 0
	s_mov_b32 s6, exec_lo
	v_ashrrev_i32_e32 v6, 31, v5
	v_lshlrev_b64 v[5:6], 1, v[5:6]
	v_add_co_u32 v5, s0, s18, v5
	v_add_co_ci_u32_e64 v6, null, s19, v6, s0
	global_load_ushort v5, v[5:6], off
	v_or_b32_e32 v6, 3, v20
	v_cmpx_gt_i32_e64 s9, v6
	s_cbranch_execz .LBB388_29
; %bb.28:
	v_mul_lo_u32 v6, v6, s4
	v_ashrrev_i32_e32 v7, 31, v6
	v_lshlrev_b64 v[6:7], 1, v[6:7]
	v_add_co_u32 v6, s0, s18, v6
	v_add_co_ci_u32_e64 v7, null, s19, v7, s0
	global_load_ushort v6, v[6:7], off
	s_waitcnt vmcnt(0)
	v_cvt_f32_f16_e32 v10, v6
.LBB388_29:
	s_or_b32 exec_lo, exec_lo, s6
	s_waitcnt vmcnt(0)
	v_cvt_f32_f16_e32 v11, v5
.LBB388_30:
	s_or_b32 exec_lo, exec_lo, s3
	s_waitcnt vmcnt(0)
	v_cvt_f32_f16_e32 v12, v4
.LBB388_31:
	s_or_b32 exec_lo, exec_lo, s2
	s_waitcnt vmcnt(0)
	v_cvt_f32_f16_e32 v21, v3
.LBB388_32:
	s_or_b32 exec_lo, exec_lo, s1
	s_mov_b32 s1, exec_lo
	v_cmpx_gt_i32_e64 s8, v17
	s_cbranch_execz .LBB388_40
; %bb.33:
	v_mul_lo_u32 v3, v20, s17
	v_or_b32_e32 v4, 2, v20
	v_mul_lo_u32 v5, v2, s17
	v_or_b32_e32 v6, 3, v20
	s_mov_b32 s0, exec_lo
	v_mul_lo_u32 v7, v4, s17
	v_mul_lo_u32 v8, v6, s17
	v_cndmask_b32_e32 v3, 0, v3, vcc_lo
	v_cmp_gt_i32_e32 vcc_lo, s9, v2
	v_add_nc_u32_e32 v2, v3, v17
	v_cndmask_b32_e32 v5, 0, v5, vcc_lo
	v_cmp_gt_i32_e32 vcc_lo, s9, v4
	v_ashrrev_i32_e32 v3, 31, v2
	v_add_nc_u32_e32 v4, v5, v17
	v_cndmask_b32_e32 v7, 0, v7, vcc_lo
	v_cmp_gt_i32_e32 vcc_lo, s9, v6
	v_lshlrev_b64 v[2:3], 1, v[2:3]
	v_ashrrev_i32_e32 v5, 31, v4
	v_add_nc_u32_e32 v6, v7, v17
	v_cndmask_b32_e32 v8, 0, v8, vcc_lo
	v_lshlrev_b64 v[4:5], 1, v[4:5]
	v_ashrrev_i32_e32 v7, 31, v6
	v_add_nc_u32_e32 v8, v8, v17
	v_add_co_u32 v2, vcc_lo, s7, v2
	v_add_co_ci_u32_e64 v3, null, s16, v3, vcc_lo
	v_lshlrev_b64 v[6:7], 1, v[6:7]
	v_ashrrev_i32_e32 v9, 31, v8
	v_add_co_u32 v4, vcc_lo, s7, v4
	v_add_co_ci_u32_e64 v5, null, s16, v5, vcc_lo
	global_load_ushort v22, v[2:3], off
	v_add_co_u32 v6, vcc_lo, s7, v6
	v_add_co_ci_u32_e64 v7, null, s16, v7, vcc_lo
	v_lshlrev_b64 v[8:9], 1, v[8:9]
	s_clause 0x1
	global_load_ushort v23, v[4:5], off
	global_load_ushort v24, v[6:7], off
	v_add_co_u32 v8, vcc_lo, s7, v8
	v_add_co_ci_u32_e64 v9, null, s16, v9, vcc_lo
	global_load_ushort v20, v[8:9], off
	s_waitcnt vmcnt(3)
	v_fma_mix_f32 v19, v21, v22, v19 op_sel_hi:[0,1,0]
	v_add_nc_u32_e32 v22, 32, v17
	s_waitcnt vmcnt(2)
	v_fma_mix_f32 v19, v12, v23, v19 op_sel_hi:[0,1,0]
	s_waitcnt vmcnt(1)
	v_fma_mix_f32 v19, v11, v24, v19 op_sel_hi:[0,1,0]
	v_cmpx_gt_i32_e64 s8, v22
	s_cbranch_execz .LBB388_39
; %bb.34:
	s_clause 0x3
	global_load_ushort v23, v[2:3], off offset:64
	global_load_ushort v24, v[4:5], off offset:64
	global_load_ushort v25, v[6:7], off offset:64
	global_load_ushort v22, v[8:9], off offset:64
	s_mov_b32 s2, exec_lo
	s_waitcnt vmcnt(3)
	v_fma_mix_f32 v18, v21, v23, v18 op_sel_hi:[0,1,0]
	v_add_nc_u32_e32 v23, 64, v17
	s_waitcnt vmcnt(2)
	v_fma_mix_f32 v18, v12, v24, v18 op_sel_hi:[0,1,0]
	s_waitcnt vmcnt(1)
	v_fma_mix_f32 v18, v11, v25, v18 op_sel_hi:[0,1,0]
	v_cmpx_gt_i32_e64 s8, v23
	s_cbranch_execz .LBB388_38
; %bb.35:
	s_clause 0x3
	global_load_ushort v24, v[2:3], off offset:128
	global_load_ushort v25, v[4:5], off offset:128
	;; [unrolled: 1-line block ×4, first 2 shown]
	v_add_nc_u32_e32 v17, 0x60, v17
	s_mov_b32 s3, exec_lo
	s_waitcnt vmcnt(3)
	v_fma_mix_f32 v16, v21, v24, v16 op_sel_hi:[0,1,0]
	s_waitcnt vmcnt(2)
	v_fma_mix_f32 v16, v12, v25, v16 op_sel_hi:[0,1,0]
	;; [unrolled: 2-line block ×3, first 2 shown]
	v_cmpx_gt_i32_e64 s8, v17
	s_cbranch_execz .LBB388_37
; %bb.36:
	s_clause 0x3
	global_load_ushort v2, v[2:3], off offset:192
	global_load_ushort v3, v[4:5], off offset:192
	global_load_ushort v4, v[6:7], off offset:192
	global_load_ushort v5, v[8:9], off offset:192
	s_waitcnt vmcnt(3)
	v_fma_mix_f32 v2, v21, v2, v15 op_sel_hi:[0,1,0]
	s_waitcnt vmcnt(2)
	v_fma_mix_f32 v2, v12, v3, v2 op_sel_hi:[0,1,0]
	;; [unrolled: 2-line block ×4, first 2 shown]
.LBB388_37:
	s_or_b32 exec_lo, exec_lo, s3
	s_waitcnt vmcnt(0)
	v_fma_mix_f32 v16, v10, v23, v16 op_sel_hi:[0,1,0]
.LBB388_38:
	s_or_b32 exec_lo, exec_lo, s2
	s_waitcnt vmcnt(0)
	v_fma_mix_f32 v18, v10, v22, v18 op_sel_hi:[0,1,0]
.LBB388_39:
	s_or_b32 exec_lo, exec_lo, s0
	s_waitcnt vmcnt(0)
	v_fma_mix_f32 v19, v10, v20, v19 op_sel_hi:[0,1,0]
.LBB388_40:
	s_or_b32 exec_lo, exec_lo, s1
.LBB388_41:
	v_lshlrev_b32_e32 v0, 2, v0
	s_mov_b32 s0, exec_lo
                                        ; implicit-def: $vgpr5
                                        ; implicit-def: $vgpr2_vgpr3
	v_lshl_add_u32 v1, v1, 9, v0
	ds_write2_b32 v1, v19, v18 offset1:32
	ds_write2_b32 v1, v16, v15 offset0:64 offset1:96
	s_waitcnt lgkmcnt(0)
	s_barrier
	buffer_gl0_inv
	v_cmpx_gt_u32_e32 0x80, v13
	s_cbranch_execz .LBB388_47
; %bb.42:
	v_lshl_add_u32 v6, v14, 2, v0
	s_mov_b32 s2, s14
	s_mov_b32 s1, exec_lo
	ds_read2st64_b32 v[0:1], v6 offset1:2
	ds_read2st64_b32 v[2:3], v6 offset0:4 offset1:6
	ds_read2st64_b32 v[4:5], v6 offset0:8 offset1:10
	s_waitcnt lgkmcnt(2)
	v_add_f32_e32 v7, v0, v1
	ds_read2st64_b32 v[0:1], v6 offset0:12 offset1:14
	s_waitcnt lgkmcnt(2)
	v_add_f32_e32 v2, v2, v7
	v_add_f32_e32 v7, v3, v2
	ds_read2st64_b32 v[2:3], v6 offset0:16 offset1:18
	s_waitcnt lgkmcnt(2)
	v_add_f32_e32 v4, v4, v7
	;; [unrolled: 4-line block ×3, first 2 shown]
	v_add_f32_e32 v0, v1, v0
	s_waitcnt lgkmcnt(1)
	v_add_f32_e32 v2, v2, v0
	ds_read2st64_b32 v[0:1], v6 offset0:24 offset1:26
	v_add_f32_e32 v2, v3, v2
	s_waitcnt lgkmcnt(1)
	v_add_f32_e32 v4, v4, v2
	ds_read2st64_b32 v[2:3], v6 offset0:28 offset1:30
	v_add_f32_e32 v4, v5, v4
                                        ; implicit-def: $vgpr5
	s_waitcnt lgkmcnt(1)
	v_add_f32_e32 v0, v0, v4
	v_add_f32_e32 v0, v1, v0
	v_or_b32_e32 v1, s5, v13
	s_waitcnt lgkmcnt(0)
	v_add_f32_e32 v0, v2, v0
	v_add_f32_e32 v0, v3, v0
                                        ; implicit-def: $vgpr2_vgpr3
	ds_write_b32 v6, v0
	v_cmpx_gt_i32_e64 s8, v1
	s_cbranch_execz .LBB388_46
; %bb.43:
	v_mul_lo_u32 v2, s15, v1
	v_cmp_eq_f32_e64 s2, s13, 0
	v_mul_f32_e32 v0, s10, v0
	s_and_b32 vcc_lo, exec_lo, s2
	v_ashrrev_i32_e32 v3, 31, v2
	s_cbranch_vccnz .LBB388_45
; %bb.44:
	v_lshlrev_b64 v[4:5], 1, v[2:3]
	v_add_co_u32 v4, vcc_lo, s11, v4
	v_add_co_ci_u32_e64 v5, null, s12, v5, vcc_lo
	global_load_ushort v1, v[4:5], off
	s_waitcnt vmcnt(0)
	v_fma_mix_f32 v0, s13, v1, v0 op_sel_hi:[0,1,0]
.LBB388_45:
	v_cvt_f16_f32_e32 v5, v0
	s_or_b32 s2, s14, exec_lo
.LBB388_46:
	s_or_b32 exec_lo, exec_lo, s1
	s_andn2_b32 s1, s14, exec_lo
	s_and_b32 s2, s2, exec_lo
	s_or_b32 s14, s1, s2
.LBB388_47:
	s_or_b32 exec_lo, exec_lo, s0
.LBB388_48:
	s_and_saveexec_b32 s0, s14
	s_cbranch_execz .LBB388_50
; %bb.49:
	v_lshlrev_b64 v[0:1], 1, v[2:3]
	v_add_co_u32 v0, vcc_lo, s11, v0
	v_add_co_ci_u32_e64 v1, null, s12, v1, vcc_lo
	global_store_short v[0:1], v5, off
.LBB388_50:
	s_endpgm
	.section	.rodata,"a",@progbits
	.p2align	6, 0x0
	.amdhsa_kernel _ZL20rocblas_gemvn_kernelILi32ELi16EiDF16_fDF16_EviiT3_lPKT2_lT1_lS3_lS4_lS0_lPT4_lS4_li
		.amdhsa_group_segment_fixed_size 8192
		.amdhsa_private_segment_fixed_size 0
		.amdhsa_kernarg_size 400
		.amdhsa_user_sgpr_count 6
		.amdhsa_user_sgpr_private_segment_buffer 1
		.amdhsa_user_sgpr_dispatch_ptr 0
		.amdhsa_user_sgpr_queue_ptr 0
		.amdhsa_user_sgpr_kernarg_segment_ptr 1
		.amdhsa_user_sgpr_dispatch_id 0
		.amdhsa_user_sgpr_flat_scratch_init 0
		.amdhsa_user_sgpr_private_segment_size 0
		.amdhsa_wavefront_size32 1
		.amdhsa_uses_dynamic_stack 0
		.amdhsa_system_sgpr_private_segment_wavefront_offset 0
		.amdhsa_system_sgpr_workgroup_id_x 1
		.amdhsa_system_sgpr_workgroup_id_y 0
		.amdhsa_system_sgpr_workgroup_id_z 1
		.amdhsa_system_sgpr_workgroup_info 0
		.amdhsa_system_vgpr_workitem_id 1
		.amdhsa_next_free_vgpr 46
		.amdhsa_next_free_sgpr 28
		.amdhsa_reserve_vcc 1
		.amdhsa_reserve_flat_scratch 0
		.amdhsa_float_round_mode_32 0
		.amdhsa_float_round_mode_16_64 0
		.amdhsa_float_denorm_mode_32 3
		.amdhsa_float_denorm_mode_16_64 3
		.amdhsa_dx10_clamp 1
		.amdhsa_ieee_mode 1
		.amdhsa_fp16_overflow 0
		.amdhsa_workgroup_processor_mode 1
		.amdhsa_memory_ordered 1
		.amdhsa_forward_progress 1
		.amdhsa_shared_vgpr_count 0
		.amdhsa_exception_fp_ieee_invalid_op 0
		.amdhsa_exception_fp_denorm_src 0
		.amdhsa_exception_fp_ieee_div_zero 0
		.amdhsa_exception_fp_ieee_overflow 0
		.amdhsa_exception_fp_ieee_underflow 0
		.amdhsa_exception_fp_ieee_inexact 0
		.amdhsa_exception_int_div_zero 0
	.end_amdhsa_kernel
	.section	.text._ZL20rocblas_gemvn_kernelILi32ELi16EiDF16_fDF16_EviiT3_lPKT2_lT1_lS3_lS4_lS0_lPT4_lS4_li,"axG",@progbits,_ZL20rocblas_gemvn_kernelILi32ELi16EiDF16_fDF16_EviiT3_lPKT2_lT1_lS3_lS4_lS0_lPT4_lS4_li,comdat
.Lfunc_end388:
	.size	_ZL20rocblas_gemvn_kernelILi32ELi16EiDF16_fDF16_EviiT3_lPKT2_lT1_lS3_lS4_lS0_lPT4_lS4_li, .Lfunc_end388-_ZL20rocblas_gemvn_kernelILi32ELi16EiDF16_fDF16_EviiT3_lPKT2_lT1_lS3_lS4_lS0_lPT4_lS4_li
                                        ; -- End function
	.set _ZL20rocblas_gemvn_kernelILi32ELi16EiDF16_fDF16_EviiT3_lPKT2_lT1_lS3_lS4_lS0_lPT4_lS4_li.num_vgpr, 46
	.set _ZL20rocblas_gemvn_kernelILi32ELi16EiDF16_fDF16_EviiT3_lPKT2_lT1_lS3_lS4_lS0_lPT4_lS4_li.num_agpr, 0
	.set _ZL20rocblas_gemvn_kernelILi32ELi16EiDF16_fDF16_EviiT3_lPKT2_lT1_lS3_lS4_lS0_lPT4_lS4_li.numbered_sgpr, 28
	.set _ZL20rocblas_gemvn_kernelILi32ELi16EiDF16_fDF16_EviiT3_lPKT2_lT1_lS3_lS4_lS0_lPT4_lS4_li.num_named_barrier, 0
	.set _ZL20rocblas_gemvn_kernelILi32ELi16EiDF16_fDF16_EviiT3_lPKT2_lT1_lS3_lS4_lS0_lPT4_lS4_li.private_seg_size, 0
	.set _ZL20rocblas_gemvn_kernelILi32ELi16EiDF16_fDF16_EviiT3_lPKT2_lT1_lS3_lS4_lS0_lPT4_lS4_li.uses_vcc, 1
	.set _ZL20rocblas_gemvn_kernelILi32ELi16EiDF16_fDF16_EviiT3_lPKT2_lT1_lS3_lS4_lS0_lPT4_lS4_li.uses_flat_scratch, 0
	.set _ZL20rocblas_gemvn_kernelILi32ELi16EiDF16_fDF16_EviiT3_lPKT2_lT1_lS3_lS4_lS0_lPT4_lS4_li.has_dyn_sized_stack, 0
	.set _ZL20rocblas_gemvn_kernelILi32ELi16EiDF16_fDF16_EviiT3_lPKT2_lT1_lS3_lS4_lS0_lPT4_lS4_li.has_recursion, 0
	.set _ZL20rocblas_gemvn_kernelILi32ELi16EiDF16_fDF16_EviiT3_lPKT2_lT1_lS3_lS4_lS0_lPT4_lS4_li.has_indirect_call, 0
	.section	.AMDGPU.csdata,"",@progbits
; Kernel info:
; codeLenInByte = 2908
; TotalNumSgprs: 30
; NumVgprs: 46
; ScratchSize: 0
; MemoryBound: 0
; FloatMode: 240
; IeeeMode: 1
; LDSByteSize: 8192 bytes/workgroup (compile time only)
; SGPRBlocks: 0
; VGPRBlocks: 5
; NumSGPRsForWavesPerEU: 30
; NumVGPRsForWavesPerEU: 46
; Occupancy: 16
; WaveLimiterHint : 1
; COMPUTE_PGM_RSRC2:SCRATCH_EN: 0
; COMPUTE_PGM_RSRC2:USER_SGPR: 6
; COMPUTE_PGM_RSRC2:TRAP_HANDLER: 0
; COMPUTE_PGM_RSRC2:TGID_X_EN: 1
; COMPUTE_PGM_RSRC2:TGID_Y_EN: 0
; COMPUTE_PGM_RSRC2:TGID_Z_EN: 1
; COMPUTE_PGM_RSRC2:TIDIG_COMP_CNT: 1
	.section	.text._ZL20rocblas_gemvn_kernelILi32ELi16ElDF16_fDF16_EviiT3_lPKT2_lT1_lS3_lS4_lS0_lPT4_lS4_li,"axG",@progbits,_ZL20rocblas_gemvn_kernelILi32ELi16ElDF16_fDF16_EviiT3_lPKT2_lT1_lS3_lS4_lS0_lPT4_lS4_li,comdat
	.globl	_ZL20rocblas_gemvn_kernelILi32ELi16ElDF16_fDF16_EviiT3_lPKT2_lT1_lS3_lS4_lS0_lPT4_lS4_li ; -- Begin function _ZL20rocblas_gemvn_kernelILi32ELi16ElDF16_fDF16_EviiT3_lPKT2_lT1_lS3_lS4_lS0_lPT4_lS4_li
	.p2align	8
	.type	_ZL20rocblas_gemvn_kernelILi32ELi16ElDF16_fDF16_EviiT3_lPKT2_lT1_lS3_lS4_lS0_lPT4_lS4_li,@function
_ZL20rocblas_gemvn_kernelILi32ELi16ElDF16_fDF16_EviiT3_lPKT2_lT1_lS3_lS4_lS0_lPT4_lS4_li: ; @_ZL20rocblas_gemvn_kernelILi32ELi16ElDF16_fDF16_EviiT3_lPKT2_lT1_lS3_lS4_lS0_lPT4_lS4_li
; %bb.0:
	s_load_dwordx2 s[0:1], s[4:5], 0x9c
	s_waitcnt lgkmcnt(0)
	s_lshr_b32 s2, s0, 16
	s_and_b32 s0, s0, 0xffff
	s_and_b32 s1, s1, 0xffff
	s_mul_i32 s0, s2, s0
	s_mul_i32 s0, s0, s1
	s_cmpk_lg_i32 s0, 0x200
	s_cbranch_scc1 .LBB389_50
; %bb.1:
	s_clause 0x1
	s_load_dwordx4 s[28:31], s[4:5], 0x0
	s_load_dword s36, s[4:5], 0x58
	s_mov_b32 s37, 0
	s_waitcnt lgkmcnt(0)
	v_cmp_eq_f32_e64 s0, s30, 0
	v_cmp_eq_f32_e64 s1, s36, 1.0
	s_and_b32 s0, s0, s1
	s_and_b32 vcc_lo, exec_lo, s0
	s_cbranch_vccnz .LBB389_50
; %bb.2:
	s_load_dwordx8 s[20:27], s[4:5], 0x68
	v_lshlrev_b32_e32 v14, 5, v1
	v_add_nc_u32_e32 v13, v14, v0
	s_waitcnt lgkmcnt(0)
	s_mul_i32 s1, s27, s7
	s_mul_hi_u32 s2, s26, s7
	s_mul_i32 s0, s26, s7
	s_add_i32 s1, s2, s1
	v_cmp_neq_f32_e64 s2, s30, 0
	s_lshl_b64 s[0:1], s[0:1], 1
	s_add_u32 s3, s20, s0
	s_addc_u32 s8, s21, s1
	s_lshl_b64 s[0:1], s[22:23], 1
	s_add_u32 s31, s3, s0
	v_cmp_gt_u32_e64 s0, 0x80, v13
	s_addc_u32 s33, s8, s1
	s_and_b32 vcc_lo, exec_lo, s2
	s_cbranch_vccnz .LBB389_9
; %bb.3:
	s_mov_b32 s1, 0
                                        ; implicit-def: $vgpr5
                                        ; implicit-def: $vgpr2_vgpr3
	s_and_saveexec_b32 s2, s0
	s_cbranch_execz .LBB389_10
; %bb.4:
	v_lshl_or_b32 v4, s6, 7, v13
	v_mov_b32_e32 v5, 0
	s_ashr_i32 s9, s28, 31
	s_mov_b32 s8, s28
	s_mov_b32 s3, 0
	s_mov_b32 s0, exec_lo
                                        ; implicit-def: $vgpr2_vgpr3
	v_cmpx_gt_i64_e64 s[8:9], v[4:5]
	s_cbranch_execz .LBB389_8
; %bb.5:
	v_mad_u64_u32 v[2:3], null, s24, v4, 0
	v_cmp_eq_f32_e64 s3, s36, 0
	s_and_b32 vcc_lo, exec_lo, s3
	v_mad_u64_u32 v[3:4], null, s25, v4, v[3:4]
	s_cbranch_vccnz .LBB389_7
; %bb.6:
	v_lshlrev_b64 v[4:5], 1, v[2:3]
	v_add_co_u32 v4, vcc_lo, s31, v4
	v_add_co_ci_u32_e64 v5, null, s33, v5, vcc_lo
	global_load_ushort v4, v[4:5], off
	s_waitcnt vmcnt(0)
	v_fma_mixlo_f16 v5, s36, v4, 0 op_sel_hi:[0,1,0]
.LBB389_7:
	s_mov_b32 s3, exec_lo
.LBB389_8:
	s_or_b32 exec_lo, exec_lo, s0
	s_and_b32 s37, s3, exec_lo
	s_or_b32 exec_lo, exec_lo, s2
	s_and_b32 vcc_lo, exec_lo, s1
	s_cbranch_vccnz .LBB389_11
	s_branch .LBB389_48
.LBB389_9:
                                        ; implicit-def: $vgpr5
                                        ; implicit-def: $vgpr2_vgpr3
	s_cbranch_execnz .LBB389_11
	s_branch .LBB389_48
.LBB389_10:
	s_or_b32 exec_lo, exec_lo, s2
	s_and_b32 vcc_lo, exec_lo, s1
	s_cbranch_vccz .LBB389_48
.LBB389_11:
	s_load_dwordx16 s[8:23], s[4:5], 0x18
	s_ashr_i32 s0, s29, 31
	s_lshl_b32 s5, s6, 7
	s_lshr_b32 s0, s0, 26
	v_lshlrev_b32_e32 v15, 2, v1
	v_mov_b32_e32 v19, 0
	v_mov_b32_e32 v18, 0
	;; [unrolled: 1-line block ×4, first 2 shown]
	v_add_nc_u32_e32 v2, s5, v0
	s_add_i32 s38, s29, s0
	s_mov_b32 s39, exec_lo
	s_andn2_b32 s38, s38, 63
	s_waitcnt lgkmcnt(0)
	s_mul_i32 s0, s15, s7
	s_mul_hi_u32 s1, s14, s7
	s_mul_i32 s2, s23, s7
	s_mul_hi_u32 s3, s22, s7
	s_mul_i32 s14, s14, s7
	s_add_i32 s15, s1, s0
	s_add_i32 s23, s3, s2
	s_mul_i32 s22, s22, s7
	v_cmpx_gt_i32_e64 s38, v15
	s_cbranch_execz .LBB389_23
; %bb.12:
	v_lshlrev_b32_e32 v30, 2, v1
	v_mad_u64_u32 v[4:5], null, s20, v1, 0
	v_add_nc_u32_e32 v11, 32, v2
	v_add_nc_u32_e32 v12, 64, v2
	v_or_b32_e32 v16, 3, v30
	s_lshl_b64 s[0:1], s[22:23], 1
	s_lshl_b64 s[6:7], s[18:19], 1
	s_add_u32 s4, s16, s0
	s_addc_u32 s42, s17, s1
	v_mad_u64_u32 v[6:7], null, s12, v16, 0
	v_cmp_gt_i32_e64 s0, s28, v11
	v_cmp_gt_i32_e64 s1, s28, v12
	v_add_nc_u32_e32 v17, 0x60, v2
	v_or_b32_e32 v24, 2, v30
	s_lshl_b64 s[34:35], s[10:11], 1
	s_lshl_b64 s[26:27], s[20:21], 7
	v_mad_u64_u32 v[8:9], null, s21, v1, v[5:6]
	v_mad_u64_u32 v[9:10], null, s20, v16, 0
	v_cmp_gt_i32_e64 s2, s28, v17
	s_lshl_b64 s[40:41], s[14:15], 1
	v_mad_u64_u32 v[28:29], null, s20, v24, 0
	v_mov_b32_e32 v5, v8
	v_mad_u64_u32 v[7:8], null, s13, v16, v[7:8]
	v_mad_u64_u32 v[32:33], null, s12, v30, s[12:13]
	v_lshlrev_b64 v[11:12], 3, v[4:5]
	v_mov_b32_e32 v5, v10
	v_mov_b32_e32 v8, v29
	v_ashrrev_i32_e32 v3, 31, v2
	v_lshlrev_b64 v[6:7], 1, v[6:7]
	v_cmp_gt_i32_e32 vcc_lo, s28, v2
	v_add_co_u32 v20, s3, s4, v11
	v_add_co_ci_u32_e64 v21, null, s42, v12, s3
	v_mad_u64_u32 v[16:17], null, s21, v16, v[5:6]
	v_mad_u64_u32 v[11:12], null, s12, v1, 0
	s_add_u32 s3, s8, s34
	s_addc_u32 s34, s9, s35
	s_add_u32 s35, s3, s40
	s_addc_u32 s34, s34, s41
	v_mov_b32_e32 v10, v16
	v_mad_u64_u32 v[16:17], null, s12, v24, 0
	v_mov_b32_e32 v5, v12
	v_add_co_u32 v22, s3, s35, v6
	v_add_co_ci_u32_e64 v23, null, s34, v7, s3
	v_mad_u64_u32 v[18:19], null, s13, v1, v[5:6]
	v_lshlrev_b64 v[6:7], 1, v[9:10]
	v_mov_b32_e32 v5, v17
	v_lshlrev_b64 v[3:4], 1, v[2:3]
	s_mov_b32 s40, 0
	v_mad_u64_u32 v[9:10], null, s13, v24, v[5:6]
	v_mov_b32_e32 v12, v18
	v_mad_u64_u32 v[18:19], null, s20, v30, s[20:21]
	v_mad_u64_u32 v[26:27], null, s21, v24, v[8:9]
	v_add_co_u32 v24, s3, s4, v6
	v_add_co_ci_u32_e64 v25, null, s42, v7, s3
	v_lshlrev_b64 v[6:7], 3, v[11:12]
	v_mov_b32_e32 v5, v19
	v_mov_b32_e32 v17, v9
	;; [unrolled: 1-line block ×3, first 2 shown]
	v_add_co_u32 v26, s3, s35, v6
	v_mad_u64_u32 v[8:9], null, s21, v30, v[5:6]
	v_add_co_ci_u32_e64 v27, null, s34, v7, s3
	v_lshlrev_b64 v[6:7], 1, v[16:17]
	v_mov_b32_e32 v5, v33
	v_mov_b32_e32 v17, 0
	v_mov_b32_e32 v16, 0
	v_mov_b32_e32 v19, v8
	v_mad_u64_u32 v[9:10], null, s13, v30, v[5:6]
	v_lshlrev_b64 v[10:11], 1, v[28:29]
	v_add_co_u32 v28, s3, s35, v6
	v_lshlrev_b64 v[5:6], 1, v[18:19]
	v_add_co_ci_u32_e64 v29, null, s34, v7, s3
	v_mov_b32_e32 v33, v9
	v_add_co_u32 v30, s3, s4, v10
	v_add_co_ci_u32_e64 v31, null, s42, v11, s3
	v_lshlrev_b64 v[7:8], 1, v[32:33]
	v_add_co_u32 v32, s3, s4, v5
	v_add_co_ci_u32_e64 v33, null, s42, v6, s3
	v_mov_b32_e32 v19, 0
	v_add_co_u32 v34, s3, s35, v7
	v_add_co_ci_u32_e64 v35, null, s34, v8, s3
	v_mov_b32_e32 v18, 0
	s_lshl_b64 s[34:35], s[12:13], 7
	s_branch .LBB389_17
.LBB389_13:                             ;   in Loop: Header=BB389_17 Depth=1
	s_or_b32 exec_lo, exec_lo, s42
	s_waitcnt vmcnt(3)
	v_fma_mix_f32 v5, v48, v52, v17 op_sel_hi:[0,1,0]
	s_waitcnt vmcnt(2)
	v_fma_mix_f32 v5, v49, v53, v5 op_sel_hi:[0,1,0]
	;; [unrolled: 2-line block ×4, first 2 shown]
.LBB389_14:                             ;   in Loop: Header=BB389_17 Depth=1
	s_or_b32 exec_lo, exec_lo, s41
	s_waitcnt vmcnt(3)
	v_fma_mix_f32 v5, v48, v44, v18 op_sel_hi:[0,1,0]
	s_waitcnt vmcnt(2)
	v_fma_mix_f32 v5, v49, v45, v5 op_sel_hi:[0,1,0]
	;; [unrolled: 2-line block ×4, first 2 shown]
.LBB389_15:                             ;   in Loop: Header=BB389_17 Depth=1
	s_or_b32 exec_lo, exec_lo, s3
	s_waitcnt vmcnt(3)
	v_fma_mix_f32 v5, v36, v40, v19 op_sel_hi:[1,1,0]
	s_waitcnt vmcnt(2)
	v_fma_mix_f32 v5, v37, v41, v5 op_sel_hi:[1,1,0]
	;; [unrolled: 2-line block ×4, first 2 shown]
.LBB389_16:                             ;   in Loop: Header=BB389_17 Depth=1
	s_or_b32 exec_lo, exec_lo, s4
	v_add_co_u32 v20, s3, v20, s26
	v_add_co_ci_u32_e64 v21, null, s27, v21, s3
	v_add_co_u32 v22, s3, v22, s34
	v_add_co_ci_u32_e64 v23, null, s35, v23, s3
	;; [unrolled: 2-line block ×4, first 2 shown]
	v_add_co_u32 v28, s3, v28, s34
	v_add_nc_u32_e32 v15, 64, v15
	v_add_co_ci_u32_e64 v29, null, s35, v29, s3
	v_add_co_u32 v30, s3, v30, s26
	v_add_co_ci_u32_e64 v31, null, s27, v31, s3
	v_add_co_u32 v32, s3, v32, s26
	v_add_co_ci_u32_e64 v33, null, s27, v33, s3
	v_cmp_le_i32_e64 s3, s38, v15
	v_add_co_u32 v34, s4, v34, s34
	v_add_co_ci_u32_e64 v35, null, s35, v35, s4
	s_or_b32 s40, s3, s40
	s_andn2_b32 exec_lo, exec_lo, s40
	s_cbranch_execz .LBB389_22
.LBB389_17:                             ; =>This Inner Loop Header: Depth=1
	s_and_saveexec_b32 s4, vcc_lo
	s_cbranch_execz .LBB389_16
; %bb.18:                               ;   in Loop: Header=BB389_17 Depth=1
	v_add_co_u32 v5, s3, v20, s6
	v_add_co_ci_u32_e64 v6, null, s7, v21, s3
	v_add_co_u32 v7, s3, v32, s6
	v_add_co_ci_u32_e64 v8, null, s7, v33, s3
	;; [unrolled: 2-line block ×3, first 2 shown]
	v_add_co_u32 v39, s3, v24, s6
	global_load_ushort v36, v[5:6], off
	global_load_ushort v37, v[7:8], off
	;; [unrolled: 1-line block ×3, first 2 shown]
	v_add_co_ci_u32_e64 v40, null, s7, v25, s3
	v_add_co_u32 v5, s3, v26, v3
	v_add_co_ci_u32_e64 v6, null, v27, v4, s3
	v_add_co_u32 v7, s3, v34, v3
	;; [unrolled: 2-line block ×4, first 2 shown]
	v_add_co_ci_u32_e64 v12, null, v23, v4, s3
	global_load_ushort v39, v[39:40], off
	global_load_ushort v40, v[5:6], off
	;; [unrolled: 1-line block ×5, first 2 shown]
	s_and_saveexec_b32 s3, s0
	s_cbranch_execz .LBB389_15
; %bb.19:                               ;   in Loop: Header=BB389_17 Depth=1
	global_load_ushort v44, v[5:6], off offset:64
	global_load_ushort v45, v[7:8], off offset:64
	global_load_ushort v46, v[9:10], off offset:64
	global_load_ushort v47, v[11:12], off offset:64
	s_waitcnt vmcnt(11)
	v_cvt_f32_f16_e32 v48, v36
	s_waitcnt vmcnt(10)
	v_cvt_f32_f16_e32 v49, v37
	;; [unrolled: 2-line block ×4, first 2 shown]
	s_and_saveexec_b32 s41, s1
	s_cbranch_execz .LBB389_14
; %bb.20:                               ;   in Loop: Header=BB389_17 Depth=1
	global_load_ushort v52, v[5:6], off offset:128
	global_load_ushort v53, v[7:8], off offset:128
	;; [unrolled: 1-line block ×4, first 2 shown]
	s_and_saveexec_b32 s42, s2
	s_cbranch_execz .LBB389_13
; %bb.21:                               ;   in Loop: Header=BB389_17 Depth=1
	global_load_ushort v5, v[5:6], off offset:192
	global_load_ushort v6, v[7:8], off offset:192
	;; [unrolled: 1-line block ×4, first 2 shown]
	s_waitcnt vmcnt(3)
	v_fma_mix_f32 v5, v48, v5, v16 op_sel_hi:[0,1,0]
	s_waitcnt vmcnt(2)
	v_fma_mix_f32 v5, v49, v6, v5 op_sel_hi:[0,1,0]
	;; [unrolled: 2-line block ×4, first 2 shown]
	s_branch .LBB389_13
.LBB389_22:
	s_or_b32 exec_lo, exec_lo, s40
.LBB389_23:
	s_or_b32 exec_lo, exec_lo, s39
	s_sub_i32 s0, s29, s38
	s_cmp_lt_i32 s0, 1
	s_cbranch_scc1 .LBB389_41
; %bb.24:
	v_cmp_gt_i32_e32 vcc_lo, s29, v15
	v_mov_b32_e32 v11, 0
	v_or_b32_e32 v4, 1, v15
	v_mov_b32_e32 v12, 0
	v_mov_b32_e32 v20, 0
	;; [unrolled: 1-line block ×3, first 2 shown]
	s_and_saveexec_b32 s1, vcc_lo
	s_cbranch_execz .LBB389_32
; %bb.25:
	v_mad_u64_u32 v[5:6], null, s20, v15, 0
	s_lshl_b64 s[2:3], s[22:23], 1
	v_mov_b32_e32 v20, 0
	s_add_u32 s0, s16, s2
	s_addc_u32 s2, s17, s3
	s_lshl_b64 s[6:7], s[18:19], 1
	v_mov_b32_e32 v12, 0
	v_mov_b32_e32 v3, v6
	s_add_u32 s3, s0, s6
	s_addc_u32 s4, s2, s7
	v_mov_b32_e32 v11, 0
	s_mov_b32 s2, exec_lo
	v_mad_u64_u32 v[6:7], null, s21, v15, v[3:4]
	v_lshlrev_b64 v[5:6], 1, v[5:6]
	v_add_co_u32 v5, s0, s3, v5
	v_add_co_ci_u32_e64 v6, null, s4, v6, s0
	global_load_ushort v3, v[5:6], off
	v_cmpx_gt_i32_e64 s29, v4
	s_cbranch_execz .LBB389_31
; %bb.26:
	v_mad_u64_u32 v[5:6], null, s20, v4, 0
	v_mov_b32_e32 v12, 0
	v_mov_b32_e32 v11, 0
	s_mov_b32 s6, exec_lo
	v_mad_u64_u32 v[6:7], null, s21, v4, v[6:7]
	v_lshlrev_b64 v[5:6], 1, v[5:6]
	v_add_co_u32 v5, s0, s3, v5
	v_add_co_ci_u32_e64 v6, null, s4, v6, s0
	global_load_ushort v5, v[5:6], off
	v_or_b32_e32 v6, 2, v15
	v_cmpx_gt_i32_e64 s29, v6
	s_cbranch_execz .LBB389_30
; %bb.27:
	v_mad_u64_u32 v[7:8], null, s20, v6, 0
	v_mov_b32_e32 v11, 0
	s_mov_b32 s7, exec_lo
	v_mad_u64_u32 v[8:9], null, s21, v6, v[8:9]
	v_lshlrev_b64 v[6:7], 1, v[7:8]
	v_add_co_u32 v6, s0, s3, v6
	v_add_co_ci_u32_e64 v7, null, s4, v7, s0
	global_load_ushort v6, v[6:7], off
	v_or_b32_e32 v7, 3, v15
	v_cmpx_gt_i32_e64 s29, v7
	s_cbranch_execz .LBB389_29
; %bb.28:
	v_mad_u64_u32 v[8:9], null, s20, v7, 0
	v_mad_u64_u32 v[9:10], null, s21, v7, v[9:10]
	v_lshlrev_b64 v[7:8], 1, v[8:9]
	v_add_co_u32 v7, s0, s3, v7
	v_add_co_ci_u32_e64 v8, null, s4, v8, s0
	global_load_ushort v7, v[7:8], off
	s_waitcnt vmcnt(0)
	v_cvt_f32_f16_e32 v11, v7
.LBB389_29:
	s_or_b32 exec_lo, exec_lo, s7
	s_waitcnt vmcnt(0)
	v_cvt_f32_f16_e32 v12, v6
.LBB389_30:
	s_or_b32 exec_lo, exec_lo, s6
	s_waitcnt vmcnt(0)
	v_cvt_f32_f16_e32 v20, v5
.LBB389_31:
	s_or_b32 exec_lo, exec_lo, s2
	s_waitcnt vmcnt(0)
	v_cvt_f32_f16_e32 v21, v3
.LBB389_32:
	s_or_b32 exec_lo, exec_lo, s1
	s_mov_b32 s1, exec_lo
	v_cmpx_gt_i32_e64 s28, v2
	s_cbranch_execz .LBB389_40
; %bb.33:
	v_mad_u64_u32 v[5:6], null, s12, v15, 0
	v_mad_u64_u32 v[7:8], null, s12, v4, 0
	v_ashrrev_i32_e32 v3, 31, v2
	v_or_b32_e32 v29, 2, v15
	s_lshl_b64 s[2:3], s[14:15], 1
	s_add_u32 s0, s8, s2
	v_lshlrev_b64 v[22:23], 1, v[2:3]
	v_mad_u64_u32 v[9:10], null, s13, v15, v[6:7]
	v_mov_b32_e32 v3, v8
	v_cndmask_b32_e32 v5, 0, v5, vcc_lo
	v_or_b32_e32 v15, 3, v15
	v_mad_u64_u32 v[24:25], null, s12, v29, 0
	v_mad_u64_u32 v[26:27], null, s13, v4, v[3:4]
	v_cndmask_b32_e32 v6, 0, v9, vcc_lo
	v_cmp_gt_i32_e32 vcc_lo, s29, v4
	s_addc_u32 s4, s9, s3
	s_lshl_b64 s[2:3], s[10:11], 1
	v_mad_u64_u32 v[8:9], null, s12, v15, 0
	v_lshlrev_b64 v[5:6], 1, v[5:6]
	v_cndmask_b32_e32 v27, 0, v7, vcc_lo
	v_cndmask_b32_e32 v28, 0, v26, vcc_lo
	s_add_u32 s2, s0, s2
	v_mov_b32_e32 v7, v25
	s_addc_u32 s3, s4, s3
	v_add_co_u32 v3, s0, s2, v5
	v_add_co_ci_u32_e64 v4, null, s3, v6, s0
	v_lshlrev_b64 v[5:6], 1, v[27:28]
	v_mad_u64_u32 v[25:26], null, s13, v29, v[7:8]
	v_add_co_u32 v3, vcc_lo, v3, v22
	v_add_co_ci_u32_e64 v4, null, v4, v23, vcc_lo
	v_cmp_gt_i32_e32 vcc_lo, s29, v29
	v_mov_b32_e32 v7, v9
	v_add_co_u32 v5, s0, s2, v5
	v_add_co_ci_u32_e64 v6, null, s3, v6, s0
	v_cndmask_b32_e32 v9, 0, v24, vcc_lo
	v_cndmask_b32_e32 v10, 0, v25, vcc_lo
	v_mad_u64_u32 v[24:25], null, s13, v15, v[7:8]
	v_add_co_u32 v5, vcc_lo, v5, v22
	v_add_co_ci_u32_e64 v6, null, v6, v23, vcc_lo
	v_cmp_gt_i32_e32 vcc_lo, s29, v15
	v_lshlrev_b64 v[9:10], 1, v[9:10]
	s_clause 0x1
	global_load_ushort v25, v[3:4], off
	global_load_ushort v26, v[5:6], off
	s_mov_b32 s0, exec_lo
	v_cndmask_b32_e32 v7, 0, v8, vcc_lo
	v_cndmask_b32_e32 v8, 0, v24, vcc_lo
	v_add_co_u32 v15, vcc_lo, s2, v9
	v_add_co_ci_u32_e64 v24, null, s3, v10, vcc_lo
	v_lshlrev_b64 v[9:10], 1, v[7:8]
	v_add_co_u32 v7, vcc_lo, v15, v22
	v_add_co_ci_u32_e64 v8, null, v24, v23, vcc_lo
	v_add_co_u32 v9, vcc_lo, s2, v9
	v_add_co_ci_u32_e64 v10, null, s3, v10, vcc_lo
	global_load_ushort v24, v[7:8], off
	v_add_co_u32 v9, vcc_lo, v9, v22
	v_add_co_ci_u32_e64 v10, null, v10, v23, vcc_lo
	v_add_nc_u32_e32 v22, 32, v2
	global_load_ushort v15, v[9:10], off
	s_waitcnt vmcnt(3)
	v_fma_mix_f32 v19, v21, v25, v19 op_sel_hi:[0,1,0]
	s_waitcnt vmcnt(2)
	v_fma_mix_f32 v19, v20, v26, v19 op_sel_hi:[0,1,0]
	;; [unrolled: 2-line block ×3, first 2 shown]
	v_cmpx_gt_i32_e64 s28, v22
	s_cbranch_execz .LBB389_39
; %bb.34:
	s_clause 0x3
	global_load_ushort v23, v[3:4], off offset:64
	global_load_ushort v24, v[5:6], off offset:64
	global_load_ushort v25, v[7:8], off offset:64
	global_load_ushort v22, v[9:10], off offset:64
	s_mov_b32 s2, exec_lo
	s_waitcnt vmcnt(3)
	v_fma_mix_f32 v18, v21, v23, v18 op_sel_hi:[0,1,0]
	v_add_nc_u32_e32 v23, 64, v2
	s_waitcnt vmcnt(2)
	v_fma_mix_f32 v18, v20, v24, v18 op_sel_hi:[0,1,0]
	s_waitcnt vmcnt(1)
	v_fma_mix_f32 v18, v12, v25, v18 op_sel_hi:[0,1,0]
	v_cmpx_gt_i32_e64 s28, v23
	s_cbranch_execz .LBB389_38
; %bb.35:
	s_clause 0x3
	global_load_ushort v24, v[3:4], off offset:128
	global_load_ushort v25, v[5:6], off offset:128
	;; [unrolled: 1-line block ×4, first 2 shown]
	s_mov_b32 s3, exec_lo
	s_waitcnt vmcnt(3)
	v_fma_mix_f32 v17, v21, v24, v17 op_sel_hi:[0,1,0]
	v_add_nc_u32_e32 v24, 0x60, v2
	s_waitcnt vmcnt(2)
	v_fma_mix_f32 v17, v20, v25, v17 op_sel_hi:[0,1,0]
	s_waitcnt vmcnt(1)
	v_fma_mix_f32 v2, v12, v26, v17 op_sel_hi:[0,1,0]
	v_cmpx_gt_i32_e64 s28, v24
	s_cbranch_execz .LBB389_37
; %bb.36:
	s_clause 0x3
	global_load_ushort v3, v[3:4], off offset:192
	global_load_ushort v4, v[5:6], off offset:192
	;; [unrolled: 1-line block ×4, first 2 shown]
	s_waitcnt vmcnt(3)
	v_fma_mix_f32 v3, v21, v3, v16 op_sel_hi:[0,1,0]
	s_waitcnt vmcnt(2)
	v_fma_mix_f32 v3, v20, v4, v3 op_sel_hi:[0,1,0]
	;; [unrolled: 2-line block ×4, first 2 shown]
.LBB389_37:
	s_or_b32 exec_lo, exec_lo, s3
	s_waitcnt vmcnt(0)
	v_fma_mix_f32 v17, v11, v23, v2 op_sel_hi:[0,1,0]
.LBB389_38:
	s_or_b32 exec_lo, exec_lo, s2
	s_waitcnt vmcnt(0)
	v_fma_mix_f32 v18, v11, v22, v18 op_sel_hi:[0,1,0]
.LBB389_39:
	s_or_b32 exec_lo, exec_lo, s0
	s_waitcnt vmcnt(0)
	v_fma_mix_f32 v19, v11, v15, v19 op_sel_hi:[0,1,0]
.LBB389_40:
	s_or_b32 exec_lo, exec_lo, s1
.LBB389_41:
	v_lshlrev_b32_e32 v0, 2, v0
	s_mov_b32 s0, exec_lo
                                        ; implicit-def: $vgpr5
                                        ; implicit-def: $vgpr2_vgpr3
	v_lshl_add_u32 v1, v1, 9, v0
	ds_write2_b32 v1, v19, v18 offset1:32
	ds_write2_b32 v1, v17, v16 offset0:64 offset1:96
	s_waitcnt lgkmcnt(0)
	s_barrier
	buffer_gl0_inv
	v_cmpx_gt_u32_e32 0x80, v13
	s_cbranch_execz .LBB389_47
; %bb.42:
	v_lshl_add_u32 v6, v14, 2, v0
	s_mov_b32 s2, s37
	s_mov_b32 s1, exec_lo
	ds_read2st64_b32 v[0:1], v6 offset1:2
	ds_read2st64_b32 v[2:3], v6 offset0:4 offset1:6
	ds_read2st64_b32 v[4:5], v6 offset0:8 offset1:10
	s_waitcnt lgkmcnt(2)
	v_add_f32_e32 v7, v0, v1
	ds_read2st64_b32 v[0:1], v6 offset0:12 offset1:14
	s_waitcnt lgkmcnt(2)
	v_add_f32_e32 v2, v2, v7
	v_add_f32_e32 v7, v3, v2
	ds_read2st64_b32 v[2:3], v6 offset0:16 offset1:18
	s_waitcnt lgkmcnt(2)
	v_add_f32_e32 v4, v4, v7
	v_add_f32_e32 v7, v5, v4
	ds_read2st64_b32 v[4:5], v6 offset0:20 offset1:22
	s_waitcnt lgkmcnt(2)
	v_add_f32_e32 v0, v0, v7
	v_add_f32_e32 v0, v1, v0
	s_waitcnt lgkmcnt(1)
	v_add_f32_e32 v2, v2, v0
	ds_read2st64_b32 v[0:1], v6 offset0:24 offset1:26
	v_add_f32_e32 v2, v3, v2
	s_waitcnt lgkmcnt(1)
	v_add_f32_e32 v4, v4, v2
	ds_read2st64_b32 v[2:3], v6 offset0:28 offset1:30
	v_add_f32_e32 v4, v5, v4
                                        ; implicit-def: $vgpr5
	s_waitcnt lgkmcnt(1)
	v_add_f32_e32 v0, v0, v4
	v_add_f32_e32 v0, v1, v0
	v_or_b32_e32 v1, s5, v13
	s_waitcnt lgkmcnt(0)
	v_add_f32_e32 v0, v2, v0
	v_add_f32_e32 v0, v3, v0
                                        ; implicit-def: $vgpr2_vgpr3
	ds_write_b32 v6, v0
	v_cmpx_gt_i32_e64 s28, v1
	s_cbranch_execz .LBB389_46
; %bb.43:
	v_ashrrev_i32_e32 v4, 31, v1
	v_mul_lo_u32 v5, s25, v1
	v_mad_u64_u32 v[2:3], null, s24, v1, 0
	v_cmp_eq_f32_e64 s2, s36, 0
	v_mul_lo_u32 v1, s24, v4
	v_mul_f32_e32 v0, s30, v0
	s_and_b32 vcc_lo, exec_lo, s2
	v_add3_u32 v3, v3, v1, v5
	s_cbranch_vccnz .LBB389_45
; %bb.44:
	v_lshlrev_b64 v[4:5], 1, v[2:3]
	v_add_co_u32 v4, vcc_lo, s31, v4
	v_add_co_ci_u32_e64 v5, null, s33, v5, vcc_lo
	global_load_ushort v1, v[4:5], off
	s_waitcnt vmcnt(0)
	v_fma_mix_f32 v0, s36, v1, v0 op_sel_hi:[0,1,0]
.LBB389_45:
	v_cvt_f16_f32_e32 v5, v0
	s_or_b32 s2, s37, exec_lo
.LBB389_46:
	s_or_b32 exec_lo, exec_lo, s1
	s_andn2_b32 s1, s37, exec_lo
	s_and_b32 s2, s2, exec_lo
	s_or_b32 s37, s1, s2
.LBB389_47:
	s_or_b32 exec_lo, exec_lo, s0
.LBB389_48:
	s_and_saveexec_b32 s0, s37
	s_cbranch_execz .LBB389_50
; %bb.49:
	v_lshlrev_b64 v[0:1], 1, v[2:3]
	v_add_co_u32 v0, vcc_lo, s31, v0
	v_add_co_ci_u32_e64 v1, null, s33, v1, vcc_lo
	global_store_short v[0:1], v5, off
.LBB389_50:
	s_endpgm
	.section	.rodata,"a",@progbits
	.p2align	6, 0x0
	.amdhsa_kernel _ZL20rocblas_gemvn_kernelILi32ELi16ElDF16_fDF16_EviiT3_lPKT2_lT1_lS3_lS4_lS0_lPT4_lS4_li
		.amdhsa_group_segment_fixed_size 8192
		.amdhsa_private_segment_fixed_size 0
		.amdhsa_kernarg_size 400
		.amdhsa_user_sgpr_count 6
		.amdhsa_user_sgpr_private_segment_buffer 1
		.amdhsa_user_sgpr_dispatch_ptr 0
		.amdhsa_user_sgpr_queue_ptr 0
		.amdhsa_user_sgpr_kernarg_segment_ptr 1
		.amdhsa_user_sgpr_dispatch_id 0
		.amdhsa_user_sgpr_flat_scratch_init 0
		.amdhsa_user_sgpr_private_segment_size 0
		.amdhsa_wavefront_size32 1
		.amdhsa_uses_dynamic_stack 0
		.amdhsa_system_sgpr_private_segment_wavefront_offset 0
		.amdhsa_system_sgpr_workgroup_id_x 1
		.amdhsa_system_sgpr_workgroup_id_y 0
		.amdhsa_system_sgpr_workgroup_id_z 1
		.amdhsa_system_sgpr_workgroup_info 0
		.amdhsa_system_vgpr_workitem_id 1
		.amdhsa_next_free_vgpr 56
		.amdhsa_next_free_sgpr 43
		.amdhsa_reserve_vcc 1
		.amdhsa_reserve_flat_scratch 0
		.amdhsa_float_round_mode_32 0
		.amdhsa_float_round_mode_16_64 0
		.amdhsa_float_denorm_mode_32 3
		.amdhsa_float_denorm_mode_16_64 3
		.amdhsa_dx10_clamp 1
		.amdhsa_ieee_mode 1
		.amdhsa_fp16_overflow 0
		.amdhsa_workgroup_processor_mode 1
		.amdhsa_memory_ordered 1
		.amdhsa_forward_progress 1
		.amdhsa_shared_vgpr_count 0
		.amdhsa_exception_fp_ieee_invalid_op 0
		.amdhsa_exception_fp_denorm_src 0
		.amdhsa_exception_fp_ieee_div_zero 0
		.amdhsa_exception_fp_ieee_overflow 0
		.amdhsa_exception_fp_ieee_underflow 0
		.amdhsa_exception_fp_ieee_inexact 0
		.amdhsa_exception_int_div_zero 0
	.end_amdhsa_kernel
	.section	.text._ZL20rocblas_gemvn_kernelILi32ELi16ElDF16_fDF16_EviiT3_lPKT2_lT1_lS3_lS4_lS0_lPT4_lS4_li,"axG",@progbits,_ZL20rocblas_gemvn_kernelILi32ELi16ElDF16_fDF16_EviiT3_lPKT2_lT1_lS3_lS4_lS0_lPT4_lS4_li,comdat
.Lfunc_end389:
	.size	_ZL20rocblas_gemvn_kernelILi32ELi16ElDF16_fDF16_EviiT3_lPKT2_lT1_lS3_lS4_lS0_lPT4_lS4_li, .Lfunc_end389-_ZL20rocblas_gemvn_kernelILi32ELi16ElDF16_fDF16_EviiT3_lPKT2_lT1_lS3_lS4_lS0_lPT4_lS4_li
                                        ; -- End function
	.set _ZL20rocblas_gemvn_kernelILi32ELi16ElDF16_fDF16_EviiT3_lPKT2_lT1_lS3_lS4_lS0_lPT4_lS4_li.num_vgpr, 56
	.set _ZL20rocblas_gemvn_kernelILi32ELi16ElDF16_fDF16_EviiT3_lPKT2_lT1_lS3_lS4_lS0_lPT4_lS4_li.num_agpr, 0
	.set _ZL20rocblas_gemvn_kernelILi32ELi16ElDF16_fDF16_EviiT3_lPKT2_lT1_lS3_lS4_lS0_lPT4_lS4_li.numbered_sgpr, 43
	.set _ZL20rocblas_gemvn_kernelILi32ELi16ElDF16_fDF16_EviiT3_lPKT2_lT1_lS3_lS4_lS0_lPT4_lS4_li.num_named_barrier, 0
	.set _ZL20rocblas_gemvn_kernelILi32ELi16ElDF16_fDF16_EviiT3_lPKT2_lT1_lS3_lS4_lS0_lPT4_lS4_li.private_seg_size, 0
	.set _ZL20rocblas_gemvn_kernelILi32ELi16ElDF16_fDF16_EviiT3_lPKT2_lT1_lS3_lS4_lS0_lPT4_lS4_li.uses_vcc, 1
	.set _ZL20rocblas_gemvn_kernelILi32ELi16ElDF16_fDF16_EviiT3_lPKT2_lT1_lS3_lS4_lS0_lPT4_lS4_li.uses_flat_scratch, 0
	.set _ZL20rocblas_gemvn_kernelILi32ELi16ElDF16_fDF16_EviiT3_lPKT2_lT1_lS3_lS4_lS0_lPT4_lS4_li.has_dyn_sized_stack, 0
	.set _ZL20rocblas_gemvn_kernelILi32ELi16ElDF16_fDF16_EviiT3_lPKT2_lT1_lS3_lS4_lS0_lPT4_lS4_li.has_recursion, 0
	.set _ZL20rocblas_gemvn_kernelILi32ELi16ElDF16_fDF16_EviiT3_lPKT2_lT1_lS3_lS4_lS0_lPT4_lS4_li.has_indirect_call, 0
	.section	.AMDGPU.csdata,"",@progbits
; Kernel info:
; codeLenInByte = 3284
; TotalNumSgprs: 45
; NumVgprs: 56
; ScratchSize: 0
; MemoryBound: 0
; FloatMode: 240
; IeeeMode: 1
; LDSByteSize: 8192 bytes/workgroup (compile time only)
; SGPRBlocks: 0
; VGPRBlocks: 6
; NumSGPRsForWavesPerEU: 45
; NumVGPRsForWavesPerEU: 56
; Occupancy: 16
; WaveLimiterHint : 1
; COMPUTE_PGM_RSRC2:SCRATCH_EN: 0
; COMPUTE_PGM_RSRC2:USER_SGPR: 6
; COMPUTE_PGM_RSRC2:TRAP_HANDLER: 0
; COMPUTE_PGM_RSRC2:TGID_X_EN: 1
; COMPUTE_PGM_RSRC2:TGID_Y_EN: 0
; COMPUTE_PGM_RSRC2:TGID_Z_EN: 1
; COMPUTE_PGM_RSRC2:TIDIG_COMP_CNT: 1
	.section	.text._ZL20rocblas_gemvn_kernelILi64ELi16EiDF16_PKfDF16_EviiT3_lPKT2_lT1_lS5_lS6_lS2_lPT4_lS6_li,"axG",@progbits,_ZL20rocblas_gemvn_kernelILi64ELi16EiDF16_PKfDF16_EviiT3_lPKT2_lT1_lS5_lS6_lS2_lPT4_lS6_li,comdat
	.globl	_ZL20rocblas_gemvn_kernelILi64ELi16EiDF16_PKfDF16_EviiT3_lPKT2_lT1_lS5_lS6_lS2_lPT4_lS6_li ; -- Begin function _ZL20rocblas_gemvn_kernelILi64ELi16EiDF16_PKfDF16_EviiT3_lPKT2_lT1_lS5_lS6_lS2_lPT4_lS6_li
	.p2align	8
	.type	_ZL20rocblas_gemvn_kernelILi64ELi16EiDF16_PKfDF16_EviiT3_lPKT2_lT1_lS5_lS6_lS2_lPT4_lS6_li,@function
_ZL20rocblas_gemvn_kernelILi64ELi16EiDF16_PKfDF16_EviiT3_lPKT2_lT1_lS5_lS6_lS2_lPT4_lS6_li: ; @_ZL20rocblas_gemvn_kernelILi64ELi16EiDF16_PKfDF16_EviiT3_lPKT2_lT1_lS5_lS6_lS2_lPT4_lS6_li
; %bb.0:
	s_load_dwordx2 s[0:1], s[4:5], 0x9c
	s_waitcnt lgkmcnt(0)
	s_lshr_b32 s2, s0, 16
	s_and_b32 s0, s0, 0xffff
	s_and_b32 s1, s1, 0xffff
	s_mul_i32 s0, s2, s0
	s_mul_i32 s0, s0, s1
	s_cmpk_lg_i32 s0, 0x400
	s_cbranch_scc1 .LBB390_50
; %bb.1:
	s_clause 0x1
	s_load_dwordx8 s[16:23], s[4:5], 0x8
	s_load_dwordx8 s[8:15], s[4:5], 0x50
	s_waitcnt lgkmcnt(0)
	s_mul_i32 s1, s19, s7
	s_mul_hi_u32 s2, s18, s7
	s_mul_i32 s0, s18, s7
	s_add_i32 s1, s2, s1
	s_mul_i32 s2, s13, s7
	s_lshl_b64 s[0:1], s[0:1], 2
	s_mul_hi_u32 s3, s12, s7
	s_add_u32 s0, s16, s0
	s_addc_u32 s1, s17, s1
	s_add_i32 s3, s3, s2
	s_mul_i32 s2, s12, s7
	s_mov_b32 s18, 0
	s_lshl_b64 s[2:3], s[2:3], 2
	s_add_u32 s2, s10, s2
	s_addc_u32 s3, s11, s3
	s_load_dword s17, s[0:1], 0x0
	s_load_dword s16, s[2:3], 0x0
	s_waitcnt lgkmcnt(0)
	v_cmp_eq_f32_e64 s0, s17, 0
	v_cmp_eq_f32_e64 s1, s16, 1.0
	s_and_b32 s0, s0, s1
	s_and_b32 vcc_lo, exec_lo, s0
	s_cbranch_vccnz .LBB390_50
; %bb.2:
	s_clause 0x3
	s_load_dwordx2 s[0:1], s[4:5], 0x80
	s_load_dwordx2 s[2:3], s[4:5], 0x70
	s_load_dword s19, s[4:5], 0x78
	s_load_dwordx2 s[10:11], s[4:5], 0x0
	v_lshlrev_b32_e32 v14, 6, v1
	v_cmp_neq_f32_e64 s24, s17, 0
	v_add_nc_u32_e32 v13, v14, v0
	s_waitcnt lgkmcnt(0)
	s_mul_i32 s1, s1, s7
	s_mul_hi_u32 s12, s0, s7
	s_mul_i32 s0, s0, s7
	s_add_i32 s1, s12, s1
	s_lshl_b64 s[0:1], s[0:1], 1
	s_add_u32 s12, s14, s0
	s_addc_u32 s13, s15, s1
	s_lshl_b64 s[0:1], s[2:3], 1
	s_add_u32 s12, s12, s0
	v_cmp_gt_u32_e64 s0, 0x100, v13
	s_addc_u32 s13, s13, s1
	s_and_b32 vcc_lo, exec_lo, s24
	s_cbranch_vccnz .LBB390_9
; %bb.3:
	s_mov_b32 s1, 0
                                        ; implicit-def: $vgpr5
                                        ; implicit-def: $vgpr2_vgpr3
	s_and_saveexec_b32 s2, s0
	s_cbranch_execz .LBB390_10
; %bb.4:
	v_lshl_or_b32 v4, s6, 8, v13
	v_mov_b32_e32 v5, 0
	s_ashr_i32 s15, s10, 31
	s_mov_b32 s14, s10
	s_mov_b32 s3, 0
	s_mov_b32 s0, exec_lo
                                        ; implicit-def: $vgpr2_vgpr3
	v_cmpx_gt_i64_e64 s[14:15], v[4:5]
	s_cbranch_execz .LBB390_8
; %bb.5:
	v_mad_u64_u32 v[2:3], null, s19, v4, 0
	s_ashr_i32 s3, s19, 31
	v_mad_u64_u32 v[3:4], null, s3, v4, v[3:4]
	v_cmp_eq_f32_e64 s3, s16, 0
	s_and_b32 vcc_lo, exec_lo, s3
	s_cbranch_vccnz .LBB390_7
; %bb.6:
	v_lshlrev_b64 v[4:5], 1, v[2:3]
	v_add_co_u32 v4, vcc_lo, s12, v4
	v_add_co_ci_u32_e64 v5, null, s13, v5, vcc_lo
	global_load_ushort v4, v[4:5], off
	s_waitcnt vmcnt(0)
	v_fma_mixlo_f16 v5, s16, v4, 0 op_sel_hi:[0,1,0]
.LBB390_7:
	s_mov_b32 s3, exec_lo
.LBB390_8:
	s_or_b32 exec_lo, exec_lo, s0
	s_and_b32 s18, s3, exec_lo
	s_or_b32 exec_lo, exec_lo, s2
	s_and_b32 vcc_lo, exec_lo, s1
	s_cbranch_vccnz .LBB390_11
	s_branch .LBB390_48
.LBB390_9:
                                        ; implicit-def: $vgpr5
                                        ; implicit-def: $vgpr2_vgpr3
	s_cbranch_execnz .LBB390_11
	s_branch .LBB390_48
.LBB390_10:
	s_or_b32 exec_lo, exec_lo, s2
	s_and_b32 vcc_lo, exec_lo, s1
	s_cbranch_vccz .LBB390_48
.LBB390_11:
	s_clause 0x3
	s_load_dwordx4 s[0:3], s[4:5], 0x30
	s_load_dword s14, s[4:5], 0x28
	s_load_dwordx2 s[24:25], s[4:5], 0x40
	s_load_dword s4, s[4:5], 0x48
	s_mul_i32 s9, s9, s7
	v_lshlrev_b32_e32 v20, 2, v1
	v_mov_b32_e32 v19, 0
	v_mov_b32_e32 v18, 0
	;; [unrolled: 1-line block ×4, first 2 shown]
	s_waitcnt lgkmcnt(0)
	s_mul_i32 s1, s1, s7
	s_mul_hi_u32 s15, s0, s7
	s_mul_i32 s0, s0, s7
	s_add_i32 s1, s15, s1
	s_mul_hi_u32 s15, s8, s7
	s_lshl_b64 s[0:1], s[0:1], 1
	s_add_u32 s26, s20, s0
	s_addc_u32 s21, s21, s1
	s_lshl_b64 s[0:1], s[22:23], 1
	s_mul_i32 s20, s8, s7
	s_add_u32 s7, s26, s0
	s_addc_u32 s8, s21, s1
	s_add_i32 s21, s15, s9
	s_lshl_b64 s[0:1], s[20:21], 1
	s_mov_b32 s20, exec_lo
	s_add_u32 s2, s2, s0
	s_addc_u32 s3, s3, s1
	s_lshl_b64 s[0:1], s[24:25], 1
	s_add_u32 s9, s2, s0
	s_addc_u32 s15, s3, s1
	s_ashr_i32 s0, s11, 31
	s_lshl_b32 s5, s6, 8
	s_lshr_b32 s0, s0, 26
	v_add_nc_u32_e32 v17, s5, v0
	s_add_i32 s0, s11, s0
	s_and_b32 s6, s0, 0xffffffc0
	v_cmpx_gt_i32_e64 s6, v20
	s_cbranch_execz .LBB390_23
; %bb.12:
	v_add_nc_u32_e32 v5, 0xc0, v17
	v_mul_lo_u32 v3, s14, v20
	v_add_nc_u32_e32 v2, 64, v17
	v_add_nc_u32_e32 v6, 2, v20
	;; [unrolled: 1-line block ×3, first 2 shown]
	v_cmp_gt_i32_e64 s2, s10, v5
	v_mul_lo_u32 v5, v1, s14
	v_add_nc_u32_e32 v7, 3, v20
	v_mul_lo_u32 v8, v1, s4
	v_cmp_gt_i32_e64 s0, s10, v2
	v_add3_u32 v21, v3, s14, v0
	v_mad_u64_u32 v[2:3], null, s14, v6, v[0:1]
	v_cmp_gt_i32_e64 s1, s10, v4
	v_mad_u64_u32 v[3:4], null, s14, v7, v[0:1]
	v_lshl_add_u32 v22, v5, 2, v0
	v_mad_u64_u32 v[4:5], null, s4, v20, s[4:5]
	v_mul_lo_u32 v23, s4, v6
	v_mul_lo_u32 v24, s4, v7
	v_lshlrev_b32_e32 v25, 2, v8
	v_mov_b32_e32 v19, 0
	v_mov_b32_e32 v18, 0
	;; [unrolled: 1-line block ×4, first 2 shown]
	s_lshl_b32 s21, s14, 6
	s_lshl_b32 s23, s4, 6
	s_mov_b32 s22, 0
	s_mov_b32 s24, 0
	v_cmp_gt_i32_e32 vcc_lo, s10, v17
	s_branch .LBB390_17
.LBB390_13:                             ;   in Loop: Header=BB390_17 Depth=1
	s_or_b32 exec_lo, exec_lo, s27
	s_waitcnt vmcnt(3)
	v_fma_mix_f32 v5, v38, v42, v16 op_sel_hi:[0,1,0]
	s_waitcnt vmcnt(2)
	v_fma_mix_f32 v5, v39, v43, v5 op_sel_hi:[0,1,0]
	;; [unrolled: 2-line block ×4, first 2 shown]
.LBB390_14:                             ;   in Loop: Header=BB390_17 Depth=1
	s_or_b32 exec_lo, exec_lo, s26
	s_waitcnt vmcnt(3)
	v_fma_mix_f32 v5, v38, v34, v18 op_sel_hi:[0,1,0]
	s_waitcnt vmcnt(2)
	v_fma_mix_f32 v5, v39, v35, v5 op_sel_hi:[0,1,0]
	;; [unrolled: 2-line block ×4, first 2 shown]
.LBB390_15:                             ;   in Loop: Header=BB390_17 Depth=1
	s_or_b32 exec_lo, exec_lo, s3
	s_waitcnt vmcnt(3)
	v_fma_mix_f32 v5, v26, v30, v19 op_sel_hi:[1,1,0]
	s_waitcnt vmcnt(2)
	v_fma_mix_f32 v5, v27, v31, v5 op_sel_hi:[1,1,0]
	;; [unrolled: 2-line block ×4, first 2 shown]
.LBB390_16:                             ;   in Loop: Header=BB390_17 Depth=1
	s_or_b32 exec_lo, exec_lo, s25
	v_add_nc_u32_e32 v20, 64, v20
	v_add_nc_u32_e32 v21, s21, v21
	;; [unrolled: 1-line block ×5, first 2 shown]
	v_cmp_le_i32_e64 s3, s6, v20
	s_add_i32 s24, s24, s23
	s_or_b32 s22, s3, s22
	s_andn2_b32 exec_lo, exec_lo, s22
	s_cbranch_execz .LBB390_22
.LBB390_17:                             ; =>This Inner Loop Header: Depth=1
	s_and_saveexec_b32 s25, vcc_lo
	s_cbranch_execz .LBB390_16
; %bb.18:                               ;   in Loop: Header=BB390_17 Depth=1
	v_add_nc_u32_e32 v5, s24, v25
	v_add_nc_u32_e32 v7, s24, v4
	;; [unrolled: 1-line block ×5, first 2 shown]
	v_ashrrev_i32_e32 v6, 31, v5
	v_ashrrev_i32_e32 v8, 31, v7
	;; [unrolled: 1-line block ×5, first 2 shown]
	v_lshlrev_b64 v[5:6], 1, v[5:6]
	v_lshlrev_b64 v[7:8], 1, v[7:8]
	;; [unrolled: 1-line block ×3, first 2 shown]
	v_add_co_u32 v28, s3, s9, v5
	v_add_co_ci_u32_e64 v29, null, s15, v6, s3
	v_add_co_u32 v30, s3, s9, v7
	v_add_nc_u32_e32 v7, s5, v21
	v_add_co_ci_u32_e64 v31, null, s15, v8, s3
	v_lshlrev_b64 v[5:6], 1, v[11:12]
	v_add_co_u32 v32, s3, s9, v9
	v_add_nc_u32_e32 v11, s5, v2
	v_add_co_ci_u32_e64 v33, null, s15, v10, s3
	v_lshlrev_b64 v[9:10], 1, v[26:27]
	v_add_nc_u32_e32 v26, s5, v3
	v_ashrrev_i32_e32 v8, 31, v7
	v_ashrrev_i32_e32 v12, 31, v11
	v_add_co_u32 v34, s3, s9, v5
	v_ashrrev_i32_e32 v27, 31, v26
	v_add_co_ci_u32_e64 v35, null, s15, v6, s3
	v_lshlrev_b64 v[7:8], 1, v[7:8]
	v_add_co_u32 v5, s3, s7, v9
	v_add_co_ci_u32_e64 v6, null, s8, v10, s3
	v_lshlrev_b64 v[9:10], 1, v[11:12]
	v_lshlrev_b64 v[11:12], 1, v[26:27]
	v_add_co_u32 v7, s3, s7, v7
	v_add_co_ci_u32_e64 v8, null, s8, v8, s3
	v_add_co_u32 v9, s3, s7, v9
	v_add_co_ci_u32_e64 v10, null, s8, v10, s3
	;; [unrolled: 2-line block ×3, first 2 shown]
	s_clause 0x3
	global_load_ushort v26, v[28:29], off
	global_load_ushort v27, v[30:31], off
	;; [unrolled: 1-line block ×4, first 2 shown]
	s_clause 0x3
	global_load_ushort v30, v[5:6], off
	global_load_ushort v31, v[7:8], off
	;; [unrolled: 1-line block ×4, first 2 shown]
	s_and_saveexec_b32 s3, s0
	s_cbranch_execz .LBB390_15
; %bb.19:                               ;   in Loop: Header=BB390_17 Depth=1
	s_clause 0x3
	global_load_ushort v34, v[5:6], off offset:128
	global_load_ushort v35, v[7:8], off offset:128
	;; [unrolled: 1-line block ×4, first 2 shown]
	s_waitcnt vmcnt(11)
	v_cvt_f32_f16_e32 v38, v26
	s_waitcnt vmcnt(10)
	v_cvt_f32_f16_e32 v39, v27
	;; [unrolled: 2-line block ×4, first 2 shown]
	s_and_saveexec_b32 s26, s1
	s_cbranch_execz .LBB390_14
; %bb.20:                               ;   in Loop: Header=BB390_17 Depth=1
	s_clause 0x3
	global_load_ushort v42, v[5:6], off offset:256
	global_load_ushort v43, v[7:8], off offset:256
	;; [unrolled: 1-line block ×4, first 2 shown]
	s_and_saveexec_b32 s27, s2
	s_cbranch_execz .LBB390_13
; %bb.21:                               ;   in Loop: Header=BB390_17 Depth=1
	s_clause 0x3
	global_load_ushort v5, v[5:6], off offset:384
	global_load_ushort v6, v[7:8], off offset:384
	;; [unrolled: 1-line block ×4, first 2 shown]
	s_waitcnt vmcnt(3)
	v_fma_mix_f32 v5, v38, v5, v15 op_sel_hi:[0,1,0]
	s_waitcnt vmcnt(2)
	v_fma_mix_f32 v5, v39, v6, v5 op_sel_hi:[0,1,0]
	;; [unrolled: 2-line block ×4, first 2 shown]
	s_branch .LBB390_13
.LBB390_22:
	s_or_b32 exec_lo, exec_lo, s22
.LBB390_23:
	s_or_b32 exec_lo, exec_lo, s20
	s_sub_i32 s0, s11, s6
	s_cmp_lt_i32 s0, 1
	s_cbranch_scc1 .LBB390_41
; %bb.24:
	v_cmp_gt_i32_e32 vcc_lo, s11, v20
	v_mov_b32_e32 v10, 0
	v_or_b32_e32 v2, 1, v20
	v_mov_b32_e32 v11, 0
	v_mov_b32_e32 v12, 0
	v_mov_b32_e32 v21, 0
	s_and_saveexec_b32 s1, vcc_lo
	s_cbranch_execz .LBB390_32
; %bb.25:
	v_mul_lo_u32 v3, v20, s4
	v_mov_b32_e32 v12, 0
	v_mov_b32_e32 v11, 0
	v_mov_b32_e32 v10, 0
	s_mov_b32 s2, exec_lo
	v_ashrrev_i32_e32 v4, 31, v3
	v_lshlrev_b64 v[3:4], 1, v[3:4]
	v_add_co_u32 v3, s0, s9, v3
	v_add_co_ci_u32_e64 v4, null, s15, v4, s0
	global_load_ushort v3, v[3:4], off
	v_cmpx_gt_i32_e64 s11, v2
	s_cbranch_execz .LBB390_31
; %bb.26:
	v_mul_lo_u32 v4, v2, s4
	v_mov_b32_e32 v11, 0
	v_mov_b32_e32 v10, 0
	s_mov_b32 s3, exec_lo
	v_ashrrev_i32_e32 v5, 31, v4
	v_lshlrev_b64 v[4:5], 1, v[4:5]
	v_add_co_u32 v4, s0, s9, v4
	v_add_co_ci_u32_e64 v5, null, s15, v5, s0
	global_load_ushort v4, v[4:5], off
	v_or_b32_e32 v5, 2, v20
	v_cmpx_gt_i32_e64 s11, v5
	s_cbranch_execz .LBB390_30
; %bb.27:
	v_mul_lo_u32 v5, v5, s4
	v_mov_b32_e32 v10, 0
	s_mov_b32 s6, exec_lo
	v_ashrrev_i32_e32 v6, 31, v5
	v_lshlrev_b64 v[5:6], 1, v[5:6]
	v_add_co_u32 v5, s0, s9, v5
	v_add_co_ci_u32_e64 v6, null, s15, v6, s0
	global_load_ushort v5, v[5:6], off
	v_or_b32_e32 v6, 3, v20
	v_cmpx_gt_i32_e64 s11, v6
	s_cbranch_execz .LBB390_29
; %bb.28:
	v_mul_lo_u32 v6, v6, s4
	v_ashrrev_i32_e32 v7, 31, v6
	v_lshlrev_b64 v[6:7], 1, v[6:7]
	v_add_co_u32 v6, s0, s9, v6
	v_add_co_ci_u32_e64 v7, null, s15, v7, s0
	global_load_ushort v6, v[6:7], off
	s_waitcnt vmcnt(0)
	v_cvt_f32_f16_e32 v10, v6
.LBB390_29:
	s_or_b32 exec_lo, exec_lo, s6
	s_waitcnt vmcnt(0)
	v_cvt_f32_f16_e32 v11, v5
.LBB390_30:
	s_or_b32 exec_lo, exec_lo, s3
	s_waitcnt vmcnt(0)
	v_cvt_f32_f16_e32 v12, v4
.LBB390_31:
	s_or_b32 exec_lo, exec_lo, s2
	s_waitcnt vmcnt(0)
	v_cvt_f32_f16_e32 v21, v3
.LBB390_32:
	s_or_b32 exec_lo, exec_lo, s1
	s_mov_b32 s1, exec_lo
	v_cmpx_gt_i32_e64 s10, v17
	s_cbranch_execz .LBB390_40
; %bb.33:
	v_mul_lo_u32 v3, v20, s14
	v_or_b32_e32 v4, 2, v20
	v_mul_lo_u32 v5, v2, s14
	v_or_b32_e32 v6, 3, v20
	s_mov_b32 s0, exec_lo
	v_mul_lo_u32 v7, v4, s14
	v_mul_lo_u32 v8, v6, s14
	v_cndmask_b32_e32 v3, 0, v3, vcc_lo
	v_cmp_gt_i32_e32 vcc_lo, s11, v2
	v_add_nc_u32_e32 v2, v3, v17
	v_cndmask_b32_e32 v5, 0, v5, vcc_lo
	v_cmp_gt_i32_e32 vcc_lo, s11, v4
	v_ashrrev_i32_e32 v3, 31, v2
	v_add_nc_u32_e32 v4, v5, v17
	v_cndmask_b32_e32 v7, 0, v7, vcc_lo
	v_cmp_gt_i32_e32 vcc_lo, s11, v6
	v_lshlrev_b64 v[2:3], 1, v[2:3]
	v_ashrrev_i32_e32 v5, 31, v4
	v_add_nc_u32_e32 v6, v7, v17
	v_cndmask_b32_e32 v8, 0, v8, vcc_lo
	v_lshlrev_b64 v[4:5], 1, v[4:5]
	v_ashrrev_i32_e32 v7, 31, v6
	v_add_nc_u32_e32 v8, v8, v17
	v_add_co_u32 v2, vcc_lo, s7, v2
	v_add_co_ci_u32_e64 v3, null, s8, v3, vcc_lo
	v_lshlrev_b64 v[6:7], 1, v[6:7]
	v_ashrrev_i32_e32 v9, 31, v8
	v_add_co_u32 v4, vcc_lo, s7, v4
	v_add_co_ci_u32_e64 v5, null, s8, v5, vcc_lo
	global_load_ushort v22, v[2:3], off
	v_add_co_u32 v6, vcc_lo, s7, v6
	v_add_co_ci_u32_e64 v7, null, s8, v7, vcc_lo
	v_lshlrev_b64 v[8:9], 1, v[8:9]
	s_clause 0x1
	global_load_ushort v23, v[4:5], off
	global_load_ushort v24, v[6:7], off
	v_add_co_u32 v8, vcc_lo, s7, v8
	v_add_co_ci_u32_e64 v9, null, s8, v9, vcc_lo
	global_load_ushort v20, v[8:9], off
	s_waitcnt vmcnt(3)
	v_fma_mix_f32 v19, v21, v22, v19 op_sel_hi:[0,1,0]
	v_add_nc_u32_e32 v22, 64, v17
	s_waitcnt vmcnt(2)
	v_fma_mix_f32 v19, v12, v23, v19 op_sel_hi:[0,1,0]
	s_waitcnt vmcnt(1)
	v_fma_mix_f32 v19, v11, v24, v19 op_sel_hi:[0,1,0]
	v_cmpx_gt_i32_e64 s10, v22
	s_cbranch_execz .LBB390_39
; %bb.34:
	s_clause 0x3
	global_load_ushort v23, v[2:3], off offset:128
	global_load_ushort v24, v[4:5], off offset:128
	;; [unrolled: 1-line block ×4, first 2 shown]
	s_mov_b32 s2, exec_lo
	s_waitcnt vmcnt(3)
	v_fma_mix_f32 v18, v21, v23, v18 op_sel_hi:[0,1,0]
	v_add_nc_u32_e32 v23, 0x80, v17
	s_waitcnt vmcnt(2)
	v_fma_mix_f32 v18, v12, v24, v18 op_sel_hi:[0,1,0]
	s_waitcnt vmcnt(1)
	v_fma_mix_f32 v18, v11, v25, v18 op_sel_hi:[0,1,0]
	v_cmpx_gt_i32_e64 s10, v23
	s_cbranch_execz .LBB390_38
; %bb.35:
	s_clause 0x3
	global_load_ushort v24, v[2:3], off offset:256
	global_load_ushort v25, v[4:5], off offset:256
	global_load_ushort v26, v[6:7], off offset:256
	global_load_ushort v23, v[8:9], off offset:256
	v_add_nc_u32_e32 v17, 0xc0, v17
	s_mov_b32 s3, exec_lo
	s_waitcnt vmcnt(3)
	v_fma_mix_f32 v16, v21, v24, v16 op_sel_hi:[0,1,0]
	s_waitcnt vmcnt(2)
	v_fma_mix_f32 v16, v12, v25, v16 op_sel_hi:[0,1,0]
	;; [unrolled: 2-line block ×3, first 2 shown]
	v_cmpx_gt_i32_e64 s10, v17
	s_cbranch_execz .LBB390_37
; %bb.36:
	s_clause 0x3
	global_load_ushort v2, v[2:3], off offset:384
	global_load_ushort v3, v[4:5], off offset:384
	;; [unrolled: 1-line block ×4, first 2 shown]
	s_waitcnt vmcnt(3)
	v_fma_mix_f32 v2, v21, v2, v15 op_sel_hi:[0,1,0]
	s_waitcnt vmcnt(2)
	v_fma_mix_f32 v2, v12, v3, v2 op_sel_hi:[0,1,0]
	;; [unrolled: 2-line block ×4, first 2 shown]
.LBB390_37:
	s_or_b32 exec_lo, exec_lo, s3
	s_waitcnt vmcnt(0)
	v_fma_mix_f32 v16, v10, v23, v16 op_sel_hi:[0,1,0]
.LBB390_38:
	s_or_b32 exec_lo, exec_lo, s2
	s_waitcnt vmcnt(0)
	v_fma_mix_f32 v18, v10, v22, v18 op_sel_hi:[0,1,0]
.LBB390_39:
	s_or_b32 exec_lo, exec_lo, s0
	s_waitcnt vmcnt(0)
	v_fma_mix_f32 v19, v10, v20, v19 op_sel_hi:[0,1,0]
.LBB390_40:
	s_or_b32 exec_lo, exec_lo, s1
.LBB390_41:
	v_lshlrev_b32_e32 v0, 2, v0
	s_mov_b32 s0, exec_lo
                                        ; implicit-def: $vgpr5
                                        ; implicit-def: $vgpr2_vgpr3
	v_lshl_add_u32 v1, v1, 10, v0
	ds_write2st64_b32 v1, v19, v18 offset1:1
	ds_write2st64_b32 v1, v16, v15 offset0:2 offset1:3
	s_waitcnt lgkmcnt(0)
	s_barrier
	buffer_gl0_inv
	v_cmpx_gt_u32_e32 0x100, v13
	s_cbranch_execz .LBB390_47
; %bb.42:
	v_lshl_add_u32 v6, v14, 2, v0
	s_mov_b32 s2, s18
	s_mov_b32 s1, exec_lo
	ds_read2st64_b32 v[0:1], v6 offset1:4
	ds_read2st64_b32 v[2:3], v6 offset0:8 offset1:12
	ds_read2st64_b32 v[4:5], v6 offset0:16 offset1:20
	s_waitcnt lgkmcnt(2)
	v_add_f32_e32 v7, v0, v1
	ds_read2st64_b32 v[0:1], v6 offset0:24 offset1:28
	s_waitcnt lgkmcnt(2)
	v_add_f32_e32 v2, v2, v7
	v_add_f32_e32 v7, v3, v2
	ds_read2st64_b32 v[2:3], v6 offset0:32 offset1:36
	s_waitcnt lgkmcnt(2)
	v_add_f32_e32 v4, v4, v7
	;; [unrolled: 4-line block ×3, first 2 shown]
	v_add_f32_e32 v0, v1, v0
	s_waitcnt lgkmcnt(1)
	v_add_f32_e32 v2, v2, v0
	ds_read2st64_b32 v[0:1], v6 offset0:48 offset1:52
	v_add_f32_e32 v2, v3, v2
	s_waitcnt lgkmcnt(1)
	v_add_f32_e32 v4, v4, v2
	ds_read2st64_b32 v[2:3], v6 offset0:56 offset1:60
	v_add_f32_e32 v4, v5, v4
                                        ; implicit-def: $vgpr5
	s_waitcnt lgkmcnt(1)
	v_add_f32_e32 v0, v0, v4
	v_add_f32_e32 v0, v1, v0
	v_or_b32_e32 v1, s5, v13
	s_waitcnt lgkmcnt(0)
	v_add_f32_e32 v0, v2, v0
	v_add_f32_e32 v0, v3, v0
                                        ; implicit-def: $vgpr2_vgpr3
	ds_write_b32 v6, v0
	v_cmpx_gt_i32_e64 s10, v1
	s_cbranch_execz .LBB390_46
; %bb.43:
	v_mul_lo_u32 v2, s19, v1
	v_cmp_eq_f32_e64 s2, s16, 0
	v_mul_f32_e32 v0, s17, v0
	s_and_b32 vcc_lo, exec_lo, s2
	v_ashrrev_i32_e32 v3, 31, v2
	s_cbranch_vccnz .LBB390_45
; %bb.44:
	v_lshlrev_b64 v[4:5], 1, v[2:3]
	v_add_co_u32 v4, vcc_lo, s12, v4
	v_add_co_ci_u32_e64 v5, null, s13, v5, vcc_lo
	global_load_ushort v1, v[4:5], off
	s_waitcnt vmcnt(0)
	v_fma_mix_f32 v0, s16, v1, v0 op_sel_hi:[0,1,0]
.LBB390_45:
	v_cvt_f16_f32_e32 v5, v0
	s_or_b32 s2, s18, exec_lo
.LBB390_46:
	s_or_b32 exec_lo, exec_lo, s1
	s_andn2_b32 s1, s18, exec_lo
	s_and_b32 s2, s2, exec_lo
	s_or_b32 s18, s1, s2
.LBB390_47:
	s_or_b32 exec_lo, exec_lo, s0
.LBB390_48:
	s_and_saveexec_b32 s0, s18
	s_cbranch_execz .LBB390_50
; %bb.49:
	v_lshlrev_b64 v[0:1], 1, v[2:3]
	v_add_co_u32 v0, vcc_lo, s12, v0
	v_add_co_ci_u32_e64 v1, null, s13, v1, vcc_lo
	global_store_short v[0:1], v5, off
.LBB390_50:
	s_endpgm
	.section	.rodata,"a",@progbits
	.p2align	6, 0x0
	.amdhsa_kernel _ZL20rocblas_gemvn_kernelILi64ELi16EiDF16_PKfDF16_EviiT3_lPKT2_lT1_lS5_lS6_lS2_lPT4_lS6_li
		.amdhsa_group_segment_fixed_size 16384
		.amdhsa_private_segment_fixed_size 0
		.amdhsa_kernarg_size 400
		.amdhsa_user_sgpr_count 6
		.amdhsa_user_sgpr_private_segment_buffer 1
		.amdhsa_user_sgpr_dispatch_ptr 0
		.amdhsa_user_sgpr_queue_ptr 0
		.amdhsa_user_sgpr_kernarg_segment_ptr 1
		.amdhsa_user_sgpr_dispatch_id 0
		.amdhsa_user_sgpr_flat_scratch_init 0
		.amdhsa_user_sgpr_private_segment_size 0
		.amdhsa_wavefront_size32 1
		.amdhsa_uses_dynamic_stack 0
		.amdhsa_system_sgpr_private_segment_wavefront_offset 0
		.amdhsa_system_sgpr_workgroup_id_x 1
		.amdhsa_system_sgpr_workgroup_id_y 0
		.amdhsa_system_sgpr_workgroup_id_z 1
		.amdhsa_system_sgpr_workgroup_info 0
		.amdhsa_system_vgpr_workitem_id 1
		.amdhsa_next_free_vgpr 46
		.amdhsa_next_free_sgpr 28
		.amdhsa_reserve_vcc 1
		.amdhsa_reserve_flat_scratch 0
		.amdhsa_float_round_mode_32 0
		.amdhsa_float_round_mode_16_64 0
		.amdhsa_float_denorm_mode_32 3
		.amdhsa_float_denorm_mode_16_64 3
		.amdhsa_dx10_clamp 1
		.amdhsa_ieee_mode 1
		.amdhsa_fp16_overflow 0
		.amdhsa_workgroup_processor_mode 1
		.amdhsa_memory_ordered 1
		.amdhsa_forward_progress 1
		.amdhsa_shared_vgpr_count 0
		.amdhsa_exception_fp_ieee_invalid_op 0
		.amdhsa_exception_fp_denorm_src 0
		.amdhsa_exception_fp_ieee_div_zero 0
		.amdhsa_exception_fp_ieee_overflow 0
		.amdhsa_exception_fp_ieee_underflow 0
		.amdhsa_exception_fp_ieee_inexact 0
		.amdhsa_exception_int_div_zero 0
	.end_amdhsa_kernel
	.section	.text._ZL20rocblas_gemvn_kernelILi64ELi16EiDF16_PKfDF16_EviiT3_lPKT2_lT1_lS5_lS6_lS2_lPT4_lS6_li,"axG",@progbits,_ZL20rocblas_gemvn_kernelILi64ELi16EiDF16_PKfDF16_EviiT3_lPKT2_lT1_lS5_lS6_lS2_lPT4_lS6_li,comdat
.Lfunc_end390:
	.size	_ZL20rocblas_gemvn_kernelILi64ELi16EiDF16_PKfDF16_EviiT3_lPKT2_lT1_lS5_lS6_lS2_lPT4_lS6_li, .Lfunc_end390-_ZL20rocblas_gemvn_kernelILi64ELi16EiDF16_PKfDF16_EviiT3_lPKT2_lT1_lS5_lS6_lS2_lPT4_lS6_li
                                        ; -- End function
	.set _ZL20rocblas_gemvn_kernelILi64ELi16EiDF16_PKfDF16_EviiT3_lPKT2_lT1_lS5_lS6_lS2_lPT4_lS6_li.num_vgpr, 46
	.set _ZL20rocblas_gemvn_kernelILi64ELi16EiDF16_PKfDF16_EviiT3_lPKT2_lT1_lS5_lS6_lS2_lPT4_lS6_li.num_agpr, 0
	.set _ZL20rocblas_gemvn_kernelILi64ELi16EiDF16_PKfDF16_EviiT3_lPKT2_lT1_lS5_lS6_lS2_lPT4_lS6_li.numbered_sgpr, 28
	.set _ZL20rocblas_gemvn_kernelILi64ELi16EiDF16_PKfDF16_EviiT3_lPKT2_lT1_lS5_lS6_lS2_lPT4_lS6_li.num_named_barrier, 0
	.set _ZL20rocblas_gemvn_kernelILi64ELi16EiDF16_PKfDF16_EviiT3_lPKT2_lT1_lS5_lS6_lS2_lPT4_lS6_li.private_seg_size, 0
	.set _ZL20rocblas_gemvn_kernelILi64ELi16EiDF16_PKfDF16_EviiT3_lPKT2_lT1_lS5_lS6_lS2_lPT4_lS6_li.uses_vcc, 1
	.set _ZL20rocblas_gemvn_kernelILi64ELi16EiDF16_PKfDF16_EviiT3_lPKT2_lT1_lS5_lS6_lS2_lPT4_lS6_li.uses_flat_scratch, 0
	.set _ZL20rocblas_gemvn_kernelILi64ELi16EiDF16_PKfDF16_EviiT3_lPKT2_lT1_lS5_lS6_lS2_lPT4_lS6_li.has_dyn_sized_stack, 0
	.set _ZL20rocblas_gemvn_kernelILi64ELi16EiDF16_PKfDF16_EviiT3_lPKT2_lT1_lS5_lS6_lS2_lPT4_lS6_li.has_recursion, 0
	.set _ZL20rocblas_gemvn_kernelILi64ELi16EiDF16_PKfDF16_EviiT3_lPKT2_lT1_lS5_lS6_lS2_lPT4_lS6_li.has_indirect_call, 0
	.section	.AMDGPU.csdata,"",@progbits
; Kernel info:
; codeLenInByte = 2984
; TotalNumSgprs: 30
; NumVgprs: 46
; ScratchSize: 0
; MemoryBound: 0
; FloatMode: 240
; IeeeMode: 1
; LDSByteSize: 16384 bytes/workgroup (compile time only)
; SGPRBlocks: 0
; VGPRBlocks: 5
; NumSGPRsForWavesPerEU: 30
; NumVGPRsForWavesPerEU: 46
; Occupancy: 16
; WaveLimiterHint : 1
; COMPUTE_PGM_RSRC2:SCRATCH_EN: 0
; COMPUTE_PGM_RSRC2:USER_SGPR: 6
; COMPUTE_PGM_RSRC2:TRAP_HANDLER: 0
; COMPUTE_PGM_RSRC2:TGID_X_EN: 1
; COMPUTE_PGM_RSRC2:TGID_Y_EN: 0
; COMPUTE_PGM_RSRC2:TGID_Z_EN: 1
; COMPUTE_PGM_RSRC2:TIDIG_COMP_CNT: 1
	.section	.text._ZL20rocblas_gemvn_kernelILi64ELi16ElDF16_PKfDF16_EviiT3_lPKT2_lT1_lS5_lS6_lS2_lPT4_lS6_li,"axG",@progbits,_ZL20rocblas_gemvn_kernelILi64ELi16ElDF16_PKfDF16_EviiT3_lPKT2_lT1_lS5_lS6_lS2_lPT4_lS6_li,comdat
	.globl	_ZL20rocblas_gemvn_kernelILi64ELi16ElDF16_PKfDF16_EviiT3_lPKT2_lT1_lS5_lS6_lS2_lPT4_lS6_li ; -- Begin function _ZL20rocblas_gemvn_kernelILi64ELi16ElDF16_PKfDF16_EviiT3_lPKT2_lT1_lS5_lS6_lS2_lPT4_lS6_li
	.p2align	8
	.type	_ZL20rocblas_gemvn_kernelILi64ELi16ElDF16_PKfDF16_EviiT3_lPKT2_lT1_lS5_lS6_lS2_lPT4_lS6_li,@function
_ZL20rocblas_gemvn_kernelILi64ELi16ElDF16_PKfDF16_EviiT3_lPKT2_lT1_lS5_lS6_lS2_lPT4_lS6_li: ; @_ZL20rocblas_gemvn_kernelILi64ELi16ElDF16_PKfDF16_EviiT3_lPKT2_lT1_lS5_lS6_lS2_lPT4_lS6_li
; %bb.0:
	s_load_dwordx2 s[0:1], s[4:5], 0x9c
	s_waitcnt lgkmcnt(0)
	s_lshr_b32 s2, s0, 16
	s_and_b32 s0, s0, 0xffff
	s_and_b32 s1, s1, 0xffff
	s_mul_i32 s0, s2, s0
	s_mul_i32 s0, s0, s1
	s_cmpk_lg_i32 s0, 0x400
	s_cbranch_scc1 .LBB391_50
; %bb.1:
	s_clause 0x1
	s_load_dwordx16 s[36:51], s[4:5], 0x8
	s_load_dwordx16 s[8:23], s[4:5], 0x48
	s_mov_b32 s26, 0
	s_waitcnt lgkmcnt(0)
	s_mul_i32 s1, s39, s7
	s_mul_hi_u32 s2, s38, s7
	s_mul_i32 s0, s38, s7
	s_add_i32 s1, s2, s1
	s_mul_i32 s2, s15, s7
	s_lshl_b64 s[0:1], s[0:1], 2
	s_mul_hi_u32 s3, s14, s7
	s_add_u32 s0, s36, s0
	s_addc_u32 s1, s37, s1
	s_add_i32 s3, s3, s2
	s_mul_i32 s2, s14, s7
	s_lshl_b64 s[2:3], s[2:3], 2
	s_add_u32 s2, s12, s2
	s_addc_u32 s3, s13, s3
	s_load_dword s25, s[0:1], 0x0
	s_load_dword s24, s[2:3], 0x0
	s_waitcnt lgkmcnt(0)
	v_cmp_eq_f32_e64 s0, s25, 0
	v_cmp_eq_f32_e64 s1, s24, 1.0
	s_and_b32 s0, s0, s1
	s_and_b32 vcc_lo, exec_lo, s0
	s_cbranch_vccnz .LBB391_50
; %bb.2:
	s_load_dwordx2 s[12:13], s[4:5], 0x0
	v_lshlrev_b32_e32 v14, 6, v1
	s_mul_i32 s0, s23, s7
	s_mul_hi_u32 s1, s22, s7
	v_cmp_neq_f32_e64 s4, s25, 0
	s_add_i32 s1, s1, s0
	s_mul_i32 s0, s22, s7
	v_add_nc_u32_e32 v13, v14, v0
	s_lshl_b64 s[0:1], s[0:1], 1
	s_add_u32 s2, s16, s0
	s_addc_u32 s3, s17, s1
	s_lshl_b64 s[0:1], s[18:19], 1
	s_add_u32 s5, s2, s0
	v_cmp_gt_u32_e64 s0, 0x100, v13
	s_addc_u32 s22, s3, s1
	s_and_b32 vcc_lo, exec_lo, s4
	s_cbranch_vccnz .LBB391_9
; %bb.3:
	s_mov_b32 s1, 0
                                        ; implicit-def: $vgpr5
                                        ; implicit-def: $vgpr2_vgpr3
	s_and_saveexec_b32 s2, s0
	s_cbranch_execz .LBB391_10
; %bb.4:
	v_lshl_or_b32 v4, s6, 8, v13
	v_mov_b32_e32 v5, 0
	s_waitcnt lgkmcnt(0)
	s_ashr_i32 s15, s12, 31
	s_mov_b32 s14, s12
	s_mov_b32 s3, 0
	s_mov_b32 s0, exec_lo
                                        ; implicit-def: $vgpr2_vgpr3
	v_cmpx_gt_i64_e64 s[14:15], v[4:5]
	s_cbranch_execz .LBB391_8
; %bb.5:
	v_mad_u64_u32 v[2:3], null, s20, v4, 0
	v_cmp_eq_f32_e64 s3, s24, 0
	s_and_b32 vcc_lo, exec_lo, s3
	v_mad_u64_u32 v[3:4], null, s21, v4, v[3:4]
	s_cbranch_vccnz .LBB391_7
; %bb.6:
	v_lshlrev_b64 v[4:5], 1, v[2:3]
	v_add_co_u32 v4, vcc_lo, s5, v4
	v_add_co_ci_u32_e64 v5, null, s22, v5, vcc_lo
	global_load_ushort v4, v[4:5], off
	s_waitcnt vmcnt(0)
	v_fma_mixlo_f16 v5, s24, v4, 0 op_sel_hi:[0,1,0]
.LBB391_7:
	s_mov_b32 s3, exec_lo
.LBB391_8:
	s_or_b32 exec_lo, exec_lo, s0
	s_and_b32 s26, s3, exec_lo
	s_or_b32 exec_lo, exec_lo, s2
	s_and_b32 vcc_lo, exec_lo, s1
	s_cbranch_vccnz .LBB391_11
	s_branch .LBB391_48
.LBB391_9:
                                        ; implicit-def: $vgpr5
                                        ; implicit-def: $vgpr2_vgpr3
	s_cbranch_execnz .LBB391_11
	s_branch .LBB391_48
.LBB391_10:
	s_or_b32 exec_lo, exec_lo, s2
	s_and_b32 vcc_lo, exec_lo, s1
	s_cbranch_vccz .LBB391_48
.LBB391_11:
	s_mul_i32 s0, s47, s7
	s_mul_hi_u32 s1, s46, s7
	s_lshl_b32 s23, s6, 8
	s_add_i32 s15, s1, s0
	s_waitcnt lgkmcnt(0)
	s_ashr_i32 s1, s13, 31
	v_lshlrev_b32_e32 v15, 2, v1
	s_lshr_b32 s1, s1, 26
	v_add_nc_u32_e32 v2, s23, v0
	v_mov_b32_e32 v19, 0
	v_mov_b32_e32 v18, 0
	;; [unrolled: 1-line block ×4, first 2 shown]
	s_mul_i32 s0, s11, s7
	s_mul_hi_u32 s2, s10, s7
	s_add_i32 s27, s13, s1
	s_mul_i32 s14, s46, s7
	s_andn2_b32 s27, s27, 63
	s_add_i32 s11, s2, s0
	s_mul_i32 s10, s10, s7
	s_mov_b32 s28, exec_lo
	v_cmpx_gt_i32_e64 s27, v15
	s_cbranch_execz .LBB391_23
; %bb.12:
	v_lshlrev_b32_e32 v30, 2, v1
	v_mad_u64_u32 v[4:5], null, s8, v1, 0
	v_add_nc_u32_e32 v11, 64, v2
	v_add_nc_u32_e32 v12, 0x80, v2
	v_or_b32_e32 v16, 3, v30
	s_lshl_b64 s[0:1], s[10:11], 1
	s_lshl_b64 s[6:7], s[50:51], 1
	s_add_u32 s4, s48, s0
	s_addc_u32 s29, s49, s1
	v_mad_u64_u32 v[6:7], null, s44, v16, 0
	v_cmp_gt_i32_e64 s0, s12, v11
	v_cmp_gt_i32_e64 s1, s12, v12
	v_add_nc_u32_e32 v17, 0xc0, v2
	v_or_b32_e32 v24, 2, v30
	s_lshl_b64 s[18:19], s[42:43], 1
	s_lshl_b64 s[16:17], s[8:9], 7
	v_mad_u64_u32 v[8:9], null, s9, v1, v[5:6]
	v_mad_u64_u32 v[9:10], null, s8, v16, 0
	v_cmp_gt_i32_e64 s2, s12, v17
	s_lshl_b64 s[30:31], s[14:15], 1
	v_mad_u64_u32 v[28:29], null, s8, v24, 0
	v_mov_b32_e32 v5, v8
	v_mad_u64_u32 v[7:8], null, s45, v16, v[7:8]
	v_mad_u64_u32 v[32:33], null, s44, v30, s[44:45]
	v_lshlrev_b64 v[11:12], 3, v[4:5]
	v_mov_b32_e32 v5, v10
	v_mov_b32_e32 v8, v29
	v_ashrrev_i32_e32 v3, 31, v2
	v_lshlrev_b64 v[6:7], 1, v[6:7]
	v_cmp_gt_i32_e32 vcc_lo, s12, v2
	v_add_co_u32 v20, s3, s4, v11
	v_add_co_ci_u32_e64 v21, null, s29, v12, s3
	v_mad_u64_u32 v[16:17], null, s9, v16, v[5:6]
	v_mad_u64_u32 v[11:12], null, s44, v1, 0
	s_add_u32 s3, s40, s18
	s_addc_u32 s18, s41, s19
	s_add_u32 s19, s3, s30
	s_addc_u32 s18, s18, s31
	v_mov_b32_e32 v10, v16
	v_mad_u64_u32 v[16:17], null, s44, v24, 0
	v_mov_b32_e32 v5, v12
	v_add_co_u32 v22, s3, s19, v6
	v_add_co_ci_u32_e64 v23, null, s18, v7, s3
	v_mad_u64_u32 v[18:19], null, s45, v1, v[5:6]
	v_lshlrev_b64 v[6:7], 1, v[9:10]
	v_mov_b32_e32 v5, v17
	v_lshlrev_b64 v[3:4], 1, v[2:3]
	v_mad_u64_u32 v[9:10], null, s45, v24, v[5:6]
	v_mov_b32_e32 v12, v18
	v_mad_u64_u32 v[18:19], null, s8, v30, s[8:9]
	v_mad_u64_u32 v[26:27], null, s9, v24, v[8:9]
	v_add_co_u32 v24, s3, s4, v6
	v_add_co_ci_u32_e64 v25, null, s29, v7, s3
	v_lshlrev_b64 v[6:7], 3, v[11:12]
	v_mov_b32_e32 v5, v19
	v_mov_b32_e32 v17, v9
	;; [unrolled: 1-line block ×3, first 2 shown]
	v_add_co_u32 v26, s3, s19, v6
	v_mad_u64_u32 v[8:9], null, s9, v30, v[5:6]
	v_add_co_ci_u32_e64 v27, null, s18, v7, s3
	v_lshlrev_b64 v[6:7], 1, v[16:17]
	v_mov_b32_e32 v5, v33
	v_mov_b32_e32 v17, 0
	;; [unrolled: 1-line block ×4, first 2 shown]
	v_mad_u64_u32 v[9:10], null, s45, v30, v[5:6]
	v_lshlrev_b64 v[10:11], 1, v[28:29]
	v_add_co_u32 v28, s3, s19, v6
	v_lshlrev_b64 v[5:6], 1, v[18:19]
	v_add_co_ci_u32_e64 v29, null, s18, v7, s3
	v_mov_b32_e32 v33, v9
	v_add_co_u32 v30, s3, s4, v10
	v_add_co_ci_u32_e64 v31, null, s29, v11, s3
	v_lshlrev_b64 v[7:8], 1, v[32:33]
	v_add_co_u32 v32, s3, s4, v5
	v_add_co_ci_u32_e64 v33, null, s29, v6, s3
	v_mov_b32_e32 v19, 0
	v_add_co_u32 v34, s3, s19, v7
	v_add_co_ci_u32_e64 v35, null, s18, v8, s3
	v_mov_b32_e32 v18, 0
	s_lshl_b64 s[18:19], s[44:45], 7
	s_mov_b32 s29, 0
	s_branch .LBB391_17
.LBB391_13:                             ;   in Loop: Header=BB391_17 Depth=1
	s_or_b32 exec_lo, exec_lo, s31
	s_waitcnt vmcnt(3)
	v_fma_mix_f32 v5, v48, v52, v17 op_sel_hi:[0,1,0]
	s_waitcnt vmcnt(2)
	v_fma_mix_f32 v5, v49, v53, v5 op_sel_hi:[0,1,0]
	;; [unrolled: 2-line block ×4, first 2 shown]
.LBB391_14:                             ;   in Loop: Header=BB391_17 Depth=1
	s_or_b32 exec_lo, exec_lo, s30
	s_waitcnt vmcnt(3)
	v_fma_mix_f32 v5, v48, v44, v18 op_sel_hi:[0,1,0]
	s_waitcnt vmcnt(2)
	v_fma_mix_f32 v5, v49, v45, v5 op_sel_hi:[0,1,0]
	;; [unrolled: 2-line block ×4, first 2 shown]
.LBB391_15:                             ;   in Loop: Header=BB391_17 Depth=1
	s_or_b32 exec_lo, exec_lo, s3
	s_waitcnt vmcnt(3)
	v_fma_mix_f32 v5, v36, v40, v19 op_sel_hi:[1,1,0]
	s_waitcnt vmcnt(2)
	v_fma_mix_f32 v5, v37, v41, v5 op_sel_hi:[1,1,0]
	;; [unrolled: 2-line block ×4, first 2 shown]
.LBB391_16:                             ;   in Loop: Header=BB391_17 Depth=1
	s_or_b32 exec_lo, exec_lo, s4
	v_add_co_u32 v20, s3, v20, s16
	v_add_co_ci_u32_e64 v21, null, s17, v21, s3
	v_add_co_u32 v22, s3, v22, s18
	v_add_co_ci_u32_e64 v23, null, s19, v23, s3
	v_add_co_u32 v24, s3, v24, s16
	v_add_co_ci_u32_e64 v25, null, s17, v25, s3
	v_add_co_u32 v26, s3, v26, s18
	v_add_co_ci_u32_e64 v27, null, s19, v27, s3
	v_add_co_u32 v28, s3, v28, s18
	v_add_nc_u32_e32 v15, 64, v15
	v_add_co_ci_u32_e64 v29, null, s19, v29, s3
	v_add_co_u32 v30, s3, v30, s16
	v_add_co_ci_u32_e64 v31, null, s17, v31, s3
	v_add_co_u32 v32, s3, v32, s16
	v_add_co_ci_u32_e64 v33, null, s17, v33, s3
	v_cmp_le_i32_e64 s3, s27, v15
	v_add_co_u32 v34, s4, v34, s18
	v_add_co_ci_u32_e64 v35, null, s19, v35, s4
	s_or_b32 s29, s3, s29
	s_andn2_b32 exec_lo, exec_lo, s29
	s_cbranch_execz .LBB391_22
.LBB391_17:                             ; =>This Inner Loop Header: Depth=1
	s_and_saveexec_b32 s4, vcc_lo
	s_cbranch_execz .LBB391_16
; %bb.18:                               ;   in Loop: Header=BB391_17 Depth=1
	v_add_co_u32 v5, s3, v20, s6
	v_add_co_ci_u32_e64 v6, null, s7, v21, s3
	v_add_co_u32 v7, s3, v32, s6
	v_add_co_ci_u32_e64 v8, null, s7, v33, s3
	;; [unrolled: 2-line block ×3, first 2 shown]
	v_add_co_u32 v39, s3, v24, s6
	global_load_ushort v36, v[5:6], off
	global_load_ushort v37, v[7:8], off
	;; [unrolled: 1-line block ×3, first 2 shown]
	v_add_co_ci_u32_e64 v40, null, s7, v25, s3
	v_add_co_u32 v5, s3, v26, v3
	v_add_co_ci_u32_e64 v6, null, v27, v4, s3
	v_add_co_u32 v7, s3, v34, v3
	;; [unrolled: 2-line block ×4, first 2 shown]
	v_add_co_ci_u32_e64 v12, null, v23, v4, s3
	global_load_ushort v39, v[39:40], off
	global_load_ushort v40, v[5:6], off
	global_load_ushort v41, v[7:8], off
	global_load_ushort v42, v[9:10], off
	global_load_ushort v43, v[11:12], off
	s_and_saveexec_b32 s3, s0
	s_cbranch_execz .LBB391_15
; %bb.19:                               ;   in Loop: Header=BB391_17 Depth=1
	global_load_ushort v44, v[5:6], off offset:128
	global_load_ushort v45, v[7:8], off offset:128
	;; [unrolled: 1-line block ×4, first 2 shown]
	s_waitcnt vmcnt(11)
	v_cvt_f32_f16_e32 v48, v36
	s_waitcnt vmcnt(10)
	v_cvt_f32_f16_e32 v49, v37
	;; [unrolled: 2-line block ×4, first 2 shown]
	s_and_saveexec_b32 s30, s1
	s_cbranch_execz .LBB391_14
; %bb.20:                               ;   in Loop: Header=BB391_17 Depth=1
	global_load_ushort v52, v[5:6], off offset:256
	global_load_ushort v53, v[7:8], off offset:256
	;; [unrolled: 1-line block ×4, first 2 shown]
	s_and_saveexec_b32 s31, s2
	s_cbranch_execz .LBB391_13
; %bb.21:                               ;   in Loop: Header=BB391_17 Depth=1
	global_load_ushort v5, v[5:6], off offset:384
	global_load_ushort v6, v[7:8], off offset:384
	;; [unrolled: 1-line block ×4, first 2 shown]
	s_waitcnt vmcnt(3)
	v_fma_mix_f32 v5, v48, v5, v16 op_sel_hi:[0,1,0]
	s_waitcnt vmcnt(2)
	v_fma_mix_f32 v5, v49, v6, v5 op_sel_hi:[0,1,0]
	;; [unrolled: 2-line block ×4, first 2 shown]
	s_branch .LBB391_13
.LBB391_22:
	s_or_b32 exec_lo, exec_lo, s29
.LBB391_23:
	s_or_b32 exec_lo, exec_lo, s28
	s_sub_i32 s0, s13, s27
	s_cmp_lt_i32 s0, 1
	s_cbranch_scc1 .LBB391_41
; %bb.24:
	v_cmp_gt_i32_e32 vcc_lo, s13, v15
	v_mov_b32_e32 v11, 0
	v_or_b32_e32 v4, 1, v15
	v_mov_b32_e32 v12, 0
	v_mov_b32_e32 v20, 0
	;; [unrolled: 1-line block ×3, first 2 shown]
	s_and_saveexec_b32 s1, vcc_lo
	s_cbranch_execz .LBB391_32
; %bb.25:
	v_mad_u64_u32 v[5:6], null, s8, v15, 0
	s_lshl_b64 s[2:3], s[10:11], 1
	v_mov_b32_e32 v20, 0
	s_add_u32 s0, s48, s2
	s_addc_u32 s2, s49, s3
	s_lshl_b64 s[6:7], s[50:51], 1
	v_mov_b32_e32 v12, 0
	v_mov_b32_e32 v3, v6
	s_add_u32 s3, s0, s6
	s_addc_u32 s4, s2, s7
	v_mov_b32_e32 v11, 0
	s_mov_b32 s2, exec_lo
	v_mad_u64_u32 v[6:7], null, s9, v15, v[3:4]
	v_lshlrev_b64 v[5:6], 1, v[5:6]
	v_add_co_u32 v5, s0, s3, v5
	v_add_co_ci_u32_e64 v6, null, s4, v6, s0
	global_load_ushort v3, v[5:6], off
	v_cmpx_gt_i32_e64 s13, v4
	s_cbranch_execz .LBB391_31
; %bb.26:
	v_mad_u64_u32 v[5:6], null, s8, v4, 0
	v_mov_b32_e32 v12, 0
	v_mov_b32_e32 v11, 0
	s_mov_b32 s6, exec_lo
	v_mad_u64_u32 v[6:7], null, s9, v4, v[6:7]
	v_lshlrev_b64 v[5:6], 1, v[5:6]
	v_add_co_u32 v5, s0, s3, v5
	v_add_co_ci_u32_e64 v6, null, s4, v6, s0
	global_load_ushort v5, v[5:6], off
	v_or_b32_e32 v6, 2, v15
	v_cmpx_gt_i32_e64 s13, v6
	s_cbranch_execz .LBB391_30
; %bb.27:
	v_mad_u64_u32 v[7:8], null, s8, v6, 0
	v_mov_b32_e32 v11, 0
	s_mov_b32 s7, exec_lo
	v_mad_u64_u32 v[8:9], null, s9, v6, v[8:9]
	v_lshlrev_b64 v[6:7], 1, v[7:8]
	v_add_co_u32 v6, s0, s3, v6
	v_add_co_ci_u32_e64 v7, null, s4, v7, s0
	global_load_ushort v6, v[6:7], off
	v_or_b32_e32 v7, 3, v15
	v_cmpx_gt_i32_e64 s13, v7
	s_cbranch_execz .LBB391_29
; %bb.28:
	v_mad_u64_u32 v[8:9], null, s8, v7, 0
	v_mad_u64_u32 v[9:10], null, s9, v7, v[9:10]
	v_lshlrev_b64 v[7:8], 1, v[8:9]
	v_add_co_u32 v7, s0, s3, v7
	v_add_co_ci_u32_e64 v8, null, s4, v8, s0
	global_load_ushort v7, v[7:8], off
	s_waitcnt vmcnt(0)
	v_cvt_f32_f16_e32 v11, v7
.LBB391_29:
	s_or_b32 exec_lo, exec_lo, s7
	s_waitcnt vmcnt(0)
	v_cvt_f32_f16_e32 v12, v6
.LBB391_30:
	s_or_b32 exec_lo, exec_lo, s6
	s_waitcnt vmcnt(0)
	v_cvt_f32_f16_e32 v20, v5
.LBB391_31:
	s_or_b32 exec_lo, exec_lo, s2
	s_waitcnt vmcnt(0)
	v_cvt_f32_f16_e32 v21, v3
.LBB391_32:
	s_or_b32 exec_lo, exec_lo, s1
	s_mov_b32 s1, exec_lo
	v_cmpx_gt_i32_e64 s12, v2
	s_cbranch_execz .LBB391_40
; %bb.33:
	v_mad_u64_u32 v[5:6], null, s44, v15, 0
	v_mad_u64_u32 v[7:8], null, s44, v4, 0
	v_ashrrev_i32_e32 v3, 31, v2
	v_or_b32_e32 v29, 2, v15
	s_lshl_b64 s[2:3], s[14:15], 1
	s_add_u32 s0, s40, s2
	v_lshlrev_b64 v[22:23], 1, v[2:3]
	v_mad_u64_u32 v[9:10], null, s45, v15, v[6:7]
	v_mov_b32_e32 v3, v8
	v_cndmask_b32_e32 v5, 0, v5, vcc_lo
	v_or_b32_e32 v15, 3, v15
	v_mad_u64_u32 v[24:25], null, s44, v29, 0
	v_mad_u64_u32 v[26:27], null, s45, v4, v[3:4]
	v_cndmask_b32_e32 v6, 0, v9, vcc_lo
	v_cmp_gt_i32_e32 vcc_lo, s13, v4
	s_addc_u32 s4, s41, s3
	s_lshl_b64 s[2:3], s[42:43], 1
	v_mad_u64_u32 v[8:9], null, s44, v15, 0
	v_lshlrev_b64 v[5:6], 1, v[5:6]
	v_cndmask_b32_e32 v27, 0, v7, vcc_lo
	v_cndmask_b32_e32 v28, 0, v26, vcc_lo
	s_add_u32 s2, s0, s2
	v_mov_b32_e32 v7, v25
	s_addc_u32 s3, s4, s3
	v_add_co_u32 v3, s0, s2, v5
	v_add_co_ci_u32_e64 v4, null, s3, v6, s0
	v_lshlrev_b64 v[5:6], 1, v[27:28]
	v_mad_u64_u32 v[25:26], null, s45, v29, v[7:8]
	v_add_co_u32 v3, vcc_lo, v3, v22
	v_add_co_ci_u32_e64 v4, null, v4, v23, vcc_lo
	v_cmp_gt_i32_e32 vcc_lo, s13, v29
	v_mov_b32_e32 v7, v9
	v_add_co_u32 v5, s0, s2, v5
	v_add_co_ci_u32_e64 v6, null, s3, v6, s0
	v_cndmask_b32_e32 v9, 0, v24, vcc_lo
	v_cndmask_b32_e32 v10, 0, v25, vcc_lo
	v_mad_u64_u32 v[24:25], null, s45, v15, v[7:8]
	v_add_co_u32 v5, vcc_lo, v5, v22
	v_add_co_ci_u32_e64 v6, null, v6, v23, vcc_lo
	v_cmp_gt_i32_e32 vcc_lo, s13, v15
	v_lshlrev_b64 v[9:10], 1, v[9:10]
	s_clause 0x1
	global_load_ushort v25, v[3:4], off
	global_load_ushort v26, v[5:6], off
	s_mov_b32 s0, exec_lo
	v_cndmask_b32_e32 v7, 0, v8, vcc_lo
	v_cndmask_b32_e32 v8, 0, v24, vcc_lo
	v_add_co_u32 v15, vcc_lo, s2, v9
	v_add_co_ci_u32_e64 v24, null, s3, v10, vcc_lo
	v_lshlrev_b64 v[9:10], 1, v[7:8]
	v_add_co_u32 v7, vcc_lo, v15, v22
	v_add_co_ci_u32_e64 v8, null, v24, v23, vcc_lo
	v_add_co_u32 v9, vcc_lo, s2, v9
	v_add_co_ci_u32_e64 v10, null, s3, v10, vcc_lo
	global_load_ushort v24, v[7:8], off
	v_add_co_u32 v9, vcc_lo, v9, v22
	v_add_co_ci_u32_e64 v10, null, v10, v23, vcc_lo
	v_add_nc_u32_e32 v22, 64, v2
	global_load_ushort v15, v[9:10], off
	s_waitcnt vmcnt(3)
	v_fma_mix_f32 v19, v21, v25, v19 op_sel_hi:[0,1,0]
	s_waitcnt vmcnt(2)
	v_fma_mix_f32 v19, v20, v26, v19 op_sel_hi:[0,1,0]
	;; [unrolled: 2-line block ×3, first 2 shown]
	v_cmpx_gt_i32_e64 s12, v22
	s_cbranch_execz .LBB391_39
; %bb.34:
	s_clause 0x3
	global_load_ushort v23, v[3:4], off offset:128
	global_load_ushort v24, v[5:6], off offset:128
	;; [unrolled: 1-line block ×4, first 2 shown]
	s_mov_b32 s2, exec_lo
	s_waitcnt vmcnt(3)
	v_fma_mix_f32 v18, v21, v23, v18 op_sel_hi:[0,1,0]
	v_add_nc_u32_e32 v23, 0x80, v2
	s_waitcnt vmcnt(2)
	v_fma_mix_f32 v18, v20, v24, v18 op_sel_hi:[0,1,0]
	s_waitcnt vmcnt(1)
	v_fma_mix_f32 v18, v12, v25, v18 op_sel_hi:[0,1,0]
	v_cmpx_gt_i32_e64 s12, v23
	s_cbranch_execz .LBB391_38
; %bb.35:
	s_clause 0x3
	global_load_ushort v24, v[3:4], off offset:256
	global_load_ushort v25, v[5:6], off offset:256
	;; [unrolled: 1-line block ×4, first 2 shown]
	s_mov_b32 s3, exec_lo
	s_waitcnt vmcnt(3)
	v_fma_mix_f32 v17, v21, v24, v17 op_sel_hi:[0,1,0]
	v_add_nc_u32_e32 v24, 0xc0, v2
	s_waitcnt vmcnt(2)
	v_fma_mix_f32 v17, v20, v25, v17 op_sel_hi:[0,1,0]
	s_waitcnt vmcnt(1)
	v_fma_mix_f32 v2, v12, v26, v17 op_sel_hi:[0,1,0]
	v_cmpx_gt_i32_e64 s12, v24
	s_cbranch_execz .LBB391_37
; %bb.36:
	s_clause 0x3
	global_load_ushort v3, v[3:4], off offset:384
	global_load_ushort v4, v[5:6], off offset:384
	;; [unrolled: 1-line block ×4, first 2 shown]
	s_waitcnt vmcnt(3)
	v_fma_mix_f32 v3, v21, v3, v16 op_sel_hi:[0,1,0]
	s_waitcnt vmcnt(2)
	v_fma_mix_f32 v3, v20, v4, v3 op_sel_hi:[0,1,0]
	s_waitcnt vmcnt(1)
	v_fma_mix_f32 v3, v12, v5, v3 op_sel_hi:[0,1,0]
	s_waitcnt vmcnt(0)
	v_fma_mix_f32 v16, v11, v6, v3 op_sel_hi:[0,1,0]
.LBB391_37:
	s_or_b32 exec_lo, exec_lo, s3
	s_waitcnt vmcnt(0)
	v_fma_mix_f32 v17, v11, v23, v2 op_sel_hi:[0,1,0]
.LBB391_38:
	s_or_b32 exec_lo, exec_lo, s2
	s_waitcnt vmcnt(0)
	v_fma_mix_f32 v18, v11, v22, v18 op_sel_hi:[0,1,0]
.LBB391_39:
	s_or_b32 exec_lo, exec_lo, s0
	s_waitcnt vmcnt(0)
	v_fma_mix_f32 v19, v11, v15, v19 op_sel_hi:[0,1,0]
.LBB391_40:
	s_or_b32 exec_lo, exec_lo, s1
.LBB391_41:
	v_lshlrev_b32_e32 v0, 2, v0
	s_mov_b32 s0, exec_lo
                                        ; implicit-def: $vgpr5
                                        ; implicit-def: $vgpr2_vgpr3
	v_lshl_add_u32 v1, v1, 10, v0
	ds_write2st64_b32 v1, v19, v18 offset1:1
	ds_write2st64_b32 v1, v17, v16 offset0:2 offset1:3
	s_waitcnt lgkmcnt(0)
	s_barrier
	buffer_gl0_inv
	v_cmpx_gt_u32_e32 0x100, v13
	s_cbranch_execz .LBB391_47
; %bb.42:
	v_lshl_add_u32 v6, v14, 2, v0
	s_mov_b32 s2, s26
	s_mov_b32 s1, exec_lo
	ds_read2st64_b32 v[0:1], v6 offset1:4
	ds_read2st64_b32 v[2:3], v6 offset0:8 offset1:12
	ds_read2st64_b32 v[4:5], v6 offset0:16 offset1:20
	s_waitcnt lgkmcnt(2)
	v_add_f32_e32 v7, v0, v1
	ds_read2st64_b32 v[0:1], v6 offset0:24 offset1:28
	s_waitcnt lgkmcnt(2)
	v_add_f32_e32 v2, v2, v7
	v_add_f32_e32 v7, v3, v2
	ds_read2st64_b32 v[2:3], v6 offset0:32 offset1:36
	s_waitcnt lgkmcnt(2)
	v_add_f32_e32 v4, v4, v7
	;; [unrolled: 4-line block ×3, first 2 shown]
	v_add_f32_e32 v0, v1, v0
	s_waitcnt lgkmcnt(1)
	v_add_f32_e32 v2, v2, v0
	ds_read2st64_b32 v[0:1], v6 offset0:48 offset1:52
	v_add_f32_e32 v2, v3, v2
	s_waitcnt lgkmcnt(1)
	v_add_f32_e32 v4, v4, v2
	ds_read2st64_b32 v[2:3], v6 offset0:56 offset1:60
	v_add_f32_e32 v4, v5, v4
                                        ; implicit-def: $vgpr5
	s_waitcnt lgkmcnt(1)
	v_add_f32_e32 v0, v0, v4
	v_add_f32_e32 v0, v1, v0
	v_or_b32_e32 v1, s23, v13
	s_waitcnt lgkmcnt(0)
	v_add_f32_e32 v0, v2, v0
	v_add_f32_e32 v0, v3, v0
                                        ; implicit-def: $vgpr2_vgpr3
	ds_write_b32 v6, v0
	v_cmpx_gt_i32_e64 s12, v1
	s_cbranch_execz .LBB391_46
; %bb.43:
	v_ashrrev_i32_e32 v4, 31, v1
	v_mul_lo_u32 v5, s21, v1
	v_mad_u64_u32 v[2:3], null, s20, v1, 0
	v_cmp_eq_f32_e64 s2, s24, 0
	v_mul_lo_u32 v1, s20, v4
	v_mul_f32_e32 v0, s25, v0
	s_and_b32 vcc_lo, exec_lo, s2
	v_add3_u32 v3, v3, v1, v5
	s_cbranch_vccnz .LBB391_45
; %bb.44:
	v_lshlrev_b64 v[4:5], 1, v[2:3]
	v_add_co_u32 v4, vcc_lo, s5, v4
	v_add_co_ci_u32_e64 v5, null, s22, v5, vcc_lo
	global_load_ushort v1, v[4:5], off
	s_waitcnt vmcnt(0)
	v_fma_mix_f32 v0, s24, v1, v0 op_sel_hi:[0,1,0]
.LBB391_45:
	v_cvt_f16_f32_e32 v5, v0
	s_or_b32 s2, s26, exec_lo
.LBB391_46:
	s_or_b32 exec_lo, exec_lo, s1
	s_andn2_b32 s1, s26, exec_lo
	s_and_b32 s2, s2, exec_lo
	s_or_b32 s26, s1, s2
.LBB391_47:
	s_or_b32 exec_lo, exec_lo, s0
.LBB391_48:
	s_and_saveexec_b32 s0, s26
	s_cbranch_execz .LBB391_50
; %bb.49:
	v_lshlrev_b64 v[0:1], 1, v[2:3]
	v_add_co_u32 v0, vcc_lo, s5, v0
	v_add_co_ci_u32_e64 v1, null, s22, v1, vcc_lo
	global_store_short v[0:1], v5, off
.LBB391_50:
	s_endpgm
	.section	.rodata,"a",@progbits
	.p2align	6, 0x0
	.amdhsa_kernel _ZL20rocblas_gemvn_kernelILi64ELi16ElDF16_PKfDF16_EviiT3_lPKT2_lT1_lS5_lS6_lS2_lPT4_lS6_li
		.amdhsa_group_segment_fixed_size 16384
		.amdhsa_private_segment_fixed_size 0
		.amdhsa_kernarg_size 400
		.amdhsa_user_sgpr_count 6
		.amdhsa_user_sgpr_private_segment_buffer 1
		.amdhsa_user_sgpr_dispatch_ptr 0
		.amdhsa_user_sgpr_queue_ptr 0
		.amdhsa_user_sgpr_kernarg_segment_ptr 1
		.amdhsa_user_sgpr_dispatch_id 0
		.amdhsa_user_sgpr_flat_scratch_init 0
		.amdhsa_user_sgpr_private_segment_size 0
		.amdhsa_wavefront_size32 1
		.amdhsa_uses_dynamic_stack 0
		.amdhsa_system_sgpr_private_segment_wavefront_offset 0
		.amdhsa_system_sgpr_workgroup_id_x 1
		.amdhsa_system_sgpr_workgroup_id_y 0
		.amdhsa_system_sgpr_workgroup_id_z 1
		.amdhsa_system_sgpr_workgroup_info 0
		.amdhsa_system_vgpr_workitem_id 1
		.amdhsa_next_free_vgpr 56
		.amdhsa_next_free_sgpr 52
		.amdhsa_reserve_vcc 1
		.amdhsa_reserve_flat_scratch 0
		.amdhsa_float_round_mode_32 0
		.amdhsa_float_round_mode_16_64 0
		.amdhsa_float_denorm_mode_32 3
		.amdhsa_float_denorm_mode_16_64 3
		.amdhsa_dx10_clamp 1
		.amdhsa_ieee_mode 1
		.amdhsa_fp16_overflow 0
		.amdhsa_workgroup_processor_mode 1
		.amdhsa_memory_ordered 1
		.amdhsa_forward_progress 1
		.amdhsa_shared_vgpr_count 0
		.amdhsa_exception_fp_ieee_invalid_op 0
		.amdhsa_exception_fp_denorm_src 0
		.amdhsa_exception_fp_ieee_div_zero 0
		.amdhsa_exception_fp_ieee_overflow 0
		.amdhsa_exception_fp_ieee_underflow 0
		.amdhsa_exception_fp_ieee_inexact 0
		.amdhsa_exception_int_div_zero 0
	.end_amdhsa_kernel
	.section	.text._ZL20rocblas_gemvn_kernelILi64ELi16ElDF16_PKfDF16_EviiT3_lPKT2_lT1_lS5_lS6_lS2_lPT4_lS6_li,"axG",@progbits,_ZL20rocblas_gemvn_kernelILi64ELi16ElDF16_PKfDF16_EviiT3_lPKT2_lT1_lS5_lS6_lS2_lPT4_lS6_li,comdat
.Lfunc_end391:
	.size	_ZL20rocblas_gemvn_kernelILi64ELi16ElDF16_PKfDF16_EviiT3_lPKT2_lT1_lS5_lS6_lS2_lPT4_lS6_li, .Lfunc_end391-_ZL20rocblas_gemvn_kernelILi64ELi16ElDF16_PKfDF16_EviiT3_lPKT2_lT1_lS5_lS6_lS2_lPT4_lS6_li
                                        ; -- End function
	.set _ZL20rocblas_gemvn_kernelILi64ELi16ElDF16_PKfDF16_EviiT3_lPKT2_lT1_lS5_lS6_lS2_lPT4_lS6_li.num_vgpr, 56
	.set _ZL20rocblas_gemvn_kernelILi64ELi16ElDF16_PKfDF16_EviiT3_lPKT2_lT1_lS5_lS6_lS2_lPT4_lS6_li.num_agpr, 0
	.set _ZL20rocblas_gemvn_kernelILi64ELi16ElDF16_PKfDF16_EviiT3_lPKT2_lT1_lS5_lS6_lS2_lPT4_lS6_li.numbered_sgpr, 52
	.set _ZL20rocblas_gemvn_kernelILi64ELi16ElDF16_PKfDF16_EviiT3_lPKT2_lT1_lS5_lS6_lS2_lPT4_lS6_li.num_named_barrier, 0
	.set _ZL20rocblas_gemvn_kernelILi64ELi16ElDF16_PKfDF16_EviiT3_lPKT2_lT1_lS5_lS6_lS2_lPT4_lS6_li.private_seg_size, 0
	.set _ZL20rocblas_gemvn_kernelILi64ELi16ElDF16_PKfDF16_EviiT3_lPKT2_lT1_lS5_lS6_lS2_lPT4_lS6_li.uses_vcc, 1
	.set _ZL20rocblas_gemvn_kernelILi64ELi16ElDF16_PKfDF16_EviiT3_lPKT2_lT1_lS5_lS6_lS2_lPT4_lS6_li.uses_flat_scratch, 0
	.set _ZL20rocblas_gemvn_kernelILi64ELi16ElDF16_PKfDF16_EviiT3_lPKT2_lT1_lS5_lS6_lS2_lPT4_lS6_li.has_dyn_sized_stack, 0
	.set _ZL20rocblas_gemvn_kernelILi64ELi16ElDF16_PKfDF16_EviiT3_lPKT2_lT1_lS5_lS6_lS2_lPT4_lS6_li.has_recursion, 0
	.set _ZL20rocblas_gemvn_kernelILi64ELi16ElDF16_PKfDF16_EviiT3_lPKT2_lT1_lS5_lS6_lS2_lPT4_lS6_li.has_indirect_call, 0
	.section	.AMDGPU.csdata,"",@progbits
; Kernel info:
; codeLenInByte = 3360
; TotalNumSgprs: 54
; NumVgprs: 56
; ScratchSize: 0
; MemoryBound: 0
; FloatMode: 240
; IeeeMode: 1
; LDSByteSize: 16384 bytes/workgroup (compile time only)
; SGPRBlocks: 0
; VGPRBlocks: 6
; NumSGPRsForWavesPerEU: 54
; NumVGPRsForWavesPerEU: 56
; Occupancy: 16
; WaveLimiterHint : 0
; COMPUTE_PGM_RSRC2:SCRATCH_EN: 0
; COMPUTE_PGM_RSRC2:USER_SGPR: 6
; COMPUTE_PGM_RSRC2:TRAP_HANDLER: 0
; COMPUTE_PGM_RSRC2:TGID_X_EN: 1
; COMPUTE_PGM_RSRC2:TGID_Y_EN: 0
; COMPUTE_PGM_RSRC2:TGID_Z_EN: 1
; COMPUTE_PGM_RSRC2:TIDIG_COMP_CNT: 1
	.section	.text._ZL20rocblas_gemvn_kernelILi64ELi16EiDF16_fDF16_EviiT3_lPKT2_lT1_lS3_lS4_lS0_lPT4_lS4_li,"axG",@progbits,_ZL20rocblas_gemvn_kernelILi64ELi16EiDF16_fDF16_EviiT3_lPKT2_lT1_lS3_lS4_lS0_lPT4_lS4_li,comdat
	.globl	_ZL20rocblas_gemvn_kernelILi64ELi16EiDF16_fDF16_EviiT3_lPKT2_lT1_lS3_lS4_lS0_lPT4_lS4_li ; -- Begin function _ZL20rocblas_gemvn_kernelILi64ELi16EiDF16_fDF16_EviiT3_lPKT2_lT1_lS3_lS4_lS0_lPT4_lS4_li
	.p2align	8
	.type	_ZL20rocblas_gemvn_kernelILi64ELi16EiDF16_fDF16_EviiT3_lPKT2_lT1_lS3_lS4_lS0_lPT4_lS4_li,@function
_ZL20rocblas_gemvn_kernelILi64ELi16EiDF16_fDF16_EviiT3_lPKT2_lT1_lS3_lS4_lS0_lPT4_lS4_li: ; @_ZL20rocblas_gemvn_kernelILi64ELi16EiDF16_fDF16_EviiT3_lPKT2_lT1_lS3_lS4_lS0_lPT4_lS4_li
; %bb.0:
	s_load_dwordx2 s[0:1], s[4:5], 0x9c
	s_waitcnt lgkmcnt(0)
	s_lshr_b32 s2, s0, 16
	s_and_b32 s0, s0, 0xffff
	s_and_b32 s1, s1, 0xffff
	s_mul_i32 s0, s2, s0
	s_mul_i32 s0, s0, s1
	s_cmpk_lg_i32 s0, 0x400
	s_cbranch_scc1 .LBB392_50
; %bb.1:
	s_clause 0x1
	s_load_dwordx4 s[8:11], s[4:5], 0x0
	s_load_dword s13, s[4:5], 0x58
	s_mov_b32 s14, 0
	s_waitcnt lgkmcnt(0)
	v_cmp_eq_f32_e64 s0, s10, 0
	v_cmp_eq_f32_e64 s1, s13, 1.0
	s_and_b32 s0, s0, s1
	s_and_b32 vcc_lo, exec_lo, s0
	s_cbranch_vccnz .LBB392_50
; %bb.2:
	s_clause 0x2
	s_load_dwordx2 s[16:17], s[4:5], 0x80
	s_load_dwordx4 s[0:3], s[4:5], 0x68
	s_load_dword s15, s[4:5], 0x78
	v_lshlrev_b32_e32 v14, 6, v1
	v_cmp_neq_f32_e64 s18, s10, 0
	v_add_nc_u32_e32 v13, v14, v0
	s_waitcnt lgkmcnt(0)
	s_mul_i32 s11, s17, s7
	s_mul_hi_u32 s12, s16, s7
	s_mul_i32 s16, s16, s7
	s_add_i32 s17, s12, s11
	s_lshl_b64 s[16:17], s[16:17], 1
	s_add_u32 s11, s0, s16
	s_addc_u32 s12, s1, s17
	s_lshl_b64 s[0:1], s[2:3], 1
	s_add_u32 s11, s11, s0
	v_cmp_gt_u32_e64 s0, 0x100, v13
	s_addc_u32 s12, s12, s1
	s_and_b32 vcc_lo, exec_lo, s18
	s_cbranch_vccnz .LBB392_9
; %bb.3:
	s_mov_b32 s1, 0
                                        ; implicit-def: $vgpr5
                                        ; implicit-def: $vgpr2_vgpr3
	s_and_saveexec_b32 s2, s0
	s_cbranch_execz .LBB392_10
; %bb.4:
	v_lshl_or_b32 v4, s6, 8, v13
	v_mov_b32_e32 v5, 0
	s_ashr_i32 s17, s8, 31
	s_mov_b32 s16, s8
	s_mov_b32 s3, 0
	s_mov_b32 s0, exec_lo
                                        ; implicit-def: $vgpr2_vgpr3
	v_cmpx_gt_i64_e64 s[16:17], v[4:5]
	s_cbranch_execz .LBB392_8
; %bb.5:
	v_mad_u64_u32 v[2:3], null, s15, v4, 0
	s_ashr_i32 s3, s15, 31
	v_mad_u64_u32 v[3:4], null, s3, v4, v[3:4]
	v_cmp_eq_f32_e64 s3, s13, 0
	s_and_b32 vcc_lo, exec_lo, s3
	s_cbranch_vccnz .LBB392_7
; %bb.6:
	v_lshlrev_b64 v[4:5], 1, v[2:3]
	v_add_co_u32 v4, vcc_lo, s11, v4
	v_add_co_ci_u32_e64 v5, null, s12, v5, vcc_lo
	global_load_ushort v4, v[4:5], off
	s_waitcnt vmcnt(0)
	v_fma_mixlo_f16 v5, s13, v4, 0 op_sel_hi:[0,1,0]
.LBB392_7:
	s_mov_b32 s3, exec_lo
.LBB392_8:
	s_or_b32 exec_lo, exec_lo, s0
	s_and_b32 s14, s3, exec_lo
	s_or_b32 exec_lo, exec_lo, s2
	s_and_b32 vcc_lo, exec_lo, s1
	s_cbranch_vccnz .LBB392_11
	s_branch .LBB392_48
.LBB392_9:
                                        ; implicit-def: $vgpr5
                                        ; implicit-def: $vgpr2_vgpr3
	s_cbranch_execnz .LBB392_11
	s_branch .LBB392_48
.LBB392_10:
	s_or_b32 exec_lo, exec_lo, s2
	s_and_b32 vcc_lo, exec_lo, s1
	s_cbranch_vccz .LBB392_48
.LBB392_11:
	s_clause 0x5
	s_load_dwordx4 s[0:3], s[4:5], 0x30
	s_load_dwordx2 s[18:19], s[4:5], 0x50
	s_load_dwordx4 s[20:23], s[4:5], 0x18
	s_load_dword s17, s[4:5], 0x28
	s_load_dwordx2 s[24:25], s[4:5], 0x40
	s_load_dword s4, s[4:5], 0x48
	v_lshlrev_b32_e32 v20, 2, v1
	v_mov_b32_e32 v19, 0
	v_mov_b32_e32 v18, 0
	;; [unrolled: 1-line block ×4, first 2 shown]
	s_waitcnt lgkmcnt(0)
	s_mul_i32 s1, s1, s7
	s_mul_hi_u32 s16, s0, s7
	s_mul_i32 s0, s0, s7
	s_add_i32 s1, s16, s1
	s_mul_i32 s19, s19, s7
	s_lshl_b64 s[0:1], s[0:1], 1
	s_mul_hi_u32 s26, s18, s7
	s_add_u32 s16, s20, s0
	s_addc_u32 s20, s21, s1
	s_lshl_b64 s[0:1], s[22:23], 1
	s_mul_i32 s18, s18, s7
	s_add_u32 s7, s16, s0
	s_addc_u32 s16, s20, s1
	s_add_i32 s19, s26, s19
	s_mov_b32 s20, exec_lo
	s_lshl_b64 s[0:1], s[18:19], 1
	s_add_u32 s2, s2, s0
	s_addc_u32 s3, s3, s1
	s_lshl_b64 s[0:1], s[24:25], 1
	s_add_u32 s18, s2, s0
	s_addc_u32 s19, s3, s1
	s_ashr_i32 s0, s9, 31
	s_lshl_b32 s5, s6, 8
	s_lshr_b32 s0, s0, 26
	v_add_nc_u32_e32 v17, s5, v0
	s_add_i32 s0, s9, s0
	s_and_b32 s6, s0, 0xffffffc0
	v_cmpx_gt_i32_e64 s6, v20
	s_cbranch_execz .LBB392_23
; %bb.12:
	v_add_nc_u32_e32 v5, 0xc0, v17
	v_mul_lo_u32 v3, s17, v20
	v_add_nc_u32_e32 v2, 64, v17
	v_add_nc_u32_e32 v6, 2, v20
	;; [unrolled: 1-line block ×3, first 2 shown]
	v_cmp_gt_i32_e64 s2, s8, v5
	v_mul_lo_u32 v5, v1, s17
	v_add_nc_u32_e32 v7, 3, v20
	v_mul_lo_u32 v8, v1, s4
	v_cmp_gt_i32_e64 s0, s8, v2
	v_add3_u32 v21, v3, s17, v0
	v_mad_u64_u32 v[2:3], null, s17, v6, v[0:1]
	v_cmp_gt_i32_e64 s1, s8, v4
	v_mad_u64_u32 v[3:4], null, s17, v7, v[0:1]
	v_lshl_add_u32 v22, v5, 2, v0
	v_mad_u64_u32 v[4:5], null, s4, v20, s[4:5]
	v_mul_lo_u32 v23, s4, v6
	v_mul_lo_u32 v24, s4, v7
	v_lshlrev_b32_e32 v25, 2, v8
	v_mov_b32_e32 v19, 0
	v_mov_b32_e32 v18, 0
	;; [unrolled: 1-line block ×4, first 2 shown]
	s_lshl_b32 s21, s17, 6
	s_lshl_b32 s23, s4, 6
	s_mov_b32 s22, 0
	s_mov_b32 s24, 0
	v_cmp_gt_i32_e32 vcc_lo, s8, v17
	s_branch .LBB392_17
.LBB392_13:                             ;   in Loop: Header=BB392_17 Depth=1
	s_or_b32 exec_lo, exec_lo, s27
	s_waitcnt vmcnt(3)
	v_fma_mix_f32 v5, v38, v42, v16 op_sel_hi:[0,1,0]
	s_waitcnt vmcnt(2)
	v_fma_mix_f32 v5, v39, v43, v5 op_sel_hi:[0,1,0]
	;; [unrolled: 2-line block ×4, first 2 shown]
.LBB392_14:                             ;   in Loop: Header=BB392_17 Depth=1
	s_or_b32 exec_lo, exec_lo, s26
	s_waitcnt vmcnt(3)
	v_fma_mix_f32 v5, v38, v34, v18 op_sel_hi:[0,1,0]
	s_waitcnt vmcnt(2)
	v_fma_mix_f32 v5, v39, v35, v5 op_sel_hi:[0,1,0]
	;; [unrolled: 2-line block ×4, first 2 shown]
.LBB392_15:                             ;   in Loop: Header=BB392_17 Depth=1
	s_or_b32 exec_lo, exec_lo, s3
	s_waitcnt vmcnt(3)
	v_fma_mix_f32 v5, v26, v30, v19 op_sel_hi:[1,1,0]
	s_waitcnt vmcnt(2)
	v_fma_mix_f32 v5, v27, v31, v5 op_sel_hi:[1,1,0]
	;; [unrolled: 2-line block ×4, first 2 shown]
.LBB392_16:                             ;   in Loop: Header=BB392_17 Depth=1
	s_or_b32 exec_lo, exec_lo, s25
	v_add_nc_u32_e32 v20, 64, v20
	v_add_nc_u32_e32 v21, s21, v21
	;; [unrolled: 1-line block ×5, first 2 shown]
	v_cmp_le_i32_e64 s3, s6, v20
	s_add_i32 s24, s24, s23
	s_or_b32 s22, s3, s22
	s_andn2_b32 exec_lo, exec_lo, s22
	s_cbranch_execz .LBB392_22
.LBB392_17:                             ; =>This Inner Loop Header: Depth=1
	s_and_saveexec_b32 s25, vcc_lo
	s_cbranch_execz .LBB392_16
; %bb.18:                               ;   in Loop: Header=BB392_17 Depth=1
	v_add_nc_u32_e32 v5, s24, v25
	v_add_nc_u32_e32 v7, s24, v4
	;; [unrolled: 1-line block ×5, first 2 shown]
	v_ashrrev_i32_e32 v6, 31, v5
	v_ashrrev_i32_e32 v8, 31, v7
	;; [unrolled: 1-line block ×5, first 2 shown]
	v_lshlrev_b64 v[5:6], 1, v[5:6]
	v_lshlrev_b64 v[7:8], 1, v[7:8]
	;; [unrolled: 1-line block ×3, first 2 shown]
	v_add_co_u32 v28, s3, s18, v5
	v_add_co_ci_u32_e64 v29, null, s19, v6, s3
	v_add_co_u32 v30, s3, s18, v7
	v_add_nc_u32_e32 v7, s5, v21
	v_add_co_ci_u32_e64 v31, null, s19, v8, s3
	v_lshlrev_b64 v[5:6], 1, v[11:12]
	v_add_co_u32 v32, s3, s18, v9
	v_add_nc_u32_e32 v11, s5, v2
	v_add_co_ci_u32_e64 v33, null, s19, v10, s3
	v_lshlrev_b64 v[9:10], 1, v[26:27]
	v_add_nc_u32_e32 v26, s5, v3
	v_ashrrev_i32_e32 v8, 31, v7
	v_ashrrev_i32_e32 v12, 31, v11
	v_add_co_u32 v34, s3, s18, v5
	v_ashrrev_i32_e32 v27, 31, v26
	v_add_co_ci_u32_e64 v35, null, s19, v6, s3
	v_lshlrev_b64 v[7:8], 1, v[7:8]
	v_add_co_u32 v5, s3, s7, v9
	v_add_co_ci_u32_e64 v6, null, s16, v10, s3
	v_lshlrev_b64 v[9:10], 1, v[11:12]
	v_lshlrev_b64 v[11:12], 1, v[26:27]
	v_add_co_u32 v7, s3, s7, v7
	v_add_co_ci_u32_e64 v8, null, s16, v8, s3
	v_add_co_u32 v9, s3, s7, v9
	v_add_co_ci_u32_e64 v10, null, s16, v10, s3
	;; [unrolled: 2-line block ×3, first 2 shown]
	s_clause 0x3
	global_load_ushort v26, v[28:29], off
	global_load_ushort v27, v[30:31], off
	;; [unrolled: 1-line block ×4, first 2 shown]
	s_clause 0x3
	global_load_ushort v30, v[5:6], off
	global_load_ushort v31, v[7:8], off
	;; [unrolled: 1-line block ×4, first 2 shown]
	s_and_saveexec_b32 s3, s0
	s_cbranch_execz .LBB392_15
; %bb.19:                               ;   in Loop: Header=BB392_17 Depth=1
	s_clause 0x3
	global_load_ushort v34, v[5:6], off offset:128
	global_load_ushort v35, v[7:8], off offset:128
	;; [unrolled: 1-line block ×4, first 2 shown]
	s_waitcnt vmcnt(11)
	v_cvt_f32_f16_e32 v38, v26
	s_waitcnt vmcnt(10)
	v_cvt_f32_f16_e32 v39, v27
	;; [unrolled: 2-line block ×4, first 2 shown]
	s_and_saveexec_b32 s26, s1
	s_cbranch_execz .LBB392_14
; %bb.20:                               ;   in Loop: Header=BB392_17 Depth=1
	s_clause 0x3
	global_load_ushort v42, v[5:6], off offset:256
	global_load_ushort v43, v[7:8], off offset:256
	;; [unrolled: 1-line block ×4, first 2 shown]
	s_and_saveexec_b32 s27, s2
	s_cbranch_execz .LBB392_13
; %bb.21:                               ;   in Loop: Header=BB392_17 Depth=1
	s_clause 0x3
	global_load_ushort v5, v[5:6], off offset:384
	global_load_ushort v6, v[7:8], off offset:384
	;; [unrolled: 1-line block ×4, first 2 shown]
	s_waitcnt vmcnt(3)
	v_fma_mix_f32 v5, v38, v5, v15 op_sel_hi:[0,1,0]
	s_waitcnt vmcnt(2)
	v_fma_mix_f32 v5, v39, v6, v5 op_sel_hi:[0,1,0]
	s_waitcnt vmcnt(1)
	v_fma_mix_f32 v5, v40, v7, v5 op_sel_hi:[0,1,0]
	s_waitcnt vmcnt(0)
	v_fma_mix_f32 v15, v41, v8, v5 op_sel_hi:[0,1,0]
	s_branch .LBB392_13
.LBB392_22:
	s_or_b32 exec_lo, exec_lo, s22
.LBB392_23:
	s_or_b32 exec_lo, exec_lo, s20
	s_sub_i32 s0, s9, s6
	s_cmp_lt_i32 s0, 1
	s_cbranch_scc1 .LBB392_41
; %bb.24:
	v_cmp_gt_i32_e32 vcc_lo, s9, v20
	v_mov_b32_e32 v10, 0
	v_or_b32_e32 v2, 1, v20
	v_mov_b32_e32 v11, 0
	v_mov_b32_e32 v12, 0
	;; [unrolled: 1-line block ×3, first 2 shown]
	s_and_saveexec_b32 s1, vcc_lo
	s_cbranch_execz .LBB392_32
; %bb.25:
	v_mul_lo_u32 v3, v20, s4
	v_mov_b32_e32 v12, 0
	v_mov_b32_e32 v11, 0
	;; [unrolled: 1-line block ×3, first 2 shown]
	s_mov_b32 s2, exec_lo
	v_ashrrev_i32_e32 v4, 31, v3
	v_lshlrev_b64 v[3:4], 1, v[3:4]
	v_add_co_u32 v3, s0, s18, v3
	v_add_co_ci_u32_e64 v4, null, s19, v4, s0
	global_load_ushort v3, v[3:4], off
	v_cmpx_gt_i32_e64 s9, v2
	s_cbranch_execz .LBB392_31
; %bb.26:
	v_mul_lo_u32 v4, v2, s4
	v_mov_b32_e32 v11, 0
	v_mov_b32_e32 v10, 0
	s_mov_b32 s3, exec_lo
	v_ashrrev_i32_e32 v5, 31, v4
	v_lshlrev_b64 v[4:5], 1, v[4:5]
	v_add_co_u32 v4, s0, s18, v4
	v_add_co_ci_u32_e64 v5, null, s19, v5, s0
	global_load_ushort v4, v[4:5], off
	v_or_b32_e32 v5, 2, v20
	v_cmpx_gt_i32_e64 s9, v5
	s_cbranch_execz .LBB392_30
; %bb.27:
	v_mul_lo_u32 v5, v5, s4
	v_mov_b32_e32 v10, 0
	s_mov_b32 s6, exec_lo
	v_ashrrev_i32_e32 v6, 31, v5
	v_lshlrev_b64 v[5:6], 1, v[5:6]
	v_add_co_u32 v5, s0, s18, v5
	v_add_co_ci_u32_e64 v6, null, s19, v6, s0
	global_load_ushort v5, v[5:6], off
	v_or_b32_e32 v6, 3, v20
	v_cmpx_gt_i32_e64 s9, v6
	s_cbranch_execz .LBB392_29
; %bb.28:
	v_mul_lo_u32 v6, v6, s4
	v_ashrrev_i32_e32 v7, 31, v6
	v_lshlrev_b64 v[6:7], 1, v[6:7]
	v_add_co_u32 v6, s0, s18, v6
	v_add_co_ci_u32_e64 v7, null, s19, v7, s0
	global_load_ushort v6, v[6:7], off
	s_waitcnt vmcnt(0)
	v_cvt_f32_f16_e32 v10, v6
.LBB392_29:
	s_or_b32 exec_lo, exec_lo, s6
	s_waitcnt vmcnt(0)
	v_cvt_f32_f16_e32 v11, v5
.LBB392_30:
	s_or_b32 exec_lo, exec_lo, s3
	s_waitcnt vmcnt(0)
	v_cvt_f32_f16_e32 v12, v4
.LBB392_31:
	s_or_b32 exec_lo, exec_lo, s2
	s_waitcnt vmcnt(0)
	v_cvt_f32_f16_e32 v21, v3
.LBB392_32:
	s_or_b32 exec_lo, exec_lo, s1
	s_mov_b32 s1, exec_lo
	v_cmpx_gt_i32_e64 s8, v17
	s_cbranch_execz .LBB392_40
; %bb.33:
	v_mul_lo_u32 v3, v20, s17
	v_or_b32_e32 v4, 2, v20
	v_mul_lo_u32 v5, v2, s17
	v_or_b32_e32 v6, 3, v20
	s_mov_b32 s0, exec_lo
	v_mul_lo_u32 v7, v4, s17
	v_mul_lo_u32 v8, v6, s17
	v_cndmask_b32_e32 v3, 0, v3, vcc_lo
	v_cmp_gt_i32_e32 vcc_lo, s9, v2
	v_add_nc_u32_e32 v2, v3, v17
	v_cndmask_b32_e32 v5, 0, v5, vcc_lo
	v_cmp_gt_i32_e32 vcc_lo, s9, v4
	v_ashrrev_i32_e32 v3, 31, v2
	v_add_nc_u32_e32 v4, v5, v17
	v_cndmask_b32_e32 v7, 0, v7, vcc_lo
	v_cmp_gt_i32_e32 vcc_lo, s9, v6
	v_lshlrev_b64 v[2:3], 1, v[2:3]
	v_ashrrev_i32_e32 v5, 31, v4
	v_add_nc_u32_e32 v6, v7, v17
	v_cndmask_b32_e32 v8, 0, v8, vcc_lo
	v_lshlrev_b64 v[4:5], 1, v[4:5]
	v_ashrrev_i32_e32 v7, 31, v6
	v_add_nc_u32_e32 v8, v8, v17
	v_add_co_u32 v2, vcc_lo, s7, v2
	v_add_co_ci_u32_e64 v3, null, s16, v3, vcc_lo
	v_lshlrev_b64 v[6:7], 1, v[6:7]
	v_ashrrev_i32_e32 v9, 31, v8
	v_add_co_u32 v4, vcc_lo, s7, v4
	v_add_co_ci_u32_e64 v5, null, s16, v5, vcc_lo
	global_load_ushort v22, v[2:3], off
	v_add_co_u32 v6, vcc_lo, s7, v6
	v_add_co_ci_u32_e64 v7, null, s16, v7, vcc_lo
	v_lshlrev_b64 v[8:9], 1, v[8:9]
	s_clause 0x1
	global_load_ushort v23, v[4:5], off
	global_load_ushort v24, v[6:7], off
	v_add_co_u32 v8, vcc_lo, s7, v8
	v_add_co_ci_u32_e64 v9, null, s16, v9, vcc_lo
	global_load_ushort v20, v[8:9], off
	s_waitcnt vmcnt(3)
	v_fma_mix_f32 v19, v21, v22, v19 op_sel_hi:[0,1,0]
	v_add_nc_u32_e32 v22, 64, v17
	s_waitcnt vmcnt(2)
	v_fma_mix_f32 v19, v12, v23, v19 op_sel_hi:[0,1,0]
	s_waitcnt vmcnt(1)
	v_fma_mix_f32 v19, v11, v24, v19 op_sel_hi:[0,1,0]
	v_cmpx_gt_i32_e64 s8, v22
	s_cbranch_execz .LBB392_39
; %bb.34:
	s_clause 0x3
	global_load_ushort v23, v[2:3], off offset:128
	global_load_ushort v24, v[4:5], off offset:128
	;; [unrolled: 1-line block ×4, first 2 shown]
	s_mov_b32 s2, exec_lo
	s_waitcnt vmcnt(3)
	v_fma_mix_f32 v18, v21, v23, v18 op_sel_hi:[0,1,0]
	v_add_nc_u32_e32 v23, 0x80, v17
	s_waitcnt vmcnt(2)
	v_fma_mix_f32 v18, v12, v24, v18 op_sel_hi:[0,1,0]
	s_waitcnt vmcnt(1)
	v_fma_mix_f32 v18, v11, v25, v18 op_sel_hi:[0,1,0]
	v_cmpx_gt_i32_e64 s8, v23
	s_cbranch_execz .LBB392_38
; %bb.35:
	s_clause 0x3
	global_load_ushort v24, v[2:3], off offset:256
	global_load_ushort v25, v[4:5], off offset:256
	;; [unrolled: 1-line block ×4, first 2 shown]
	v_add_nc_u32_e32 v17, 0xc0, v17
	s_mov_b32 s3, exec_lo
	s_waitcnt vmcnt(3)
	v_fma_mix_f32 v16, v21, v24, v16 op_sel_hi:[0,1,0]
	s_waitcnt vmcnt(2)
	v_fma_mix_f32 v16, v12, v25, v16 op_sel_hi:[0,1,0]
	;; [unrolled: 2-line block ×3, first 2 shown]
	v_cmpx_gt_i32_e64 s8, v17
	s_cbranch_execz .LBB392_37
; %bb.36:
	s_clause 0x3
	global_load_ushort v2, v[2:3], off offset:384
	global_load_ushort v3, v[4:5], off offset:384
	global_load_ushort v4, v[6:7], off offset:384
	global_load_ushort v5, v[8:9], off offset:384
	s_waitcnt vmcnt(3)
	v_fma_mix_f32 v2, v21, v2, v15 op_sel_hi:[0,1,0]
	s_waitcnt vmcnt(2)
	v_fma_mix_f32 v2, v12, v3, v2 op_sel_hi:[0,1,0]
	;; [unrolled: 2-line block ×4, first 2 shown]
.LBB392_37:
	s_or_b32 exec_lo, exec_lo, s3
	s_waitcnt vmcnt(0)
	v_fma_mix_f32 v16, v10, v23, v16 op_sel_hi:[0,1,0]
.LBB392_38:
	s_or_b32 exec_lo, exec_lo, s2
	s_waitcnt vmcnt(0)
	v_fma_mix_f32 v18, v10, v22, v18 op_sel_hi:[0,1,0]
.LBB392_39:
	s_or_b32 exec_lo, exec_lo, s0
	s_waitcnt vmcnt(0)
	v_fma_mix_f32 v19, v10, v20, v19 op_sel_hi:[0,1,0]
.LBB392_40:
	s_or_b32 exec_lo, exec_lo, s1
.LBB392_41:
	v_lshlrev_b32_e32 v0, 2, v0
	s_mov_b32 s0, exec_lo
                                        ; implicit-def: $vgpr5
                                        ; implicit-def: $vgpr2_vgpr3
	v_lshl_add_u32 v1, v1, 10, v0
	ds_write2st64_b32 v1, v19, v18 offset1:1
	ds_write2st64_b32 v1, v16, v15 offset0:2 offset1:3
	s_waitcnt lgkmcnt(0)
	s_barrier
	buffer_gl0_inv
	v_cmpx_gt_u32_e32 0x100, v13
	s_cbranch_execz .LBB392_47
; %bb.42:
	v_lshl_add_u32 v6, v14, 2, v0
	s_mov_b32 s2, s14
	s_mov_b32 s1, exec_lo
	ds_read2st64_b32 v[0:1], v6 offset1:4
	ds_read2st64_b32 v[2:3], v6 offset0:8 offset1:12
	ds_read2st64_b32 v[4:5], v6 offset0:16 offset1:20
	s_waitcnt lgkmcnt(2)
	v_add_f32_e32 v7, v0, v1
	ds_read2st64_b32 v[0:1], v6 offset0:24 offset1:28
	s_waitcnt lgkmcnt(2)
	v_add_f32_e32 v2, v2, v7
	v_add_f32_e32 v7, v3, v2
	ds_read2st64_b32 v[2:3], v6 offset0:32 offset1:36
	s_waitcnt lgkmcnt(2)
	v_add_f32_e32 v4, v4, v7
	;; [unrolled: 4-line block ×3, first 2 shown]
	v_add_f32_e32 v0, v1, v0
	s_waitcnt lgkmcnt(1)
	v_add_f32_e32 v2, v2, v0
	ds_read2st64_b32 v[0:1], v6 offset0:48 offset1:52
	v_add_f32_e32 v2, v3, v2
	s_waitcnt lgkmcnt(1)
	v_add_f32_e32 v4, v4, v2
	ds_read2st64_b32 v[2:3], v6 offset0:56 offset1:60
	v_add_f32_e32 v4, v5, v4
                                        ; implicit-def: $vgpr5
	s_waitcnt lgkmcnt(1)
	v_add_f32_e32 v0, v0, v4
	v_add_f32_e32 v0, v1, v0
	v_or_b32_e32 v1, s5, v13
	s_waitcnt lgkmcnt(0)
	v_add_f32_e32 v0, v2, v0
	v_add_f32_e32 v0, v3, v0
                                        ; implicit-def: $vgpr2_vgpr3
	ds_write_b32 v6, v0
	v_cmpx_gt_i32_e64 s8, v1
	s_cbranch_execz .LBB392_46
; %bb.43:
	v_mul_lo_u32 v2, s15, v1
	v_cmp_eq_f32_e64 s2, s13, 0
	v_mul_f32_e32 v0, s10, v0
	s_and_b32 vcc_lo, exec_lo, s2
	v_ashrrev_i32_e32 v3, 31, v2
	s_cbranch_vccnz .LBB392_45
; %bb.44:
	v_lshlrev_b64 v[4:5], 1, v[2:3]
	v_add_co_u32 v4, vcc_lo, s11, v4
	v_add_co_ci_u32_e64 v5, null, s12, v5, vcc_lo
	global_load_ushort v1, v[4:5], off
	s_waitcnt vmcnt(0)
	v_fma_mix_f32 v0, s13, v1, v0 op_sel_hi:[0,1,0]
.LBB392_45:
	v_cvt_f16_f32_e32 v5, v0
	s_or_b32 s2, s14, exec_lo
.LBB392_46:
	s_or_b32 exec_lo, exec_lo, s1
	s_andn2_b32 s1, s14, exec_lo
	s_and_b32 s2, s2, exec_lo
	s_or_b32 s14, s1, s2
.LBB392_47:
	s_or_b32 exec_lo, exec_lo, s0
.LBB392_48:
	s_and_saveexec_b32 s0, s14
	s_cbranch_execz .LBB392_50
; %bb.49:
	v_lshlrev_b64 v[0:1], 1, v[2:3]
	v_add_co_u32 v0, vcc_lo, s11, v0
	v_add_co_ci_u32_e64 v1, null, s12, v1, vcc_lo
	global_store_short v[0:1], v5, off
.LBB392_50:
	s_endpgm
	.section	.rodata,"a",@progbits
	.p2align	6, 0x0
	.amdhsa_kernel _ZL20rocblas_gemvn_kernelILi64ELi16EiDF16_fDF16_EviiT3_lPKT2_lT1_lS3_lS4_lS0_lPT4_lS4_li
		.amdhsa_group_segment_fixed_size 16384
		.amdhsa_private_segment_fixed_size 0
		.amdhsa_kernarg_size 400
		.amdhsa_user_sgpr_count 6
		.amdhsa_user_sgpr_private_segment_buffer 1
		.amdhsa_user_sgpr_dispatch_ptr 0
		.amdhsa_user_sgpr_queue_ptr 0
		.amdhsa_user_sgpr_kernarg_segment_ptr 1
		.amdhsa_user_sgpr_dispatch_id 0
		.amdhsa_user_sgpr_flat_scratch_init 0
		.amdhsa_user_sgpr_private_segment_size 0
		.amdhsa_wavefront_size32 1
		.amdhsa_uses_dynamic_stack 0
		.amdhsa_system_sgpr_private_segment_wavefront_offset 0
		.amdhsa_system_sgpr_workgroup_id_x 1
		.amdhsa_system_sgpr_workgroup_id_y 0
		.amdhsa_system_sgpr_workgroup_id_z 1
		.amdhsa_system_sgpr_workgroup_info 0
		.amdhsa_system_vgpr_workitem_id 1
		.amdhsa_next_free_vgpr 46
		.amdhsa_next_free_sgpr 28
		.amdhsa_reserve_vcc 1
		.amdhsa_reserve_flat_scratch 0
		.amdhsa_float_round_mode_32 0
		.amdhsa_float_round_mode_16_64 0
		.amdhsa_float_denorm_mode_32 3
		.amdhsa_float_denorm_mode_16_64 3
		.amdhsa_dx10_clamp 1
		.amdhsa_ieee_mode 1
		.amdhsa_fp16_overflow 0
		.amdhsa_workgroup_processor_mode 1
		.amdhsa_memory_ordered 1
		.amdhsa_forward_progress 1
		.amdhsa_shared_vgpr_count 0
		.amdhsa_exception_fp_ieee_invalid_op 0
		.amdhsa_exception_fp_denorm_src 0
		.amdhsa_exception_fp_ieee_div_zero 0
		.amdhsa_exception_fp_ieee_overflow 0
		.amdhsa_exception_fp_ieee_underflow 0
		.amdhsa_exception_fp_ieee_inexact 0
		.amdhsa_exception_int_div_zero 0
	.end_amdhsa_kernel
	.section	.text._ZL20rocblas_gemvn_kernelILi64ELi16EiDF16_fDF16_EviiT3_lPKT2_lT1_lS3_lS4_lS0_lPT4_lS4_li,"axG",@progbits,_ZL20rocblas_gemvn_kernelILi64ELi16EiDF16_fDF16_EviiT3_lPKT2_lT1_lS3_lS4_lS0_lPT4_lS4_li,comdat
.Lfunc_end392:
	.size	_ZL20rocblas_gemvn_kernelILi64ELi16EiDF16_fDF16_EviiT3_lPKT2_lT1_lS3_lS4_lS0_lPT4_lS4_li, .Lfunc_end392-_ZL20rocblas_gemvn_kernelILi64ELi16EiDF16_fDF16_EviiT3_lPKT2_lT1_lS3_lS4_lS0_lPT4_lS4_li
                                        ; -- End function
	.set _ZL20rocblas_gemvn_kernelILi64ELi16EiDF16_fDF16_EviiT3_lPKT2_lT1_lS3_lS4_lS0_lPT4_lS4_li.num_vgpr, 46
	.set _ZL20rocblas_gemvn_kernelILi64ELi16EiDF16_fDF16_EviiT3_lPKT2_lT1_lS3_lS4_lS0_lPT4_lS4_li.num_agpr, 0
	.set _ZL20rocblas_gemvn_kernelILi64ELi16EiDF16_fDF16_EviiT3_lPKT2_lT1_lS3_lS4_lS0_lPT4_lS4_li.numbered_sgpr, 28
	.set _ZL20rocblas_gemvn_kernelILi64ELi16EiDF16_fDF16_EviiT3_lPKT2_lT1_lS3_lS4_lS0_lPT4_lS4_li.num_named_barrier, 0
	.set _ZL20rocblas_gemvn_kernelILi64ELi16EiDF16_fDF16_EviiT3_lPKT2_lT1_lS3_lS4_lS0_lPT4_lS4_li.private_seg_size, 0
	.set _ZL20rocblas_gemvn_kernelILi64ELi16EiDF16_fDF16_EviiT3_lPKT2_lT1_lS3_lS4_lS0_lPT4_lS4_li.uses_vcc, 1
	.set _ZL20rocblas_gemvn_kernelILi64ELi16EiDF16_fDF16_EviiT3_lPKT2_lT1_lS3_lS4_lS0_lPT4_lS4_li.uses_flat_scratch, 0
	.set _ZL20rocblas_gemvn_kernelILi64ELi16EiDF16_fDF16_EviiT3_lPKT2_lT1_lS3_lS4_lS0_lPT4_lS4_li.has_dyn_sized_stack, 0
	.set _ZL20rocblas_gemvn_kernelILi64ELi16EiDF16_fDF16_EviiT3_lPKT2_lT1_lS3_lS4_lS0_lPT4_lS4_li.has_recursion, 0
	.set _ZL20rocblas_gemvn_kernelILi64ELi16EiDF16_fDF16_EviiT3_lPKT2_lT1_lS3_lS4_lS0_lPT4_lS4_li.has_indirect_call, 0
	.section	.AMDGPU.csdata,"",@progbits
; Kernel info:
; codeLenInByte = 2916
; TotalNumSgprs: 30
; NumVgprs: 46
; ScratchSize: 0
; MemoryBound: 0
; FloatMode: 240
; IeeeMode: 1
; LDSByteSize: 16384 bytes/workgroup (compile time only)
; SGPRBlocks: 0
; VGPRBlocks: 5
; NumSGPRsForWavesPerEU: 30
; NumVGPRsForWavesPerEU: 46
; Occupancy: 16
; WaveLimiterHint : 1
; COMPUTE_PGM_RSRC2:SCRATCH_EN: 0
; COMPUTE_PGM_RSRC2:USER_SGPR: 6
; COMPUTE_PGM_RSRC2:TRAP_HANDLER: 0
; COMPUTE_PGM_RSRC2:TGID_X_EN: 1
; COMPUTE_PGM_RSRC2:TGID_Y_EN: 0
; COMPUTE_PGM_RSRC2:TGID_Z_EN: 1
; COMPUTE_PGM_RSRC2:TIDIG_COMP_CNT: 1
	.section	.text._ZL20rocblas_gemvn_kernelILi64ELi16ElDF16_fDF16_EviiT3_lPKT2_lT1_lS3_lS4_lS0_lPT4_lS4_li,"axG",@progbits,_ZL20rocblas_gemvn_kernelILi64ELi16ElDF16_fDF16_EviiT3_lPKT2_lT1_lS3_lS4_lS0_lPT4_lS4_li,comdat
	.globl	_ZL20rocblas_gemvn_kernelILi64ELi16ElDF16_fDF16_EviiT3_lPKT2_lT1_lS3_lS4_lS0_lPT4_lS4_li ; -- Begin function _ZL20rocblas_gemvn_kernelILi64ELi16ElDF16_fDF16_EviiT3_lPKT2_lT1_lS3_lS4_lS0_lPT4_lS4_li
	.p2align	8
	.type	_ZL20rocblas_gemvn_kernelILi64ELi16ElDF16_fDF16_EviiT3_lPKT2_lT1_lS3_lS4_lS0_lPT4_lS4_li,@function
_ZL20rocblas_gemvn_kernelILi64ELi16ElDF16_fDF16_EviiT3_lPKT2_lT1_lS3_lS4_lS0_lPT4_lS4_li: ; @_ZL20rocblas_gemvn_kernelILi64ELi16ElDF16_fDF16_EviiT3_lPKT2_lT1_lS3_lS4_lS0_lPT4_lS4_li
; %bb.0:
	s_load_dwordx2 s[0:1], s[4:5], 0x9c
	s_waitcnt lgkmcnt(0)
	s_lshr_b32 s2, s0, 16
	s_and_b32 s0, s0, 0xffff
	s_and_b32 s1, s1, 0xffff
	s_mul_i32 s0, s2, s0
	s_mul_i32 s0, s0, s1
	s_cmpk_lg_i32 s0, 0x400
	s_cbranch_scc1 .LBB393_50
; %bb.1:
	s_clause 0x1
	s_load_dwordx4 s[28:31], s[4:5], 0x0
	s_load_dword s36, s[4:5], 0x58
	s_mov_b32 s37, 0
	s_waitcnt lgkmcnt(0)
	v_cmp_eq_f32_e64 s0, s30, 0
	v_cmp_eq_f32_e64 s1, s36, 1.0
	s_and_b32 s0, s0, s1
	s_and_b32 vcc_lo, exec_lo, s0
	s_cbranch_vccnz .LBB393_50
; %bb.2:
	s_load_dwordx8 s[20:27], s[4:5], 0x68
	v_lshlrev_b32_e32 v14, 6, v1
	v_add_nc_u32_e32 v13, v14, v0
	s_waitcnt lgkmcnt(0)
	s_mul_i32 s1, s27, s7
	s_mul_hi_u32 s2, s26, s7
	s_mul_i32 s0, s26, s7
	s_add_i32 s1, s2, s1
	v_cmp_neq_f32_e64 s2, s30, 0
	s_lshl_b64 s[0:1], s[0:1], 1
	s_add_u32 s3, s20, s0
	s_addc_u32 s8, s21, s1
	s_lshl_b64 s[0:1], s[22:23], 1
	s_add_u32 s31, s3, s0
	v_cmp_gt_u32_e64 s0, 0x100, v13
	s_addc_u32 s33, s8, s1
	s_and_b32 vcc_lo, exec_lo, s2
	s_cbranch_vccnz .LBB393_9
; %bb.3:
	s_mov_b32 s1, 0
                                        ; implicit-def: $vgpr5
                                        ; implicit-def: $vgpr2_vgpr3
	s_and_saveexec_b32 s2, s0
	s_cbranch_execz .LBB393_10
; %bb.4:
	v_lshl_or_b32 v4, s6, 8, v13
	v_mov_b32_e32 v5, 0
	s_ashr_i32 s9, s28, 31
	s_mov_b32 s8, s28
	s_mov_b32 s3, 0
	s_mov_b32 s0, exec_lo
                                        ; implicit-def: $vgpr2_vgpr3
	v_cmpx_gt_i64_e64 s[8:9], v[4:5]
	s_cbranch_execz .LBB393_8
; %bb.5:
	v_mad_u64_u32 v[2:3], null, s24, v4, 0
	v_cmp_eq_f32_e64 s3, s36, 0
	s_and_b32 vcc_lo, exec_lo, s3
	v_mad_u64_u32 v[3:4], null, s25, v4, v[3:4]
	s_cbranch_vccnz .LBB393_7
; %bb.6:
	v_lshlrev_b64 v[4:5], 1, v[2:3]
	v_add_co_u32 v4, vcc_lo, s31, v4
	v_add_co_ci_u32_e64 v5, null, s33, v5, vcc_lo
	global_load_ushort v4, v[4:5], off
	s_waitcnt vmcnt(0)
	v_fma_mixlo_f16 v5, s36, v4, 0 op_sel_hi:[0,1,0]
.LBB393_7:
	s_mov_b32 s3, exec_lo
.LBB393_8:
	s_or_b32 exec_lo, exec_lo, s0
	s_and_b32 s37, s3, exec_lo
	s_or_b32 exec_lo, exec_lo, s2
	s_and_b32 vcc_lo, exec_lo, s1
	s_cbranch_vccnz .LBB393_11
	s_branch .LBB393_48
.LBB393_9:
                                        ; implicit-def: $vgpr5
                                        ; implicit-def: $vgpr2_vgpr3
	s_cbranch_execnz .LBB393_11
	s_branch .LBB393_48
.LBB393_10:
	s_or_b32 exec_lo, exec_lo, s2
	s_and_b32 vcc_lo, exec_lo, s1
	s_cbranch_vccz .LBB393_48
.LBB393_11:
	s_load_dwordx16 s[8:23], s[4:5], 0x18
	s_ashr_i32 s0, s29, 31
	s_lshl_b32 s5, s6, 8
	s_lshr_b32 s0, s0, 26
	v_lshlrev_b32_e32 v15, 2, v1
	v_mov_b32_e32 v19, 0
	v_mov_b32_e32 v18, 0
	;; [unrolled: 1-line block ×4, first 2 shown]
	v_add_nc_u32_e32 v2, s5, v0
	s_add_i32 s38, s29, s0
	s_mov_b32 s39, exec_lo
	s_andn2_b32 s38, s38, 63
	s_waitcnt lgkmcnt(0)
	s_mul_i32 s0, s15, s7
	s_mul_hi_u32 s1, s14, s7
	s_mul_i32 s2, s23, s7
	s_mul_hi_u32 s3, s22, s7
	s_mul_i32 s14, s14, s7
	s_add_i32 s15, s1, s0
	s_add_i32 s23, s3, s2
	s_mul_i32 s22, s22, s7
	v_cmpx_gt_i32_e64 s38, v15
	s_cbranch_execz .LBB393_23
; %bb.12:
	v_lshlrev_b32_e32 v30, 2, v1
	v_mad_u64_u32 v[4:5], null, s20, v1, 0
	v_add_nc_u32_e32 v11, 64, v2
	v_add_nc_u32_e32 v12, 0x80, v2
	v_or_b32_e32 v16, 3, v30
	s_lshl_b64 s[0:1], s[22:23], 1
	s_lshl_b64 s[6:7], s[18:19], 1
	s_add_u32 s4, s16, s0
	s_addc_u32 s42, s17, s1
	v_mad_u64_u32 v[6:7], null, s12, v16, 0
	v_cmp_gt_i32_e64 s0, s28, v11
	v_cmp_gt_i32_e64 s1, s28, v12
	v_add_nc_u32_e32 v17, 0xc0, v2
	v_or_b32_e32 v24, 2, v30
	s_lshl_b64 s[34:35], s[10:11], 1
	s_lshl_b64 s[26:27], s[20:21], 7
	v_mad_u64_u32 v[8:9], null, s21, v1, v[5:6]
	v_mad_u64_u32 v[9:10], null, s20, v16, 0
	v_cmp_gt_i32_e64 s2, s28, v17
	s_lshl_b64 s[40:41], s[14:15], 1
	v_mad_u64_u32 v[28:29], null, s20, v24, 0
	v_mov_b32_e32 v5, v8
	v_mad_u64_u32 v[7:8], null, s13, v16, v[7:8]
	v_mad_u64_u32 v[32:33], null, s12, v30, s[12:13]
	v_lshlrev_b64 v[11:12], 3, v[4:5]
	v_mov_b32_e32 v5, v10
	v_mov_b32_e32 v8, v29
	v_ashrrev_i32_e32 v3, 31, v2
	v_lshlrev_b64 v[6:7], 1, v[6:7]
	v_cmp_gt_i32_e32 vcc_lo, s28, v2
	v_add_co_u32 v20, s3, s4, v11
	v_add_co_ci_u32_e64 v21, null, s42, v12, s3
	v_mad_u64_u32 v[16:17], null, s21, v16, v[5:6]
	v_mad_u64_u32 v[11:12], null, s12, v1, 0
	s_add_u32 s3, s8, s34
	s_addc_u32 s34, s9, s35
	s_add_u32 s35, s3, s40
	s_addc_u32 s34, s34, s41
	v_mov_b32_e32 v10, v16
	v_mad_u64_u32 v[16:17], null, s12, v24, 0
	v_mov_b32_e32 v5, v12
	v_add_co_u32 v22, s3, s35, v6
	v_add_co_ci_u32_e64 v23, null, s34, v7, s3
	v_mad_u64_u32 v[18:19], null, s13, v1, v[5:6]
	v_lshlrev_b64 v[6:7], 1, v[9:10]
	v_mov_b32_e32 v5, v17
	v_lshlrev_b64 v[3:4], 1, v[2:3]
	s_mov_b32 s40, 0
	v_mad_u64_u32 v[9:10], null, s13, v24, v[5:6]
	v_mov_b32_e32 v12, v18
	v_mad_u64_u32 v[18:19], null, s20, v30, s[20:21]
	v_mad_u64_u32 v[26:27], null, s21, v24, v[8:9]
	v_add_co_u32 v24, s3, s4, v6
	v_add_co_ci_u32_e64 v25, null, s42, v7, s3
	v_lshlrev_b64 v[6:7], 3, v[11:12]
	v_mov_b32_e32 v5, v19
	v_mov_b32_e32 v17, v9
	;; [unrolled: 1-line block ×3, first 2 shown]
	v_add_co_u32 v26, s3, s35, v6
	v_mad_u64_u32 v[8:9], null, s21, v30, v[5:6]
	v_add_co_ci_u32_e64 v27, null, s34, v7, s3
	v_lshlrev_b64 v[6:7], 1, v[16:17]
	v_mov_b32_e32 v5, v33
	v_mov_b32_e32 v17, 0
	v_mov_b32_e32 v16, 0
	v_mov_b32_e32 v19, v8
	v_mad_u64_u32 v[9:10], null, s13, v30, v[5:6]
	v_lshlrev_b64 v[10:11], 1, v[28:29]
	v_add_co_u32 v28, s3, s35, v6
	v_lshlrev_b64 v[5:6], 1, v[18:19]
	v_add_co_ci_u32_e64 v29, null, s34, v7, s3
	v_mov_b32_e32 v33, v9
	v_add_co_u32 v30, s3, s4, v10
	v_add_co_ci_u32_e64 v31, null, s42, v11, s3
	v_lshlrev_b64 v[7:8], 1, v[32:33]
	v_add_co_u32 v32, s3, s4, v5
	v_add_co_ci_u32_e64 v33, null, s42, v6, s3
	v_mov_b32_e32 v19, 0
	v_add_co_u32 v34, s3, s35, v7
	v_add_co_ci_u32_e64 v35, null, s34, v8, s3
	v_mov_b32_e32 v18, 0
	s_lshl_b64 s[34:35], s[12:13], 7
	s_branch .LBB393_17
.LBB393_13:                             ;   in Loop: Header=BB393_17 Depth=1
	s_or_b32 exec_lo, exec_lo, s42
	s_waitcnt vmcnt(3)
	v_fma_mix_f32 v5, v48, v52, v17 op_sel_hi:[0,1,0]
	s_waitcnt vmcnt(2)
	v_fma_mix_f32 v5, v49, v53, v5 op_sel_hi:[0,1,0]
	;; [unrolled: 2-line block ×4, first 2 shown]
.LBB393_14:                             ;   in Loop: Header=BB393_17 Depth=1
	s_or_b32 exec_lo, exec_lo, s41
	s_waitcnt vmcnt(3)
	v_fma_mix_f32 v5, v48, v44, v18 op_sel_hi:[0,1,0]
	s_waitcnt vmcnt(2)
	v_fma_mix_f32 v5, v49, v45, v5 op_sel_hi:[0,1,0]
	;; [unrolled: 2-line block ×4, first 2 shown]
.LBB393_15:                             ;   in Loop: Header=BB393_17 Depth=1
	s_or_b32 exec_lo, exec_lo, s3
	s_waitcnt vmcnt(3)
	v_fma_mix_f32 v5, v36, v40, v19 op_sel_hi:[1,1,0]
	s_waitcnt vmcnt(2)
	v_fma_mix_f32 v5, v37, v41, v5 op_sel_hi:[1,1,0]
	;; [unrolled: 2-line block ×4, first 2 shown]
.LBB393_16:                             ;   in Loop: Header=BB393_17 Depth=1
	s_or_b32 exec_lo, exec_lo, s4
	v_add_co_u32 v20, s3, v20, s26
	v_add_co_ci_u32_e64 v21, null, s27, v21, s3
	v_add_co_u32 v22, s3, v22, s34
	v_add_co_ci_u32_e64 v23, null, s35, v23, s3
	;; [unrolled: 2-line block ×4, first 2 shown]
	v_add_co_u32 v28, s3, v28, s34
	v_add_nc_u32_e32 v15, 64, v15
	v_add_co_ci_u32_e64 v29, null, s35, v29, s3
	v_add_co_u32 v30, s3, v30, s26
	v_add_co_ci_u32_e64 v31, null, s27, v31, s3
	v_add_co_u32 v32, s3, v32, s26
	v_add_co_ci_u32_e64 v33, null, s27, v33, s3
	v_cmp_le_i32_e64 s3, s38, v15
	v_add_co_u32 v34, s4, v34, s34
	v_add_co_ci_u32_e64 v35, null, s35, v35, s4
	s_or_b32 s40, s3, s40
	s_andn2_b32 exec_lo, exec_lo, s40
	s_cbranch_execz .LBB393_22
.LBB393_17:                             ; =>This Inner Loop Header: Depth=1
	s_and_saveexec_b32 s4, vcc_lo
	s_cbranch_execz .LBB393_16
; %bb.18:                               ;   in Loop: Header=BB393_17 Depth=1
	v_add_co_u32 v5, s3, v20, s6
	v_add_co_ci_u32_e64 v6, null, s7, v21, s3
	v_add_co_u32 v7, s3, v32, s6
	v_add_co_ci_u32_e64 v8, null, s7, v33, s3
	;; [unrolled: 2-line block ×3, first 2 shown]
	v_add_co_u32 v39, s3, v24, s6
	global_load_ushort v36, v[5:6], off
	global_load_ushort v37, v[7:8], off
	;; [unrolled: 1-line block ×3, first 2 shown]
	v_add_co_ci_u32_e64 v40, null, s7, v25, s3
	v_add_co_u32 v5, s3, v26, v3
	v_add_co_ci_u32_e64 v6, null, v27, v4, s3
	v_add_co_u32 v7, s3, v34, v3
	;; [unrolled: 2-line block ×4, first 2 shown]
	v_add_co_ci_u32_e64 v12, null, v23, v4, s3
	global_load_ushort v39, v[39:40], off
	global_load_ushort v40, v[5:6], off
	;; [unrolled: 1-line block ×5, first 2 shown]
	s_and_saveexec_b32 s3, s0
	s_cbranch_execz .LBB393_15
; %bb.19:                               ;   in Loop: Header=BB393_17 Depth=1
	global_load_ushort v44, v[5:6], off offset:128
	global_load_ushort v45, v[7:8], off offset:128
	;; [unrolled: 1-line block ×4, first 2 shown]
	s_waitcnt vmcnt(11)
	v_cvt_f32_f16_e32 v48, v36
	s_waitcnt vmcnt(10)
	v_cvt_f32_f16_e32 v49, v37
	s_waitcnt vmcnt(9)
	v_cvt_f32_f16_e32 v50, v38
	s_waitcnt vmcnt(8)
	v_cvt_f32_f16_e32 v51, v39
	s_and_saveexec_b32 s41, s1
	s_cbranch_execz .LBB393_14
; %bb.20:                               ;   in Loop: Header=BB393_17 Depth=1
	global_load_ushort v52, v[5:6], off offset:256
	global_load_ushort v53, v[7:8], off offset:256
	;; [unrolled: 1-line block ×4, first 2 shown]
	s_and_saveexec_b32 s42, s2
	s_cbranch_execz .LBB393_13
; %bb.21:                               ;   in Loop: Header=BB393_17 Depth=1
	global_load_ushort v5, v[5:6], off offset:384
	global_load_ushort v6, v[7:8], off offset:384
	;; [unrolled: 1-line block ×4, first 2 shown]
	s_waitcnt vmcnt(3)
	v_fma_mix_f32 v5, v48, v5, v16 op_sel_hi:[0,1,0]
	s_waitcnt vmcnt(2)
	v_fma_mix_f32 v5, v49, v6, v5 op_sel_hi:[0,1,0]
	;; [unrolled: 2-line block ×4, first 2 shown]
	s_branch .LBB393_13
.LBB393_22:
	s_or_b32 exec_lo, exec_lo, s40
.LBB393_23:
	s_or_b32 exec_lo, exec_lo, s39
	s_sub_i32 s0, s29, s38
	s_cmp_lt_i32 s0, 1
	s_cbranch_scc1 .LBB393_41
; %bb.24:
	v_cmp_gt_i32_e32 vcc_lo, s29, v15
	v_mov_b32_e32 v11, 0
	v_or_b32_e32 v4, 1, v15
	v_mov_b32_e32 v12, 0
	v_mov_b32_e32 v20, 0
	;; [unrolled: 1-line block ×3, first 2 shown]
	s_and_saveexec_b32 s1, vcc_lo
	s_cbranch_execz .LBB393_32
; %bb.25:
	v_mad_u64_u32 v[5:6], null, s20, v15, 0
	s_lshl_b64 s[2:3], s[22:23], 1
	v_mov_b32_e32 v20, 0
	s_add_u32 s0, s16, s2
	s_addc_u32 s2, s17, s3
	s_lshl_b64 s[6:7], s[18:19], 1
	v_mov_b32_e32 v12, 0
	v_mov_b32_e32 v3, v6
	s_add_u32 s3, s0, s6
	s_addc_u32 s4, s2, s7
	v_mov_b32_e32 v11, 0
	s_mov_b32 s2, exec_lo
	v_mad_u64_u32 v[6:7], null, s21, v15, v[3:4]
	v_lshlrev_b64 v[5:6], 1, v[5:6]
	v_add_co_u32 v5, s0, s3, v5
	v_add_co_ci_u32_e64 v6, null, s4, v6, s0
	global_load_ushort v3, v[5:6], off
	v_cmpx_gt_i32_e64 s29, v4
	s_cbranch_execz .LBB393_31
; %bb.26:
	v_mad_u64_u32 v[5:6], null, s20, v4, 0
	v_mov_b32_e32 v12, 0
	v_mov_b32_e32 v11, 0
	s_mov_b32 s6, exec_lo
	v_mad_u64_u32 v[6:7], null, s21, v4, v[6:7]
	v_lshlrev_b64 v[5:6], 1, v[5:6]
	v_add_co_u32 v5, s0, s3, v5
	v_add_co_ci_u32_e64 v6, null, s4, v6, s0
	global_load_ushort v5, v[5:6], off
	v_or_b32_e32 v6, 2, v15
	v_cmpx_gt_i32_e64 s29, v6
	s_cbranch_execz .LBB393_30
; %bb.27:
	v_mad_u64_u32 v[7:8], null, s20, v6, 0
	v_mov_b32_e32 v11, 0
	s_mov_b32 s7, exec_lo
	v_mad_u64_u32 v[8:9], null, s21, v6, v[8:9]
	v_lshlrev_b64 v[6:7], 1, v[7:8]
	v_add_co_u32 v6, s0, s3, v6
	v_add_co_ci_u32_e64 v7, null, s4, v7, s0
	global_load_ushort v6, v[6:7], off
	v_or_b32_e32 v7, 3, v15
	v_cmpx_gt_i32_e64 s29, v7
	s_cbranch_execz .LBB393_29
; %bb.28:
	v_mad_u64_u32 v[8:9], null, s20, v7, 0
	v_mad_u64_u32 v[9:10], null, s21, v7, v[9:10]
	v_lshlrev_b64 v[7:8], 1, v[8:9]
	v_add_co_u32 v7, s0, s3, v7
	v_add_co_ci_u32_e64 v8, null, s4, v8, s0
	global_load_ushort v7, v[7:8], off
	s_waitcnt vmcnt(0)
	v_cvt_f32_f16_e32 v11, v7
.LBB393_29:
	s_or_b32 exec_lo, exec_lo, s7
	s_waitcnt vmcnt(0)
	v_cvt_f32_f16_e32 v12, v6
.LBB393_30:
	s_or_b32 exec_lo, exec_lo, s6
	s_waitcnt vmcnt(0)
	v_cvt_f32_f16_e32 v20, v5
.LBB393_31:
	s_or_b32 exec_lo, exec_lo, s2
	s_waitcnt vmcnt(0)
	v_cvt_f32_f16_e32 v21, v3
.LBB393_32:
	s_or_b32 exec_lo, exec_lo, s1
	s_mov_b32 s1, exec_lo
	v_cmpx_gt_i32_e64 s28, v2
	s_cbranch_execz .LBB393_40
; %bb.33:
	v_mad_u64_u32 v[5:6], null, s12, v15, 0
	v_mad_u64_u32 v[7:8], null, s12, v4, 0
	v_ashrrev_i32_e32 v3, 31, v2
	v_or_b32_e32 v29, 2, v15
	s_lshl_b64 s[2:3], s[14:15], 1
	s_add_u32 s0, s8, s2
	v_lshlrev_b64 v[22:23], 1, v[2:3]
	v_mad_u64_u32 v[9:10], null, s13, v15, v[6:7]
	v_mov_b32_e32 v3, v8
	v_cndmask_b32_e32 v5, 0, v5, vcc_lo
	v_or_b32_e32 v15, 3, v15
	v_mad_u64_u32 v[24:25], null, s12, v29, 0
	v_mad_u64_u32 v[26:27], null, s13, v4, v[3:4]
	v_cndmask_b32_e32 v6, 0, v9, vcc_lo
	v_cmp_gt_i32_e32 vcc_lo, s29, v4
	s_addc_u32 s4, s9, s3
	s_lshl_b64 s[2:3], s[10:11], 1
	v_mad_u64_u32 v[8:9], null, s12, v15, 0
	v_lshlrev_b64 v[5:6], 1, v[5:6]
	v_cndmask_b32_e32 v27, 0, v7, vcc_lo
	v_cndmask_b32_e32 v28, 0, v26, vcc_lo
	s_add_u32 s2, s0, s2
	v_mov_b32_e32 v7, v25
	s_addc_u32 s3, s4, s3
	v_add_co_u32 v3, s0, s2, v5
	v_add_co_ci_u32_e64 v4, null, s3, v6, s0
	v_lshlrev_b64 v[5:6], 1, v[27:28]
	v_mad_u64_u32 v[25:26], null, s13, v29, v[7:8]
	v_add_co_u32 v3, vcc_lo, v3, v22
	v_add_co_ci_u32_e64 v4, null, v4, v23, vcc_lo
	v_cmp_gt_i32_e32 vcc_lo, s29, v29
	v_mov_b32_e32 v7, v9
	v_add_co_u32 v5, s0, s2, v5
	v_add_co_ci_u32_e64 v6, null, s3, v6, s0
	v_cndmask_b32_e32 v9, 0, v24, vcc_lo
	v_cndmask_b32_e32 v10, 0, v25, vcc_lo
	v_mad_u64_u32 v[24:25], null, s13, v15, v[7:8]
	v_add_co_u32 v5, vcc_lo, v5, v22
	v_add_co_ci_u32_e64 v6, null, v6, v23, vcc_lo
	v_cmp_gt_i32_e32 vcc_lo, s29, v15
	v_lshlrev_b64 v[9:10], 1, v[9:10]
	s_clause 0x1
	global_load_ushort v25, v[3:4], off
	global_load_ushort v26, v[5:6], off
	s_mov_b32 s0, exec_lo
	v_cndmask_b32_e32 v7, 0, v8, vcc_lo
	v_cndmask_b32_e32 v8, 0, v24, vcc_lo
	v_add_co_u32 v15, vcc_lo, s2, v9
	v_add_co_ci_u32_e64 v24, null, s3, v10, vcc_lo
	v_lshlrev_b64 v[9:10], 1, v[7:8]
	v_add_co_u32 v7, vcc_lo, v15, v22
	v_add_co_ci_u32_e64 v8, null, v24, v23, vcc_lo
	v_add_co_u32 v9, vcc_lo, s2, v9
	v_add_co_ci_u32_e64 v10, null, s3, v10, vcc_lo
	global_load_ushort v24, v[7:8], off
	v_add_co_u32 v9, vcc_lo, v9, v22
	v_add_co_ci_u32_e64 v10, null, v10, v23, vcc_lo
	v_add_nc_u32_e32 v22, 64, v2
	global_load_ushort v15, v[9:10], off
	s_waitcnt vmcnt(3)
	v_fma_mix_f32 v19, v21, v25, v19 op_sel_hi:[0,1,0]
	s_waitcnt vmcnt(2)
	v_fma_mix_f32 v19, v20, v26, v19 op_sel_hi:[0,1,0]
	;; [unrolled: 2-line block ×3, first 2 shown]
	v_cmpx_gt_i32_e64 s28, v22
	s_cbranch_execz .LBB393_39
; %bb.34:
	s_clause 0x3
	global_load_ushort v23, v[3:4], off offset:128
	global_load_ushort v24, v[5:6], off offset:128
	;; [unrolled: 1-line block ×4, first 2 shown]
	s_mov_b32 s2, exec_lo
	s_waitcnt vmcnt(3)
	v_fma_mix_f32 v18, v21, v23, v18 op_sel_hi:[0,1,0]
	v_add_nc_u32_e32 v23, 0x80, v2
	s_waitcnt vmcnt(2)
	v_fma_mix_f32 v18, v20, v24, v18 op_sel_hi:[0,1,0]
	s_waitcnt vmcnt(1)
	v_fma_mix_f32 v18, v12, v25, v18 op_sel_hi:[0,1,0]
	v_cmpx_gt_i32_e64 s28, v23
	s_cbranch_execz .LBB393_38
; %bb.35:
	s_clause 0x3
	global_load_ushort v24, v[3:4], off offset:256
	global_load_ushort v25, v[5:6], off offset:256
	global_load_ushort v26, v[7:8], off offset:256
	global_load_ushort v23, v[9:10], off offset:256
	s_mov_b32 s3, exec_lo
	s_waitcnt vmcnt(3)
	v_fma_mix_f32 v17, v21, v24, v17 op_sel_hi:[0,1,0]
	v_add_nc_u32_e32 v24, 0xc0, v2
	s_waitcnt vmcnt(2)
	v_fma_mix_f32 v17, v20, v25, v17 op_sel_hi:[0,1,0]
	s_waitcnt vmcnt(1)
	v_fma_mix_f32 v2, v12, v26, v17 op_sel_hi:[0,1,0]
	v_cmpx_gt_i32_e64 s28, v24
	s_cbranch_execz .LBB393_37
; %bb.36:
	s_clause 0x3
	global_load_ushort v3, v[3:4], off offset:384
	global_load_ushort v4, v[5:6], off offset:384
	;; [unrolled: 1-line block ×4, first 2 shown]
	s_waitcnt vmcnt(3)
	v_fma_mix_f32 v3, v21, v3, v16 op_sel_hi:[0,1,0]
	s_waitcnt vmcnt(2)
	v_fma_mix_f32 v3, v20, v4, v3 op_sel_hi:[0,1,0]
	;; [unrolled: 2-line block ×4, first 2 shown]
.LBB393_37:
	s_or_b32 exec_lo, exec_lo, s3
	s_waitcnt vmcnt(0)
	v_fma_mix_f32 v17, v11, v23, v2 op_sel_hi:[0,1,0]
.LBB393_38:
	s_or_b32 exec_lo, exec_lo, s2
	s_waitcnt vmcnt(0)
	v_fma_mix_f32 v18, v11, v22, v18 op_sel_hi:[0,1,0]
.LBB393_39:
	s_or_b32 exec_lo, exec_lo, s0
	s_waitcnt vmcnt(0)
	v_fma_mix_f32 v19, v11, v15, v19 op_sel_hi:[0,1,0]
.LBB393_40:
	s_or_b32 exec_lo, exec_lo, s1
.LBB393_41:
	v_lshlrev_b32_e32 v0, 2, v0
	s_mov_b32 s0, exec_lo
                                        ; implicit-def: $vgpr5
                                        ; implicit-def: $vgpr2_vgpr3
	v_lshl_add_u32 v1, v1, 10, v0
	ds_write2st64_b32 v1, v19, v18 offset1:1
	ds_write2st64_b32 v1, v17, v16 offset0:2 offset1:3
	s_waitcnt lgkmcnt(0)
	s_barrier
	buffer_gl0_inv
	v_cmpx_gt_u32_e32 0x100, v13
	s_cbranch_execz .LBB393_47
; %bb.42:
	v_lshl_add_u32 v6, v14, 2, v0
	s_mov_b32 s2, s37
	s_mov_b32 s1, exec_lo
	ds_read2st64_b32 v[0:1], v6 offset1:4
	ds_read2st64_b32 v[2:3], v6 offset0:8 offset1:12
	ds_read2st64_b32 v[4:5], v6 offset0:16 offset1:20
	s_waitcnt lgkmcnt(2)
	v_add_f32_e32 v7, v0, v1
	ds_read2st64_b32 v[0:1], v6 offset0:24 offset1:28
	s_waitcnt lgkmcnt(2)
	v_add_f32_e32 v2, v2, v7
	v_add_f32_e32 v7, v3, v2
	ds_read2st64_b32 v[2:3], v6 offset0:32 offset1:36
	s_waitcnt lgkmcnt(2)
	v_add_f32_e32 v4, v4, v7
	;; [unrolled: 4-line block ×3, first 2 shown]
	v_add_f32_e32 v0, v1, v0
	s_waitcnt lgkmcnt(1)
	v_add_f32_e32 v2, v2, v0
	ds_read2st64_b32 v[0:1], v6 offset0:48 offset1:52
	v_add_f32_e32 v2, v3, v2
	s_waitcnt lgkmcnt(1)
	v_add_f32_e32 v4, v4, v2
	ds_read2st64_b32 v[2:3], v6 offset0:56 offset1:60
	v_add_f32_e32 v4, v5, v4
                                        ; implicit-def: $vgpr5
	s_waitcnt lgkmcnt(1)
	v_add_f32_e32 v0, v0, v4
	v_add_f32_e32 v0, v1, v0
	v_or_b32_e32 v1, s5, v13
	s_waitcnt lgkmcnt(0)
	v_add_f32_e32 v0, v2, v0
	v_add_f32_e32 v0, v3, v0
                                        ; implicit-def: $vgpr2_vgpr3
	ds_write_b32 v6, v0
	v_cmpx_gt_i32_e64 s28, v1
	s_cbranch_execz .LBB393_46
; %bb.43:
	v_ashrrev_i32_e32 v4, 31, v1
	v_mul_lo_u32 v5, s25, v1
	v_mad_u64_u32 v[2:3], null, s24, v1, 0
	v_cmp_eq_f32_e64 s2, s36, 0
	v_mul_lo_u32 v1, s24, v4
	v_mul_f32_e32 v0, s30, v0
	s_and_b32 vcc_lo, exec_lo, s2
	v_add3_u32 v3, v3, v1, v5
	s_cbranch_vccnz .LBB393_45
; %bb.44:
	v_lshlrev_b64 v[4:5], 1, v[2:3]
	v_add_co_u32 v4, vcc_lo, s31, v4
	v_add_co_ci_u32_e64 v5, null, s33, v5, vcc_lo
	global_load_ushort v1, v[4:5], off
	s_waitcnt vmcnt(0)
	v_fma_mix_f32 v0, s36, v1, v0 op_sel_hi:[0,1,0]
.LBB393_45:
	v_cvt_f16_f32_e32 v5, v0
	s_or_b32 s2, s37, exec_lo
.LBB393_46:
	s_or_b32 exec_lo, exec_lo, s1
	s_andn2_b32 s1, s37, exec_lo
	s_and_b32 s2, s2, exec_lo
	s_or_b32 s37, s1, s2
.LBB393_47:
	s_or_b32 exec_lo, exec_lo, s0
.LBB393_48:
	s_and_saveexec_b32 s0, s37
	s_cbranch_execz .LBB393_50
; %bb.49:
	v_lshlrev_b64 v[0:1], 1, v[2:3]
	v_add_co_u32 v0, vcc_lo, s31, v0
	v_add_co_ci_u32_e64 v1, null, s33, v1, vcc_lo
	global_store_short v[0:1], v5, off
.LBB393_50:
	s_endpgm
	.section	.rodata,"a",@progbits
	.p2align	6, 0x0
	.amdhsa_kernel _ZL20rocblas_gemvn_kernelILi64ELi16ElDF16_fDF16_EviiT3_lPKT2_lT1_lS3_lS4_lS0_lPT4_lS4_li
		.amdhsa_group_segment_fixed_size 16384
		.amdhsa_private_segment_fixed_size 0
		.amdhsa_kernarg_size 400
		.amdhsa_user_sgpr_count 6
		.amdhsa_user_sgpr_private_segment_buffer 1
		.amdhsa_user_sgpr_dispatch_ptr 0
		.amdhsa_user_sgpr_queue_ptr 0
		.amdhsa_user_sgpr_kernarg_segment_ptr 1
		.amdhsa_user_sgpr_dispatch_id 0
		.amdhsa_user_sgpr_flat_scratch_init 0
		.amdhsa_user_sgpr_private_segment_size 0
		.amdhsa_wavefront_size32 1
		.amdhsa_uses_dynamic_stack 0
		.amdhsa_system_sgpr_private_segment_wavefront_offset 0
		.amdhsa_system_sgpr_workgroup_id_x 1
		.amdhsa_system_sgpr_workgroup_id_y 0
		.amdhsa_system_sgpr_workgroup_id_z 1
		.amdhsa_system_sgpr_workgroup_info 0
		.amdhsa_system_vgpr_workitem_id 1
		.amdhsa_next_free_vgpr 56
		.amdhsa_next_free_sgpr 43
		.amdhsa_reserve_vcc 1
		.amdhsa_reserve_flat_scratch 0
		.amdhsa_float_round_mode_32 0
		.amdhsa_float_round_mode_16_64 0
		.amdhsa_float_denorm_mode_32 3
		.amdhsa_float_denorm_mode_16_64 3
		.amdhsa_dx10_clamp 1
		.amdhsa_ieee_mode 1
		.amdhsa_fp16_overflow 0
		.amdhsa_workgroup_processor_mode 1
		.amdhsa_memory_ordered 1
		.amdhsa_forward_progress 1
		.amdhsa_shared_vgpr_count 0
		.amdhsa_exception_fp_ieee_invalid_op 0
		.amdhsa_exception_fp_denorm_src 0
		.amdhsa_exception_fp_ieee_div_zero 0
		.amdhsa_exception_fp_ieee_overflow 0
		.amdhsa_exception_fp_ieee_underflow 0
		.amdhsa_exception_fp_ieee_inexact 0
		.amdhsa_exception_int_div_zero 0
	.end_amdhsa_kernel
	.section	.text._ZL20rocblas_gemvn_kernelILi64ELi16ElDF16_fDF16_EviiT3_lPKT2_lT1_lS3_lS4_lS0_lPT4_lS4_li,"axG",@progbits,_ZL20rocblas_gemvn_kernelILi64ELi16ElDF16_fDF16_EviiT3_lPKT2_lT1_lS3_lS4_lS0_lPT4_lS4_li,comdat
.Lfunc_end393:
	.size	_ZL20rocblas_gemvn_kernelILi64ELi16ElDF16_fDF16_EviiT3_lPKT2_lT1_lS3_lS4_lS0_lPT4_lS4_li, .Lfunc_end393-_ZL20rocblas_gemvn_kernelILi64ELi16ElDF16_fDF16_EviiT3_lPKT2_lT1_lS3_lS4_lS0_lPT4_lS4_li
                                        ; -- End function
	.set _ZL20rocblas_gemvn_kernelILi64ELi16ElDF16_fDF16_EviiT3_lPKT2_lT1_lS3_lS4_lS0_lPT4_lS4_li.num_vgpr, 56
	.set _ZL20rocblas_gemvn_kernelILi64ELi16ElDF16_fDF16_EviiT3_lPKT2_lT1_lS3_lS4_lS0_lPT4_lS4_li.num_agpr, 0
	.set _ZL20rocblas_gemvn_kernelILi64ELi16ElDF16_fDF16_EviiT3_lPKT2_lT1_lS3_lS4_lS0_lPT4_lS4_li.numbered_sgpr, 43
	.set _ZL20rocblas_gemvn_kernelILi64ELi16ElDF16_fDF16_EviiT3_lPKT2_lT1_lS3_lS4_lS0_lPT4_lS4_li.num_named_barrier, 0
	.set _ZL20rocblas_gemvn_kernelILi64ELi16ElDF16_fDF16_EviiT3_lPKT2_lT1_lS3_lS4_lS0_lPT4_lS4_li.private_seg_size, 0
	.set _ZL20rocblas_gemvn_kernelILi64ELi16ElDF16_fDF16_EviiT3_lPKT2_lT1_lS3_lS4_lS0_lPT4_lS4_li.uses_vcc, 1
	.set _ZL20rocblas_gemvn_kernelILi64ELi16ElDF16_fDF16_EviiT3_lPKT2_lT1_lS3_lS4_lS0_lPT4_lS4_li.uses_flat_scratch, 0
	.set _ZL20rocblas_gemvn_kernelILi64ELi16ElDF16_fDF16_EviiT3_lPKT2_lT1_lS3_lS4_lS0_lPT4_lS4_li.has_dyn_sized_stack, 0
	.set _ZL20rocblas_gemvn_kernelILi64ELi16ElDF16_fDF16_EviiT3_lPKT2_lT1_lS3_lS4_lS0_lPT4_lS4_li.has_recursion, 0
	.set _ZL20rocblas_gemvn_kernelILi64ELi16ElDF16_fDF16_EviiT3_lPKT2_lT1_lS3_lS4_lS0_lPT4_lS4_li.has_indirect_call, 0
	.section	.AMDGPU.csdata,"",@progbits
; Kernel info:
; codeLenInByte = 3292
; TotalNumSgprs: 45
; NumVgprs: 56
; ScratchSize: 0
; MemoryBound: 0
; FloatMode: 240
; IeeeMode: 1
; LDSByteSize: 16384 bytes/workgroup (compile time only)
; SGPRBlocks: 0
; VGPRBlocks: 6
; NumSGPRsForWavesPerEU: 45
; NumVGPRsForWavesPerEU: 56
; Occupancy: 16
; WaveLimiterHint : 1
; COMPUTE_PGM_RSRC2:SCRATCH_EN: 0
; COMPUTE_PGM_RSRC2:USER_SGPR: 6
; COMPUTE_PGM_RSRC2:TRAP_HANDLER: 0
; COMPUTE_PGM_RSRC2:TGID_X_EN: 1
; COMPUTE_PGM_RSRC2:TGID_Y_EN: 0
; COMPUTE_PGM_RSRC2:TGID_Z_EN: 1
; COMPUTE_PGM_RSRC2:TIDIG_COMP_CNT: 1
	.section	.text._ZL22rocblas_gemvtsm_kernelILb0ELi256EDF16_PKfDF16_EviiT2_lPKT1_lilS5_lilS2_lPT3_lil,"axG",@progbits,_ZL22rocblas_gemvtsm_kernelILb0ELi256EDF16_PKfDF16_EviiT2_lPKT1_lilS5_lilS2_lPT3_lil,comdat
	.globl	_ZL22rocblas_gemvtsm_kernelILb0ELi256EDF16_PKfDF16_EviiT2_lPKT1_lilS5_lilS2_lPT3_lil ; -- Begin function _ZL22rocblas_gemvtsm_kernelILb0ELi256EDF16_PKfDF16_EviiT2_lPKT1_lilS5_lilS2_lPT3_lil
	.p2align	8
	.type	_ZL22rocblas_gemvtsm_kernelILb0ELi256EDF16_PKfDF16_EviiT2_lPKT1_lilS5_lilS2_lPT3_lil,@function
_ZL22rocblas_gemvtsm_kernelILb0ELi256EDF16_PKfDF16_EviiT2_lPKT1_lilS5_lilS2_lPT3_lil: ; @_ZL22rocblas_gemvtsm_kernelILb0ELi256EDF16_PKfDF16_EviiT2_lPKT1_lilS5_lilS2_lPT3_lil
; %bb.0:
	s_clause 0x1
	s_load_dwordx8 s[8:15], s[4:5], 0x8
	s_load_dwordx8 s[16:23], s[4:5], 0x50
	s_waitcnt lgkmcnt(0)
	s_mul_i32 s1, s11, s6
	s_mul_hi_u32 s2, s10, s6
	s_mul_i32 s0, s10, s6
	s_add_i32 s1, s2, s1
	s_mul_i32 s2, s21, s6
	s_lshl_b64 s[0:1], s[0:1], 2
	s_mul_hi_u32 s3, s20, s6
	s_add_u32 s0, s8, s0
	s_addc_u32 s1, s9, s1
	s_add_i32 s3, s3, s2
	s_mul_i32 s2, s20, s6
	s_lshl_b64 s[2:3], s[2:3], 2
	s_add_u32 s2, s18, s2
	s_addc_u32 s3, s19, s3
	s_load_dword s26, s[0:1], 0x0
	s_load_dword s7, s[2:3], 0x0
	s_waitcnt lgkmcnt(0)
	v_cmp_eq_f32_e64 s0, s26, 0
	v_cmp_eq_f32_e64 s1, s7, 1.0
	s_and_b32 s0, s0, s1
	s_and_b32 vcc_lo, exec_lo, s0
	s_cbranch_vccnz .LBB394_34
; %bb.1:
	s_clause 0x3
	s_load_dwordx2 s[0:1], s[4:5], 0x80
	s_load_dwordx2 s[18:19], s[4:5], 0x70
	s_load_dword s8, s[4:5], 0x78
	s_load_dwordx2 s[10:11], s[4:5], 0x0
	v_cmp_neq_f32_e64 s2, s26, 0
	s_and_b32 vcc_lo, exec_lo, s2
	s_waitcnt lgkmcnt(0)
	s_mul_i32 s1, s1, s6
	s_mul_hi_u32 s2, s0, s6
	s_mul_i32 s20, s0, s6
	s_add_i32 s21, s2, s1
	s_cbranch_vccnz .LBB394_9
; %bb.2:
	s_cmp_gt_i32 s11, 0
	v_cmp_neq_f32_e64 s0, s7, 0
	s_cselect_b32 s2, -1, 0
	v_cndmask_b32_e64 v1, 0, 1, s2
	s_and_b32 vcc_lo, exec_lo, s0
	v_cmp_ne_u32_e64 s0, 1, v1
	s_cbranch_vccnz .LBB394_10
; %bb.3:
	s_and_b32 vcc_lo, exec_lo, s0
	s_cbranch_vccnz .LBB394_8
; %bb.4:
	v_mad_i64_i32 v[1:2], null, s8, v0, 0
	s_lshl_b64 s[24:25], s[18:19], 1
	s_ashr_i32 s9, s8, 31
	s_lshl_b64 s[0:1], s[20:21], 1
	s_add_u32 s3, s22, s24
	s_addc_u32 s24, s23, s25
	s_add_u32 s0, s3, s0
	v_lshlrev_b64 v[1:2], 1, v[1:2]
	s_addc_u32 s1, s24, s1
	v_mov_b32_e32 v3, 0
	s_mov_b32 s3, 0
	v_add_co_u32 v1, vcc_lo, s0, v1
	v_add_co_ci_u32_e64 v2, null, s1, v2, vcc_lo
	s_lshl_b64 s[0:1], s[8:9], 9
	s_branch .LBB394_6
.LBB394_5:                              ;   in Loop: Header=BB394_6 Depth=1
	s_or_b32 exec_lo, exec_lo, s9
	v_add_co_u32 v1, vcc_lo, v1, s0
	v_add_co_ci_u32_e64 v2, null, s1, v2, vcc_lo
	s_addk_i32 s3, 0x100
	s_cmp_ge_i32 s3, s11
	s_cbranch_scc1 .LBB394_8
.LBB394_6:                              ; =>This Inner Loop Header: Depth=1
	v_add_nc_u32_e32 v4, s3, v0
	s_mov_b32 s9, exec_lo
	v_cmpx_gt_i32_e64 s11, v4
	s_cbranch_execz .LBB394_5
; %bb.7:                                ;   in Loop: Header=BB394_6 Depth=1
	global_store_short v[1:2], v3, off
	s_branch .LBB394_5
.LBB394_8:
	s_cbranch_execz .LBB394_11
	s_branch .LBB394_16
.LBB394_9:
	s_branch .LBB394_17
.LBB394_10:
.LBB394_11:
	s_andn2_b32 vcc_lo, exec_lo, s2
	s_cbranch_vccnz .LBB394_16
; %bb.12:
	v_mad_i64_i32 v[1:2], null, s8, v0, 0
	s_lshl_b64 s[2:3], s[18:19], 1
	s_ashr_i32 s9, s8, 31
	s_lshl_b64 s[0:1], s[20:21], 1
	s_add_u32 s2, s22, s2
	s_addc_u32 s3, s23, s3
	s_add_u32 s0, s2, s0
	v_lshlrev_b64 v[1:2], 1, v[1:2]
	s_addc_u32 s1, s3, s1
	s_mov_b32 s2, 0
	v_add_co_u32 v1, vcc_lo, s0, v1
	v_add_co_ci_u32_e64 v2, null, s1, v2, vcc_lo
	s_lshl_b64 s[0:1], s[8:9], 9
	s_branch .LBB394_14
	.p2align	6
.LBB394_13:                             ;   in Loop: Header=BB394_14 Depth=1
	s_or_b32 exec_lo, exec_lo, s3
	v_add_co_u32 v1, vcc_lo, v1, s0
	v_add_co_ci_u32_e64 v2, null, s1, v2, vcc_lo
	s_addk_i32 s2, 0x100
	s_cmp_ge_i32 s2, s11
	s_cbranch_scc1 .LBB394_16
.LBB394_14:                             ; =>This Inner Loop Header: Depth=1
	v_add_nc_u32_e32 v3, s2, v0
	s_mov_b32 s3, exec_lo
	v_cmpx_gt_i32_e64 s11, v3
	s_cbranch_execz .LBB394_13
; %bb.15:                               ;   in Loop: Header=BB394_14 Depth=1
	global_load_ushort v3, v[1:2], off
	s_waitcnt vmcnt(0)
	v_fma_mixlo_f16 v3, s7, v3, 0 op_sel_hi:[0,1,0]
	global_store_short v[1:2], v3, off
	s_branch .LBB394_13
.LBB394_16:
	s_cbranch_execnz .LBB394_34
.LBB394_17:
	s_clause 0x1
	s_load_dwordx4 s[0:3], s[4:5], 0x30
	s_load_dwordx2 s[24:25], s[4:5], 0x40
	s_mov_b32 s9, exec_lo
	v_cmpx_gt_i32_e64 s10, v0
	s_cbranch_execz .LBB394_19
; %bb.18:
	s_load_dword s27, s[4:5], 0x48
	s_mul_i32 s17, s17, s6
	s_mul_hi_u32 s28, s16, s6
	s_mul_i32 s16, s16, s6
	s_add_i32 s17, s28, s17
	s_lshl_b64 s[16:17], s[16:17], 1
	s_waitcnt lgkmcnt(0)
	s_add_u32 s16, s2, s16
	s_addc_u32 s17, s3, s17
	s_lshl_b64 s[2:3], s[24:25], 1
	s_add_u32 s2, s16, s2
	s_addc_u32 s3, s17, s3
	v_mad_i64_i32 v[1:2], null, s27, v0, 0
	v_lshlrev_b64 v[1:2], 1, v[1:2]
	v_add_co_u32 v1, vcc_lo, s2, v1
	v_add_co_ci_u32_e64 v2, null, s3, v2, vcc_lo
	global_load_ushort v1, v[1:2], off
	v_lshlrev_b32_e32 v2, 2, v0
	s_waitcnt vmcnt(0)
	v_cvt_f32_f16_e32 v1, v1
	v_mul_f32_e32 v1, s26, v1
	ds_write_b32 v2, v1
.LBB394_19:
	s_or_b32 exec_lo, exec_lo, s9
	s_cmp_lt_i32 s11, 1
	s_waitcnt lgkmcnt(0)
	s_waitcnt_vscnt null, 0x0
	s_barrier
	buffer_gl0_inv
	s_cbranch_scc1 .LBB394_34
; %bb.20:
	s_load_dword s24, s[4:5], 0x28
	s_lshl_b64 s[2:3], s[20:21], 1
	s_mul_i32 s1, s1, s6
	s_mul_hi_u32 s20, s0, s6
	s_mul_i32 s0, s0, s6
	s_add_u32 s6, s22, s2
	s_addc_u32 s9, s23, s3
	s_lshl_b64 s[4:5], s[18:19], 1
	v_cmp_neq_f32_e64 s2, s7, 0
	s_add_u32 s3, s6, s4
	s_addc_u32 s4, s9, s5
	s_ashr_i32 s5, s8, 31
	s_waitcnt lgkmcnt(0)
	s_ashr_i32 s25, s24, 31
	s_cmp_gt_i32 s10, 0
	v_mad_i64_i32 v[1:2], null, s24, v0, 0
	s_cselect_b32 s6, -1, 0
	s_and_b32 s9, s10, 7
	s_cmp_gt_u32 s10, 7
	s_cselect_b32 s16, -1, 0
	s_and_b32 s10, s10, 0x7ffffff8
	s_cmp_lg_u32 s9, 0
	v_lshlrev_b64 v[1:2], 1, v[1:2]
	s_cselect_b32 s17, -1, 0
	s_add_i32 s1, s20, s1
	s_lshl_b64 s[14:15], s[14:15], 1
	s_lshl_b64 s[0:1], s[0:1], 1
	s_add_u32 s12, s12, s14
	s_addc_u32 s13, s13, s15
	s_add_u32 s0, s12, s0
	s_addc_u32 s1, s13, s1
	v_add_co_u32 v7, vcc_lo, s0, v1
	v_add_co_ci_u32_e64 v8, null, s1, v2, vcc_lo
	s_mov_b32 s12, 0
	v_add_co_u32 v1, vcc_lo, v7, 14
	v_add_co_ci_u32_e64 v2, null, 0, v8, vcc_lo
	s_lshl_b64 s[0:1], s[24:25], 9
	s_branch .LBB394_23
.LBB394_21:                             ;   in Loop: Header=BB394_23 Depth=1
	v_add_co_u32 v3, vcc_lo, s3, v3
	v_cvt_f16_f32_e32 v5, v9
	v_add_co_ci_u32_e64 v4, null, s4, v4, vcc_lo
	global_store_short v[3:4], v5, off
.LBB394_22:                             ;   in Loop: Header=BB394_23 Depth=1
	s_or_b32 exec_lo, exec_lo, s13
	v_add_co_u32 v1, vcc_lo, v1, s0
	v_add_co_ci_u32_e64 v2, null, s1, v2, vcc_lo
	v_add_co_u32 v7, vcc_lo, v7, s0
	v_add_co_ci_u32_e64 v8, null, s1, v8, vcc_lo
	s_addk_i32 s12, 0x100
	s_cmp_ge_i32 s12, s11
	s_cbranch_scc1 .LBB394_34
.LBB394_23:                             ; =>This Loop Header: Depth=1
                                        ;     Child Loop BB394_29 Depth 2
                                        ;     Child Loop BB394_33 Depth 2
	v_add_nc_u32_e32 v3, s12, v0
	s_mov_b32 s13, exec_lo
	v_cmpx_gt_i32_e64 s11, v3
	s_cbranch_execz .LBB394_22
; %bb.24:                               ;   in Loop: Header=BB394_23 Depth=1
	v_mad_u64_u32 v[4:5], null, v3, s8, 0
	s_andn2_b32 vcc_lo, exec_lo, s2
	v_mad_u64_u32 v[5:6], null, v3, s5, v[5:6]
	v_lshlrev_b64 v[3:4], 1, v[4:5]
	s_cbranch_vccnz .LBB394_26
; %bb.25:                               ;   in Loop: Header=BB394_23 Depth=1
	v_add_co_u32 v5, vcc_lo, s3, v3
	v_add_co_ci_u32_e64 v6, null, s4, v4, vcc_lo
	global_load_ushort v5, v[5:6], off
	s_waitcnt vmcnt(0)
	v_cvt_f32_f16_e32 v5, v5
	v_mul_f32_e32 v9, s7, v5
	s_andn2_b32 vcc_lo, exec_lo, s6
	s_cbranch_vccz .LBB394_27
	s_branch .LBB394_21
.LBB394_26:                             ;   in Loop: Header=BB394_23 Depth=1
	v_mov_b32_e32 v9, 0
	s_andn2_b32 vcc_lo, exec_lo, s6
	s_cbranch_vccnz .LBB394_21
.LBB394_27:                             ;   in Loop: Header=BB394_23 Depth=1
	s_andn2_b32 vcc_lo, exec_lo, s16
	s_mov_b32 s14, 0
	s_cbranch_vccnz .LBB394_31
; %bb.28:                               ;   in Loop: Header=BB394_23 Depth=1
	v_mov_b32_e32 v6, v2
	v_mov_b32_e32 v5, v1
	s_mov_b32 s15, 0
	.p2align	6
.LBB394_29:                             ;   Parent Loop BB394_23 Depth=1
                                        ; =>  This Inner Loop Header: Depth=2
	global_load_dwordx4 v[10:13], v[5:6], off offset:-14
	v_mov_b32_e32 v18, s14
	v_add_co_u32 v5, vcc_lo, v5, 16
	v_add_co_ci_u32_e64 v6, null, 0, v6, vcc_lo
	ds_read_b128 v[14:17], v18
	ds_read_b128 v[18:21], v18 offset:16
	s_add_i32 s15, s15, 8
	s_add_i32 s14, s14, 32
	s_cmp_eq_u32 s10, s15
	s_waitcnt vmcnt(0) lgkmcnt(1)
	v_fma_mix_f32 v9, v14, v10, v9 op_sel_hi:[0,1,0]
	v_fma_mix_f32 v9, v15, v10, v9 op_sel:[0,1,0] op_sel_hi:[0,1,0]
	v_fma_mix_f32 v9, v16, v11, v9 op_sel_hi:[0,1,0]
	v_fma_mix_f32 v9, v17, v11, v9 op_sel:[0,1,0] op_sel_hi:[0,1,0]
	s_waitcnt lgkmcnt(0)
	v_fma_mix_f32 v9, v18, v12, v9 op_sel_hi:[0,1,0]
	v_fma_mix_f32 v9, v19, v12, v9 op_sel:[0,1,0] op_sel_hi:[0,1,0]
	v_fma_mix_f32 v9, v20, v13, v9 op_sel_hi:[0,1,0]
	v_fma_mix_f32 v9, v21, v13, v9 op_sel:[0,1,0] op_sel_hi:[0,1,0]
	s_cbranch_scc0 .LBB394_29
; %bb.30:                               ;   in Loop: Header=BB394_23 Depth=1
	s_mov_b32 s14, s10
.LBB394_31:                             ;   in Loop: Header=BB394_23 Depth=1
	s_andn2_b32 vcc_lo, exec_lo, s17
	s_cbranch_vccnz .LBB394_21
; %bb.32:                               ;   in Loop: Header=BB394_23 Depth=1
	s_lshl_b32 s15, s14, 1
	s_lshl_b32 s14, s14, 2
	v_add_co_u32 v5, vcc_lo, v7, s15
	v_add_co_ci_u32_e64 v6, null, 0, v8, vcc_lo
	s_mov_b32 s15, s9
.LBB394_33:                             ;   Parent Loop BB394_23 Depth=1
                                        ; =>  This Inner Loop Header: Depth=2
	global_load_ushort v10, v[5:6], off
	v_mov_b32_e32 v11, s14
	v_add_co_u32 v5, vcc_lo, v5, 2
	v_add_co_ci_u32_e64 v6, null, 0, v6, vcc_lo
	ds_read_b32 v11, v11
	s_add_i32 s15, s15, -1
	s_add_i32 s14, s14, 4
	s_cmp_lg_u32 s15, 0
	s_waitcnt vmcnt(0) lgkmcnt(0)
	v_fma_mix_f32 v9, v11, v10, v9 op_sel_hi:[0,1,0]
	s_cbranch_scc1 .LBB394_33
	s_branch .LBB394_21
.LBB394_34:
	s_endpgm
	.section	.rodata,"a",@progbits
	.p2align	6, 0x0
	.amdhsa_kernel _ZL22rocblas_gemvtsm_kernelILb0ELi256EDF16_PKfDF16_EviiT2_lPKT1_lilS5_lilS2_lPT3_lil
		.amdhsa_group_segment_fixed_size 256
		.amdhsa_private_segment_fixed_size 0
		.amdhsa_kernarg_size 136
		.amdhsa_user_sgpr_count 6
		.amdhsa_user_sgpr_private_segment_buffer 1
		.amdhsa_user_sgpr_dispatch_ptr 0
		.amdhsa_user_sgpr_queue_ptr 0
		.amdhsa_user_sgpr_kernarg_segment_ptr 1
		.amdhsa_user_sgpr_dispatch_id 0
		.amdhsa_user_sgpr_flat_scratch_init 0
		.amdhsa_user_sgpr_private_segment_size 0
		.amdhsa_wavefront_size32 1
		.amdhsa_uses_dynamic_stack 0
		.amdhsa_system_sgpr_private_segment_wavefront_offset 0
		.amdhsa_system_sgpr_workgroup_id_x 1
		.amdhsa_system_sgpr_workgroup_id_y 0
		.amdhsa_system_sgpr_workgroup_id_z 0
		.amdhsa_system_sgpr_workgroup_info 0
		.amdhsa_system_vgpr_workitem_id 0
		.amdhsa_next_free_vgpr 22
		.amdhsa_next_free_sgpr 29
		.amdhsa_reserve_vcc 1
		.amdhsa_reserve_flat_scratch 0
		.amdhsa_float_round_mode_32 0
		.amdhsa_float_round_mode_16_64 0
		.amdhsa_float_denorm_mode_32 3
		.amdhsa_float_denorm_mode_16_64 3
		.amdhsa_dx10_clamp 1
		.amdhsa_ieee_mode 1
		.amdhsa_fp16_overflow 0
		.amdhsa_workgroup_processor_mode 1
		.amdhsa_memory_ordered 1
		.amdhsa_forward_progress 1
		.amdhsa_shared_vgpr_count 0
		.amdhsa_exception_fp_ieee_invalid_op 0
		.amdhsa_exception_fp_denorm_src 0
		.amdhsa_exception_fp_ieee_div_zero 0
		.amdhsa_exception_fp_ieee_overflow 0
		.amdhsa_exception_fp_ieee_underflow 0
		.amdhsa_exception_fp_ieee_inexact 0
		.amdhsa_exception_int_div_zero 0
	.end_amdhsa_kernel
	.section	.text._ZL22rocblas_gemvtsm_kernelILb0ELi256EDF16_PKfDF16_EviiT2_lPKT1_lilS5_lilS2_lPT3_lil,"axG",@progbits,_ZL22rocblas_gemvtsm_kernelILb0ELi256EDF16_PKfDF16_EviiT2_lPKT1_lilS5_lilS2_lPT3_lil,comdat
.Lfunc_end394:
	.size	_ZL22rocblas_gemvtsm_kernelILb0ELi256EDF16_PKfDF16_EviiT2_lPKT1_lilS5_lilS2_lPT3_lil, .Lfunc_end394-_ZL22rocblas_gemvtsm_kernelILb0ELi256EDF16_PKfDF16_EviiT2_lPKT1_lilS5_lilS2_lPT3_lil
                                        ; -- End function
	.set _ZL22rocblas_gemvtsm_kernelILb0ELi256EDF16_PKfDF16_EviiT2_lPKT1_lilS5_lilS2_lPT3_lil.num_vgpr, 22
	.set _ZL22rocblas_gemvtsm_kernelILb0ELi256EDF16_PKfDF16_EviiT2_lPKT1_lilS5_lilS2_lPT3_lil.num_agpr, 0
	.set _ZL22rocblas_gemvtsm_kernelILb0ELi256EDF16_PKfDF16_EviiT2_lPKT1_lilS5_lilS2_lPT3_lil.numbered_sgpr, 29
	.set _ZL22rocblas_gemvtsm_kernelILb0ELi256EDF16_PKfDF16_EviiT2_lPKT1_lilS5_lilS2_lPT3_lil.num_named_barrier, 0
	.set _ZL22rocblas_gemvtsm_kernelILb0ELi256EDF16_PKfDF16_EviiT2_lPKT1_lilS5_lilS2_lPT3_lil.private_seg_size, 0
	.set _ZL22rocblas_gemvtsm_kernelILb0ELi256EDF16_PKfDF16_EviiT2_lPKT1_lilS5_lilS2_lPT3_lil.uses_vcc, 1
	.set _ZL22rocblas_gemvtsm_kernelILb0ELi256EDF16_PKfDF16_EviiT2_lPKT1_lilS5_lilS2_lPT3_lil.uses_flat_scratch, 0
	.set _ZL22rocblas_gemvtsm_kernelILb0ELi256EDF16_PKfDF16_EviiT2_lPKT1_lilS5_lilS2_lPT3_lil.has_dyn_sized_stack, 0
	.set _ZL22rocblas_gemvtsm_kernelILb0ELi256EDF16_PKfDF16_EviiT2_lPKT1_lilS5_lilS2_lPT3_lil.has_recursion, 0
	.set _ZL22rocblas_gemvtsm_kernelILb0ELi256EDF16_PKfDF16_EviiT2_lPKT1_lilS5_lilS2_lPT3_lil.has_indirect_call, 0
	.section	.AMDGPU.csdata,"",@progbits
; Kernel info:
; codeLenInByte = 1460
; TotalNumSgprs: 31
; NumVgprs: 22
; ScratchSize: 0
; MemoryBound: 0
; FloatMode: 240
; IeeeMode: 1
; LDSByteSize: 256 bytes/workgroup (compile time only)
; SGPRBlocks: 0
; VGPRBlocks: 2
; NumSGPRsForWavesPerEU: 31
; NumVGPRsForWavesPerEU: 22
; Occupancy: 16
; WaveLimiterHint : 1
; COMPUTE_PGM_RSRC2:SCRATCH_EN: 0
; COMPUTE_PGM_RSRC2:USER_SGPR: 6
; COMPUTE_PGM_RSRC2:TRAP_HANDLER: 0
; COMPUTE_PGM_RSRC2:TGID_X_EN: 1
; COMPUTE_PGM_RSRC2:TGID_Y_EN: 0
; COMPUTE_PGM_RSRC2:TGID_Z_EN: 0
; COMPUTE_PGM_RSRC2:TIDIG_COMP_CNT: 0
	.section	.text._ZL22rocblas_gemvtsm_kernelILb0ELi256EDF16_fDF16_EviiT2_lPKT1_lilS3_lilS0_lPT3_lil,"axG",@progbits,_ZL22rocblas_gemvtsm_kernelILb0ELi256EDF16_fDF16_EviiT2_lPKT1_lilS3_lilS0_lPT3_lil,comdat
	.globl	_ZL22rocblas_gemvtsm_kernelILb0ELi256EDF16_fDF16_EviiT2_lPKT1_lilS3_lilS0_lPT3_lil ; -- Begin function _ZL22rocblas_gemvtsm_kernelILb0ELi256EDF16_fDF16_EviiT2_lPKT1_lilS3_lilS0_lPT3_lil
	.p2align	8
	.type	_ZL22rocblas_gemvtsm_kernelILb0ELi256EDF16_fDF16_EviiT2_lPKT1_lilS3_lilS0_lPT3_lil,@function
_ZL22rocblas_gemvtsm_kernelILb0ELi256EDF16_fDF16_EviiT2_lPKT1_lilS3_lilS0_lPT3_lil: ; @_ZL22rocblas_gemvtsm_kernelILb0ELi256EDF16_fDF16_EviiT2_lPKT1_lilS3_lilS0_lPT3_lil
; %bb.0:
	s_clause 0x1
	s_load_dwordx4 s[8:11], s[4:5], 0x0
	s_load_dword s7, s[4:5], 0x58
	s_waitcnt lgkmcnt(0)
	v_cmp_eq_f32_e64 s0, s10, 0
	v_cmp_eq_f32_e64 s1, s7, 1.0
	s_and_b32 s0, s0, s1
	s_and_b32 vcc_lo, exec_lo, s0
	s_cbranch_vccnz .LBB395_34
; %bb.1:
	s_clause 0x2
	s_load_dwordx2 s[0:1], s[4:5], 0x80
	s_load_dwordx4 s[12:15], s[4:5], 0x68
	s_load_dword s20, s[4:5], 0x78
	v_cmp_neq_f32_e64 s2, s10, 0
	s_and_b32 vcc_lo, exec_lo, s2
	s_waitcnt lgkmcnt(0)
	s_mul_i32 s1, s1, s6
	s_mul_hi_u32 s2, s0, s6
	s_mul_i32 s22, s0, s6
	s_add_i32 s23, s2, s1
	s_cbranch_vccnz .LBB395_9
; %bb.2:
	s_cmp_gt_i32 s9, 0
	v_cmp_neq_f32_e64 s0, s7, 0
	s_cselect_b32 s2, -1, 0
	v_cndmask_b32_e64 v1, 0, 1, s2
	s_and_b32 vcc_lo, exec_lo, s0
	v_cmp_ne_u32_e64 s0, 1, v1
	s_cbranch_vccnz .LBB395_10
; %bb.3:
	s_and_b32 vcc_lo, exec_lo, s0
	s_cbranch_vccnz .LBB395_8
; %bb.4:
	v_mad_i64_i32 v[1:2], null, s20, v0, 0
	s_lshl_b64 s[16:17], s[14:15], 1
	s_ashr_i32 s21, s20, 31
	s_lshl_b64 s[0:1], s[22:23], 1
	s_add_u32 s3, s12, s16
	s_addc_u32 s11, s13, s17
	s_add_u32 s0, s3, s0
	v_lshlrev_b64 v[1:2], 1, v[1:2]
	s_addc_u32 s1, s11, s1
	v_mov_b32_e32 v3, 0
	s_mov_b32 s3, 0
	v_add_co_u32 v1, vcc_lo, s0, v1
	v_add_co_ci_u32_e64 v2, null, s1, v2, vcc_lo
	s_lshl_b64 s[0:1], s[20:21], 9
	s_branch .LBB395_6
.LBB395_5:                              ;   in Loop: Header=BB395_6 Depth=1
	s_or_b32 exec_lo, exec_lo, s11
	v_add_co_u32 v1, vcc_lo, v1, s0
	v_add_co_ci_u32_e64 v2, null, s1, v2, vcc_lo
	s_addk_i32 s3, 0x100
	s_cmp_ge_i32 s3, s9
	s_cbranch_scc1 .LBB395_8
.LBB395_6:                              ; =>This Inner Loop Header: Depth=1
	v_add_nc_u32_e32 v4, s3, v0
	s_mov_b32 s11, exec_lo
	v_cmpx_gt_i32_e64 s9, v4
	s_cbranch_execz .LBB395_5
; %bb.7:                                ;   in Loop: Header=BB395_6 Depth=1
	global_store_short v[1:2], v3, off
	s_branch .LBB395_5
.LBB395_8:
	s_cbranch_execz .LBB395_11
	s_branch .LBB395_16
.LBB395_9:
	s_branch .LBB395_17
.LBB395_10:
.LBB395_11:
	s_andn2_b32 vcc_lo, exec_lo, s2
	s_cbranch_vccnz .LBB395_16
; %bb.12:
	v_mad_i64_i32 v[1:2], null, s20, v0, 0
	s_lshl_b64 s[2:3], s[14:15], 1
	s_ashr_i32 s21, s20, 31
	s_lshl_b64 s[0:1], s[22:23], 1
	s_add_u32 s2, s12, s2
	s_addc_u32 s3, s13, s3
	s_add_u32 s0, s2, s0
	v_lshlrev_b64 v[1:2], 1, v[1:2]
	s_addc_u32 s1, s3, s1
	s_mov_b32 s2, 0
	v_add_co_u32 v1, vcc_lo, s0, v1
	v_add_co_ci_u32_e64 v2, null, s1, v2, vcc_lo
	s_lshl_b64 s[0:1], s[20:21], 9
	s_branch .LBB395_14
	.p2align	6
.LBB395_13:                             ;   in Loop: Header=BB395_14 Depth=1
	s_or_b32 exec_lo, exec_lo, s3
	v_add_co_u32 v1, vcc_lo, v1, s0
	v_add_co_ci_u32_e64 v2, null, s1, v2, vcc_lo
	s_addk_i32 s2, 0x100
	s_cmp_ge_i32 s2, s9
	s_cbranch_scc1 .LBB395_16
.LBB395_14:                             ; =>This Inner Loop Header: Depth=1
	v_add_nc_u32_e32 v3, s2, v0
	s_mov_b32 s3, exec_lo
	v_cmpx_gt_i32_e64 s9, v3
	s_cbranch_execz .LBB395_13
; %bb.15:                               ;   in Loop: Header=BB395_14 Depth=1
	global_load_ushort v3, v[1:2], off
	s_waitcnt vmcnt(0)
	v_fma_mixlo_f16 v3, s7, v3, 0 op_sel_hi:[0,1,0]
	global_store_short v[1:2], v3, off
	s_branch .LBB395_13
.LBB395_16:
	s_cbranch_execnz .LBB395_34
.LBB395_17:
	s_clause 0x1
	s_load_dwordx4 s[0:3], s[4:5], 0x30
	s_load_dwordx2 s[16:17], s[4:5], 0x40
	s_mov_b32 s11, exec_lo
	v_cmpx_gt_i32_e64 s8, v0
	s_cbranch_execz .LBB395_19
; %bb.18:
	s_clause 0x1
	s_load_dwordx2 s[18:19], s[4:5], 0x50
	s_load_dword s21, s[4:5], 0x48
	s_waitcnt lgkmcnt(0)
	s_mul_i32 s19, s19, s6
	v_mad_i64_i32 v[1:2], null, s21, v0, 0
	s_mul_hi_u32 s24, s18, s6
	s_mul_i32 s18, s18, s6
	s_add_i32 s19, s24, s19
	s_lshl_b64 s[18:19], s[18:19], 1
	s_add_u32 s18, s2, s18
	v_lshlrev_b64 v[1:2], 1, v[1:2]
	s_addc_u32 s19, s3, s19
	s_lshl_b64 s[2:3], s[16:17], 1
	s_add_u32 s2, s18, s2
	s_addc_u32 s3, s19, s3
	v_add_co_u32 v1, vcc_lo, s2, v1
	v_add_co_ci_u32_e64 v2, null, s3, v2, vcc_lo
	global_load_ushort v1, v[1:2], off
	v_lshlrev_b32_e32 v2, 2, v0
	s_waitcnt vmcnt(0)
	v_cvt_f32_f16_e32 v1, v1
	v_mul_f32_e32 v1, s10, v1
	ds_write_b32 v2, v1
.LBB395_19:
	s_or_b32 exec_lo, exec_lo, s11
	s_cmp_lt_i32 s9, 1
	s_waitcnt lgkmcnt(0)
	s_waitcnt_vscnt null, 0x0
	s_barrier
	buffer_gl0_inv
	s_cbranch_scc1 .LBB395_34
; %bb.20:
	s_clause 0x1
	s_load_dword s24, s[4:5], 0x28
	s_load_dwordx4 s[16:19], s[4:5], 0x18
	s_lshl_b64 s[2:3], s[22:23], 1
	s_mul_i32 s1, s1, s6
	s_mul_hi_u32 s21, s0, s6
	s_mul_i32 s0, s0, s6
	s_add_u32 s6, s12, s2
	s_addc_u32 s10, s13, s3
	s_lshl_b64 s[4:5], s[14:15], 1
	v_cmp_neq_f32_e64 s2, s7, 0
	s_add_u32 s3, s6, s4
	s_addc_u32 s4, s10, s5
	s_ashr_i32 s5, s20, 31
	s_waitcnt lgkmcnt(0)
	s_ashr_i32 s25, s24, 31
	s_cmp_gt_i32 s8, 0
	v_mad_i64_i32 v[1:2], null, s24, v0, 0
	s_cselect_b32 s6, -1, 0
	s_and_b32 s10, s8, 7
	s_cmp_gt_u32 s8, 7
	s_cselect_b32 s11, -1, 0
	s_and_b32 s8, s8, 0x7ffffff8
	s_cmp_lg_u32 s10, 0
	v_lshlrev_b64 v[1:2], 1, v[1:2]
	s_cselect_b32 s12, -1, 0
	s_add_i32 s1, s21, s1
	s_lshl_b64 s[14:15], s[18:19], 1
	s_lshl_b64 s[0:1], s[0:1], 1
	s_add_u32 s13, s16, s14
	s_addc_u32 s14, s17, s15
	s_add_u32 s0, s13, s0
	s_addc_u32 s1, s14, s1
	v_add_co_u32 v7, vcc_lo, s0, v1
	v_add_co_ci_u32_e64 v8, null, s1, v2, vcc_lo
	s_mov_b32 s13, 0
	v_add_co_u32 v1, vcc_lo, v7, 14
	v_add_co_ci_u32_e64 v2, null, 0, v8, vcc_lo
	s_lshl_b64 s[0:1], s[24:25], 9
	s_branch .LBB395_23
.LBB395_21:                             ;   in Loop: Header=BB395_23 Depth=1
	v_add_co_u32 v3, vcc_lo, s3, v3
	v_cvt_f16_f32_e32 v5, v9
	v_add_co_ci_u32_e64 v4, null, s4, v4, vcc_lo
	global_store_short v[3:4], v5, off
.LBB395_22:                             ;   in Loop: Header=BB395_23 Depth=1
	s_or_b32 exec_lo, exec_lo, s14
	v_add_co_u32 v1, vcc_lo, v1, s0
	v_add_co_ci_u32_e64 v2, null, s1, v2, vcc_lo
	v_add_co_u32 v7, vcc_lo, v7, s0
	v_add_co_ci_u32_e64 v8, null, s1, v8, vcc_lo
	s_addk_i32 s13, 0x100
	s_cmp_ge_i32 s13, s9
	s_cbranch_scc1 .LBB395_34
.LBB395_23:                             ; =>This Loop Header: Depth=1
                                        ;     Child Loop BB395_29 Depth 2
                                        ;     Child Loop BB395_33 Depth 2
	v_add_nc_u32_e32 v3, s13, v0
	s_mov_b32 s14, exec_lo
	v_cmpx_gt_i32_e64 s9, v3
	s_cbranch_execz .LBB395_22
; %bb.24:                               ;   in Loop: Header=BB395_23 Depth=1
	v_mad_u64_u32 v[4:5], null, v3, s20, 0
	s_andn2_b32 vcc_lo, exec_lo, s2
	v_mad_u64_u32 v[5:6], null, v3, s5, v[5:6]
	v_lshlrev_b64 v[3:4], 1, v[4:5]
	s_cbranch_vccnz .LBB395_26
; %bb.25:                               ;   in Loop: Header=BB395_23 Depth=1
	v_add_co_u32 v5, vcc_lo, s3, v3
	v_add_co_ci_u32_e64 v6, null, s4, v4, vcc_lo
	global_load_ushort v5, v[5:6], off
	s_waitcnt vmcnt(0)
	v_cvt_f32_f16_e32 v5, v5
	v_mul_f32_e32 v9, s7, v5
	s_andn2_b32 vcc_lo, exec_lo, s6
	s_cbranch_vccz .LBB395_27
	s_branch .LBB395_21
.LBB395_26:                             ;   in Loop: Header=BB395_23 Depth=1
	v_mov_b32_e32 v9, 0
	s_andn2_b32 vcc_lo, exec_lo, s6
	s_cbranch_vccnz .LBB395_21
.LBB395_27:                             ;   in Loop: Header=BB395_23 Depth=1
	s_andn2_b32 vcc_lo, exec_lo, s11
	s_mov_b32 s15, 0
	s_cbranch_vccnz .LBB395_31
; %bb.28:                               ;   in Loop: Header=BB395_23 Depth=1
	v_mov_b32_e32 v6, v2
	v_mov_b32_e32 v5, v1
	s_mov_b32 s16, 0
	.p2align	6
.LBB395_29:                             ;   Parent Loop BB395_23 Depth=1
                                        ; =>  This Inner Loop Header: Depth=2
	global_load_dwordx4 v[10:13], v[5:6], off offset:-14
	v_mov_b32_e32 v18, s15
	v_add_co_u32 v5, vcc_lo, v5, 16
	v_add_co_ci_u32_e64 v6, null, 0, v6, vcc_lo
	ds_read_b128 v[14:17], v18
	ds_read_b128 v[18:21], v18 offset:16
	s_add_i32 s16, s16, 8
	s_add_i32 s15, s15, 32
	s_cmp_eq_u32 s8, s16
	s_waitcnt vmcnt(0) lgkmcnt(1)
	v_fma_mix_f32 v9, v14, v10, v9 op_sel_hi:[0,1,0]
	v_fma_mix_f32 v9, v15, v10, v9 op_sel:[0,1,0] op_sel_hi:[0,1,0]
	v_fma_mix_f32 v9, v16, v11, v9 op_sel_hi:[0,1,0]
	v_fma_mix_f32 v9, v17, v11, v9 op_sel:[0,1,0] op_sel_hi:[0,1,0]
	s_waitcnt lgkmcnt(0)
	v_fma_mix_f32 v9, v18, v12, v9 op_sel_hi:[0,1,0]
	v_fma_mix_f32 v9, v19, v12, v9 op_sel:[0,1,0] op_sel_hi:[0,1,0]
	v_fma_mix_f32 v9, v20, v13, v9 op_sel_hi:[0,1,0]
	v_fma_mix_f32 v9, v21, v13, v9 op_sel:[0,1,0] op_sel_hi:[0,1,0]
	s_cbranch_scc0 .LBB395_29
; %bb.30:                               ;   in Loop: Header=BB395_23 Depth=1
	s_mov_b32 s15, s8
.LBB395_31:                             ;   in Loop: Header=BB395_23 Depth=1
	s_andn2_b32 vcc_lo, exec_lo, s12
	s_cbranch_vccnz .LBB395_21
; %bb.32:                               ;   in Loop: Header=BB395_23 Depth=1
	s_lshl_b32 s16, s15, 1
	s_lshl_b32 s15, s15, 2
	v_add_co_u32 v5, vcc_lo, v7, s16
	v_add_co_ci_u32_e64 v6, null, 0, v8, vcc_lo
	s_mov_b32 s16, s10
.LBB395_33:                             ;   Parent Loop BB395_23 Depth=1
                                        ; =>  This Inner Loop Header: Depth=2
	global_load_ushort v10, v[5:6], off
	v_mov_b32_e32 v11, s15
	v_add_co_u32 v5, vcc_lo, v5, 2
	v_add_co_ci_u32_e64 v6, null, 0, v6, vcc_lo
	ds_read_b32 v11, v11
	s_add_i32 s16, s16, -1
	s_add_i32 s15, s15, 4
	s_cmp_lg_u32 s16, 0
	s_waitcnt vmcnt(0) lgkmcnt(0)
	v_fma_mix_f32 v9, v11, v10, v9 op_sel_hi:[0,1,0]
	s_cbranch_scc1 .LBB395_33
	s_branch .LBB395_21
.LBB395_34:
	s_endpgm
	.section	.rodata,"a",@progbits
	.p2align	6, 0x0
	.amdhsa_kernel _ZL22rocblas_gemvtsm_kernelILb0ELi256EDF16_fDF16_EviiT2_lPKT1_lilS3_lilS0_lPT3_lil
		.amdhsa_group_segment_fixed_size 256
		.amdhsa_private_segment_fixed_size 0
		.amdhsa_kernarg_size 136
		.amdhsa_user_sgpr_count 6
		.amdhsa_user_sgpr_private_segment_buffer 1
		.amdhsa_user_sgpr_dispatch_ptr 0
		.amdhsa_user_sgpr_queue_ptr 0
		.amdhsa_user_sgpr_kernarg_segment_ptr 1
		.amdhsa_user_sgpr_dispatch_id 0
		.amdhsa_user_sgpr_flat_scratch_init 0
		.amdhsa_user_sgpr_private_segment_size 0
		.amdhsa_wavefront_size32 1
		.amdhsa_uses_dynamic_stack 0
		.amdhsa_system_sgpr_private_segment_wavefront_offset 0
		.amdhsa_system_sgpr_workgroup_id_x 1
		.amdhsa_system_sgpr_workgroup_id_y 0
		.amdhsa_system_sgpr_workgroup_id_z 0
		.amdhsa_system_sgpr_workgroup_info 0
		.amdhsa_system_vgpr_workitem_id 0
		.amdhsa_next_free_vgpr 22
		.amdhsa_next_free_sgpr 26
		.amdhsa_reserve_vcc 1
		.amdhsa_reserve_flat_scratch 0
		.amdhsa_float_round_mode_32 0
		.amdhsa_float_round_mode_16_64 0
		.amdhsa_float_denorm_mode_32 3
		.amdhsa_float_denorm_mode_16_64 3
		.amdhsa_dx10_clamp 1
		.amdhsa_ieee_mode 1
		.amdhsa_fp16_overflow 0
		.amdhsa_workgroup_processor_mode 1
		.amdhsa_memory_ordered 1
		.amdhsa_forward_progress 1
		.amdhsa_shared_vgpr_count 0
		.amdhsa_exception_fp_ieee_invalid_op 0
		.amdhsa_exception_fp_denorm_src 0
		.amdhsa_exception_fp_ieee_div_zero 0
		.amdhsa_exception_fp_ieee_overflow 0
		.amdhsa_exception_fp_ieee_underflow 0
		.amdhsa_exception_fp_ieee_inexact 0
		.amdhsa_exception_int_div_zero 0
	.end_amdhsa_kernel
	.section	.text._ZL22rocblas_gemvtsm_kernelILb0ELi256EDF16_fDF16_EviiT2_lPKT1_lilS3_lilS0_lPT3_lil,"axG",@progbits,_ZL22rocblas_gemvtsm_kernelILb0ELi256EDF16_fDF16_EviiT2_lPKT1_lilS3_lilS0_lPT3_lil,comdat
.Lfunc_end395:
	.size	_ZL22rocblas_gemvtsm_kernelILb0ELi256EDF16_fDF16_EviiT2_lPKT1_lilS3_lilS0_lPT3_lil, .Lfunc_end395-_ZL22rocblas_gemvtsm_kernelILb0ELi256EDF16_fDF16_EviiT2_lPKT1_lilS3_lilS0_lPT3_lil
                                        ; -- End function
	.set _ZL22rocblas_gemvtsm_kernelILb0ELi256EDF16_fDF16_EviiT2_lPKT1_lilS3_lilS0_lPT3_lil.num_vgpr, 22
	.set _ZL22rocblas_gemvtsm_kernelILb0ELi256EDF16_fDF16_EviiT2_lPKT1_lilS3_lilS0_lPT3_lil.num_agpr, 0
	.set _ZL22rocblas_gemvtsm_kernelILb0ELi256EDF16_fDF16_EviiT2_lPKT1_lilS3_lilS0_lPT3_lil.numbered_sgpr, 26
	.set _ZL22rocblas_gemvtsm_kernelILb0ELi256EDF16_fDF16_EviiT2_lPKT1_lilS3_lilS0_lPT3_lil.num_named_barrier, 0
	.set _ZL22rocblas_gemvtsm_kernelILb0ELi256EDF16_fDF16_EviiT2_lPKT1_lilS3_lilS0_lPT3_lil.private_seg_size, 0
	.set _ZL22rocblas_gemvtsm_kernelILb0ELi256EDF16_fDF16_EviiT2_lPKT1_lilS3_lilS0_lPT3_lil.uses_vcc, 1
	.set _ZL22rocblas_gemvtsm_kernelILb0ELi256EDF16_fDF16_EviiT2_lPKT1_lilS3_lilS0_lPT3_lil.uses_flat_scratch, 0
	.set _ZL22rocblas_gemvtsm_kernelILb0ELi256EDF16_fDF16_EviiT2_lPKT1_lilS3_lilS0_lPT3_lil.has_dyn_sized_stack, 0
	.set _ZL22rocblas_gemvtsm_kernelILb0ELi256EDF16_fDF16_EviiT2_lPKT1_lilS3_lilS0_lPT3_lil.has_recursion, 0
	.set _ZL22rocblas_gemvtsm_kernelILb0ELi256EDF16_fDF16_EviiT2_lPKT1_lilS3_lilS0_lPT3_lil.has_indirect_call, 0
	.section	.AMDGPU.csdata,"",@progbits
; Kernel info:
; codeLenInByte = 1396
; TotalNumSgprs: 28
; NumVgprs: 22
; ScratchSize: 0
; MemoryBound: 0
; FloatMode: 240
; IeeeMode: 1
; LDSByteSize: 256 bytes/workgroup (compile time only)
; SGPRBlocks: 0
; VGPRBlocks: 2
; NumSGPRsForWavesPerEU: 28
; NumVGPRsForWavesPerEU: 22
; Occupancy: 16
; WaveLimiterHint : 1
; COMPUTE_PGM_RSRC2:SCRATCH_EN: 0
; COMPUTE_PGM_RSRC2:USER_SGPR: 6
; COMPUTE_PGM_RSRC2:TRAP_HANDLER: 0
; COMPUTE_PGM_RSRC2:TGID_X_EN: 1
; COMPUTE_PGM_RSRC2:TGID_Y_EN: 0
; COMPUTE_PGM_RSRC2:TGID_Z_EN: 0
; COMPUTE_PGM_RSRC2:TIDIG_COMP_CNT: 0
	.section	.text._ZL23rocblas_gemvt_sn_kernelILb0ELi256ELi4EiDF16_PKffEviiT4_lPKT3_lilS5_lilPT5_i,"axG",@progbits,_ZL23rocblas_gemvt_sn_kernelILb0ELi256ELi4EiDF16_PKffEviiT4_lPKT3_lilS5_lilPT5_i,comdat
	.globl	_ZL23rocblas_gemvt_sn_kernelILb0ELi256ELi4EiDF16_PKffEviiT4_lPKT3_lilS5_lilPT5_i ; -- Begin function _ZL23rocblas_gemvt_sn_kernelILb0ELi256ELi4EiDF16_PKffEviiT4_lPKT3_lilS5_lilPT5_i
	.p2align	8
	.type	_ZL23rocblas_gemvt_sn_kernelILb0ELi256ELi4EiDF16_PKffEviiT4_lPKT3_lilS5_lilPT5_i,@function
_ZL23rocblas_gemvt_sn_kernelILb0ELi256ELi4EiDF16_PKffEviiT4_lPKT3_lilS5_lilPT5_i: ; @_ZL23rocblas_gemvt_sn_kernelILb0ELi256ELi4EiDF16_PKffEviiT4_lPKT3_lilS5_lilPT5_i
; %bb.0:
	s_clause 0x2
	s_load_dwordx8 s[8:15], s[4:5], 0x8
	s_load_dwordx2 s[16:17], s[4:5], 0x0
	s_load_dword s18, s[4:5], 0x68
	s_mov_b32 s19, 0
	s_waitcnt lgkmcnt(0)
	s_mul_i32 s1, s11, s7
	s_mul_hi_u32 s2, s10, s7
	s_mul_i32 s0, s10, s7
	s_add_i32 s1, s2, s1
	s_mul_i32 s2, s17, s7
	s_lshl_b64 s[0:1], s[0:1], 2
	s_add_u32 s0, s8, s0
	s_addc_u32 s1, s9, s1
	s_load_dword s30, s[0:1], 0x0
	s_load_dwordx4 s[8:11], s[4:5], 0x50
	s_ashr_i32 s22, s17, 31
	s_mul_hi_u32 s0, s17, s7
	s_mul_i32 s1, s22, s7
	s_add_i32 s0, s0, s1
	s_mul_hi_u32 s1, s2, s18
	s_mul_i32 s3, s0, s18
	s_mul_i32 s0, s2, s18
	s_add_i32 s1, s1, s3
	s_lshl_b64 s[0:1], s[0:1], 2
	s_waitcnt lgkmcnt(0)
	v_cmp_neq_f32_e64 s2, s30, 0
	s_add_u32 s36, s10, s0
	v_cmp_eq_u32_e64 s0, 0, v0
	s_addc_u32 s35, s11, s1
	s_and_b32 vcc_lo, exec_lo, s2
	s_cbranch_vccnz .LBB396_5
; %bb.1:
	s_cmp_gt_i32 s17, 0
	s_cselect_b32 s1, -1, 0
	s_and_b32 s0, s0, s1
	s_and_saveexec_b32 s10, s0
	s_cbranch_execz .LBB396_4
; %bb.2:
	s_mov_b32 s0, s7
	s_mov_b32 s7, 0
	v_mov_b32_e32 v1, 0
	s_lshl_b64 s[2:3], s[6:7], 2
	s_mov_b32 s7, s0
	s_add_u32 s0, s36, s2
	s_addc_u32 s1, s35, s3
	s_lshl_b64 s[2:3], s[18:19], 2
	s_mov_b32 s11, s17
.LBB396_3:                              ; =>This Inner Loop Header: Depth=1
	s_add_i32 s11, s11, -1
	global_store_dword v1, v1, s[0:1]
	s_add_u32 s0, s0, s2
	s_addc_u32 s1, s1, s3
	s_cmp_eq_u32 s11, 0
	s_cbranch_scc0 .LBB396_3
.LBB396_4:
	s_or_b32 exec_lo, exec_lo, s10
	s_cbranch_execz .LBB396_6
	s_branch .LBB396_80
.LBB396_5:
.LBB396_6:
	s_clause 0x1
	s_load_dwordx4 s[0:3], s[4:5], 0x30
	s_load_dwordx2 s[10:11], s[4:5], 0x40
	s_mul_i32 s9, s9, s7
	s_mul_hi_u32 s19, s8, s7
	s_mul_i32 s8, s8, s7
	s_add_i32 s9, s19, s9
	s_load_dword s19, s[4:5], 0x48
	s_lshl_b64 s[8:9], s[8:9], 1
	v_and_b32_e32 v10, 31, v0
	v_mbcnt_lo_u32_b32 v24, -1, 0
	v_lshrrev_b32_e32 v25, 3, v0
	s_waitcnt lgkmcnt(0)
	s_add_u32 s8, s2, s8
	s_addc_u32 s9, s3, s9
	s_lshl_b64 s[2:3], s[10:11], 1
	s_mul_i32 s1, s1, s7
	s_mul_hi_u32 s20, s0, s7
	s_add_u32 s31, s8, s2
	s_mul_i32 s0, s0, s7
	s_addc_u32 s33, s9, s3
	s_add_i32 s1, s20, s1
	s_load_dword s10, s[4:5], 0x28
	s_lshl_b64 s[20:21], s[0:1], 1
	v_cmp_gt_u32_e64 s0, 32, v0
	s_add_u32 s1, s12, s20
	s_addc_u32 s2, s13, s21
	s_lshl_b64 s[14:15], s[14:15], 1
	s_add_u32 s3, s1, s14
	s_addc_u32 s2, s2, s15
	s_lshl_b32 s1, s6, 10
	s_ashr_i32 s4, s16, 31
	v_lshl_or_b32 v1, v0, 2, s1
	s_lshr_b32 s4, s4, 30
	s_lshr_b32 s5, s22, 30
	s_add_i32 s4, s16, s4
	s_add_i32 s5, s17, s5
	v_ashrrev_i32_e32 v2, 31, v1
	s_and_b32 s4, s4, -4
	v_mul_lo_u32 v9, s19, v1
	s_sub_i32 s34, s16, s4
	v_cmp_gt_u32_e64 s1, 8, v0
	v_lshlrev_b64 v[11:12], 1, v[1:2]
	v_add_nc_u32_e32 v26, 4, v1
	v_add_nc_u32_e32 v27, s34, v1
	s_and_b32 s37, s5, -4
	s_cmp_lt_i32 s37, 1
	v_add_co_u32 v22, vcc_lo, s3, v11
	v_add_co_ci_u32_e64 v23, null, s2, v12, vcc_lo
	s_cbranch_scc1 .LBB396_55
; %bb.7:
	v_cmp_gt_u32_e32 vcc_lo, 24, v24
	v_mul_lo_u32 v13, s19, v1
	s_cmp_gt_i32 s34, 0
	s_mov_b32 s9, 0
	s_cselect_b32 s38, -1, 0
	v_cndmask_b32_e64 v2, 0, 8, vcc_lo
	v_cmp_gt_u32_e32 vcc_lo, 28, v24
	s_waitcnt lgkmcnt(0)
	s_lshl_b32 s39, s10, 2
	s_lshl_b32 s8, s10, 1
	v_ashrrev_i32_e32 v14, 31, v13
	v_add_lshl_u32 v29, v2, v24, 2
	v_cndmask_b32_e64 v3, 0, 4, vcc_lo
	v_cmp_gt_u32_e32 vcc_lo, 30, v24
	s_add_u32 s7, s20, s14
	v_lshlrev_b64 v[5:6], 1, v[13:14]
	s_addc_u32 s22, s21, s15
	v_add_lshl_u32 v30, v3, v24, 2
	v_cndmask_b32_e64 v1, 0, 2, vcc_lo
	v_cmp_ne_u32_e32 vcc_lo, 31, v24
	s_add_u32 s7, s12, s7
	s_addc_u32 s22, s13, s22
	v_cmp_ge_i32_e64 s2, s16, v26
	v_add_lshl_u32 v31, v1, v24, 2
	v_add_nc_u32_e32 v1, s19, v13
	v_add_co_ci_u32_e64 v4, null, 0, v24, vcc_lo
	v_add_co_u32 v14, vcc_lo, s31, v5
	v_add_nc_u32_e32 v3, s19, v1
	v_ashrrev_i32_e32 v2, 31, v1
	v_lshlrev_b32_e32 v32, 2, v4
	v_add_co_ci_u32_e64 v15, null, s33, v6, vcc_lo
	v_add_nc_u32_e32 v7, s19, v3
	v_lshlrev_b64 v[1:2], 1, v[1:2]
	v_ashrrev_i32_e32 v4, 31, v3
	v_mov_b32_e32 v5, 0
	v_cmp_ge_i32_e64 s3, s16, v27
	v_ashrrev_i32_e32 v8, 31, v7
	v_lshl_or_b32 v28, v24, 2, 64
	v_lshlrev_b64 v[3:4], 1, v[3:4]
	v_add_co_u32 v16, vcc_lo, s31, v1
	v_add_co_ci_u32_e64 v17, null, s33, v2, vcc_lo
	v_lshlrev_b64 v[1:2], 1, v[7:8]
	v_add_co_u32 v18, vcc_lo, s31, v3
	v_mov_b32_e32 v6, v5
	v_mov_b32_e32 v7, v5
	;; [unrolled: 1-line block ×3, first 2 shown]
	v_add_co_ci_u32_e64 v19, null, s33, v4, vcc_lo
	v_add_co_u32 v20, vcc_lo, s31, v1
	v_add_co_ci_u32_e64 v21, null, s33, v2, vcc_lo
	v_add_co_u32 v35, vcc_lo, s7, v11
	v_mov_b32_e32 v1, v5
	v_cmp_eq_u32_e64 s4, 0, v10
	v_lshlrev_b32_e32 v33, 2, v10
	v_and_b32_e32 v34, 28, v25
	v_cmp_eq_u32_e64 s5, 0, v0
	v_add_co_ci_u32_e64 v36, null, s22, v12, vcc_lo
	v_mov_b32_e32 v2, v6
	v_mov_b32_e32 v3, v7
	;; [unrolled: 1-line block ×3, first 2 shown]
	s_mov_b32 s11, s9
	s_mul_i32 s40, s10, 3
	s_mov_b32 s41, s9
	s_mov_b32 s22, s9
	s_mov_b64 s[24:25], s[8:9]
	s_mov_b64 s[26:27], s[10:11]
	s_mov_b32 s11, 0
	s_branch .LBB396_9
.LBB396_8:                              ;   in Loop: Header=BB396_9 Depth=1
	s_or_b32 exec_lo, exec_lo, s7
	s_add_i32 s11, s11, 4
	s_add_u32 s26, s26, s39
	s_addc_u32 s27, s27, 0
	s_add_u32 s24, s24, s39
	s_addc_u32 s25, s25, 0
	;; [unrolled: 2-line block ×3, first 2 shown]
	s_add_i32 s22, s22, s39
	s_cmp_ge_i32 s11, s37
	s_cbranch_scc1 .LBB396_56
.LBB396_9:                              ; =>This Loop Header: Depth=1
                                        ;     Child Loop BB396_40 Depth 2
                                        ;     Child Loop BB396_43 Depth 2
                                        ; implicit-def: $vgpr8
                                        ; implicit-def: $vgpr37
                                        ; implicit-def: $vgpr38
                                        ; implicit-def: $vgpr39
	s_and_saveexec_b32 s7, s2
	s_xor_b32 s7, exec_lo, s7
	s_cbranch_execnz .LBB396_36
; %bb.10:                               ;   in Loop: Header=BB396_9 Depth=1
	s_andn2_saveexec_b32 s42, s7
	s_cbranch_execnz .LBB396_37
.LBB396_11:                             ;   in Loop: Header=BB396_9 Depth=1
	s_or_b32 exec_lo, exec_lo, s42
	s_and_saveexec_b32 s7, s0
.LBB396_12:                             ;   in Loop: Header=BB396_9 Depth=1
	ds_write_b32 v33, v5
.LBB396_13:                             ;   in Loop: Header=BB396_9 Depth=1
	s_or_b32 exec_lo, exec_lo, s7
	ds_bpermute_b32 v6, v28, v39
	s_waitcnt lgkmcnt(0)
	s_waitcnt_vscnt null, 0x0
	s_barrier
	buffer_gl0_inv
	v_add_f32_e32 v6, v39, v6
	ds_bpermute_b32 v7, v29, v6
	s_waitcnt lgkmcnt(0)
	v_add_f32_e32 v6, v6, v7
	ds_bpermute_b32 v7, v30, v6
	s_waitcnt lgkmcnt(0)
	;; [unrolled: 3-line block ×3, first 2 shown]
	v_add_f32_e32 v6, v6, v7
	ds_bpermute_b32 v7, v32, v6
	s_and_saveexec_b32 s7, s4
	s_cbranch_execz .LBB396_15
; %bb.14:                               ;   in Loop: Header=BB396_9 Depth=1
	s_waitcnt lgkmcnt(0)
	v_add_f32_e32 v6, v6, v7
	ds_write_b32 v34, v6
.LBB396_15:                             ;   in Loop: Header=BB396_9 Depth=1
	s_or_b32 exec_lo, exec_lo, s7
	v_mov_b32_e32 v6, 0
	s_waitcnt lgkmcnt(0)
	s_barrier
	buffer_gl0_inv
	s_and_saveexec_b32 s7, s1
	s_cbranch_execnz .LBB396_44
; %bb.16:                               ;   in Loop: Header=BB396_9 Depth=1
	s_or_b32 exec_lo, exec_lo, s7
	s_and_saveexec_b32 s7, s0
	s_cbranch_execnz .LBB396_45
.LBB396_17:                             ;   in Loop: Header=BB396_9 Depth=1
	s_or_b32 exec_lo, exec_lo, s7
	s_and_saveexec_b32 s7, s0
.LBB396_18:                             ;   in Loop: Header=BB396_9 Depth=1
	ds_write_b32 v33, v5
.LBB396_19:                             ;   in Loop: Header=BB396_9 Depth=1
	s_or_b32 exec_lo, exec_lo, s7
	ds_bpermute_b32 v7, v28, v38
	s_waitcnt lgkmcnt(0)
	s_barrier
	buffer_gl0_inv
	v_add_f32_e32 v7, v38, v7
	ds_bpermute_b32 v38, v29, v7
	s_waitcnt lgkmcnt(0)
	v_add_f32_e32 v7, v7, v38
	ds_bpermute_b32 v38, v30, v7
	s_waitcnt lgkmcnt(0)
	;; [unrolled: 3-line block ×3, first 2 shown]
	v_add_f32_e32 v7, v7, v38
	ds_bpermute_b32 v38, v32, v7
	s_and_saveexec_b32 s7, s4
	s_cbranch_execz .LBB396_21
; %bb.20:                               ;   in Loop: Header=BB396_9 Depth=1
	s_waitcnt lgkmcnt(0)
	v_add_f32_e32 v7, v7, v38
	ds_write_b32 v34, v7
.LBB396_21:                             ;   in Loop: Header=BB396_9 Depth=1
	s_or_b32 exec_lo, exec_lo, s7
	v_mov_b32_e32 v7, 0
	s_waitcnt lgkmcnt(0)
	s_barrier
	buffer_gl0_inv
	s_and_saveexec_b32 s7, s1
	s_cbranch_execnz .LBB396_46
; %bb.22:                               ;   in Loop: Header=BB396_9 Depth=1
	s_or_b32 exec_lo, exec_lo, s7
	s_and_saveexec_b32 s7, s0
	s_cbranch_execnz .LBB396_47
.LBB396_23:                             ;   in Loop: Header=BB396_9 Depth=1
	s_or_b32 exec_lo, exec_lo, s7
	s_and_saveexec_b32 s7, s0
.LBB396_24:                             ;   in Loop: Header=BB396_9 Depth=1
	ds_write_b32 v33, v5
.LBB396_25:                             ;   in Loop: Header=BB396_9 Depth=1
	s_or_b32 exec_lo, exec_lo, s7
	ds_bpermute_b32 v38, v28, v37
	s_waitcnt lgkmcnt(0)
	s_barrier
	buffer_gl0_inv
	v_add_f32_e32 v37, v37, v38
	ds_bpermute_b32 v38, v29, v37
	s_waitcnt lgkmcnt(0)
	v_add_f32_e32 v37, v37, v38
	ds_bpermute_b32 v38, v30, v37
	s_waitcnt lgkmcnt(0)
	;; [unrolled: 3-line block ×3, first 2 shown]
	v_add_f32_e32 v37, v37, v38
	ds_bpermute_b32 v38, v32, v37
	s_and_saveexec_b32 s7, s4
	s_cbranch_execz .LBB396_27
; %bb.26:                               ;   in Loop: Header=BB396_9 Depth=1
	s_waitcnt lgkmcnt(0)
	v_add_f32_e32 v37, v37, v38
	ds_write_b32 v34, v37
.LBB396_27:                             ;   in Loop: Header=BB396_9 Depth=1
	s_or_b32 exec_lo, exec_lo, s7
	v_mov_b32_e32 v37, 0
	s_waitcnt lgkmcnt(0)
	s_barrier
	buffer_gl0_inv
	s_and_saveexec_b32 s7, s1
	s_cbranch_execnz .LBB396_48
; %bb.28:                               ;   in Loop: Header=BB396_9 Depth=1
	s_or_b32 exec_lo, exec_lo, s7
	s_and_saveexec_b32 s7, s0
	s_cbranch_execnz .LBB396_49
.LBB396_29:                             ;   in Loop: Header=BB396_9 Depth=1
	s_or_b32 exec_lo, exec_lo, s7
	s_and_saveexec_b32 s7, s0
.LBB396_30:                             ;   in Loop: Header=BB396_9 Depth=1
	ds_write_b32 v33, v5
.LBB396_31:                             ;   in Loop: Header=BB396_9 Depth=1
	s_or_b32 exec_lo, exec_lo, s7
	ds_bpermute_b32 v38, v28, v8
	s_waitcnt lgkmcnt(0)
	s_barrier
	buffer_gl0_inv
	v_add_f32_e32 v8, v8, v38
	ds_bpermute_b32 v38, v29, v8
	s_waitcnt lgkmcnt(0)
	v_add_f32_e32 v8, v8, v38
	ds_bpermute_b32 v38, v30, v8
	s_waitcnt lgkmcnt(0)
	;; [unrolled: 3-line block ×3, first 2 shown]
	v_add_f32_e32 v8, v8, v38
	ds_bpermute_b32 v38, v32, v8
	s_and_saveexec_b32 s7, s4
	s_cbranch_execz .LBB396_33
; %bb.32:                               ;   in Loop: Header=BB396_9 Depth=1
	s_waitcnt lgkmcnt(0)
	v_add_f32_e32 v8, v8, v38
	ds_write_b32 v34, v8
.LBB396_33:                             ;   in Loop: Header=BB396_9 Depth=1
	s_or_b32 exec_lo, exec_lo, s7
	v_mov_b32_e32 v8, 0
	s_waitcnt lgkmcnt(0)
	s_barrier
	buffer_gl0_inv
	s_and_saveexec_b32 s7, s1
	s_cbranch_execnz .LBB396_50
; %bb.34:                               ;   in Loop: Header=BB396_9 Depth=1
	s_or_b32 exec_lo, exec_lo, s7
	s_and_saveexec_b32 s7, s0
	s_cbranch_execnz .LBB396_51
.LBB396_35:                             ;   in Loop: Header=BB396_9 Depth=1
	s_or_b32 exec_lo, exec_lo, s7
	s_and_saveexec_b32 s7, s5
	s_cbranch_execz .LBB396_8
	s_branch .LBB396_52
.LBB396_36:                             ;   in Loop: Header=BB396_9 Depth=1
	s_mul_i32 s28, s11, s10
	s_ashr_i32 s29, s28, 31
	s_add_i32 s42, s28, s10
	s_lshl_b64 s[28:29], s[28:29], 1
	s_ashr_i32 s43, s42, 31
	v_add_co_u32 v1, vcc_lo, v22, s28
	v_add_co_ci_u32_e64 v2, null, s29, v23, vcc_lo
	s_lshl_b64 s[28:29], s[42:43], 1
	s_add_i32 s42, s42, s10
	v_add_co_u32 v3, vcc_lo, v22, s28
	s_ashr_i32 s43, s42, 31
	s_add_i32 s28, s42, s10
	v_add_co_ci_u32_e64 v4, null, s29, v23, vcc_lo
	s_lshl_b64 s[42:43], s[42:43], 1
	s_ashr_i32 s29, s28, 31
	v_add_co_u32 v6, vcc_lo, v22, s42
	s_lshl_b64 s[28:29], s[28:29], 1
	v_add_co_ci_u32_e64 v7, null, s43, v23, vcc_lo
	v_add_co_u32 v37, vcc_lo, v22, s28
	v_add_co_ci_u32_e64 v38, null, s29, v23, vcc_lo
	s_waitcnt lgkmcnt(0)
	global_load_ushort v8, v[14:15], off
	s_clause 0x3
	global_load_dwordx2 v[39:40], v[1:2], off
	global_load_dwordx2 v[41:42], v[3:4], off
	;; [unrolled: 1-line block ×4, first 2 shown]
	s_clause 0x2
	global_load_ushort v3, v[16:17], off
	global_load_ushort v4, v[18:19], off
	;; [unrolled: 1-line block ×3, first 2 shown]
	s_waitcnt vmcnt(7)
	v_cvt_f32_f16_e32 v1, v8
	s_waitcnt vmcnt(6)
	v_fma_mix_f32 v37, v8, v39, 0 op_sel_hi:[1,1,0]
	s_waitcnt vmcnt(5)
	v_fma_mix_f32 v38, v8, v41, 0 op_sel_hi:[1,1,0]
	;; [unrolled: 2-line block ×4, first 2 shown]
	s_waitcnt vmcnt(2)
	v_cvt_f32_f16_e32 v2, v3
	v_fma_mix_f32 v37, v3, v39, v37 op_sel:[0,1,0] op_sel_hi:[1,1,0]
	v_fma_mix_f32 v38, v3, v41, v38 op_sel:[0,1,0] op_sel_hi:[1,1,0]
	;; [unrolled: 1-line block ×4, first 2 shown]
	s_waitcnt vmcnt(1)
	v_cvt_f32_f16_e32 v3, v4
	v_fma_mix_f32 v37, v4, v40, v37 op_sel_hi:[1,1,0]
	v_fma_mix_f32 v38, v4, v42, v38 op_sel_hi:[1,1,0]
	;; [unrolled: 1-line block ×4, first 2 shown]
	s_waitcnt vmcnt(0)
	v_cvt_f32_f16_e32 v4, v45
	v_fma_mix_f32 v39, v45, v40, v37 op_sel:[0,1,0] op_sel_hi:[1,1,0]
	v_fma_mix_f32 v38, v45, v42, v38 op_sel:[0,1,0] op_sel_hi:[1,1,0]
	;; [unrolled: 1-line block ×4, first 2 shown]
	s_andn2_saveexec_b32 s42, s7
	s_cbranch_execz .LBB396_11
.LBB396_37:                             ;   in Loop: Header=BB396_9 Depth=1
	s_waitcnt lgkmcnt(0)
	v_mov_b32_e32 v8, 0
	v_mov_b32_e32 v37, 0
	;; [unrolled: 1-line block ×4, first 2 shown]
	s_and_saveexec_b32 s43, s3
	s_cbranch_execz .LBB396_54
; %bb.38:                               ;   in Loop: Header=BB396_9 Depth=1
	s_andn2_b32 vcc_lo, exec_lo, s38
	s_cbranch_vccnz .LBB396_41
; %bb.39:                               ;   in Loop: Header=BB396_9 Depth=1
	v_mov_b32_e32 v6, v13
	s_mov_b64 s[28:29], 0
	.p2align	6
.LBB396_40:                             ;   Parent Loop BB396_9 Depth=1
                                        ; =>  This Inner Loop Header: Depth=2
	v_ashrrev_i32_e32 v7, 31, v6
	s_cmp_eq_u32 s28, 3
	v_lshlrev_b64 v[7:8], 1, v[6:7]
	v_add_nc_u32_e32 v6, s19, v6
	v_add_co_u32 v7, vcc_lo, s31, v7
	v_add_co_ci_u32_e64 v8, null, s33, v8, vcc_lo
	s_cselect_b32 vcc_lo, -1, 0
	s_cmp_eq_u32 s28, 2
	s_cselect_b32 s7, -1, 0
	global_load_ushort v7, v[7:8], off
	s_cmp_eq_u32 s28, 1
	s_cselect_b32 s8, -1, 0
	s_cmp_eq_u32 s28, 0
	s_waitcnt vmcnt(0)
	v_cvt_f32_f16_e32 v7, v7
	v_cndmask_b32_e32 v4, v4, v7, vcc_lo
	s_cselect_b32 vcc_lo, -1, 0
	v_cndmask_b32_e64 v3, v3, v7, s7
	v_cndmask_b32_e64 v2, v2, v7, s8
	v_cndmask_b32_e32 v1, v1, v7, vcc_lo
	s_add_u32 s28, s28, 1
	s_addc_u32 s29, s29, 0
	s_cmp_eq_u32 s34, s28
	s_cbranch_scc0 .LBB396_40
.LBB396_41:                             ;   in Loop: Header=BB396_9 Depth=1
	s_andn2_b32 vcc_lo, exec_lo, s38
	s_cbranch_vccnz .LBB396_53
; %bb.42:                               ;   in Loop: Header=BB396_9 Depth=1
	s_ashr_i32 s23, s22, 31
	v_mov_b32_e32 v39, 0
	s_lshl_b64 s[28:29], s[22:23], 1
	v_mov_b32_e32 v38, 0
	v_add_co_u32 v6, vcc_lo, v35, s28
	v_add_co_ci_u32_e64 v7, null, s29, v36, vcc_lo
	v_mov_b32_e32 v37, 0
	v_mov_b32_e32 v8, 0
	s_mov_b64 s[28:29], 0
.LBB396_43:                             ;   Parent Loop BB396_9 Depth=1
                                        ; =>  This Inner Loop Header: Depth=2
	s_cmp_eq_u32 s28, 1
	s_cselect_b32 vcc_lo, -1, 0
	s_cmp_eq_u32 s28, 2
	v_cndmask_b32_e32 v40, v1, v2, vcc_lo
	s_cselect_b32 vcc_lo, -1, 0
	s_cmp_eq_u32 s28, 3
	v_cndmask_b32_e32 v46, v40, v3, vcc_lo
	s_cselect_b32 vcc_lo, -1, 0
	s_add_i32 s44, s26, s28
	s_add_i32 s46, s24, s28
	s_ashr_i32 s45, s44, 31
	s_add_i32 s48, s40, s28
	s_ashr_i32 s47, s46, 31
	s_lshl_b64 s[44:45], s[44:45], 1
	s_ashr_i32 s49, s48, 31
	s_lshl_b64 s[46:47], s[46:47], 1
	v_add_co_u32 v40, s7, v22, s44
	s_lshl_b64 s[48:49], s[48:49], 1
	v_add_co_ci_u32_e64 v41, null, s45, v23, s7
	v_add_co_u32 v42, s7, v22, s46
	v_add_co_ci_u32_e64 v43, null, s47, v23, s7
	v_add_co_u32 v44, s7, v22, s48
	v_add_co_ci_u32_e64 v45, null, s49, v23, s7
	global_load_ushort v47, v[6:7], off
	s_clause 0x2
	global_load_ushort v40, v[40:41], off
	global_load_ushort v41, v[42:43], off
	;; [unrolled: 1-line block ×3, first 2 shown]
	v_cndmask_b32_e32 v43, v46, v4, vcc_lo
	v_add_co_u32 v6, s7, v6, 2
	v_add_co_ci_u32_e64 v7, null, 0, v7, s7
	s_add_u32 s28, s28, 1
	s_addc_u32 s29, s29, 0
	s_cmp_lg_u32 s34, s28
	s_waitcnt vmcnt(3)
	v_fma_mix_f32 v39, v43, v47, v39 op_sel_hi:[0,1,0]
	s_waitcnt vmcnt(2)
	v_fma_mix_f32 v38, v43, v40, v38 op_sel_hi:[0,1,0]
	;; [unrolled: 2-line block ×4, first 2 shown]
	s_cbranch_scc1 .LBB396_43
	s_branch .LBB396_54
.LBB396_44:                             ;   in Loop: Header=BB396_9 Depth=1
	ds_read_b32 v6, v33
	s_or_b32 exec_lo, exec_lo, s7
	s_and_saveexec_b32 s7, s0
	s_cbranch_execz .LBB396_17
.LBB396_45:                             ;   in Loop: Header=BB396_9 Depth=1
	s_waitcnt lgkmcnt(0)
	ds_bpermute_b32 v7, v30, v6
	s_waitcnt lgkmcnt(0)
	v_add_f32_e32 v6, v6, v7
	ds_bpermute_b32 v7, v31, v6
	s_waitcnt lgkmcnt(0)
	v_add_f32_e32 v6, v6, v7
	;; [unrolled: 3-line block ×3, first 2 shown]
	s_or_b32 exec_lo, exec_lo, s7
	s_and_saveexec_b32 s7, s0
	s_cbranch_execnz .LBB396_18
	s_branch .LBB396_19
.LBB396_46:                             ;   in Loop: Header=BB396_9 Depth=1
	ds_read_b32 v7, v33
	s_or_b32 exec_lo, exec_lo, s7
	s_and_saveexec_b32 s7, s0
	s_cbranch_execz .LBB396_23
.LBB396_47:                             ;   in Loop: Header=BB396_9 Depth=1
	s_waitcnt lgkmcnt(0)
	ds_bpermute_b32 v38, v30, v7
	s_waitcnt lgkmcnt(0)
	v_add_f32_e32 v7, v7, v38
	ds_bpermute_b32 v38, v31, v7
	s_waitcnt lgkmcnt(0)
	v_add_f32_e32 v7, v7, v38
	;; [unrolled: 3-line block ×3, first 2 shown]
	s_or_b32 exec_lo, exec_lo, s7
	s_and_saveexec_b32 s7, s0
	s_cbranch_execnz .LBB396_24
	s_branch .LBB396_25
.LBB396_48:                             ;   in Loop: Header=BB396_9 Depth=1
	ds_read_b32 v37, v33
	s_or_b32 exec_lo, exec_lo, s7
	s_and_saveexec_b32 s7, s0
	s_cbranch_execz .LBB396_29
.LBB396_49:                             ;   in Loop: Header=BB396_9 Depth=1
	s_waitcnt lgkmcnt(0)
	ds_bpermute_b32 v38, v30, v37
	s_waitcnt lgkmcnt(0)
	v_add_f32_e32 v37, v37, v38
	ds_bpermute_b32 v38, v31, v37
	s_waitcnt lgkmcnt(0)
	v_add_f32_e32 v37, v37, v38
	;; [unrolled: 3-line block ×3, first 2 shown]
	s_or_b32 exec_lo, exec_lo, s7
	s_and_saveexec_b32 s7, s0
	s_cbranch_execnz .LBB396_30
	s_branch .LBB396_31
.LBB396_50:                             ;   in Loop: Header=BB396_9 Depth=1
	ds_read_b32 v8, v33
	s_or_b32 exec_lo, exec_lo, s7
	s_and_saveexec_b32 s7, s0
	s_cbranch_execz .LBB396_35
.LBB396_51:                             ;   in Loop: Header=BB396_9 Depth=1
	s_waitcnt lgkmcnt(0)
	ds_bpermute_b32 v38, v30, v8
	s_waitcnt lgkmcnt(0)
	v_add_f32_e32 v8, v8, v38
	ds_bpermute_b32 v38, v31, v8
	s_waitcnt lgkmcnt(0)
	v_add_f32_e32 v8, v8, v38
	;; [unrolled: 3-line block ×3, first 2 shown]
	s_or_b32 exec_lo, exec_lo, s7
	s_and_saveexec_b32 s7, s5
	s_cbranch_execz .LBB396_8
.LBB396_52:                             ;   in Loop: Header=BB396_9 Depth=1
	s_mul_i32 s8, s11, s18
	v_mul_f32_e32 v6, s30, v6
	s_add_i32 s8, s8, s6
	v_mul_f32_e32 v7, s30, v7
	s_lshl_b64 s[28:29], s[8:9], 2
	v_mul_f32_e32 v37, s30, v37
	s_add_u32 s28, s36, s28
	s_addc_u32 s29, s35, s29
	s_add_i32 s8, s8, s18
	global_store_dword v5, v6, s[28:29]
	s_lshl_b64 s[42:43], s[8:9], 2
	s_waitcnt lgkmcnt(0)
	v_mul_f32_e32 v6, s30, v8
	s_add_u32 s42, s36, s42
	s_addc_u32 s43, s35, s43
	s_add_i32 s8, s8, s18
	global_store_dword v5, v7, s[42:43]
	s_lshl_b64 s[44:45], s[8:9], 2
	s_add_u32 s28, s36, s44
	s_addc_u32 s29, s35, s45
	s_add_i32 s8, s8, s18
	s_lshl_b64 s[44:45], s[8:9], 2
	s_add_u32 s42, s36, s44
	s_addc_u32 s43, s35, s45
	global_store_dword v5, v37, s[28:29]
	global_store_dword v5, v6, s[42:43]
	s_branch .LBB396_8
.LBB396_53:                             ;   in Loop: Header=BB396_9 Depth=1
	v_mov_b32_e32 v8, 0
	v_mov_b32_e32 v37, 0
	;; [unrolled: 1-line block ×4, first 2 shown]
.LBB396_54:                             ;   in Loop: Header=BB396_9 Depth=1
	s_or_b32 exec_lo, exec_lo, s43
	s_or_b32 exec_lo, exec_lo, s42
	s_and_saveexec_b32 s7, s0
	s_cbranch_execnz .LBB396_12
	s_branch .LBB396_13
.LBB396_55:
	v_mov_b32_e32 v1, 0
	s_mov_b32 s11, 0
	v_mov_b32_e32 v2, v1
	v_mov_b32_e32 v3, v1
	;; [unrolled: 1-line block ×3, first 2 shown]
.LBB396_56:
	s_cmp_ge_i32 s11, s17
	s_cbranch_scc1 .LBB396_80
; %bb.57:
	v_cmp_gt_u32_e32 vcc_lo, 24, v24
	v_lshlrev_b32_e32 v17, 2, v10
	v_cmp_eq_u32_e64 s3, 0, v10
	v_ashrrev_i32_e32 v10, 31, v9
	v_cmp_ge_i32_e64 s0, s16, v26
	v_cndmask_b32_e64 v5, 0, 8, vcc_lo
	v_cmp_gt_u32_e32 vcc_lo, 28, v24
	v_lshl_or_b32 v18, v24, 2, 64
	v_lshlrev_b64 v[13:14], 1, v[9:10]
	v_cmp_ge_i32_e64 s1, s16, v27
	v_add_lshl_u32 v19, v5, v24, 2
	v_cndmask_b32_e64 v6, 0, 4, vcc_lo
	v_cmp_gt_u32_e32 vcc_lo, 30, v24
	v_add_nc_u32_e32 v5, s19, v9
	s_cmp_gt_i32 s34, 0
	s_mov_b32 s7, 0
	v_add_lshl_u32 v20, v6, v24, 2
	v_cndmask_b32_e64 v7, 0, 2, vcc_lo
	v_cmp_ne_u32_e32 vcc_lo, 31, v24
	v_ashrrev_i32_e32 v6, 31, v5
	s_cselect_b32 s16, -1, 0
	s_lshl_b64 s[8:9], s[6:7], 2
	v_add_lshl_u32 v21, v7, v24, 2
	v_add_nc_u32_e32 v7, s19, v5
	s_waitcnt lgkmcnt(0)
	v_add_co_ci_u32_e64 v8, null, 0, v24, vcc_lo
	v_lshlrev_b64 v[15:16], 1, v[5:6]
	v_add_co_u32 v5, vcc_lo, s31, v13
	v_add_nc_u32_e32 v26, s19, v7
	v_lshlrev_b32_e32 v24, 2, v8
	v_ashrrev_i32_e32 v8, 31, v7
	v_add_co_ci_u32_e64 v6, null, s33, v14, vcc_lo
	v_ashrrev_i32_e32 v27, 31, v26
	s_add_u32 s22, s36, s8
	v_lshlrev_b64 v[13:14], 1, v[7:8]
	v_add_co_u32 v7, vcc_lo, s31, v15
	v_add_co_ci_u32_e64 v8, null, s33, v16, vcc_lo
	v_lshlrev_b64 v[15:16], 1, v[26:27]
	s_addc_u32 s23, s35, s9
	v_add_co_u32 v13, vcc_lo, s31, v13
	s_add_u32 s6, s20, s14
	s_addc_u32 s8, s21, s15
	v_add_co_ci_u32_e64 v14, null, s33, v14, vcc_lo
	v_add_co_u32 v15, vcc_lo, s31, v15
	s_add_u32 s6, s12, s6
	v_cmp_gt_u32_e64 s2, 32, v0
	v_cmp_gt_u32_e64 s4, 8, v0
	v_cmp_eq_u32_e64 s5, 0, v0
	v_add_co_ci_u32_e64 v16, null, s33, v16, vcc_lo
	s_addc_u32 s8, s13, s8
	v_add_co_u32 v0, vcc_lo, s6, v11
	v_and_b32_e32 v25, 28, v25
	v_add_co_ci_u32_e64 v12, null, s8, v12, vcc_lo
	v_mov_b32_e32 v26, 0
	s_mul_i32 s12, s11, s10
	s_branch .LBB396_59
.LBB396_58:                             ;   in Loop: Header=BB396_59 Depth=1
	s_or_b32 exec_lo, exec_lo, s6
	s_add_i32 s11, s11, 1
	s_add_i32 s12, s12, s10
	s_cmp_ge_i32 s11, s17
	s_cbranch_scc1 .LBB396_80
.LBB396_59:                             ; =>This Loop Header: Depth=1
                                        ;     Child Loop BB396_72 Depth 2
                                        ;     Child Loop BB396_75 Depth 2
	v_mov_b32_e32 v27, s7
	s_and_saveexec_b32 s6, s0
	s_xor_b32 s6, exec_lo, s6
	s_cbranch_execnz .LBB396_68
; %bb.60:                               ;   in Loop: Header=BB396_59 Depth=1
	s_andn2_saveexec_b32 s20, s6
	s_cbranch_execnz .LBB396_69
.LBB396_61:                             ;   in Loop: Header=BB396_59 Depth=1
	s_or_b32 exec_lo, exec_lo, s20
	s_and_saveexec_b32 s6, s2
.LBB396_62:                             ;   in Loop: Header=BB396_59 Depth=1
	ds_write_b32 v17, v26
.LBB396_63:                             ;   in Loop: Header=BB396_59 Depth=1
	s_or_b32 exec_lo, exec_lo, s6
	s_waitcnt lgkmcnt(0)
	ds_bpermute_b32 v10, v18, v27
	s_waitcnt lgkmcnt(0)
	s_waitcnt_vscnt null, 0x0
	s_barrier
	buffer_gl0_inv
	v_add_f32_e32 v10, v27, v10
	ds_bpermute_b32 v11, v19, v10
	s_waitcnt lgkmcnt(0)
	v_add_f32_e32 v10, v10, v11
	ds_bpermute_b32 v11, v20, v10
	s_waitcnt lgkmcnt(0)
	;; [unrolled: 3-line block ×3, first 2 shown]
	v_add_f32_e32 v10, v10, v11
	ds_bpermute_b32 v11, v24, v10
	s_and_saveexec_b32 s6, s3
	s_cbranch_execz .LBB396_65
; %bb.64:                               ;   in Loop: Header=BB396_59 Depth=1
	s_waitcnt lgkmcnt(0)
	v_add_f32_e32 v10, v10, v11
	ds_write_b32 v25, v10
.LBB396_65:                             ;   in Loop: Header=BB396_59 Depth=1
	s_or_b32 exec_lo, exec_lo, s6
	v_mov_b32_e32 v10, 0
	s_waitcnt lgkmcnt(0)
	s_barrier
	buffer_gl0_inv
	s_and_saveexec_b32 s6, s4
	s_cbranch_execnz .LBB396_77
; %bb.66:                               ;   in Loop: Header=BB396_59 Depth=1
	s_or_b32 exec_lo, exec_lo, s6
	s_and_saveexec_b32 s6, s2
	s_cbranch_execnz .LBB396_78
.LBB396_67:                             ;   in Loop: Header=BB396_59 Depth=1
	s_or_b32 exec_lo, exec_lo, s6
	s_and_saveexec_b32 s6, s5
	s_cbranch_execz .LBB396_58
	s_branch .LBB396_79
.LBB396_68:                             ;   in Loop: Header=BB396_59 Depth=1
	s_mul_i32 s8, s11, s10
	s_ashr_i32 s9, s8, 31
	s_lshl_b64 s[8:9], s[8:9], 1
	v_add_co_u32 v1, vcc_lo, v22, s8
	v_add_co_ci_u32_e64 v2, null, s9, v23, vcc_lo
	s_waitcnt lgkmcnt(0)
	global_load_dwordx2 v[10:11], v[1:2], off
	s_clause 0x3
	global_load_ushort v1, v[5:6], off
	global_load_ushort v2, v[7:8], off
	;; [unrolled: 1-line block ×4, first 2 shown]
	s_waitcnt vmcnt(3)
	v_fma_mix_f32 v4, v1, v10, 0 op_sel_hi:[1,1,0]
	v_cvt_f32_f16_e32 v1, v1
	s_waitcnt vmcnt(2)
	v_fma_mix_f32 v4, v2, v10, v4 op_sel:[0,1,0] op_sel_hi:[1,1,0]
	v_cvt_f32_f16_e32 v2, v2
	s_waitcnt vmcnt(1)
	v_fma_mix_f32 v10, v3, v11, v4 op_sel_hi:[1,1,0]
	v_cvt_f32_f16_e32 v3, v3
	s_waitcnt vmcnt(0)
	v_cvt_f32_f16_e32 v4, v27
	v_fma_mix_f32 v27, v27, v11, v10 op_sel:[0,1,0] op_sel_hi:[1,1,0]
	s_andn2_saveexec_b32 s20, s6
	s_cbranch_execz .LBB396_61
.LBB396_69:                             ;   in Loop: Header=BB396_59 Depth=1
	s_and_saveexec_b32 s21, s1
	s_cbranch_execz .LBB396_76
; %bb.70:                               ;   in Loop: Header=BB396_59 Depth=1
	s_andn2_b32 vcc_lo, exec_lo, s16
	s_cbranch_vccnz .LBB396_73
; %bb.71:                               ;   in Loop: Header=BB396_59 Depth=1
	s_waitcnt lgkmcnt(0)
	v_mov_b32_e32 v10, v9
	s_mov_b64 s[14:15], 0
	.p2align	6
.LBB396_72:                             ;   Parent Loop BB396_59 Depth=1
                                        ; =>  This Inner Loop Header: Depth=2
	v_ashrrev_i32_e32 v11, 31, v10
	s_cmp_eq_u32 s14, 3
	v_lshlrev_b64 v[28:29], 1, v[10:11]
	v_add_nc_u32_e32 v10, s19, v10
	v_add_co_u32 v28, vcc_lo, s31, v28
	v_add_co_ci_u32_e64 v29, null, s33, v29, vcc_lo
	s_cselect_b32 vcc_lo, -1, 0
	s_cmp_eq_u32 s14, 2
	s_cselect_b32 s6, -1, 0
	global_load_ushort v11, v[28:29], off
	s_cmp_eq_u32 s14, 1
	s_cselect_b32 s8, -1, 0
	s_cmp_eq_u32 s14, 0
	s_waitcnt vmcnt(0)
	v_cvt_f32_f16_e32 v11, v11
	v_cndmask_b32_e32 v4, v4, v11, vcc_lo
	s_cselect_b32 vcc_lo, -1, 0
	v_cndmask_b32_e64 v3, v3, v11, s6
	v_cndmask_b32_e64 v2, v2, v11, s8
	v_cndmask_b32_e32 v1, v1, v11, vcc_lo
	s_add_u32 s14, s14, 1
	s_addc_u32 s15, s15, 0
	s_cmp_eq_u32 s34, s14
	s_cbranch_scc0 .LBB396_72
.LBB396_73:                             ;   in Loop: Header=BB396_59 Depth=1
	s_andn2_b32 vcc_lo, exec_lo, s16
	s_cbranch_vccnz .LBB396_76
; %bb.74:                               ;   in Loop: Header=BB396_59 Depth=1
	s_ashr_i32 s13, s12, 31
	s_lshl_b64 s[8:9], s[12:13], 1
	s_waitcnt lgkmcnt(0)
	v_add_co_u32 v10, vcc_lo, v0, s8
	v_add_co_ci_u32_e64 v11, null, s9, v12, vcc_lo
	s_mov_b64 s[8:9], 0
	.p2align	6
.LBB396_75:                             ;   Parent Loop BB396_59 Depth=1
                                        ; =>  This Inner Loop Header: Depth=2
	global_load_ushort v28, v[10:11], off
	s_cmp_eq_u32 s8, 1
	s_cselect_b32 vcc_lo, -1, 0
	s_cmp_eq_u32 s8, 2
	v_cndmask_b32_e32 v29, v1, v2, vcc_lo
	s_cselect_b32 vcc_lo, -1, 0
	s_cmp_eq_u32 s8, 3
	v_cndmask_b32_e32 v29, v29, v3, vcc_lo
	s_cselect_b32 vcc_lo, -1, 0
	s_add_u32 s8, s8, 1
	s_addc_u32 s9, s9, 0
	s_cmp_lg_u32 s34, s8
	v_cndmask_b32_e32 v29, v29, v4, vcc_lo
	v_add_co_u32 v10, vcc_lo, v10, 2
	v_add_co_ci_u32_e64 v11, null, 0, v11, vcc_lo
	s_waitcnt vmcnt(0)
	v_fma_mix_f32 v27, v29, v28, v27 op_sel_hi:[0,1,0]
	s_cbranch_scc1 .LBB396_75
.LBB396_76:                             ;   in Loop: Header=BB396_59 Depth=1
	s_or_b32 exec_lo, exec_lo, s21
	s_or_b32 exec_lo, exec_lo, s20
	s_and_saveexec_b32 s6, s2
	s_cbranch_execnz .LBB396_62
	s_branch .LBB396_63
.LBB396_77:                             ;   in Loop: Header=BB396_59 Depth=1
	ds_read_b32 v10, v17
	s_or_b32 exec_lo, exec_lo, s6
	s_and_saveexec_b32 s6, s2
	s_cbranch_execz .LBB396_67
.LBB396_78:                             ;   in Loop: Header=BB396_59 Depth=1
	s_waitcnt lgkmcnt(0)
	ds_bpermute_b32 v11, v20, v10
	s_waitcnt lgkmcnt(0)
	v_add_f32_e32 v10, v10, v11
	ds_bpermute_b32 v11, v21, v10
	s_waitcnt lgkmcnt(0)
	v_add_f32_e32 v10, v10, v11
	;; [unrolled: 3-line block ×3, first 2 shown]
	s_or_b32 exec_lo, exec_lo, s6
	s_and_saveexec_b32 s6, s5
	s_cbranch_execz .LBB396_58
.LBB396_79:                             ;   in Loop: Header=BB396_59 Depth=1
	s_mul_hi_u32 s9, s11, s18
	s_mul_i32 s8, s11, s18
	s_waitcnt lgkmcnt(0)
	v_mul_f32_e32 v10, s30, v10
	s_lshl_b64 s[8:9], s[8:9], 2
	s_add_u32 s8, s22, s8
	s_addc_u32 s9, s23, s9
	global_store_dword v26, v10, s[8:9]
	s_branch .LBB396_58
.LBB396_80:
	s_endpgm
	.section	.rodata,"a",@progbits
	.p2align	6, 0x0
	.amdhsa_kernel _ZL23rocblas_gemvt_sn_kernelILb0ELi256ELi4EiDF16_PKffEviiT4_lPKT3_lilS5_lilPT5_i
		.amdhsa_group_segment_fixed_size 128
		.amdhsa_private_segment_fixed_size 0
		.amdhsa_kernarg_size 360
		.amdhsa_user_sgpr_count 6
		.amdhsa_user_sgpr_private_segment_buffer 1
		.amdhsa_user_sgpr_dispatch_ptr 0
		.amdhsa_user_sgpr_queue_ptr 0
		.amdhsa_user_sgpr_kernarg_segment_ptr 1
		.amdhsa_user_sgpr_dispatch_id 0
		.amdhsa_user_sgpr_flat_scratch_init 0
		.amdhsa_user_sgpr_private_segment_size 0
		.amdhsa_wavefront_size32 1
		.amdhsa_uses_dynamic_stack 0
		.amdhsa_system_sgpr_private_segment_wavefront_offset 0
		.amdhsa_system_sgpr_workgroup_id_x 1
		.amdhsa_system_sgpr_workgroup_id_y 0
		.amdhsa_system_sgpr_workgroup_id_z 1
		.amdhsa_system_sgpr_workgroup_info 0
		.amdhsa_system_vgpr_workitem_id 0
		.amdhsa_next_free_vgpr 48
		.amdhsa_next_free_sgpr 50
		.amdhsa_reserve_vcc 1
		.amdhsa_reserve_flat_scratch 0
		.amdhsa_float_round_mode_32 0
		.amdhsa_float_round_mode_16_64 0
		.amdhsa_float_denorm_mode_32 3
		.amdhsa_float_denorm_mode_16_64 3
		.amdhsa_dx10_clamp 1
		.amdhsa_ieee_mode 1
		.amdhsa_fp16_overflow 0
		.amdhsa_workgroup_processor_mode 1
		.amdhsa_memory_ordered 1
		.amdhsa_forward_progress 1
		.amdhsa_shared_vgpr_count 0
		.amdhsa_exception_fp_ieee_invalid_op 0
		.amdhsa_exception_fp_denorm_src 0
		.amdhsa_exception_fp_ieee_div_zero 0
		.amdhsa_exception_fp_ieee_overflow 0
		.amdhsa_exception_fp_ieee_underflow 0
		.amdhsa_exception_fp_ieee_inexact 0
		.amdhsa_exception_int_div_zero 0
	.end_amdhsa_kernel
	.section	.text._ZL23rocblas_gemvt_sn_kernelILb0ELi256ELi4EiDF16_PKffEviiT4_lPKT3_lilS5_lilPT5_i,"axG",@progbits,_ZL23rocblas_gemvt_sn_kernelILb0ELi256ELi4EiDF16_PKffEviiT4_lPKT3_lilS5_lilPT5_i,comdat
.Lfunc_end396:
	.size	_ZL23rocblas_gemvt_sn_kernelILb0ELi256ELi4EiDF16_PKffEviiT4_lPKT3_lilS5_lilPT5_i, .Lfunc_end396-_ZL23rocblas_gemvt_sn_kernelILb0ELi256ELi4EiDF16_PKffEviiT4_lPKT3_lilS5_lilPT5_i
                                        ; -- End function
	.set _ZL23rocblas_gemvt_sn_kernelILb0ELi256ELi4EiDF16_PKffEviiT4_lPKT3_lilS5_lilPT5_i.num_vgpr, 48
	.set _ZL23rocblas_gemvt_sn_kernelILb0ELi256ELi4EiDF16_PKffEviiT4_lPKT3_lilS5_lilPT5_i.num_agpr, 0
	.set _ZL23rocblas_gemvt_sn_kernelILb0ELi256ELi4EiDF16_PKffEviiT4_lPKT3_lilS5_lilPT5_i.numbered_sgpr, 50
	.set _ZL23rocblas_gemvt_sn_kernelILb0ELi256ELi4EiDF16_PKffEviiT4_lPKT3_lilS5_lilPT5_i.num_named_barrier, 0
	.set _ZL23rocblas_gemvt_sn_kernelILb0ELi256ELi4EiDF16_PKffEviiT4_lPKT3_lilS5_lilPT5_i.private_seg_size, 0
	.set _ZL23rocblas_gemvt_sn_kernelILb0ELi256ELi4EiDF16_PKffEviiT4_lPKT3_lilS5_lilPT5_i.uses_vcc, 1
	.set _ZL23rocblas_gemvt_sn_kernelILb0ELi256ELi4EiDF16_PKffEviiT4_lPKT3_lilS5_lilPT5_i.uses_flat_scratch, 0
	.set _ZL23rocblas_gemvt_sn_kernelILb0ELi256ELi4EiDF16_PKffEviiT4_lPKT3_lilS5_lilPT5_i.has_dyn_sized_stack, 0
	.set _ZL23rocblas_gemvt_sn_kernelILb0ELi256ELi4EiDF16_PKffEviiT4_lPKT3_lilS5_lilPT5_i.has_recursion, 0
	.set _ZL23rocblas_gemvt_sn_kernelILb0ELi256ELi4EiDF16_PKffEviiT4_lPKT3_lilS5_lilPT5_i.has_indirect_call, 0
	.section	.AMDGPU.csdata,"",@progbits
; Kernel info:
; codeLenInByte = 4268
; TotalNumSgprs: 52
; NumVgprs: 48
; ScratchSize: 0
; MemoryBound: 0
; FloatMode: 240
; IeeeMode: 1
; LDSByteSize: 128 bytes/workgroup (compile time only)
; SGPRBlocks: 0
; VGPRBlocks: 5
; NumSGPRsForWavesPerEU: 52
; NumVGPRsForWavesPerEU: 48
; Occupancy: 16
; WaveLimiterHint : 1
; COMPUTE_PGM_RSRC2:SCRATCH_EN: 0
; COMPUTE_PGM_RSRC2:USER_SGPR: 6
; COMPUTE_PGM_RSRC2:TRAP_HANDLER: 0
; COMPUTE_PGM_RSRC2:TGID_X_EN: 1
; COMPUTE_PGM_RSRC2:TGID_Y_EN: 0
; COMPUTE_PGM_RSRC2:TGID_Z_EN: 1
; COMPUTE_PGM_RSRC2:TIDIG_COMP_CNT: 0
	.section	.text._ZL23rocblas_gemvt_sn_kernelILb0ELi256ELi4ElDF16_PKffEviiT4_lPKT3_lilS5_lilPT5_i,"axG",@progbits,_ZL23rocblas_gemvt_sn_kernelILb0ELi256ELi4ElDF16_PKffEviiT4_lPKT3_lilS5_lilPT5_i,comdat
	.globl	_ZL23rocblas_gemvt_sn_kernelILb0ELi256ELi4ElDF16_PKffEviiT4_lPKT3_lilS5_lilPT5_i ; -- Begin function _ZL23rocblas_gemvt_sn_kernelILb0ELi256ELi4ElDF16_PKffEviiT4_lPKT3_lilS5_lilPT5_i
	.p2align	8
	.type	_ZL23rocblas_gemvt_sn_kernelILb0ELi256ELi4ElDF16_PKffEviiT4_lPKT3_lilS5_lilPT5_i,@function
_ZL23rocblas_gemvt_sn_kernelILb0ELi256ELi4ElDF16_PKffEviiT4_lPKT3_lilS5_lilPT5_i: ; @_ZL23rocblas_gemvt_sn_kernelILb0ELi256ELi4ElDF16_PKffEviiT4_lPKT3_lilS5_lilPT5_i
; %bb.0:
	s_clause 0x2
	s_load_dwordx8 s[8:15], s[4:5], 0x8
	s_load_dwordx2 s[20:21], s[4:5], 0x0
	s_load_dword s22, s[4:5], 0x68
	s_mov_b32 s23, 0
	s_waitcnt lgkmcnt(0)
	s_mul_i32 s1, s11, s7
	s_mul_hi_u32 s2, s10, s7
	s_mul_i32 s0, s10, s7
	s_add_i32 s1, s2, s1
	s_mul_i32 s2, s21, s7
	s_lshl_b64 s[0:1], s[0:1], 2
	s_add_u32 s0, s8, s0
	s_addc_u32 s1, s9, s1
	s_load_dword s33, s[0:1], 0x0
	s_load_dwordx4 s[16:19], s[4:5], 0x50
	s_ashr_i32 s30, s21, 31
	s_mul_hi_u32 s0, s21, s7
	s_mul_i32 s1, s30, s7
	s_add_i32 s0, s0, s1
	s_mul_hi_u32 s1, s2, s22
	s_mul_i32 s3, s0, s22
	s_mul_i32 s0, s2, s22
	s_add_i32 s1, s1, s3
	s_lshl_b64 s[0:1], s[0:1], 2
	s_waitcnt lgkmcnt(0)
	v_cmp_neq_f32_e64 s2, s33, 0
	s_add_u32 s42, s18, s0
	v_cmp_eq_u32_e64 s0, 0, v0
	s_addc_u32 s43, s19, s1
	s_and_b32 vcc_lo, exec_lo, s2
	s_cbranch_vccnz .LBB397_5
; %bb.1:
	s_cmp_gt_i32 s21, 0
	s_cselect_b32 s1, -1, 0
	s_and_b32 s0, s0, s1
	s_and_saveexec_b32 s8, s0
	s_cbranch_execz .LBB397_4
; %bb.2:
	s_mov_b32 s0, s7
	s_mov_b32 s7, 0
	v_mov_b32_e32 v1, 0
	s_lshl_b64 s[2:3], s[6:7], 2
	s_mov_b32 s7, s0
	s_add_u32 s0, s42, s2
	s_addc_u32 s1, s43, s3
	s_lshl_b64 s[2:3], s[22:23], 2
	s_mov_b32 s9, s21
.LBB397_3:                              ; =>This Inner Loop Header: Depth=1
	s_add_i32 s9, s9, -1
	global_store_dword v1, v1, s[0:1]
	s_add_u32 s0, s0, s2
	s_addc_u32 s1, s1, s3
	s_cmp_eq_u32 s9, 0
	s_cbranch_scc0 .LBB397_3
.LBB397_4:
	s_or_b32 exec_lo, exec_lo, s8
	s_cbranch_execz .LBB397_6
	s_branch .LBB397_80
.LBB397_5:
.LBB397_6:
	s_clause 0x3
	s_load_dword s18, s[4:5], 0x28
	s_load_dword s24, s[4:5], 0x48
	s_load_dwordx4 s[8:11], s[4:5], 0x30
	s_load_dwordx2 s[0:1], s[4:5], 0x40
	s_mul_i32 s3, s17, s7
	s_mul_hi_u32 s4, s16, s7
	s_mul_i32 s2, s16, s7
	s_add_i32 s3, s4, s3
	v_and_b32_e32 v26, 31, v0
	s_lshl_b64 s[16:17], s[2:3], 1
	v_mbcnt_lo_u32_b32 v29, -1, 0
	v_lshrrev_b32_e32 v31, 3, v0
	s_waitcnt lgkmcnt(0)
	s_ashr_i32 s19, s18, 31
	s_ashr_i32 s25, s24, 31
	s_add_u32 s5, s10, s16
	s_mul_i32 s3, s9, s7
	s_addc_u32 s9, s11, s17
	s_lshl_b64 s[28:29], s[0:1], 1
	s_mul_hi_u32 s4, s8, s7
	s_add_u32 s44, s5, s28
	s_mul_i32 s2, s8, s7
	s_addc_u32 s45, s9, s29
	s_add_i32 s3, s4, s3
	v_cmp_gt_u32_e64 s0, 32, v0
	s_lshl_b64 s[26:27], s[2:3], 1
	v_cmp_gt_u32_e64 s1, 8, v0
	s_add_u32 s2, s12, s26
	s_addc_u32 s3, s13, s27
	s_lshl_b64 s[14:15], s[14:15], 1
	s_add_u32 s2, s2, s14
	s_addc_u32 s3, s3, s15
	s_lshl_b32 s4, s6, 10
	s_ashr_i32 s5, s20, 31
	v_lshl_or_b32 v13, v0, 2, s4
	s_lshr_b32 s4, s30, 30
	s_lshr_b32 s5, s5, 30
	s_add_i32 s4, s21, s4
	s_add_i32 s5, s20, s5
	v_ashrrev_i32_e32 v14, 31, v13
	s_and_b32 s46, s4, -4
	s_and_b32 s4, s5, -4
	v_add_nc_u32_e32 v32, 4, v13
	s_sub_i32 s23, s20, s4
	v_lshlrev_b64 v[11:12], 1, v[13:14]
	v_or_b32_e32 v30, 1, v13
	v_or_b32_e32 v28, 2, v13
	v_add_nc_u32_e32 v33, s23, v13
	v_or_b32_e32 v27, 3, v13
	s_cmp_lt_i32 s46, 1
	v_add_co_u32 v9, vcc_lo, s2, v11
	v_add_co_ci_u32_e64 v10, null, s3, v12, vcc_lo
	s_cbranch_scc1 .LBB397_55
; %bb.7:
	v_cmp_gt_u32_e32 vcc_lo, 24, v29
	v_mad_i64_i32 v[5:6], null, s24, v28, 0
	v_mad_i64_i32 v[7:8], null, s24, v27, 0
	v_cndmask_b32_e64 v1, 0, 8, vcc_lo
	v_cmp_gt_u32_e32 vcc_lo, 28, v29
	s_cmp_gt_i32 s23, 0
	s_mov_b32 s7, 0
	v_lshlrev_b64 v[5:6], 1, v[5:6]
	v_add_lshl_u32 v35, v1, v29, 2
	v_cndmask_b32_e64 v2, 0, 4, vcc_lo
	v_cmp_gt_u32_e32 vcc_lo, 30, v29
	s_cselect_b32 s47, -1, 0
	s_lshl_b64 s[8:9], s[6:7], 2
	v_mov_b32_e32 v25, v10
	v_add_lshl_u32 v36, v2, v29, 2
	v_cndmask_b32_e64 v3, 0, 2, vcc_lo
	v_cmp_ne_u32_e32 vcc_lo, 31, v29
	v_mad_i64_i32 v[1:2], null, s24, v13, 0
	s_add_u32 s48, s42, s8
	v_add_lshl_u32 v37, v3, v29, 2
	v_add_co_ci_u32_e64 v4, null, 0, v29, vcc_lo
	s_addc_u32 s49, s43, s9
	s_add_u32 s8, s10, s28
	v_lshlrev_b64 v[1:2], 1, v[1:2]
	v_lshlrev_b32_e32 v38, 2, v4
	v_mad_i64_i32 v[3:4], null, s24, v30, 0
	s_addc_u32 s9, s11, s29
	s_add_u32 s8, s8, s16
	v_add_co_u32 v14, vcc_lo, s44, v1
	v_add_co_ci_u32_e64 v15, null, s45, v2, vcc_lo
	v_lshlrev_b64 v[3:4], 1, v[3:4]
	s_addc_u32 s9, s9, s17
	v_cmp_ge_i32_e64 s2, s20, v32
	v_cmp_ge_i32_e64 s3, s20, v33
	v_lshl_or_b32 v34, v29, 2, 64
	v_cmp_eq_u32_e64 s4, 0, v26
	v_add_co_u32 v16, vcc_lo, s44, v3
	v_add_co_ci_u32_e64 v17, null, s45, v4, vcc_lo
	v_lshlrev_b64 v[3:4], 1, v[7:8]
	v_add_co_u32 v18, vcc_lo, s44, v5
	v_mov_b32_e32 v5, 0
	v_add_co_ci_u32_e64 v19, null, s45, v6, vcc_lo
	v_add_co_u32 v20, vcc_lo, s44, v3
	v_mov_b32_e32 v6, v5
	v_mov_b32_e32 v7, v5
	;; [unrolled: 1-line block ×3, first 2 shown]
	v_add_co_ci_u32_e64 v21, null, s45, v4, vcc_lo
	v_add_co_u32 v22, vcc_lo, s8, v1
	v_add_co_ci_u32_e64 v23, null, s9, v2, vcc_lo
	v_mov_b32_e32 v1, v5
	v_lshlrev_b32_e32 v39, 2, v26
	v_and_b32_e32 v40, 28, v31
	v_cmp_eq_u32_e64 s5, 0, v0
	v_mov_b32_e32 v24, v9
	v_mov_b32_e32 v2, v6
	;; [unrolled: 1-line block ×4, first 2 shown]
	s_lshl_b64 s[30:31], s[24:25], 1
	s_lshl_b64 s[34:35], s[18:19], 3
	;; [unrolled: 1-line block ×4, first 2 shown]
	s_mul_hi_i32 s50, s18, 6
	s_mul_i32 s51, s18, 6
	s_branch .LBB397_9
.LBB397_8:                              ;   in Loop: Header=BB397_9 Depth=1
	s_or_b32 exec_lo, exec_lo, s8
	v_add_co_u32 v24, vcc_lo, v24, s34
	v_add_co_ci_u32_e64 v25, null, s35, v25, vcc_lo
	s_add_i32 s7, s7, 4
	s_cmp_ge_i32 s7, s46
	s_cbranch_scc1 .LBB397_56
.LBB397_9:                              ; =>This Loop Header: Depth=1
                                        ;     Child Loop BB397_40 Depth 2
                                        ;     Child Loop BB397_43 Depth 2
                                        ; implicit-def: $vgpr8
                                        ; implicit-def: $vgpr41
                                        ; implicit-def: $vgpr42
                                        ; implicit-def: $vgpr43
	s_and_saveexec_b32 s8, s2
	s_xor_b32 s8, exec_lo, s8
	s_cbranch_execnz .LBB397_36
; %bb.10:                               ;   in Loop: Header=BB397_9 Depth=1
	s_andn2_saveexec_b32 s52, s8
	s_cbranch_execnz .LBB397_37
.LBB397_11:                             ;   in Loop: Header=BB397_9 Depth=1
	s_or_b32 exec_lo, exec_lo, s52
	s_and_saveexec_b32 s8, s0
.LBB397_12:                             ;   in Loop: Header=BB397_9 Depth=1
	ds_write_b32 v39, v5
.LBB397_13:                             ;   in Loop: Header=BB397_9 Depth=1
	s_or_b32 exec_lo, exec_lo, s8
	ds_bpermute_b32 v6, v34, v43
	s_waitcnt lgkmcnt(0)
	s_waitcnt_vscnt null, 0x0
	s_barrier
	buffer_gl0_inv
	v_add_f32_e32 v6, v43, v6
	ds_bpermute_b32 v7, v35, v6
	s_waitcnt lgkmcnt(0)
	v_add_f32_e32 v6, v6, v7
	ds_bpermute_b32 v7, v36, v6
	s_waitcnt lgkmcnt(0)
	;; [unrolled: 3-line block ×3, first 2 shown]
	v_add_f32_e32 v6, v6, v7
	ds_bpermute_b32 v7, v38, v6
	s_and_saveexec_b32 s8, s4
	s_cbranch_execz .LBB397_15
; %bb.14:                               ;   in Loop: Header=BB397_9 Depth=1
	s_waitcnt lgkmcnt(0)
	v_add_f32_e32 v6, v6, v7
	ds_write_b32 v40, v6
.LBB397_15:                             ;   in Loop: Header=BB397_9 Depth=1
	s_or_b32 exec_lo, exec_lo, s8
	v_mov_b32_e32 v6, 0
	s_waitcnt lgkmcnt(0)
	s_barrier
	buffer_gl0_inv
	s_and_saveexec_b32 s8, s1
	s_cbranch_execnz .LBB397_44
; %bb.16:                               ;   in Loop: Header=BB397_9 Depth=1
	s_or_b32 exec_lo, exec_lo, s8
	s_and_saveexec_b32 s8, s0
	s_cbranch_execnz .LBB397_45
.LBB397_17:                             ;   in Loop: Header=BB397_9 Depth=1
	s_or_b32 exec_lo, exec_lo, s8
	s_and_saveexec_b32 s8, s0
.LBB397_18:                             ;   in Loop: Header=BB397_9 Depth=1
	ds_write_b32 v39, v5
.LBB397_19:                             ;   in Loop: Header=BB397_9 Depth=1
	s_or_b32 exec_lo, exec_lo, s8
	ds_bpermute_b32 v7, v34, v42
	s_waitcnt lgkmcnt(0)
	s_barrier
	buffer_gl0_inv
	v_add_f32_e32 v7, v42, v7
	ds_bpermute_b32 v42, v35, v7
	s_waitcnt lgkmcnt(0)
	v_add_f32_e32 v7, v7, v42
	ds_bpermute_b32 v42, v36, v7
	s_waitcnt lgkmcnt(0)
	;; [unrolled: 3-line block ×3, first 2 shown]
	v_add_f32_e32 v7, v7, v42
	ds_bpermute_b32 v42, v38, v7
	s_and_saveexec_b32 s8, s4
	s_cbranch_execz .LBB397_21
; %bb.20:                               ;   in Loop: Header=BB397_9 Depth=1
	s_waitcnt lgkmcnt(0)
	v_add_f32_e32 v7, v7, v42
	ds_write_b32 v40, v7
.LBB397_21:                             ;   in Loop: Header=BB397_9 Depth=1
	s_or_b32 exec_lo, exec_lo, s8
	v_mov_b32_e32 v7, 0
	s_waitcnt lgkmcnt(0)
	s_barrier
	buffer_gl0_inv
	s_and_saveexec_b32 s8, s1
	s_cbranch_execnz .LBB397_46
; %bb.22:                               ;   in Loop: Header=BB397_9 Depth=1
	s_or_b32 exec_lo, exec_lo, s8
	s_and_saveexec_b32 s8, s0
	s_cbranch_execnz .LBB397_47
.LBB397_23:                             ;   in Loop: Header=BB397_9 Depth=1
	s_or_b32 exec_lo, exec_lo, s8
	s_and_saveexec_b32 s8, s0
.LBB397_24:                             ;   in Loop: Header=BB397_9 Depth=1
	ds_write_b32 v39, v5
.LBB397_25:                             ;   in Loop: Header=BB397_9 Depth=1
	s_or_b32 exec_lo, exec_lo, s8
	ds_bpermute_b32 v42, v34, v41
	s_waitcnt lgkmcnt(0)
	s_barrier
	buffer_gl0_inv
	v_add_f32_e32 v41, v41, v42
	ds_bpermute_b32 v42, v35, v41
	s_waitcnt lgkmcnt(0)
	v_add_f32_e32 v41, v41, v42
	ds_bpermute_b32 v42, v36, v41
	s_waitcnt lgkmcnt(0)
	;; [unrolled: 3-line block ×3, first 2 shown]
	v_add_f32_e32 v41, v41, v42
	ds_bpermute_b32 v42, v38, v41
	s_and_saveexec_b32 s8, s4
	s_cbranch_execz .LBB397_27
; %bb.26:                               ;   in Loop: Header=BB397_9 Depth=1
	s_waitcnt lgkmcnt(0)
	v_add_f32_e32 v41, v41, v42
	ds_write_b32 v40, v41
.LBB397_27:                             ;   in Loop: Header=BB397_9 Depth=1
	s_or_b32 exec_lo, exec_lo, s8
	v_mov_b32_e32 v41, 0
	s_waitcnt lgkmcnt(0)
	s_barrier
	buffer_gl0_inv
	s_and_saveexec_b32 s8, s1
	s_cbranch_execnz .LBB397_48
; %bb.28:                               ;   in Loop: Header=BB397_9 Depth=1
	s_or_b32 exec_lo, exec_lo, s8
	s_and_saveexec_b32 s8, s0
	s_cbranch_execnz .LBB397_49
.LBB397_29:                             ;   in Loop: Header=BB397_9 Depth=1
	s_or_b32 exec_lo, exec_lo, s8
	s_and_saveexec_b32 s8, s0
.LBB397_30:                             ;   in Loop: Header=BB397_9 Depth=1
	ds_write_b32 v39, v5
.LBB397_31:                             ;   in Loop: Header=BB397_9 Depth=1
	s_or_b32 exec_lo, exec_lo, s8
	ds_bpermute_b32 v42, v34, v8
	s_waitcnt lgkmcnt(0)
	s_barrier
	buffer_gl0_inv
	v_add_f32_e32 v8, v8, v42
	ds_bpermute_b32 v42, v35, v8
	s_waitcnt lgkmcnt(0)
	v_add_f32_e32 v8, v8, v42
	ds_bpermute_b32 v42, v36, v8
	s_waitcnt lgkmcnt(0)
	;; [unrolled: 3-line block ×3, first 2 shown]
	v_add_f32_e32 v8, v8, v42
	ds_bpermute_b32 v42, v38, v8
	s_and_saveexec_b32 s8, s4
	s_cbranch_execz .LBB397_33
; %bb.32:                               ;   in Loop: Header=BB397_9 Depth=1
	s_waitcnt lgkmcnt(0)
	v_add_f32_e32 v8, v8, v42
	ds_write_b32 v40, v8
.LBB397_33:                             ;   in Loop: Header=BB397_9 Depth=1
	s_or_b32 exec_lo, exec_lo, s8
	v_mov_b32_e32 v8, 0
	s_waitcnt lgkmcnt(0)
	s_barrier
	buffer_gl0_inv
	s_and_saveexec_b32 s8, s1
	s_cbranch_execnz .LBB397_50
; %bb.34:                               ;   in Loop: Header=BB397_9 Depth=1
	s_or_b32 exec_lo, exec_lo, s8
	s_and_saveexec_b32 s8, s0
	s_cbranch_execnz .LBB397_51
.LBB397_35:                             ;   in Loop: Header=BB397_9 Depth=1
	s_or_b32 exec_lo, exec_lo, s8
	s_and_saveexec_b32 s8, s5
	s_cbranch_execz .LBB397_8
	s_branch .LBB397_52
.LBB397_36:                             ;   in Loop: Header=BB397_9 Depth=1
	s_mul_i32 s9, s7, s19
	s_mul_hi_u32 s40, s7, s18
	s_add_i32 s41, s40, s9
	s_mul_i32 s40, s7, s18
	s_or_b32 s9, s7, 1
	s_lshl_b64 s[40:41], s[40:41], 1
	s_mul_i32 s52, s9, s19
	s_mul_hi_u32 s53, s9, s18
	v_add_co_u32 v1, vcc_lo, v9, s40
	v_add_co_ci_u32_e64 v2, null, s41, v10, vcc_lo
	s_add_i32 s41, s53, s52
	s_mul_i32 s40, s9, s18
	s_or_b32 s9, s7, 2
	s_lshl_b64 s[40:41], s[40:41], 1
	s_mul_i32 s52, s9, s19
	s_mul_hi_u32 s53, s9, s18
	v_add_co_u32 v3, vcc_lo, v9, s40
	v_add_co_ci_u32_e64 v4, null, s41, v10, vcc_lo
	s_add_i32 s41, s53, s52
	s_or_b32 s52, s7, 3
	s_mul_i32 s40, s9, s18
	s_mul_i32 s9, s52, s19
	s_mul_hi_u32 s53, s52, s18
	s_lshl_b64 s[40:41], s[40:41], 1
	s_add_i32 s53, s53, s9
	s_mul_i32 s52, s52, s18
	v_add_co_u32 v6, vcc_lo, v9, s40
	v_add_co_ci_u32_e64 v7, null, s41, v10, vcc_lo
	s_lshl_b64 s[40:41], s[52:53], 1
	v_add_co_u32 v41, vcc_lo, v9, s40
	v_add_co_ci_u32_e64 v42, null, s41, v10, vcc_lo
	s_waitcnt lgkmcnt(0)
	global_load_ushort v8, v[14:15], off
	s_clause 0x3
	global_load_dwordx2 v[43:44], v[1:2], off
	global_load_dwordx2 v[45:46], v[3:4], off
	;; [unrolled: 1-line block ×4, first 2 shown]
	s_clause 0x2
	global_load_ushort v3, v[16:17], off
	global_load_ushort v4, v[18:19], off
	;; [unrolled: 1-line block ×3, first 2 shown]
	s_waitcnt vmcnt(7)
	v_cvt_f32_f16_e32 v1, v8
	s_waitcnt vmcnt(6)
	v_fma_mix_f32 v41, v8, v43, 0 op_sel_hi:[1,1,0]
	s_waitcnt vmcnt(5)
	v_fma_mix_f32 v42, v8, v45, 0 op_sel_hi:[1,1,0]
	;; [unrolled: 2-line block ×4, first 2 shown]
	s_waitcnt vmcnt(2)
	v_cvt_f32_f16_e32 v2, v3
	v_fma_mix_f32 v41, v3, v43, v41 op_sel:[0,1,0] op_sel_hi:[1,1,0]
	v_fma_mix_f32 v42, v3, v45, v42 op_sel:[0,1,0] op_sel_hi:[1,1,0]
	;; [unrolled: 1-line block ×4, first 2 shown]
	s_waitcnt vmcnt(1)
	v_cvt_f32_f16_e32 v3, v4
	v_fma_mix_f32 v41, v4, v44, v41 op_sel_hi:[1,1,0]
	v_fma_mix_f32 v42, v4, v46, v42 op_sel_hi:[1,1,0]
	;; [unrolled: 1-line block ×4, first 2 shown]
	s_waitcnt vmcnt(0)
	v_cvt_f32_f16_e32 v4, v49
	v_fma_mix_f32 v43, v49, v44, v41 op_sel:[0,1,0] op_sel_hi:[1,1,0]
	v_fma_mix_f32 v42, v49, v46, v42 op_sel:[0,1,0] op_sel_hi:[1,1,0]
	;; [unrolled: 1-line block ×4, first 2 shown]
	s_andn2_saveexec_b32 s52, s8
	s_cbranch_execz .LBB397_11
.LBB397_37:                             ;   in Loop: Header=BB397_9 Depth=1
	s_waitcnt lgkmcnt(0)
	v_mov_b32_e32 v8, 0
	v_mov_b32_e32 v41, 0
	;; [unrolled: 1-line block ×4, first 2 shown]
	s_and_saveexec_b32 s53, s3
	s_cbranch_execz .LBB397_54
; %bb.38:                               ;   in Loop: Header=BB397_9 Depth=1
	s_andn2_b32 vcc_lo, exec_lo, s47
	s_cbranch_vccnz .LBB397_41
; %bb.39:                               ;   in Loop: Header=BB397_9 Depth=1
	v_mov_b32_e32 v6, v22
	v_mov_b32_e32 v7, v23
	s_mov_b64 s[40:41], 0
	.p2align	6
.LBB397_40:                             ;   Parent Loop BB397_9 Depth=1
                                        ; =>  This Inner Loop Header: Depth=2
	global_load_ushort v8, v[6:7], off
	s_cmp_eq_u32 s40, 3
	v_add_co_u32 v6, vcc_lo, v6, s30
	v_add_co_ci_u32_e64 v7, null, s31, v7, vcc_lo
	s_cselect_b32 vcc_lo, -1, 0
	s_cmp_eq_u32 s40, 2
	s_cselect_b32 s8, -1, 0
	s_cmp_eq_u32 s40, 1
	s_cselect_b32 s9, -1, 0
	s_cmp_eq_u32 s40, 0
	s_waitcnt vmcnt(0)
	v_cvt_f32_f16_e32 v8, v8
	v_cndmask_b32_e32 v4, v4, v8, vcc_lo
	s_cselect_b32 vcc_lo, -1, 0
	v_cndmask_b32_e64 v3, v3, v8, s8
	v_cndmask_b32_e64 v2, v2, v8, s9
	v_cndmask_b32_e32 v1, v1, v8, vcc_lo
	s_add_u32 s40, s40, 1
	s_addc_u32 s41, s41, 0
	s_cmp_eq_u32 s23, s40
	s_cbranch_scc0 .LBB397_40
.LBB397_41:                             ;   in Loop: Header=BB397_9 Depth=1
	s_andn2_b32 vcc_lo, exec_lo, s47
	s_cbranch_vccnz .LBB397_53
; %bb.42:                               ;   in Loop: Header=BB397_9 Depth=1
	v_mov_b32_e32 v6, v24
	v_mov_b32_e32 v43, 0
	;; [unrolled: 1-line block ×6, first 2 shown]
	s_mov_b64 s[40:41], 0
	s_inst_prefetch 0x1
	.p2align	6
.LBB397_43:                             ;   Parent Loop BB397_9 Depth=1
                                        ; =>  This Inner Loop Header: Depth=2
	v_add_co_u32 v44, vcc_lo, v6, s36
	v_add_co_ci_u32_e64 v45, null, s37, v7, vcc_lo
	v_add_co_u32 v46, vcc_lo, v6, s38
	v_add_co_ci_u32_e64 v47, null, s39, v7, vcc_lo
	;; [unrolled: 2-line block ×3, first 2 shown]
	s_clause 0x3
	global_load_ushort v50, v[6:7], off
	global_load_ushort v44, v[44:45], off
	;; [unrolled: 1-line block ×4, first 2 shown]
	s_cmp_eq_u32 s40, 1
	v_add_co_u32 v6, s8, v6, 2
	s_cselect_b32 vcc_lo, -1, 0
	s_cmp_eq_u32 s40, 2
	v_cndmask_b32_e32 v47, v1, v2, vcc_lo
	s_cselect_b32 vcc_lo, -1, 0
	s_cmp_eq_u32 s40, 3
	v_add_co_ci_u32_e64 v7, null, 0, v7, s8
	v_cndmask_b32_e32 v47, v47, v3, vcc_lo
	s_cselect_b32 vcc_lo, -1, 0
	s_add_u32 s40, s40, 1
	s_addc_u32 s41, s41, 0
	s_cmp_lg_u32 s23, s40
	v_cndmask_b32_e32 v47, v47, v4, vcc_lo
	s_waitcnt vmcnt(3)
	v_fma_mix_f32 v43, v47, v50, v43 op_sel_hi:[0,1,0]
	s_waitcnt vmcnt(2)
	v_fma_mix_f32 v42, v47, v44, v42 op_sel_hi:[0,1,0]
	;; [unrolled: 2-line block ×4, first 2 shown]
	s_cbranch_scc1 .LBB397_43
	s_branch .LBB397_54
.LBB397_44:                             ;   in Loop: Header=BB397_9 Depth=1
	ds_read_b32 v6, v39
	s_or_b32 exec_lo, exec_lo, s8
	s_and_saveexec_b32 s8, s0
	s_cbranch_execz .LBB397_17
.LBB397_45:                             ;   in Loop: Header=BB397_9 Depth=1
	s_waitcnt lgkmcnt(0)
	ds_bpermute_b32 v7, v36, v6
	s_waitcnt lgkmcnt(0)
	v_add_f32_e32 v6, v6, v7
	ds_bpermute_b32 v7, v37, v6
	s_waitcnt lgkmcnt(0)
	v_add_f32_e32 v6, v6, v7
	;; [unrolled: 3-line block ×3, first 2 shown]
	s_or_b32 exec_lo, exec_lo, s8
	s_and_saveexec_b32 s8, s0
	s_cbranch_execnz .LBB397_18
	s_branch .LBB397_19
.LBB397_46:                             ;   in Loop: Header=BB397_9 Depth=1
	ds_read_b32 v7, v39
	s_or_b32 exec_lo, exec_lo, s8
	s_and_saveexec_b32 s8, s0
	s_cbranch_execz .LBB397_23
.LBB397_47:                             ;   in Loop: Header=BB397_9 Depth=1
	s_waitcnt lgkmcnt(0)
	ds_bpermute_b32 v42, v36, v7
	s_waitcnt lgkmcnt(0)
	v_add_f32_e32 v7, v7, v42
	ds_bpermute_b32 v42, v37, v7
	s_waitcnt lgkmcnt(0)
	v_add_f32_e32 v7, v7, v42
	;; [unrolled: 3-line block ×3, first 2 shown]
	s_or_b32 exec_lo, exec_lo, s8
	s_and_saveexec_b32 s8, s0
	s_cbranch_execnz .LBB397_24
	s_branch .LBB397_25
.LBB397_48:                             ;   in Loop: Header=BB397_9 Depth=1
	ds_read_b32 v41, v39
	s_or_b32 exec_lo, exec_lo, s8
	s_and_saveexec_b32 s8, s0
	s_cbranch_execz .LBB397_29
.LBB397_49:                             ;   in Loop: Header=BB397_9 Depth=1
	s_waitcnt lgkmcnt(0)
	ds_bpermute_b32 v42, v36, v41
	s_waitcnt lgkmcnt(0)
	v_add_f32_e32 v41, v41, v42
	ds_bpermute_b32 v42, v37, v41
	s_waitcnt lgkmcnt(0)
	v_add_f32_e32 v41, v41, v42
	ds_bpermute_b32 v42, v38, v41
	s_waitcnt lgkmcnt(0)
	v_add_f32_e32 v41, v41, v42
	s_or_b32 exec_lo, exec_lo, s8
	s_and_saveexec_b32 s8, s0
	s_cbranch_execnz .LBB397_30
	s_branch .LBB397_31
.LBB397_50:                             ;   in Loop: Header=BB397_9 Depth=1
	ds_read_b32 v8, v39
	s_or_b32 exec_lo, exec_lo, s8
	s_and_saveexec_b32 s8, s0
	s_cbranch_execz .LBB397_35
.LBB397_51:                             ;   in Loop: Header=BB397_9 Depth=1
	s_waitcnt lgkmcnt(0)
	ds_bpermute_b32 v42, v36, v8
	s_waitcnt lgkmcnt(0)
	v_add_f32_e32 v8, v8, v42
	ds_bpermute_b32 v42, v37, v8
	s_waitcnt lgkmcnt(0)
	v_add_f32_e32 v8, v8, v42
	;; [unrolled: 3-line block ×3, first 2 shown]
	s_or_b32 exec_lo, exec_lo, s8
	s_and_saveexec_b32 s8, s5
	s_cbranch_execz .LBB397_8
.LBB397_52:                             ;   in Loop: Header=BB397_9 Depth=1
	s_mul_hi_u32 s41, s7, s22
	s_mul_i32 s40, s7, s22
	v_mul_f32_e32 v6, s33, v6
	s_lshl_b64 s[40:41], s[40:41], 2
	v_mul_f32_e32 v7, s33, v7
	s_add_u32 s40, s48, s40
	s_addc_u32 s41, s49, s41
	s_or_b32 s9, s7, 1
	global_store_dword v5, v6, s[40:41]
	s_mul_hi_u32 s53, s9, s22
	s_mul_i32 s52, s9, s22
	v_mul_f32_e32 v6, s33, v41
	s_lshl_b64 s[52:53], s[52:53], 2
	s_waitcnt lgkmcnt(0)
	v_mul_f32_e32 v8, s33, v8
	s_add_u32 s52, s48, s52
	s_addc_u32 s53, s49, s53
	s_or_b32 s9, s7, 2
	global_store_dword v5, v7, s[52:53]
	s_mul_hi_u32 s55, s9, s22
	s_mul_i32 s54, s9, s22
	s_lshl_b64 s[54:55], s[54:55], 2
	s_add_u32 s40, s48, s54
	s_addc_u32 s41, s49, s55
	s_or_b32 s9, s7, 3
	s_mul_hi_u32 s55, s9, s22
	s_mul_i32 s54, s9, s22
	s_lshl_b64 s[54:55], s[54:55], 2
	s_add_u32 s52, s48, s54
	s_addc_u32 s53, s49, s55
	global_store_dword v5, v6, s[40:41]
	global_store_dword v5, v8, s[52:53]
	s_branch .LBB397_8
.LBB397_53:                             ;   in Loop: Header=BB397_9 Depth=1
	v_mov_b32_e32 v8, 0
	v_mov_b32_e32 v41, 0
	;; [unrolled: 1-line block ×4, first 2 shown]
.LBB397_54:                             ;   in Loop: Header=BB397_9 Depth=1
	s_inst_prefetch 0x2
	s_or_b32 exec_lo, exec_lo, s53
	s_or_b32 exec_lo, exec_lo, s52
	s_and_saveexec_b32 s8, s0
	s_cbranch_execnz .LBB397_12
	s_branch .LBB397_13
.LBB397_55:
	v_mov_b32_e32 v1, 0
	s_mov_b32 s7, 0
	v_mov_b32_e32 v2, v1
	v_mov_b32_e32 v3, v1
	;; [unrolled: 1-line block ×3, first 2 shown]
.LBB397_56:
	s_cmp_ge_i32 s7, s21
	s_cbranch_scc1 .LBB397_80
; %bb.57:
	v_cmp_gt_u32_e32 vcc_lo, 24, v29
	v_lshl_or_b32 v22, v29, 2, 64
	v_mad_i64_i32 v[15:16], null, s24, v27, 0
	s_cmp_gt_i32 s23, 0
	v_cndmask_b32_e64 v5, 0, 8, vcc_lo
	v_cmp_gt_u32_e32 vcc_lo, 28, v29
	s_mov_b32 s9, 0
	s_mov_b32 s8, s6
	v_cmp_ge_i32_e64 s0, s20, v32
	v_add_lshl_u32 v23, v5, v29, 2
	v_cndmask_b32_e64 v6, 0, 4, vcc_lo
	v_cmp_gt_u32_e32 vcc_lo, 30, v29
	v_cmp_ge_i32_e64 s1, s20, v33
	s_cselect_b32 s20, -1, 0
	s_lshl_b64 s[30:31], s[8:9], 2
	v_add_lshl_u32 v24, v6, v29, 2
	v_cndmask_b32_e64 v7, 0, 2, vcc_lo
	v_cmp_ne_u32_e32 vcc_lo, 31, v29
	v_mad_i64_i32 v[5:6], null, s24, v13, 0
	v_mad_i64_i32 v[13:14], null, s24, v28, 0
	s_waitcnt lgkmcnt(0)
	v_add_co_ci_u32_e64 v8, null, 0, v29, vcc_lo
	v_add_lshl_u32 v25, v7, v29, 2
	s_add_u32 s30, s42, s30
	v_lshlrev_b64 v[17:18], 1, v[5:6]
	v_lshlrev_b32_e32 v29, 2, v8
	v_mad_i64_i32 v[7:8], null, s24, v30, 0
	v_lshlrev_b64 v[13:14], 1, v[13:14]
	v_lshlrev_b64 v[15:16], 1, v[15:16]
	v_add_co_u32 v5, vcc_lo, s44, v17
	s_addc_u32 s31, s43, s31
	v_add_co_ci_u32_e64 v6, null, s45, v18, vcc_lo
	v_lshlrev_b64 v[7:8], 1, v[7:8]
	s_add_u32 s6, s10, s28
	s_addc_u32 s8, s11, s29
	s_mul_i32 s10, s19, s7
	s_mul_hi_u32 s11, s18, s7
	s_add_u32 s6, s6, s16
	v_add_co_u32 v7, vcc_lo, s44, v7
	v_add_co_ci_u32_e64 v8, null, s45, v8, vcc_lo
	v_add_co_u32 v13, vcc_lo, s44, v13
	s_addc_u32 s8, s8, s17
	s_add_i32 s11, s11, s10
	s_mul_i32 s10, s18, s7
	v_add_co_ci_u32_e64 v14, null, s45, v14, vcc_lo
	v_add_co_u32 v15, vcc_lo, s44, v15
	s_lshl_b64 s[16:17], s[10:11], 1
	v_add_co_ci_u32_e64 v16, null, s45, v16, vcc_lo
	v_add_co_u32 v17, vcc_lo, s6, v17
	s_lshl_b64 s[10:11], s[24:25], 1
	s_add_u32 s6, s26, s16
	v_add_co_ci_u32_e64 v18, null, s8, v18, vcc_lo
	s_addc_u32 s8, s27, s17
	s_add_u32 s6, s6, s14
	s_addc_u32 s8, s8, s15
	s_add_u32 s6, s12, s6
	s_addc_u32 s8, s13, s8
	v_add_co_u32 v11, vcc_lo, s6, v11
	v_cmp_gt_u32_e64 s2, 32, v0
	v_lshlrev_b32_e32 v21, 2, v26
	v_cmp_eq_u32_e64 s3, 0, v26
	v_and_b32_e32 v26, 28, v31
	v_cmp_gt_u32_e64 s4, 8, v0
	v_cmp_eq_u32_e64 s5, 0, v0
	v_add_co_ci_u32_e64 v12, null, s8, v12, vcc_lo
	v_mov_b32_e32 v0, 0
	s_lshl_b64 s[12:13], s[18:19], 1
	s_branch .LBB397_59
.LBB397_58:                             ;   in Loop: Header=BB397_59 Depth=1
	s_or_b32 exec_lo, exec_lo, s6
	v_add_co_u32 v11, vcc_lo, v11, s12
	v_add_co_ci_u32_e64 v12, null, s13, v12, vcc_lo
	s_add_i32 s7, s7, 1
	s_cmp_ge_i32 s7, s21
	s_cbranch_scc1 .LBB397_80
.LBB397_59:                             ; =>This Loop Header: Depth=1
                                        ;     Child Loop BB397_72 Depth 2
                                        ;     Child Loop BB397_75 Depth 2
	v_mov_b32_e32 v27, s9
	s_and_saveexec_b32 s6, s0
	s_xor_b32 s6, exec_lo, s6
	s_cbranch_execnz .LBB397_68
; %bb.60:                               ;   in Loop: Header=BB397_59 Depth=1
	s_andn2_saveexec_b32 s16, s6
	s_cbranch_execnz .LBB397_69
.LBB397_61:                             ;   in Loop: Header=BB397_59 Depth=1
	s_or_b32 exec_lo, exec_lo, s16
	s_and_saveexec_b32 s6, s2
.LBB397_62:                             ;   in Loop: Header=BB397_59 Depth=1
	ds_write_b32 v21, v0
.LBB397_63:                             ;   in Loop: Header=BB397_59 Depth=1
	s_or_b32 exec_lo, exec_lo, s6
	s_waitcnt lgkmcnt(0)
	ds_bpermute_b32 v19, v22, v27
	s_waitcnt lgkmcnt(0)
	s_waitcnt_vscnt null, 0x0
	s_barrier
	buffer_gl0_inv
	v_add_f32_e32 v19, v27, v19
	ds_bpermute_b32 v20, v23, v19
	s_waitcnt lgkmcnt(0)
	v_add_f32_e32 v19, v19, v20
	ds_bpermute_b32 v20, v24, v19
	s_waitcnt lgkmcnt(0)
	;; [unrolled: 3-line block ×3, first 2 shown]
	v_add_f32_e32 v19, v19, v20
	ds_bpermute_b32 v20, v29, v19
	s_and_saveexec_b32 s6, s3
	s_cbranch_execz .LBB397_65
; %bb.64:                               ;   in Loop: Header=BB397_59 Depth=1
	s_waitcnt lgkmcnt(0)
	v_add_f32_e32 v19, v19, v20
	ds_write_b32 v26, v19
.LBB397_65:                             ;   in Loop: Header=BB397_59 Depth=1
	s_or_b32 exec_lo, exec_lo, s6
	v_mov_b32_e32 v19, 0
	s_waitcnt lgkmcnt(0)
	s_barrier
	buffer_gl0_inv
	s_and_saveexec_b32 s6, s4
	s_cbranch_execnz .LBB397_77
; %bb.66:                               ;   in Loop: Header=BB397_59 Depth=1
	s_or_b32 exec_lo, exec_lo, s6
	s_and_saveexec_b32 s6, s2
	s_cbranch_execnz .LBB397_78
.LBB397_67:                             ;   in Loop: Header=BB397_59 Depth=1
	s_or_b32 exec_lo, exec_lo, s6
	s_and_saveexec_b32 s6, s5
	s_cbranch_execz .LBB397_58
	s_branch .LBB397_79
.LBB397_68:                             ;   in Loop: Header=BB397_59 Depth=1
	s_mul_i32 s8, s7, s19
	s_mul_hi_u32 s15, s7, s18
	s_mul_i32 s14, s7, s18
	s_add_i32 s15, s15, s8
	s_lshl_b64 s[14:15], s[14:15], 1
	v_add_co_u32 v1, vcc_lo, v9, s14
	v_add_co_ci_u32_e64 v2, null, s15, v10, vcc_lo
	s_waitcnt lgkmcnt(0)
	global_load_dwordx2 v[19:20], v[1:2], off
	s_clause 0x3
	global_load_ushort v1, v[5:6], off
	global_load_ushort v2, v[7:8], off
	;; [unrolled: 1-line block ×4, first 2 shown]
	s_waitcnt vmcnt(3)
	v_fma_mix_f32 v4, v1, v19, 0 op_sel_hi:[1,1,0]
	v_cvt_f32_f16_e32 v1, v1
	s_waitcnt vmcnt(2)
	v_fma_mix_f32 v4, v2, v19, v4 op_sel:[0,1,0] op_sel_hi:[1,1,0]
	v_cvt_f32_f16_e32 v2, v2
	s_waitcnt vmcnt(1)
	v_fma_mix_f32 v19, v3, v20, v4 op_sel_hi:[1,1,0]
	v_cvt_f32_f16_e32 v3, v3
	s_waitcnt vmcnt(0)
	v_cvt_f32_f16_e32 v4, v27
	v_fma_mix_f32 v27, v27, v20, v19 op_sel:[0,1,0] op_sel_hi:[1,1,0]
	s_andn2_saveexec_b32 s16, s6
	s_cbranch_execz .LBB397_61
.LBB397_69:                             ;   in Loop: Header=BB397_59 Depth=1
	s_and_saveexec_b32 s17, s1
	s_cbranch_execz .LBB397_76
; %bb.70:                               ;   in Loop: Header=BB397_59 Depth=1
	s_andn2_b32 vcc_lo, exec_lo, s20
	s_cbranch_vccnz .LBB397_73
; %bb.71:                               ;   in Loop: Header=BB397_59 Depth=1
	s_waitcnt lgkmcnt(0)
	v_mov_b32_e32 v20, v18
	v_mov_b32_e32 v19, v17
	s_mov_b64 s[14:15], 0
	.p2align	6
.LBB397_72:                             ;   Parent Loop BB397_59 Depth=1
                                        ; =>  This Inner Loop Header: Depth=2
	global_load_ushort v28, v[19:20], off
	s_cmp_eq_u32 s14, 3
	v_add_co_u32 v19, vcc_lo, v19, s10
	v_add_co_ci_u32_e64 v20, null, s11, v20, vcc_lo
	s_cselect_b32 vcc_lo, -1, 0
	s_cmp_eq_u32 s14, 2
	s_cselect_b32 s6, -1, 0
	s_cmp_eq_u32 s14, 1
	s_cselect_b32 s8, -1, 0
	s_cmp_eq_u32 s14, 0
	s_waitcnt vmcnt(0)
	v_cvt_f32_f16_e32 v28, v28
	v_cndmask_b32_e32 v4, v4, v28, vcc_lo
	s_cselect_b32 vcc_lo, -1, 0
	v_cndmask_b32_e64 v3, v3, v28, s6
	v_cndmask_b32_e64 v2, v2, v28, s8
	v_cndmask_b32_e32 v1, v1, v28, vcc_lo
	s_add_u32 s14, s14, 1
	s_addc_u32 s15, s15, 0
	s_cmp_eq_u32 s23, s14
	s_cbranch_scc0 .LBB397_72
.LBB397_73:                             ;   in Loop: Header=BB397_59 Depth=1
	s_andn2_b32 vcc_lo, exec_lo, s20
	s_cbranch_vccnz .LBB397_76
; %bb.74:                               ;   in Loop: Header=BB397_59 Depth=1
	s_waitcnt lgkmcnt(0)
	v_mov_b32_e32 v20, v12
	v_mov_b32_e32 v19, v11
	s_mov_b64 s[14:15], 0
	.p2align	6
.LBB397_75:                             ;   Parent Loop BB397_59 Depth=1
                                        ; =>  This Inner Loop Header: Depth=2
	global_load_ushort v28, v[19:20], off
	s_cmp_eq_u32 s14, 1
	s_cselect_b32 vcc_lo, -1, 0
	s_cmp_eq_u32 s14, 2
	v_cndmask_b32_e32 v30, v1, v2, vcc_lo
	s_cselect_b32 vcc_lo, -1, 0
	s_cmp_eq_u32 s14, 3
	v_cndmask_b32_e32 v30, v30, v3, vcc_lo
	s_cselect_b32 vcc_lo, -1, 0
	s_add_u32 s14, s14, 1
	s_addc_u32 s15, s15, 0
	s_cmp_lg_u32 s23, s14
	v_cndmask_b32_e32 v30, v30, v4, vcc_lo
	v_add_co_u32 v19, vcc_lo, v19, 2
	v_add_co_ci_u32_e64 v20, null, 0, v20, vcc_lo
	s_waitcnt vmcnt(0)
	v_fma_mix_f32 v27, v30, v28, v27 op_sel_hi:[0,1,0]
	s_cbranch_scc1 .LBB397_75
.LBB397_76:                             ;   in Loop: Header=BB397_59 Depth=1
	s_or_b32 exec_lo, exec_lo, s17
	s_or_b32 exec_lo, exec_lo, s16
	s_and_saveexec_b32 s6, s2
	s_cbranch_execnz .LBB397_62
	s_branch .LBB397_63
.LBB397_77:                             ;   in Loop: Header=BB397_59 Depth=1
	ds_read_b32 v19, v21
	s_or_b32 exec_lo, exec_lo, s6
	s_and_saveexec_b32 s6, s2
	s_cbranch_execz .LBB397_67
.LBB397_78:                             ;   in Loop: Header=BB397_59 Depth=1
	s_waitcnt lgkmcnt(0)
	ds_bpermute_b32 v20, v24, v19
	s_waitcnt lgkmcnt(0)
	v_add_f32_e32 v19, v19, v20
	ds_bpermute_b32 v20, v25, v19
	s_waitcnt lgkmcnt(0)
	v_add_f32_e32 v19, v19, v20
	;; [unrolled: 3-line block ×3, first 2 shown]
	s_or_b32 exec_lo, exec_lo, s6
	s_and_saveexec_b32 s6, s5
	s_cbranch_execz .LBB397_58
.LBB397_79:                             ;   in Loop: Header=BB397_59 Depth=1
	s_mul_hi_u32 s15, s7, s22
	s_mul_i32 s14, s7, s22
	s_waitcnt lgkmcnt(0)
	v_mul_f32_e32 v19, s33, v19
	s_lshl_b64 s[14:15], s[14:15], 2
	s_add_u32 s14, s30, s14
	s_addc_u32 s15, s31, s15
	global_store_dword v0, v19, s[14:15]
	s_branch .LBB397_58
.LBB397_80:
	s_endpgm
	.section	.rodata,"a",@progbits
	.p2align	6, 0x0
	.amdhsa_kernel _ZL23rocblas_gemvt_sn_kernelILb0ELi256ELi4ElDF16_PKffEviiT4_lPKT3_lilS5_lilPT5_i
		.amdhsa_group_segment_fixed_size 128
		.amdhsa_private_segment_fixed_size 0
		.amdhsa_kernarg_size 360
		.amdhsa_user_sgpr_count 6
		.amdhsa_user_sgpr_private_segment_buffer 1
		.amdhsa_user_sgpr_dispatch_ptr 0
		.amdhsa_user_sgpr_queue_ptr 0
		.amdhsa_user_sgpr_kernarg_segment_ptr 1
		.amdhsa_user_sgpr_dispatch_id 0
		.amdhsa_user_sgpr_flat_scratch_init 0
		.amdhsa_user_sgpr_private_segment_size 0
		.amdhsa_wavefront_size32 1
		.amdhsa_uses_dynamic_stack 0
		.amdhsa_system_sgpr_private_segment_wavefront_offset 0
		.amdhsa_system_sgpr_workgroup_id_x 1
		.amdhsa_system_sgpr_workgroup_id_y 0
		.amdhsa_system_sgpr_workgroup_id_z 1
		.amdhsa_system_sgpr_workgroup_info 0
		.amdhsa_system_vgpr_workitem_id 0
		.amdhsa_next_free_vgpr 51
		.amdhsa_next_free_sgpr 56
		.amdhsa_reserve_vcc 1
		.amdhsa_reserve_flat_scratch 0
		.amdhsa_float_round_mode_32 0
		.amdhsa_float_round_mode_16_64 0
		.amdhsa_float_denorm_mode_32 3
		.amdhsa_float_denorm_mode_16_64 3
		.amdhsa_dx10_clamp 1
		.amdhsa_ieee_mode 1
		.amdhsa_fp16_overflow 0
		.amdhsa_workgroup_processor_mode 1
		.amdhsa_memory_ordered 1
		.amdhsa_forward_progress 1
		.amdhsa_shared_vgpr_count 0
		.amdhsa_exception_fp_ieee_invalid_op 0
		.amdhsa_exception_fp_denorm_src 0
		.amdhsa_exception_fp_ieee_div_zero 0
		.amdhsa_exception_fp_ieee_overflow 0
		.amdhsa_exception_fp_ieee_underflow 0
		.amdhsa_exception_fp_ieee_inexact 0
		.amdhsa_exception_int_div_zero 0
	.end_amdhsa_kernel
	.section	.text._ZL23rocblas_gemvt_sn_kernelILb0ELi256ELi4ElDF16_PKffEviiT4_lPKT3_lilS5_lilPT5_i,"axG",@progbits,_ZL23rocblas_gemvt_sn_kernelILb0ELi256ELi4ElDF16_PKffEviiT4_lPKT3_lilS5_lilPT5_i,comdat
.Lfunc_end397:
	.size	_ZL23rocblas_gemvt_sn_kernelILb0ELi256ELi4ElDF16_PKffEviiT4_lPKT3_lilS5_lilPT5_i, .Lfunc_end397-_ZL23rocblas_gemvt_sn_kernelILb0ELi256ELi4ElDF16_PKffEviiT4_lPKT3_lilS5_lilPT5_i
                                        ; -- End function
	.set _ZL23rocblas_gemvt_sn_kernelILb0ELi256ELi4ElDF16_PKffEviiT4_lPKT3_lilS5_lilPT5_i.num_vgpr, 51
	.set _ZL23rocblas_gemvt_sn_kernelILb0ELi256ELi4ElDF16_PKffEviiT4_lPKT3_lilS5_lilPT5_i.num_agpr, 0
	.set _ZL23rocblas_gemvt_sn_kernelILb0ELi256ELi4ElDF16_PKffEviiT4_lPKT3_lilS5_lilPT5_i.numbered_sgpr, 56
	.set _ZL23rocblas_gemvt_sn_kernelILb0ELi256ELi4ElDF16_PKffEviiT4_lPKT3_lilS5_lilPT5_i.num_named_barrier, 0
	.set _ZL23rocblas_gemvt_sn_kernelILb0ELi256ELi4ElDF16_PKffEviiT4_lPKT3_lilS5_lilPT5_i.private_seg_size, 0
	.set _ZL23rocblas_gemvt_sn_kernelILb0ELi256ELi4ElDF16_PKffEviiT4_lPKT3_lilS5_lilPT5_i.uses_vcc, 1
	.set _ZL23rocblas_gemvt_sn_kernelILb0ELi256ELi4ElDF16_PKffEviiT4_lPKT3_lilS5_lilPT5_i.uses_flat_scratch, 0
	.set _ZL23rocblas_gemvt_sn_kernelILb0ELi256ELi4ElDF16_PKffEviiT4_lPKT3_lilS5_lilPT5_i.has_dyn_sized_stack, 0
	.set _ZL23rocblas_gemvt_sn_kernelILb0ELi256ELi4ElDF16_PKffEviiT4_lPKT3_lilS5_lilPT5_i.has_recursion, 0
	.set _ZL23rocblas_gemvt_sn_kernelILb0ELi256ELi4ElDF16_PKffEviiT4_lPKT3_lilS5_lilPT5_i.has_indirect_call, 0
	.section	.AMDGPU.csdata,"",@progbits
; Kernel info:
; codeLenInByte = 4332
; TotalNumSgprs: 58
; NumVgprs: 51
; ScratchSize: 0
; MemoryBound: 0
; FloatMode: 240
; IeeeMode: 1
; LDSByteSize: 128 bytes/workgroup (compile time only)
; SGPRBlocks: 0
; VGPRBlocks: 6
; NumSGPRsForWavesPerEU: 58
; NumVGPRsForWavesPerEU: 51
; Occupancy: 16
; WaveLimiterHint : 1
; COMPUTE_PGM_RSRC2:SCRATCH_EN: 0
; COMPUTE_PGM_RSRC2:USER_SGPR: 6
; COMPUTE_PGM_RSRC2:TRAP_HANDLER: 0
; COMPUTE_PGM_RSRC2:TGID_X_EN: 1
; COMPUTE_PGM_RSRC2:TGID_Y_EN: 0
; COMPUTE_PGM_RSRC2:TGID_Z_EN: 1
; COMPUTE_PGM_RSRC2:TIDIG_COMP_CNT: 0
	.section	.text._ZL23rocblas_gemvt_sn_reduceILi256ELi8EfPKfDF16_EviT2_lPT3_lilPT1_i,"axG",@progbits,_ZL23rocblas_gemvt_sn_reduceILi256ELi8EfPKfDF16_EviT2_lPT3_lilPT1_i,comdat
	.globl	_ZL23rocblas_gemvt_sn_reduceILi256ELi8EfPKfDF16_EviT2_lPT3_lilPT1_i ; -- Begin function _ZL23rocblas_gemvt_sn_reduceILi256ELi8EfPKfDF16_EviT2_lPT3_lilPT1_i
	.p2align	8
	.type	_ZL23rocblas_gemvt_sn_reduceILi256ELi8EfPKfDF16_EviT2_lPT3_lilPT1_i,@function
_ZL23rocblas_gemvt_sn_reduceILi256ELi8EfPKfDF16_EviT2_lPT3_lilPT1_i: ; @_ZL23rocblas_gemvt_sn_reduceILi256ELi8EfPKfDF16_EviT2_lPT3_lilPT1_i
; %bb.0:
	s_clause 0x2
	s_load_dwordx8 s[12:19], s[4:5], 0x8
	s_load_dword s9, s[4:5], 0x0
	s_load_dword s10, s[4:5], 0x4c
	v_lshlrev_b32_e32 v4, 3, v0
	v_mov_b32_e32 v3, 0
	s_waitcnt lgkmcnt(0)
	s_mul_i32 s0, s15, s8
	s_mul_hi_u32 s1, s14, s8
	s_ashr_i32 s11, s9, 31
	s_add_i32 s1, s1, s0
	s_mul_i32 s0, s14, s8
	s_mul_i32 s10, s10, s8
	s_lshl_b64 s[0:1], s[0:1], 2
	s_mov_b32 s14, 0
	s_add_u32 s0, s12, s0
	s_addc_u32 s1, s13, s1
	s_load_dwordx2 s[2:3], s[4:5], 0x38
	s_load_dword s6, s[0:1], 0x0
	s_add_u32 s0, s4, 0x48
	s_addc_u32 s1, s5, 0
	s_add_i32 s10, s10, s7
	s_lshr_b32 s12, s11, 29
	s_mul_i32 s11, s10, s11
	s_add_i32 s12, s9, s12
	s_mul_hi_u32 s13, s10, s9
	s_and_b32 s12, s12, -8
	s_add_i32 s11, s13, s11
	s_mul_i32 s10, s10, s9
	s_mov_b32 s13, exec_lo
	v_cmpx_gt_i32_e64 s12, v4
	s_cbranch_execz .LBB398_4
; %bb.1:
	s_load_dword s0, s[0:1], 0xc
	v_lshlrev_b32_e32 v1, 5, v0
	s_lshl_b64 s[20:21], s[10:11], 2
	v_mov_b32_e32 v3, 0
	s_waitcnt lgkmcnt(0)
	s_and_b32 s0, s0, 0xffff
	s_lshl_b32 s1, s0, 3
	s_add_u32 s15, s2, s20
	s_addc_u32 s20, s3, s21
	v_add_co_u32 v1, s15, s15, v1
	v_add_co_ci_u32_e64 v2, null, s20, 0, s15
	s_lshl_b32 s15, s0, 5
	v_add_co_u32 v1, vcc_lo, v1, 28
	v_add_co_ci_u32_e64 v2, null, 0, v2, vcc_lo
	.p2align	6
.LBB398_2:                              ; =>This Inner Loop Header: Depth=1
	s_clause 0x1
	global_load_dwordx4 v[5:8], v[1:2], off offset:-28
	global_load_dwordx4 v[9:12], v[1:2], off offset:-12
	v_add_nc_u32_e32 v4, s1, v4
	v_add_co_u32 v1, vcc_lo, v1, s15
	v_add_co_ci_u32_e64 v2, null, 0, v2, vcc_lo
	v_cmp_le_i32_e64 s0, s12, v4
	s_or_b32 s14, s0, s14
	s_waitcnt vmcnt(1)
	v_add_f32_e32 v3, v3, v5
	v_add_f32_e32 v3, v3, v6
	;; [unrolled: 1-line block ×4, first 2 shown]
	s_waitcnt vmcnt(0)
	v_add_f32_e32 v3, v3, v9
	v_add_f32_e32 v3, v3, v10
	;; [unrolled: 1-line block ×4, first 2 shown]
	s_andn2_b32 exec_lo, exec_lo, s14
	s_cbranch_execnz .LBB398_2
; %bb.3:
	s_or_b32 exec_lo, exec_lo, s14
.LBB398_4:
	s_or_b32 exec_lo, exec_lo, s13
	s_sub_i32 s0, s9, s12
	v_cmp_gt_u32_e32 vcc_lo, s0, v0
	s_and_saveexec_b32 s0, vcc_lo
	s_cbranch_execz .LBB398_6
; %bb.5:
	v_xad_u32 v1, v0, -1, s9
	v_mov_b32_e32 v2, 0
	s_lshl_b64 s[10:11], s[10:11], 2
	s_waitcnt lgkmcnt(0)
	s_add_u32 s1, s2, s10
	s_addc_u32 s2, s3, s11
	v_lshlrev_b64 v[1:2], 2, v[1:2]
	v_add_co_u32 v1, vcc_lo, s1, v1
	v_add_co_ci_u32_e64 v2, null, s2, v2, vcc_lo
	global_load_dword v1, v[1:2], off
	s_waitcnt vmcnt(0)
	v_add_f32_e32 v3, v3, v1
.LBB398_6:
	s_or_b32 exec_lo, exec_lo, s0
	v_and_b32_e32 v1, 31, v0
	v_cmp_gt_u32_e32 vcc_lo, 32, v0
	v_lshlrev_b32_e32 v2, 2, v1
	s_and_saveexec_b32 s0, vcc_lo
; %bb.7:
	v_mov_b32_e32 v4, 0
	ds_write_b32 v2, v4
; %bb.8:
	s_or_b32 exec_lo, exec_lo, s0
	v_mbcnt_lo_u32_b32 v5, -1, 0
	s_mov_b32 s1, exec_lo
	s_waitcnt lgkmcnt(0)
	s_barrier
	buffer_gl0_inv
	v_lshl_or_b32 v4, v5, 2, 64
	v_cmp_gt_u32_e64 s0, 24, v5
	ds_bpermute_b32 v4, v4, v3
	v_cndmask_b32_e64 v6, 0, 8, s0
	v_cmp_gt_u32_e64 s0, 28, v5
	v_add_lshl_u32 v6, v6, v5, 2
	s_waitcnt lgkmcnt(0)
	v_add_f32_e32 v4, v3, v4
	v_cndmask_b32_e64 v3, 0, 4, s0
	v_cmp_gt_u32_e64 s0, 30, v5
	ds_bpermute_b32 v6, v6, v4
	v_add_lshl_u32 v3, v3, v5, 2
	s_waitcnt lgkmcnt(0)
	v_add_f32_e32 v6, v4, v6
	v_cndmask_b32_e64 v4, 0, 2, s0
	v_cmp_ne_u32_e64 s0, 31, v5
	ds_bpermute_b32 v7, v3, v6
	v_add_lshl_u32 v4, v4, v5, 2
	v_add_co_ci_u32_e64 v5, null, 0, v5, s0
	v_lshlrev_b32_e32 v5, 2, v5
	s_waitcnt lgkmcnt(0)
	v_add_f32_e32 v6, v6, v7
	ds_bpermute_b32 v7, v4, v6
	s_waitcnt lgkmcnt(0)
	v_add_f32_e32 v6, v6, v7
	ds_bpermute_b32 v7, v5, v6
	v_cmpx_eq_u32_e32 0, v1
	s_cbranch_execz .LBB398_10
; %bb.9:
	v_lshrrev_b32_e32 v1, 3, v0
	s_waitcnt lgkmcnt(0)
	v_add_f32_e32 v6, v6, v7
	v_and_b32_e32 v1, 28, v1
	ds_write_b32 v1, v6
.LBB398_10:
	s_or_b32 exec_lo, exec_lo, s1
	v_mov_b32_e32 v1, 0
	s_mov_b32 s1, exec_lo
	s_waitcnt lgkmcnt(0)
	s_barrier
	buffer_gl0_inv
	v_cmpx_gt_u32_e32 8, v0
; %bb.11:
	ds_read_b32 v1, v2
; %bb.12:
	s_or_b32 exec_lo, exec_lo, s1
	s_and_saveexec_b32 s0, vcc_lo
	s_cbranch_execz .LBB398_14
; %bb.13:
	s_waitcnt lgkmcnt(0)
	ds_bpermute_b32 v2, v3, v1
	s_waitcnt lgkmcnt(0)
	v_add_f32_e32 v1, v1, v2
	ds_bpermute_b32 v2, v4, v1
	s_waitcnt lgkmcnt(0)
	v_add_f32_e32 v1, v1, v2
	;; [unrolled: 3-line block ×3, first 2 shown]
.LBB398_14:
	s_or_b32 exec_lo, exec_lo, s0
	s_mov_b32 s0, exec_lo
	v_cmpx_eq_u32_e32 0, v0
	s_cbranch_execz .LBB398_18
; %bb.15:
	s_clause 0x1
	s_load_dwordx2 s[0:1], s[4:5], 0x30
	s_load_dword s4, s[4:5], 0x28
	v_cmp_eq_f32_e64 s5, s6, 0
	s_waitcnt lgkmcnt(0)
	s_mul_i32 s1, s1, s8
	s_mul_hi_u32 s2, s0, s8
	s_mul_i32 s0, s0, s8
	s_add_i32 s1, s2, s1
	s_ashr_i32 s2, s4, 31
	s_lshl_b64 s[0:1], s[0:1], 1
	s_mul_hi_u32 s8, s4, s7
	s_add_u32 s3, s16, s0
	s_addc_u32 s9, s17, s1
	s_lshl_b64 s[0:1], s[18:19], 1
	s_mul_i32 s10, s2, s7
	s_add_u32 s2, s3, s0
	s_addc_u32 s3, s9, s1
	s_add_i32 s1, s8, s10
	s_and_b32 vcc_lo, exec_lo, s5
	s_mul_i32 s0, s4, s7
	s_cbranch_vccnz .LBB398_17
; %bb.16:
	s_lshl_b64 s[4:5], s[0:1], 1
	v_mov_b32_e32 v0, 0
	s_add_u32 s4, s2, s4
	s_addc_u32 s5, s3, s5
	global_load_ushort v0, v0, s[4:5]
	s_waitcnt vmcnt(0)
	v_fma_mix_f32 v1, s6, v0, v1 op_sel_hi:[0,1,0]
.LBB398_17:
	v_cvt_f16_f32_e32 v0, v1
	s_lshl_b64 s[0:1], s[0:1], 1
	v_mov_b32_e32 v1, 0
	s_add_u32 s0, s2, s0
	s_addc_u32 s1, s3, s1
	global_store_short v1, v0, s[0:1]
.LBB398_18:
	s_endpgm
	.section	.rodata,"a",@progbits
	.p2align	6, 0x0
	.amdhsa_kernel _ZL23rocblas_gemvt_sn_reduceILi256ELi8EfPKfDF16_EviT2_lPT3_lilPT1_i
		.amdhsa_group_segment_fixed_size 128
		.amdhsa_private_segment_fixed_size 0
		.amdhsa_kernarg_size 328
		.amdhsa_user_sgpr_count 6
		.amdhsa_user_sgpr_private_segment_buffer 1
		.amdhsa_user_sgpr_dispatch_ptr 0
		.amdhsa_user_sgpr_queue_ptr 0
		.amdhsa_user_sgpr_kernarg_segment_ptr 1
		.amdhsa_user_sgpr_dispatch_id 0
		.amdhsa_user_sgpr_flat_scratch_init 0
		.amdhsa_user_sgpr_private_segment_size 0
		.amdhsa_wavefront_size32 1
		.amdhsa_uses_dynamic_stack 0
		.amdhsa_system_sgpr_private_segment_wavefront_offset 0
		.amdhsa_system_sgpr_workgroup_id_x 1
		.amdhsa_system_sgpr_workgroup_id_y 1
		.amdhsa_system_sgpr_workgroup_id_z 1
		.amdhsa_system_sgpr_workgroup_info 0
		.amdhsa_system_vgpr_workitem_id 0
		.amdhsa_next_free_vgpr 13
		.amdhsa_next_free_sgpr 22
		.amdhsa_reserve_vcc 1
		.amdhsa_reserve_flat_scratch 0
		.amdhsa_float_round_mode_32 0
		.amdhsa_float_round_mode_16_64 0
		.amdhsa_float_denorm_mode_32 3
		.amdhsa_float_denorm_mode_16_64 3
		.amdhsa_dx10_clamp 1
		.amdhsa_ieee_mode 1
		.amdhsa_fp16_overflow 0
		.amdhsa_workgroup_processor_mode 1
		.amdhsa_memory_ordered 1
		.amdhsa_forward_progress 1
		.amdhsa_shared_vgpr_count 0
		.amdhsa_exception_fp_ieee_invalid_op 0
		.amdhsa_exception_fp_denorm_src 0
		.amdhsa_exception_fp_ieee_div_zero 0
		.amdhsa_exception_fp_ieee_overflow 0
		.amdhsa_exception_fp_ieee_underflow 0
		.amdhsa_exception_fp_ieee_inexact 0
		.amdhsa_exception_int_div_zero 0
	.end_amdhsa_kernel
	.section	.text._ZL23rocblas_gemvt_sn_reduceILi256ELi8EfPKfDF16_EviT2_lPT3_lilPT1_i,"axG",@progbits,_ZL23rocblas_gemvt_sn_reduceILi256ELi8EfPKfDF16_EviT2_lPT3_lilPT1_i,comdat
.Lfunc_end398:
	.size	_ZL23rocblas_gemvt_sn_reduceILi256ELi8EfPKfDF16_EviT2_lPT3_lilPT1_i, .Lfunc_end398-_ZL23rocblas_gemvt_sn_reduceILi256ELi8EfPKfDF16_EviT2_lPT3_lilPT1_i
                                        ; -- End function
	.set _ZL23rocblas_gemvt_sn_reduceILi256ELi8EfPKfDF16_EviT2_lPT3_lilPT1_i.num_vgpr, 13
	.set _ZL23rocblas_gemvt_sn_reduceILi256ELi8EfPKfDF16_EviT2_lPT3_lilPT1_i.num_agpr, 0
	.set _ZL23rocblas_gemvt_sn_reduceILi256ELi8EfPKfDF16_EviT2_lPT3_lilPT1_i.numbered_sgpr, 22
	.set _ZL23rocblas_gemvt_sn_reduceILi256ELi8EfPKfDF16_EviT2_lPT3_lilPT1_i.num_named_barrier, 0
	.set _ZL23rocblas_gemvt_sn_reduceILi256ELi8EfPKfDF16_EviT2_lPT3_lilPT1_i.private_seg_size, 0
	.set _ZL23rocblas_gemvt_sn_reduceILi256ELi8EfPKfDF16_EviT2_lPT3_lilPT1_i.uses_vcc, 1
	.set _ZL23rocblas_gemvt_sn_reduceILi256ELi8EfPKfDF16_EviT2_lPT3_lilPT1_i.uses_flat_scratch, 0
	.set _ZL23rocblas_gemvt_sn_reduceILi256ELi8EfPKfDF16_EviT2_lPT3_lilPT1_i.has_dyn_sized_stack, 0
	.set _ZL23rocblas_gemvt_sn_reduceILi256ELi8EfPKfDF16_EviT2_lPT3_lilPT1_i.has_recursion, 0
	.set _ZL23rocblas_gemvt_sn_reduceILi256ELi8EfPKfDF16_EviT2_lPT3_lilPT1_i.has_indirect_call, 0
	.section	.AMDGPU.csdata,"",@progbits
; Kernel info:
; codeLenInByte = 1004
; TotalNumSgprs: 24
; NumVgprs: 13
; ScratchSize: 0
; MemoryBound: 0
; FloatMode: 240
; IeeeMode: 1
; LDSByteSize: 128 bytes/workgroup (compile time only)
; SGPRBlocks: 0
; VGPRBlocks: 1
; NumSGPRsForWavesPerEU: 24
; NumVGPRsForWavesPerEU: 13
; Occupancy: 16
; WaveLimiterHint : 0
; COMPUTE_PGM_RSRC2:SCRATCH_EN: 0
; COMPUTE_PGM_RSRC2:USER_SGPR: 6
; COMPUTE_PGM_RSRC2:TRAP_HANDLER: 0
; COMPUTE_PGM_RSRC2:TGID_X_EN: 1
; COMPUTE_PGM_RSRC2:TGID_Y_EN: 1
; COMPUTE_PGM_RSRC2:TGID_Z_EN: 1
; COMPUTE_PGM_RSRC2:TIDIG_COMP_CNT: 0
	.section	.text._ZL23rocblas_gemvt_sn_kernelILb0ELi256ELi4EiDF16_ffEviiT4_lPKT3_lilS3_lilPT5_i,"axG",@progbits,_ZL23rocblas_gemvt_sn_kernelILb0ELi256ELi4EiDF16_ffEviiT4_lPKT3_lilS3_lilPT5_i,comdat
	.globl	_ZL23rocblas_gemvt_sn_kernelILb0ELi256ELi4EiDF16_ffEviiT4_lPKT3_lilS3_lilPT5_i ; -- Begin function _ZL23rocblas_gemvt_sn_kernelILb0ELi256ELi4EiDF16_ffEviiT4_lPKT3_lilS3_lilPT5_i
	.p2align	8
	.type	_ZL23rocblas_gemvt_sn_kernelILb0ELi256ELi4EiDF16_ffEviiT4_lPKT3_lilS3_lilPT5_i,@function
_ZL23rocblas_gemvt_sn_kernelILb0ELi256ELi4EiDF16_ffEviiT4_lPKT3_lilS3_lilPT5_i: ; @_ZL23rocblas_gemvt_sn_kernelILb0ELi256ELi4EiDF16_ffEviiT4_lPKT3_lilS3_lilPT5_i
; %bb.0:
	s_clause 0x2
	s_load_dwordx4 s[12:15], s[4:5], 0x0
	s_load_dword s20, s[4:5], 0x68
	s_load_dwordx4 s[8:11], s[4:5], 0x50
	s_mov_b32 s21, 0
	s_waitcnt lgkmcnt(0)
	s_ashr_i32 s24, s13, 31
	s_mul_hi_u32 s0, s13, s7
	s_mul_i32 s1, s24, s7
	s_mul_i32 s2, s13, s7
	s_add_i32 s0, s0, s1
	s_mul_hi_u32 s1, s2, s20
	s_mul_i32 s3, s0, s20
	s_mul_i32 s0, s2, s20
	s_add_i32 s1, s1, s3
	v_cmp_neq_f32_e64 s2, s14, 0
	s_lshl_b64 s[0:1], s[0:1], 2
	s_add_u32 s36, s10, s0
	v_cmp_eq_u32_e64 s0, 0, v0
	s_addc_u32 s35, s11, s1
	s_and_b32 vcc_lo, exec_lo, s2
	s_cbranch_vccnz .LBB399_5
; %bb.1:
	s_cmp_gt_i32 s13, 0
	s_cselect_b32 s1, -1, 0
	s_and_b32 s0, s0, s1
	s_and_saveexec_b32 s10, s0
	s_cbranch_execz .LBB399_4
; %bb.2:
	s_mov_b32 s0, s7
	s_mov_b32 s7, 0
	v_mov_b32_e32 v1, 0
	s_lshl_b64 s[2:3], s[6:7], 2
	s_mov_b32 s7, s0
	s_add_u32 s0, s36, s2
	s_addc_u32 s1, s35, s3
	s_lshl_b64 s[2:3], s[20:21], 2
	s_mov_b32 s11, s13
.LBB399_3:                              ; =>This Inner Loop Header: Depth=1
	s_add_i32 s11, s11, -1
	global_store_dword v1, v1, s[0:1]
	s_add_u32 s0, s0, s2
	s_addc_u32 s1, s1, s3
	s_cmp_eq_u32 s11, 0
	s_cbranch_scc0 .LBB399_3
.LBB399_4:
	s_or_b32 exec_lo, exec_lo, s10
	s_cbranch_execz .LBB399_6
	s_branch .LBB399_80
.LBB399_5:
.LBB399_6:
	s_clause 0x2
	s_load_dwordx4 s[0:3], s[4:5], 0x30
	s_load_dwordx2 s[22:23], s[4:5], 0x40
	s_load_dwordx4 s[16:19], s[4:5], 0x18
	s_mul_i32 s9, s9, s7
	s_mul_hi_u32 s10, s8, s7
	s_mul_i32 s8, s8, s7
	s_add_i32 s9, s10, s9
	s_clause 0x1
	s_load_dword s10, s[4:5], 0x28
	s_load_dword s33, s[4:5], 0x48
	s_lshl_b64 s[8:9], s[8:9], 1
	v_and_b32_e32 v10, 31, v0
	v_mbcnt_lo_u32_b32 v24, -1, 0
	v_lshrrev_b32_e32 v25, 3, v0
	s_waitcnt lgkmcnt(0)
	s_add_u32 s8, s2, s8
	s_addc_u32 s9, s3, s9
	s_lshl_b64 s[2:3], s[22:23], 1
	s_mul_i32 s1, s1, s7
	s_mul_hi_u32 s11, s0, s7
	s_add_u32 s15, s8, s2
	s_mul_i32 s0, s0, s7
	s_addc_u32 s21, s9, s3
	s_add_i32 s1, s11, s1
	s_lshl_b64 s[22:23], s[0:1], 1
	v_cmp_gt_u32_e64 s0, 32, v0
	s_add_u32 s1, s16, s22
	s_addc_u32 s2, s17, s23
	s_lshl_b64 s[18:19], s[18:19], 1
	s_add_u32 s3, s1, s18
	s_addc_u32 s2, s2, s19
	s_lshl_b32 s1, s6, 10
	s_ashr_i32 s4, s12, 31
	v_lshl_or_b32 v1, v0, 2, s1
	s_lshr_b32 s4, s4, 30
	s_lshr_b32 s5, s24, 30
	s_add_i32 s4, s12, s4
	s_add_i32 s5, s13, s5
	v_ashrrev_i32_e32 v2, 31, v1
	s_and_b32 s4, s4, -4
	v_mul_lo_u32 v9, s33, v1
	s_sub_i32 s34, s12, s4
	v_cmp_gt_u32_e64 s1, 8, v0
	v_lshlrev_b64 v[11:12], 1, v[1:2]
	v_add_nc_u32_e32 v26, 4, v1
	v_add_nc_u32_e32 v27, s34, v1
	s_and_b32 s37, s5, -4
	s_cmp_lt_i32 s37, 1
	v_add_co_u32 v22, vcc_lo, s3, v11
	v_add_co_ci_u32_e64 v23, null, s2, v12, vcc_lo
	s_cbranch_scc1 .LBB399_55
; %bb.7:
	v_cmp_gt_u32_e32 vcc_lo, 24, v24
	v_mul_lo_u32 v13, s33, v1
	s_cmp_gt_i32 s34, 0
	s_mov_b32 s9, 0
	s_cselect_b32 s38, -1, 0
	v_cndmask_b32_e64 v2, 0, 8, vcc_lo
	v_cmp_gt_u32_e32 vcc_lo, 28, v24
	s_lshl_b32 s39, s10, 2
	s_lshl_b32 s8, s10, 1
	v_ashrrev_i32_e32 v14, 31, v13
	v_add_lshl_u32 v29, v2, v24, 2
	v_cndmask_b32_e64 v3, 0, 4, vcc_lo
	v_cmp_gt_u32_e32 vcc_lo, 30, v24
	s_add_u32 s7, s22, s18
	v_lshlrev_b64 v[5:6], 1, v[13:14]
	s_addc_u32 s24, s23, s19
	v_add_lshl_u32 v30, v3, v24, 2
	v_cndmask_b32_e64 v1, 0, 2, vcc_lo
	v_cmp_ne_u32_e32 vcc_lo, 31, v24
	s_add_u32 s7, s16, s7
	s_addc_u32 s24, s17, s24
	v_cmp_ge_i32_e64 s2, s12, v26
	v_add_lshl_u32 v31, v1, v24, 2
	v_add_nc_u32_e32 v1, s33, v13
	v_add_co_ci_u32_e64 v4, null, 0, v24, vcc_lo
	v_add_co_u32 v14, vcc_lo, s15, v5
	v_add_nc_u32_e32 v3, s33, v1
	v_ashrrev_i32_e32 v2, 31, v1
	v_lshlrev_b32_e32 v32, 2, v4
	v_add_co_ci_u32_e64 v15, null, s21, v6, vcc_lo
	v_add_nc_u32_e32 v7, s33, v3
	v_lshlrev_b64 v[1:2], 1, v[1:2]
	v_ashrrev_i32_e32 v4, 31, v3
	v_mov_b32_e32 v5, 0
	v_cmp_ge_i32_e64 s3, s12, v27
	v_ashrrev_i32_e32 v8, 31, v7
	v_lshl_or_b32 v28, v24, 2, 64
	v_lshlrev_b64 v[3:4], 1, v[3:4]
	v_add_co_u32 v16, vcc_lo, s15, v1
	v_add_co_ci_u32_e64 v17, null, s21, v2, vcc_lo
	v_lshlrev_b64 v[1:2], 1, v[7:8]
	v_add_co_u32 v18, vcc_lo, s15, v3
	v_mov_b32_e32 v6, v5
	v_mov_b32_e32 v7, v5
	;; [unrolled: 1-line block ×3, first 2 shown]
	v_add_co_ci_u32_e64 v19, null, s21, v4, vcc_lo
	v_add_co_u32 v20, vcc_lo, s15, v1
	v_add_co_ci_u32_e64 v21, null, s21, v2, vcc_lo
	v_add_co_u32 v35, vcc_lo, s7, v11
	v_mov_b32_e32 v1, v5
	v_cmp_eq_u32_e64 s4, 0, v10
	v_lshlrev_b32_e32 v33, 2, v10
	v_and_b32_e32 v34, 28, v25
	v_cmp_eq_u32_e64 s5, 0, v0
	v_add_co_ci_u32_e64 v36, null, s24, v12, vcc_lo
	v_mov_b32_e32 v2, v6
	v_mov_b32_e32 v3, v7
	;; [unrolled: 1-line block ×3, first 2 shown]
	s_mov_b32 s11, s9
	s_mul_i32 s40, s10, 3
	s_mov_b32 s41, s9
	s_mov_b32 s24, s9
	s_mov_b64 s[26:27], s[8:9]
	s_mov_b64 s[28:29], s[10:11]
	s_mov_b32 s11, 0
	s_branch .LBB399_9
.LBB399_8:                              ;   in Loop: Header=BB399_9 Depth=1
	s_or_b32 exec_lo, exec_lo, s7
	s_add_i32 s11, s11, 4
	s_add_u32 s28, s28, s39
	s_addc_u32 s29, s29, 0
	s_add_u32 s26, s26, s39
	s_addc_u32 s27, s27, 0
	;; [unrolled: 2-line block ×3, first 2 shown]
	s_add_i32 s24, s24, s39
	s_cmp_ge_i32 s11, s37
	s_cbranch_scc1 .LBB399_56
.LBB399_9:                              ; =>This Loop Header: Depth=1
                                        ;     Child Loop BB399_40 Depth 2
                                        ;     Child Loop BB399_43 Depth 2
                                        ; implicit-def: $vgpr8
                                        ; implicit-def: $vgpr37
                                        ; implicit-def: $vgpr38
                                        ; implicit-def: $vgpr39
	s_and_saveexec_b32 s7, s2
	s_xor_b32 s7, exec_lo, s7
	s_cbranch_execnz .LBB399_36
; %bb.10:                               ;   in Loop: Header=BB399_9 Depth=1
	s_andn2_saveexec_b32 s42, s7
	s_cbranch_execnz .LBB399_37
.LBB399_11:                             ;   in Loop: Header=BB399_9 Depth=1
	s_or_b32 exec_lo, exec_lo, s42
	s_and_saveexec_b32 s7, s0
.LBB399_12:                             ;   in Loop: Header=BB399_9 Depth=1
	ds_write_b32 v33, v5
.LBB399_13:                             ;   in Loop: Header=BB399_9 Depth=1
	s_or_b32 exec_lo, exec_lo, s7
	ds_bpermute_b32 v6, v28, v39
	s_waitcnt lgkmcnt(0)
	s_waitcnt_vscnt null, 0x0
	s_barrier
	buffer_gl0_inv
	v_add_f32_e32 v6, v39, v6
	ds_bpermute_b32 v7, v29, v6
	s_waitcnt lgkmcnt(0)
	v_add_f32_e32 v6, v6, v7
	ds_bpermute_b32 v7, v30, v6
	s_waitcnt lgkmcnt(0)
	;; [unrolled: 3-line block ×3, first 2 shown]
	v_add_f32_e32 v6, v6, v7
	ds_bpermute_b32 v7, v32, v6
	s_and_saveexec_b32 s7, s4
	s_cbranch_execz .LBB399_15
; %bb.14:                               ;   in Loop: Header=BB399_9 Depth=1
	s_waitcnt lgkmcnt(0)
	v_add_f32_e32 v6, v6, v7
	ds_write_b32 v34, v6
.LBB399_15:                             ;   in Loop: Header=BB399_9 Depth=1
	s_or_b32 exec_lo, exec_lo, s7
	v_mov_b32_e32 v6, 0
	s_waitcnt lgkmcnt(0)
	s_barrier
	buffer_gl0_inv
	s_and_saveexec_b32 s7, s1
	s_cbranch_execnz .LBB399_44
; %bb.16:                               ;   in Loop: Header=BB399_9 Depth=1
	s_or_b32 exec_lo, exec_lo, s7
	s_and_saveexec_b32 s7, s0
	s_cbranch_execnz .LBB399_45
.LBB399_17:                             ;   in Loop: Header=BB399_9 Depth=1
	s_or_b32 exec_lo, exec_lo, s7
	s_and_saveexec_b32 s7, s0
.LBB399_18:                             ;   in Loop: Header=BB399_9 Depth=1
	ds_write_b32 v33, v5
.LBB399_19:                             ;   in Loop: Header=BB399_9 Depth=1
	s_or_b32 exec_lo, exec_lo, s7
	ds_bpermute_b32 v7, v28, v38
	s_waitcnt lgkmcnt(0)
	s_barrier
	buffer_gl0_inv
	v_add_f32_e32 v7, v38, v7
	ds_bpermute_b32 v38, v29, v7
	s_waitcnt lgkmcnt(0)
	v_add_f32_e32 v7, v7, v38
	ds_bpermute_b32 v38, v30, v7
	s_waitcnt lgkmcnt(0)
	;; [unrolled: 3-line block ×3, first 2 shown]
	v_add_f32_e32 v7, v7, v38
	ds_bpermute_b32 v38, v32, v7
	s_and_saveexec_b32 s7, s4
	s_cbranch_execz .LBB399_21
; %bb.20:                               ;   in Loop: Header=BB399_9 Depth=1
	s_waitcnt lgkmcnt(0)
	v_add_f32_e32 v7, v7, v38
	ds_write_b32 v34, v7
.LBB399_21:                             ;   in Loop: Header=BB399_9 Depth=1
	s_or_b32 exec_lo, exec_lo, s7
	v_mov_b32_e32 v7, 0
	s_waitcnt lgkmcnt(0)
	s_barrier
	buffer_gl0_inv
	s_and_saveexec_b32 s7, s1
	s_cbranch_execnz .LBB399_46
; %bb.22:                               ;   in Loop: Header=BB399_9 Depth=1
	s_or_b32 exec_lo, exec_lo, s7
	s_and_saveexec_b32 s7, s0
	s_cbranch_execnz .LBB399_47
.LBB399_23:                             ;   in Loop: Header=BB399_9 Depth=1
	s_or_b32 exec_lo, exec_lo, s7
	s_and_saveexec_b32 s7, s0
.LBB399_24:                             ;   in Loop: Header=BB399_9 Depth=1
	ds_write_b32 v33, v5
.LBB399_25:                             ;   in Loop: Header=BB399_9 Depth=1
	s_or_b32 exec_lo, exec_lo, s7
	ds_bpermute_b32 v38, v28, v37
	s_waitcnt lgkmcnt(0)
	s_barrier
	buffer_gl0_inv
	v_add_f32_e32 v37, v37, v38
	ds_bpermute_b32 v38, v29, v37
	s_waitcnt lgkmcnt(0)
	v_add_f32_e32 v37, v37, v38
	ds_bpermute_b32 v38, v30, v37
	s_waitcnt lgkmcnt(0)
	;; [unrolled: 3-line block ×3, first 2 shown]
	v_add_f32_e32 v37, v37, v38
	ds_bpermute_b32 v38, v32, v37
	s_and_saveexec_b32 s7, s4
	s_cbranch_execz .LBB399_27
; %bb.26:                               ;   in Loop: Header=BB399_9 Depth=1
	s_waitcnt lgkmcnt(0)
	v_add_f32_e32 v37, v37, v38
	ds_write_b32 v34, v37
.LBB399_27:                             ;   in Loop: Header=BB399_9 Depth=1
	s_or_b32 exec_lo, exec_lo, s7
	v_mov_b32_e32 v37, 0
	s_waitcnt lgkmcnt(0)
	s_barrier
	buffer_gl0_inv
	s_and_saveexec_b32 s7, s1
	s_cbranch_execnz .LBB399_48
; %bb.28:                               ;   in Loop: Header=BB399_9 Depth=1
	s_or_b32 exec_lo, exec_lo, s7
	s_and_saveexec_b32 s7, s0
	s_cbranch_execnz .LBB399_49
.LBB399_29:                             ;   in Loop: Header=BB399_9 Depth=1
	s_or_b32 exec_lo, exec_lo, s7
	s_and_saveexec_b32 s7, s0
.LBB399_30:                             ;   in Loop: Header=BB399_9 Depth=1
	ds_write_b32 v33, v5
.LBB399_31:                             ;   in Loop: Header=BB399_9 Depth=1
	s_or_b32 exec_lo, exec_lo, s7
	ds_bpermute_b32 v38, v28, v8
	s_waitcnt lgkmcnt(0)
	s_barrier
	buffer_gl0_inv
	v_add_f32_e32 v8, v8, v38
	ds_bpermute_b32 v38, v29, v8
	s_waitcnt lgkmcnt(0)
	v_add_f32_e32 v8, v8, v38
	ds_bpermute_b32 v38, v30, v8
	s_waitcnt lgkmcnt(0)
	;; [unrolled: 3-line block ×3, first 2 shown]
	v_add_f32_e32 v8, v8, v38
	ds_bpermute_b32 v38, v32, v8
	s_and_saveexec_b32 s7, s4
	s_cbranch_execz .LBB399_33
; %bb.32:                               ;   in Loop: Header=BB399_9 Depth=1
	s_waitcnt lgkmcnt(0)
	v_add_f32_e32 v8, v8, v38
	ds_write_b32 v34, v8
.LBB399_33:                             ;   in Loop: Header=BB399_9 Depth=1
	s_or_b32 exec_lo, exec_lo, s7
	v_mov_b32_e32 v8, 0
	s_waitcnt lgkmcnt(0)
	s_barrier
	buffer_gl0_inv
	s_and_saveexec_b32 s7, s1
	s_cbranch_execnz .LBB399_50
; %bb.34:                               ;   in Loop: Header=BB399_9 Depth=1
	s_or_b32 exec_lo, exec_lo, s7
	s_and_saveexec_b32 s7, s0
	s_cbranch_execnz .LBB399_51
.LBB399_35:                             ;   in Loop: Header=BB399_9 Depth=1
	s_or_b32 exec_lo, exec_lo, s7
	s_and_saveexec_b32 s7, s5
	s_cbranch_execz .LBB399_8
	s_branch .LBB399_52
.LBB399_36:                             ;   in Loop: Header=BB399_9 Depth=1
	s_mul_i32 s30, s11, s10
	s_ashr_i32 s31, s30, 31
	s_add_i32 s42, s30, s10
	s_lshl_b64 s[30:31], s[30:31], 1
	s_ashr_i32 s43, s42, 31
	v_add_co_u32 v1, vcc_lo, v22, s30
	v_add_co_ci_u32_e64 v2, null, s31, v23, vcc_lo
	s_lshl_b64 s[30:31], s[42:43], 1
	s_add_i32 s42, s42, s10
	v_add_co_u32 v3, vcc_lo, v22, s30
	s_ashr_i32 s43, s42, 31
	s_add_i32 s30, s42, s10
	v_add_co_ci_u32_e64 v4, null, s31, v23, vcc_lo
	s_lshl_b64 s[42:43], s[42:43], 1
	s_ashr_i32 s31, s30, 31
	v_add_co_u32 v6, vcc_lo, v22, s42
	s_lshl_b64 s[30:31], s[30:31], 1
	v_add_co_ci_u32_e64 v7, null, s43, v23, vcc_lo
	v_add_co_u32 v37, vcc_lo, v22, s30
	v_add_co_ci_u32_e64 v38, null, s31, v23, vcc_lo
	s_waitcnt lgkmcnt(0)
	global_load_ushort v8, v[14:15], off
	s_clause 0x3
	global_load_dwordx2 v[39:40], v[1:2], off
	global_load_dwordx2 v[41:42], v[3:4], off
	;; [unrolled: 1-line block ×4, first 2 shown]
	s_clause 0x2
	global_load_ushort v3, v[16:17], off
	global_load_ushort v4, v[18:19], off
	;; [unrolled: 1-line block ×3, first 2 shown]
	s_waitcnt vmcnt(7)
	v_cvt_f32_f16_e32 v1, v8
	s_waitcnt vmcnt(6)
	v_fma_mix_f32 v37, v8, v39, 0 op_sel_hi:[1,1,0]
	s_waitcnt vmcnt(5)
	v_fma_mix_f32 v38, v8, v41, 0 op_sel_hi:[1,1,0]
	;; [unrolled: 2-line block ×4, first 2 shown]
	s_waitcnt vmcnt(2)
	v_cvt_f32_f16_e32 v2, v3
	v_fma_mix_f32 v37, v3, v39, v37 op_sel:[0,1,0] op_sel_hi:[1,1,0]
	v_fma_mix_f32 v38, v3, v41, v38 op_sel:[0,1,0] op_sel_hi:[1,1,0]
	;; [unrolled: 1-line block ×4, first 2 shown]
	s_waitcnt vmcnt(1)
	v_cvt_f32_f16_e32 v3, v4
	v_fma_mix_f32 v37, v4, v40, v37 op_sel_hi:[1,1,0]
	v_fma_mix_f32 v38, v4, v42, v38 op_sel_hi:[1,1,0]
	;; [unrolled: 1-line block ×4, first 2 shown]
	s_waitcnt vmcnt(0)
	v_cvt_f32_f16_e32 v4, v45
	v_fma_mix_f32 v39, v45, v40, v37 op_sel:[0,1,0] op_sel_hi:[1,1,0]
	v_fma_mix_f32 v38, v45, v42, v38 op_sel:[0,1,0] op_sel_hi:[1,1,0]
	;; [unrolled: 1-line block ×4, first 2 shown]
	s_andn2_saveexec_b32 s42, s7
	s_cbranch_execz .LBB399_11
.LBB399_37:                             ;   in Loop: Header=BB399_9 Depth=1
	s_waitcnt lgkmcnt(0)
	v_mov_b32_e32 v8, 0
	v_mov_b32_e32 v37, 0
	;; [unrolled: 1-line block ×4, first 2 shown]
	s_and_saveexec_b32 s43, s3
	s_cbranch_execz .LBB399_54
; %bb.38:                               ;   in Loop: Header=BB399_9 Depth=1
	s_andn2_b32 vcc_lo, exec_lo, s38
	s_cbranch_vccnz .LBB399_41
; %bb.39:                               ;   in Loop: Header=BB399_9 Depth=1
	v_mov_b32_e32 v6, v13
	s_mov_b64 s[30:31], 0
	.p2align	6
.LBB399_40:                             ;   Parent Loop BB399_9 Depth=1
                                        ; =>  This Inner Loop Header: Depth=2
	v_ashrrev_i32_e32 v7, 31, v6
	s_cmp_eq_u32 s30, 3
	v_lshlrev_b64 v[7:8], 1, v[6:7]
	v_add_nc_u32_e32 v6, s33, v6
	v_add_co_u32 v7, vcc_lo, s15, v7
	v_add_co_ci_u32_e64 v8, null, s21, v8, vcc_lo
	s_cselect_b32 vcc_lo, -1, 0
	s_cmp_eq_u32 s30, 2
	s_cselect_b32 s7, -1, 0
	global_load_ushort v7, v[7:8], off
	s_cmp_eq_u32 s30, 1
	s_cselect_b32 s8, -1, 0
	s_cmp_eq_u32 s30, 0
	s_waitcnt vmcnt(0)
	v_cvt_f32_f16_e32 v7, v7
	v_cndmask_b32_e32 v4, v4, v7, vcc_lo
	s_cselect_b32 vcc_lo, -1, 0
	v_cndmask_b32_e64 v3, v3, v7, s7
	v_cndmask_b32_e64 v2, v2, v7, s8
	v_cndmask_b32_e32 v1, v1, v7, vcc_lo
	s_add_u32 s30, s30, 1
	s_addc_u32 s31, s31, 0
	s_cmp_eq_u32 s34, s30
	s_cbranch_scc0 .LBB399_40
.LBB399_41:                             ;   in Loop: Header=BB399_9 Depth=1
	s_andn2_b32 vcc_lo, exec_lo, s38
	s_cbranch_vccnz .LBB399_53
; %bb.42:                               ;   in Loop: Header=BB399_9 Depth=1
	s_ashr_i32 s25, s24, 31
	v_mov_b32_e32 v39, 0
	s_lshl_b64 s[30:31], s[24:25], 1
	v_mov_b32_e32 v38, 0
	v_add_co_u32 v6, vcc_lo, v35, s30
	v_add_co_ci_u32_e64 v7, null, s31, v36, vcc_lo
	v_mov_b32_e32 v37, 0
	v_mov_b32_e32 v8, 0
	s_mov_b64 s[30:31], 0
.LBB399_43:                             ;   Parent Loop BB399_9 Depth=1
                                        ; =>  This Inner Loop Header: Depth=2
	s_cmp_eq_u32 s30, 1
	s_cselect_b32 vcc_lo, -1, 0
	s_cmp_eq_u32 s30, 2
	v_cndmask_b32_e32 v40, v1, v2, vcc_lo
	s_cselect_b32 vcc_lo, -1, 0
	s_cmp_eq_u32 s30, 3
	v_cndmask_b32_e32 v46, v40, v3, vcc_lo
	s_cselect_b32 vcc_lo, -1, 0
	s_add_i32 s44, s28, s30
	s_add_i32 s46, s26, s30
	s_ashr_i32 s45, s44, 31
	s_add_i32 s48, s40, s30
	s_ashr_i32 s47, s46, 31
	s_lshl_b64 s[44:45], s[44:45], 1
	s_ashr_i32 s49, s48, 31
	s_lshl_b64 s[46:47], s[46:47], 1
	v_add_co_u32 v40, s7, v22, s44
	s_lshl_b64 s[48:49], s[48:49], 1
	v_add_co_ci_u32_e64 v41, null, s45, v23, s7
	v_add_co_u32 v42, s7, v22, s46
	v_add_co_ci_u32_e64 v43, null, s47, v23, s7
	v_add_co_u32 v44, s7, v22, s48
	v_add_co_ci_u32_e64 v45, null, s49, v23, s7
	global_load_ushort v47, v[6:7], off
	s_clause 0x2
	global_load_ushort v40, v[40:41], off
	global_load_ushort v41, v[42:43], off
	;; [unrolled: 1-line block ×3, first 2 shown]
	v_cndmask_b32_e32 v43, v46, v4, vcc_lo
	v_add_co_u32 v6, s7, v6, 2
	v_add_co_ci_u32_e64 v7, null, 0, v7, s7
	s_add_u32 s30, s30, 1
	s_addc_u32 s31, s31, 0
	s_cmp_lg_u32 s34, s30
	s_waitcnt vmcnt(3)
	v_fma_mix_f32 v39, v43, v47, v39 op_sel_hi:[0,1,0]
	s_waitcnt vmcnt(2)
	v_fma_mix_f32 v38, v43, v40, v38 op_sel_hi:[0,1,0]
	;; [unrolled: 2-line block ×4, first 2 shown]
	s_cbranch_scc1 .LBB399_43
	s_branch .LBB399_54
.LBB399_44:                             ;   in Loop: Header=BB399_9 Depth=1
	ds_read_b32 v6, v33
	s_or_b32 exec_lo, exec_lo, s7
	s_and_saveexec_b32 s7, s0
	s_cbranch_execz .LBB399_17
.LBB399_45:                             ;   in Loop: Header=BB399_9 Depth=1
	s_waitcnt lgkmcnt(0)
	ds_bpermute_b32 v7, v30, v6
	s_waitcnt lgkmcnt(0)
	v_add_f32_e32 v6, v6, v7
	ds_bpermute_b32 v7, v31, v6
	s_waitcnt lgkmcnt(0)
	v_add_f32_e32 v6, v6, v7
	;; [unrolled: 3-line block ×3, first 2 shown]
	s_or_b32 exec_lo, exec_lo, s7
	s_and_saveexec_b32 s7, s0
	s_cbranch_execnz .LBB399_18
	s_branch .LBB399_19
.LBB399_46:                             ;   in Loop: Header=BB399_9 Depth=1
	ds_read_b32 v7, v33
	s_or_b32 exec_lo, exec_lo, s7
	s_and_saveexec_b32 s7, s0
	s_cbranch_execz .LBB399_23
.LBB399_47:                             ;   in Loop: Header=BB399_9 Depth=1
	s_waitcnt lgkmcnt(0)
	ds_bpermute_b32 v38, v30, v7
	s_waitcnt lgkmcnt(0)
	v_add_f32_e32 v7, v7, v38
	ds_bpermute_b32 v38, v31, v7
	s_waitcnt lgkmcnt(0)
	v_add_f32_e32 v7, v7, v38
	;; [unrolled: 3-line block ×3, first 2 shown]
	s_or_b32 exec_lo, exec_lo, s7
	s_and_saveexec_b32 s7, s0
	s_cbranch_execnz .LBB399_24
	s_branch .LBB399_25
.LBB399_48:                             ;   in Loop: Header=BB399_9 Depth=1
	ds_read_b32 v37, v33
	s_or_b32 exec_lo, exec_lo, s7
	s_and_saveexec_b32 s7, s0
	s_cbranch_execz .LBB399_29
.LBB399_49:                             ;   in Loop: Header=BB399_9 Depth=1
	s_waitcnt lgkmcnt(0)
	ds_bpermute_b32 v38, v30, v37
	s_waitcnt lgkmcnt(0)
	v_add_f32_e32 v37, v37, v38
	ds_bpermute_b32 v38, v31, v37
	s_waitcnt lgkmcnt(0)
	v_add_f32_e32 v37, v37, v38
	;; [unrolled: 3-line block ×3, first 2 shown]
	s_or_b32 exec_lo, exec_lo, s7
	s_and_saveexec_b32 s7, s0
	s_cbranch_execnz .LBB399_30
	s_branch .LBB399_31
.LBB399_50:                             ;   in Loop: Header=BB399_9 Depth=1
	ds_read_b32 v8, v33
	s_or_b32 exec_lo, exec_lo, s7
	s_and_saveexec_b32 s7, s0
	s_cbranch_execz .LBB399_35
.LBB399_51:                             ;   in Loop: Header=BB399_9 Depth=1
	s_waitcnt lgkmcnt(0)
	ds_bpermute_b32 v38, v30, v8
	s_waitcnt lgkmcnt(0)
	v_add_f32_e32 v8, v8, v38
	ds_bpermute_b32 v38, v31, v8
	s_waitcnt lgkmcnt(0)
	v_add_f32_e32 v8, v8, v38
	ds_bpermute_b32 v38, v32, v8
	s_waitcnt lgkmcnt(0)
	v_add_f32_e32 v8, v8, v38
	s_or_b32 exec_lo, exec_lo, s7
	s_and_saveexec_b32 s7, s5
	s_cbranch_execz .LBB399_8
.LBB399_52:                             ;   in Loop: Header=BB399_9 Depth=1
	s_mul_i32 s8, s11, s20
	v_mul_f32_e32 v6, s14, v6
	s_add_i32 s8, s8, s6
	v_mul_f32_e32 v7, s14, v7
	s_lshl_b64 s[30:31], s[8:9], 2
	v_mul_f32_e32 v37, s14, v37
	s_add_u32 s30, s36, s30
	s_addc_u32 s31, s35, s31
	s_add_i32 s8, s8, s20
	global_store_dword v5, v6, s[30:31]
	s_lshl_b64 s[42:43], s[8:9], 2
	s_waitcnt lgkmcnt(0)
	v_mul_f32_e32 v6, s14, v8
	s_add_u32 s42, s36, s42
	s_addc_u32 s43, s35, s43
	s_add_i32 s8, s8, s20
	global_store_dword v5, v7, s[42:43]
	s_lshl_b64 s[44:45], s[8:9], 2
	s_add_u32 s30, s36, s44
	s_addc_u32 s31, s35, s45
	s_add_i32 s8, s8, s20
	s_lshl_b64 s[44:45], s[8:9], 2
	s_add_u32 s42, s36, s44
	s_addc_u32 s43, s35, s45
	global_store_dword v5, v37, s[30:31]
	global_store_dword v5, v6, s[42:43]
	s_branch .LBB399_8
.LBB399_53:                             ;   in Loop: Header=BB399_9 Depth=1
	v_mov_b32_e32 v8, 0
	v_mov_b32_e32 v37, 0
	;; [unrolled: 1-line block ×4, first 2 shown]
.LBB399_54:                             ;   in Loop: Header=BB399_9 Depth=1
	s_or_b32 exec_lo, exec_lo, s43
	s_or_b32 exec_lo, exec_lo, s42
	s_and_saveexec_b32 s7, s0
	s_cbranch_execnz .LBB399_12
	s_branch .LBB399_13
.LBB399_55:
	v_mov_b32_e32 v1, 0
	s_mov_b32 s11, 0
	v_mov_b32_e32 v2, v1
	v_mov_b32_e32 v3, v1
	;; [unrolled: 1-line block ×3, first 2 shown]
.LBB399_56:
	s_cmp_ge_i32 s11, s13
	s_cbranch_scc1 .LBB399_80
; %bb.57:
	v_cmp_gt_u32_e32 vcc_lo, 24, v24
	v_lshlrev_b32_e32 v17, 2, v10
	v_cmp_eq_u32_e64 s3, 0, v10
	v_ashrrev_i32_e32 v10, 31, v9
	v_cmp_ge_i32_e64 s0, s12, v26
	v_cndmask_b32_e64 v5, 0, 8, vcc_lo
	v_cmp_gt_u32_e32 vcc_lo, 28, v24
	v_lshl_or_b32 v18, v24, 2, 64
	v_lshlrev_b64 v[13:14], 1, v[9:10]
	v_cmp_ge_i32_e64 s1, s12, v27
	v_add_lshl_u32 v19, v5, v24, 2
	v_cndmask_b32_e64 v6, 0, 4, vcc_lo
	v_cmp_gt_u32_e32 vcc_lo, 30, v24
	v_add_nc_u32_e32 v5, s33, v9
	s_cmp_gt_i32 s34, 0
	s_mov_b32 s7, 0
	v_add_lshl_u32 v20, v6, v24, 2
	v_cndmask_b32_e64 v7, 0, 2, vcc_lo
	v_cmp_ne_u32_e32 vcc_lo, 31, v24
	v_ashrrev_i32_e32 v6, 31, v5
	s_cselect_b32 s12, -1, 0
	s_lshl_b64 s[8:9], s[6:7], 2
	v_add_lshl_u32 v21, v7, v24, 2
	v_add_nc_u32_e32 v7, s33, v5
	s_waitcnt lgkmcnt(0)
	v_add_co_ci_u32_e64 v8, null, 0, v24, vcc_lo
	v_lshlrev_b64 v[15:16], 1, v[5:6]
	v_add_co_u32 v5, vcc_lo, s15, v13
	v_add_nc_u32_e32 v26, s33, v7
	v_lshlrev_b32_e32 v24, 2, v8
	v_ashrrev_i32_e32 v8, 31, v7
	v_add_co_ci_u32_e64 v6, null, s21, v14, vcc_lo
	v_ashrrev_i32_e32 v27, 31, v26
	s_add_u32 s24, s36, s8
	v_lshlrev_b64 v[13:14], 1, v[7:8]
	v_add_co_u32 v7, vcc_lo, s15, v15
	v_add_co_ci_u32_e64 v8, null, s21, v16, vcc_lo
	v_lshlrev_b64 v[15:16], 1, v[26:27]
	s_addc_u32 s25, s35, s9
	v_add_co_u32 v13, vcc_lo, s15, v13
	s_add_u32 s6, s22, s18
	s_addc_u32 s8, s23, s19
	v_add_co_ci_u32_e64 v14, null, s21, v14, vcc_lo
	v_add_co_u32 v15, vcc_lo, s15, v15
	s_add_u32 s6, s16, s6
	v_cmp_gt_u32_e64 s2, 32, v0
	v_cmp_gt_u32_e64 s4, 8, v0
	v_cmp_eq_u32_e64 s5, 0, v0
	v_add_co_ci_u32_e64 v16, null, s21, v16, vcc_lo
	s_addc_u32 s8, s17, s8
	v_add_co_u32 v0, vcc_lo, s6, v11
	v_and_b32_e32 v25, 28, v25
	v_add_co_ci_u32_e64 v12, null, s8, v12, vcc_lo
	v_mov_b32_e32 v26, 0
	s_mul_i32 s16, s11, s10
	s_branch .LBB399_59
.LBB399_58:                             ;   in Loop: Header=BB399_59 Depth=1
	s_or_b32 exec_lo, exec_lo, s6
	s_add_i32 s11, s11, 1
	s_add_i32 s16, s16, s10
	s_cmp_ge_i32 s11, s13
	s_cbranch_scc1 .LBB399_80
.LBB399_59:                             ; =>This Loop Header: Depth=1
                                        ;     Child Loop BB399_72 Depth 2
                                        ;     Child Loop BB399_75 Depth 2
	v_mov_b32_e32 v27, s7
	s_and_saveexec_b32 s6, s0
	s_xor_b32 s6, exec_lo, s6
	s_cbranch_execnz .LBB399_68
; %bb.60:                               ;   in Loop: Header=BB399_59 Depth=1
	s_andn2_saveexec_b32 s22, s6
	s_cbranch_execnz .LBB399_69
.LBB399_61:                             ;   in Loop: Header=BB399_59 Depth=1
	s_or_b32 exec_lo, exec_lo, s22
	s_and_saveexec_b32 s6, s2
.LBB399_62:                             ;   in Loop: Header=BB399_59 Depth=1
	ds_write_b32 v17, v26
.LBB399_63:                             ;   in Loop: Header=BB399_59 Depth=1
	s_or_b32 exec_lo, exec_lo, s6
	s_waitcnt lgkmcnt(0)
	ds_bpermute_b32 v10, v18, v27
	s_waitcnt lgkmcnt(0)
	s_waitcnt_vscnt null, 0x0
	s_barrier
	buffer_gl0_inv
	v_add_f32_e32 v10, v27, v10
	ds_bpermute_b32 v11, v19, v10
	s_waitcnt lgkmcnt(0)
	v_add_f32_e32 v10, v10, v11
	ds_bpermute_b32 v11, v20, v10
	s_waitcnt lgkmcnt(0)
	;; [unrolled: 3-line block ×3, first 2 shown]
	v_add_f32_e32 v10, v10, v11
	ds_bpermute_b32 v11, v24, v10
	s_and_saveexec_b32 s6, s3
	s_cbranch_execz .LBB399_65
; %bb.64:                               ;   in Loop: Header=BB399_59 Depth=1
	s_waitcnt lgkmcnt(0)
	v_add_f32_e32 v10, v10, v11
	ds_write_b32 v25, v10
.LBB399_65:                             ;   in Loop: Header=BB399_59 Depth=1
	s_or_b32 exec_lo, exec_lo, s6
	v_mov_b32_e32 v10, 0
	s_waitcnt lgkmcnt(0)
	s_barrier
	buffer_gl0_inv
	s_and_saveexec_b32 s6, s4
	s_cbranch_execnz .LBB399_77
; %bb.66:                               ;   in Loop: Header=BB399_59 Depth=1
	s_or_b32 exec_lo, exec_lo, s6
	s_and_saveexec_b32 s6, s2
	s_cbranch_execnz .LBB399_78
.LBB399_67:                             ;   in Loop: Header=BB399_59 Depth=1
	s_or_b32 exec_lo, exec_lo, s6
	s_and_saveexec_b32 s6, s5
	s_cbranch_execz .LBB399_58
	s_branch .LBB399_79
.LBB399_68:                             ;   in Loop: Header=BB399_59 Depth=1
	s_mul_i32 s8, s11, s10
	s_ashr_i32 s9, s8, 31
	s_lshl_b64 s[8:9], s[8:9], 1
	v_add_co_u32 v1, vcc_lo, v22, s8
	v_add_co_ci_u32_e64 v2, null, s9, v23, vcc_lo
	s_waitcnt lgkmcnt(0)
	global_load_dwordx2 v[10:11], v[1:2], off
	s_clause 0x3
	global_load_ushort v1, v[5:6], off
	global_load_ushort v2, v[7:8], off
	;; [unrolled: 1-line block ×4, first 2 shown]
	s_waitcnt vmcnt(3)
	v_fma_mix_f32 v4, v1, v10, 0 op_sel_hi:[1,1,0]
	v_cvt_f32_f16_e32 v1, v1
	s_waitcnt vmcnt(2)
	v_fma_mix_f32 v4, v2, v10, v4 op_sel:[0,1,0] op_sel_hi:[1,1,0]
	v_cvt_f32_f16_e32 v2, v2
	s_waitcnt vmcnt(1)
	v_fma_mix_f32 v10, v3, v11, v4 op_sel_hi:[1,1,0]
	v_cvt_f32_f16_e32 v3, v3
	s_waitcnt vmcnt(0)
	v_cvt_f32_f16_e32 v4, v27
	v_fma_mix_f32 v27, v27, v11, v10 op_sel:[0,1,0] op_sel_hi:[1,1,0]
	s_andn2_saveexec_b32 s22, s6
	s_cbranch_execz .LBB399_61
.LBB399_69:                             ;   in Loop: Header=BB399_59 Depth=1
	s_and_saveexec_b32 s23, s1
	s_cbranch_execz .LBB399_76
; %bb.70:                               ;   in Loop: Header=BB399_59 Depth=1
	s_andn2_b32 vcc_lo, exec_lo, s12
	s_cbranch_vccnz .LBB399_73
; %bb.71:                               ;   in Loop: Header=BB399_59 Depth=1
	s_waitcnt lgkmcnt(0)
	v_mov_b32_e32 v10, v9
	s_mov_b64 s[18:19], 0
	.p2align	6
.LBB399_72:                             ;   Parent Loop BB399_59 Depth=1
                                        ; =>  This Inner Loop Header: Depth=2
	v_ashrrev_i32_e32 v11, 31, v10
	s_cmp_eq_u32 s18, 3
	v_lshlrev_b64 v[28:29], 1, v[10:11]
	v_add_nc_u32_e32 v10, s33, v10
	v_add_co_u32 v28, vcc_lo, s15, v28
	v_add_co_ci_u32_e64 v29, null, s21, v29, vcc_lo
	s_cselect_b32 vcc_lo, -1, 0
	s_cmp_eq_u32 s18, 2
	s_cselect_b32 s6, -1, 0
	global_load_ushort v11, v[28:29], off
	s_cmp_eq_u32 s18, 1
	s_cselect_b32 s8, -1, 0
	s_cmp_eq_u32 s18, 0
	s_waitcnt vmcnt(0)
	v_cvt_f32_f16_e32 v11, v11
	v_cndmask_b32_e32 v4, v4, v11, vcc_lo
	s_cselect_b32 vcc_lo, -1, 0
	v_cndmask_b32_e64 v3, v3, v11, s6
	v_cndmask_b32_e64 v2, v2, v11, s8
	v_cndmask_b32_e32 v1, v1, v11, vcc_lo
	s_add_u32 s18, s18, 1
	s_addc_u32 s19, s19, 0
	s_cmp_eq_u32 s34, s18
	s_cbranch_scc0 .LBB399_72
.LBB399_73:                             ;   in Loop: Header=BB399_59 Depth=1
	s_andn2_b32 vcc_lo, exec_lo, s12
	s_cbranch_vccnz .LBB399_76
; %bb.74:                               ;   in Loop: Header=BB399_59 Depth=1
	s_ashr_i32 s17, s16, 31
	s_lshl_b64 s[8:9], s[16:17], 1
	s_waitcnt lgkmcnt(0)
	v_add_co_u32 v10, vcc_lo, v0, s8
	v_add_co_ci_u32_e64 v11, null, s9, v12, vcc_lo
	s_mov_b64 s[8:9], 0
	.p2align	6
.LBB399_75:                             ;   Parent Loop BB399_59 Depth=1
                                        ; =>  This Inner Loop Header: Depth=2
	global_load_ushort v28, v[10:11], off
	s_cmp_eq_u32 s8, 1
	s_cselect_b32 vcc_lo, -1, 0
	s_cmp_eq_u32 s8, 2
	v_cndmask_b32_e32 v29, v1, v2, vcc_lo
	s_cselect_b32 vcc_lo, -1, 0
	s_cmp_eq_u32 s8, 3
	v_cndmask_b32_e32 v29, v29, v3, vcc_lo
	s_cselect_b32 vcc_lo, -1, 0
	s_add_u32 s8, s8, 1
	s_addc_u32 s9, s9, 0
	s_cmp_lg_u32 s34, s8
	v_cndmask_b32_e32 v29, v29, v4, vcc_lo
	v_add_co_u32 v10, vcc_lo, v10, 2
	v_add_co_ci_u32_e64 v11, null, 0, v11, vcc_lo
	s_waitcnt vmcnt(0)
	v_fma_mix_f32 v27, v29, v28, v27 op_sel_hi:[0,1,0]
	s_cbranch_scc1 .LBB399_75
.LBB399_76:                             ;   in Loop: Header=BB399_59 Depth=1
	s_or_b32 exec_lo, exec_lo, s23
	s_or_b32 exec_lo, exec_lo, s22
	s_and_saveexec_b32 s6, s2
	s_cbranch_execnz .LBB399_62
	s_branch .LBB399_63
.LBB399_77:                             ;   in Loop: Header=BB399_59 Depth=1
	ds_read_b32 v10, v17
	s_or_b32 exec_lo, exec_lo, s6
	s_and_saveexec_b32 s6, s2
	s_cbranch_execz .LBB399_67
.LBB399_78:                             ;   in Loop: Header=BB399_59 Depth=1
	s_waitcnt lgkmcnt(0)
	ds_bpermute_b32 v11, v20, v10
	s_waitcnt lgkmcnt(0)
	v_add_f32_e32 v10, v10, v11
	ds_bpermute_b32 v11, v21, v10
	s_waitcnt lgkmcnt(0)
	v_add_f32_e32 v10, v10, v11
	;; [unrolled: 3-line block ×3, first 2 shown]
	s_or_b32 exec_lo, exec_lo, s6
	s_and_saveexec_b32 s6, s5
	s_cbranch_execz .LBB399_58
.LBB399_79:                             ;   in Loop: Header=BB399_59 Depth=1
	s_mul_hi_u32 s9, s11, s20
	s_mul_i32 s8, s11, s20
	s_waitcnt lgkmcnt(0)
	v_mul_f32_e32 v10, s14, v10
	s_lshl_b64 s[8:9], s[8:9], 2
	s_add_u32 s8, s24, s8
	s_addc_u32 s9, s25, s9
	global_store_dword v26, v10, s[8:9]
	s_branch .LBB399_58
.LBB399_80:
	s_endpgm
	.section	.rodata,"a",@progbits
	.p2align	6, 0x0
	.amdhsa_kernel _ZL23rocblas_gemvt_sn_kernelILb0ELi256ELi4EiDF16_ffEviiT4_lPKT3_lilS3_lilPT5_i
		.amdhsa_group_segment_fixed_size 128
		.amdhsa_private_segment_fixed_size 0
		.amdhsa_kernarg_size 360
		.amdhsa_user_sgpr_count 6
		.amdhsa_user_sgpr_private_segment_buffer 1
		.amdhsa_user_sgpr_dispatch_ptr 0
		.amdhsa_user_sgpr_queue_ptr 0
		.amdhsa_user_sgpr_kernarg_segment_ptr 1
		.amdhsa_user_sgpr_dispatch_id 0
		.amdhsa_user_sgpr_flat_scratch_init 0
		.amdhsa_user_sgpr_private_segment_size 0
		.amdhsa_wavefront_size32 1
		.amdhsa_uses_dynamic_stack 0
		.amdhsa_system_sgpr_private_segment_wavefront_offset 0
		.amdhsa_system_sgpr_workgroup_id_x 1
		.amdhsa_system_sgpr_workgroup_id_y 0
		.amdhsa_system_sgpr_workgroup_id_z 1
		.amdhsa_system_sgpr_workgroup_info 0
		.amdhsa_system_vgpr_workitem_id 0
		.amdhsa_next_free_vgpr 48
		.amdhsa_next_free_sgpr 50
		.amdhsa_reserve_vcc 1
		.amdhsa_reserve_flat_scratch 0
		.amdhsa_float_round_mode_32 0
		.amdhsa_float_round_mode_16_64 0
		.amdhsa_float_denorm_mode_32 3
		.amdhsa_float_denorm_mode_16_64 3
		.amdhsa_dx10_clamp 1
		.amdhsa_ieee_mode 1
		.amdhsa_fp16_overflow 0
		.amdhsa_workgroup_processor_mode 1
		.amdhsa_memory_ordered 1
		.amdhsa_forward_progress 1
		.amdhsa_shared_vgpr_count 0
		.amdhsa_exception_fp_ieee_invalid_op 0
		.amdhsa_exception_fp_denorm_src 0
		.amdhsa_exception_fp_ieee_div_zero 0
		.amdhsa_exception_fp_ieee_overflow 0
		.amdhsa_exception_fp_ieee_underflow 0
		.amdhsa_exception_fp_ieee_inexact 0
		.amdhsa_exception_int_div_zero 0
	.end_amdhsa_kernel
	.section	.text._ZL23rocblas_gemvt_sn_kernelILb0ELi256ELi4EiDF16_ffEviiT4_lPKT3_lilS3_lilPT5_i,"axG",@progbits,_ZL23rocblas_gemvt_sn_kernelILb0ELi256ELi4EiDF16_ffEviiT4_lPKT3_lilS3_lilPT5_i,comdat
.Lfunc_end399:
	.size	_ZL23rocblas_gemvt_sn_kernelILb0ELi256ELi4EiDF16_ffEviiT4_lPKT3_lilS3_lilPT5_i, .Lfunc_end399-_ZL23rocblas_gemvt_sn_kernelILb0ELi256ELi4EiDF16_ffEviiT4_lPKT3_lilS3_lilPT5_i
                                        ; -- End function
	.set _ZL23rocblas_gemvt_sn_kernelILb0ELi256ELi4EiDF16_ffEviiT4_lPKT3_lilS3_lilPT5_i.num_vgpr, 48
	.set _ZL23rocblas_gemvt_sn_kernelILb0ELi256ELi4EiDF16_ffEviiT4_lPKT3_lilS3_lilPT5_i.num_agpr, 0
	.set _ZL23rocblas_gemvt_sn_kernelILb0ELi256ELi4EiDF16_ffEviiT4_lPKT3_lilS3_lilPT5_i.numbered_sgpr, 50
	.set _ZL23rocblas_gemvt_sn_kernelILb0ELi256ELi4EiDF16_ffEviiT4_lPKT3_lilS3_lilPT5_i.num_named_barrier, 0
	.set _ZL23rocblas_gemvt_sn_kernelILb0ELi256ELi4EiDF16_ffEviiT4_lPKT3_lilS3_lilPT5_i.private_seg_size, 0
	.set _ZL23rocblas_gemvt_sn_kernelILb0ELi256ELi4EiDF16_ffEviiT4_lPKT3_lilS3_lilPT5_i.uses_vcc, 1
	.set _ZL23rocblas_gemvt_sn_kernelILb0ELi256ELi4EiDF16_ffEviiT4_lPKT3_lilS3_lilPT5_i.uses_flat_scratch, 0
	.set _ZL23rocblas_gemvt_sn_kernelILb0ELi256ELi4EiDF16_ffEviiT4_lPKT3_lilS3_lilPT5_i.has_dyn_sized_stack, 0
	.set _ZL23rocblas_gemvt_sn_kernelILb0ELi256ELi4EiDF16_ffEviiT4_lPKT3_lilS3_lilPT5_i.has_recursion, 0
	.set _ZL23rocblas_gemvt_sn_kernelILb0ELi256ELi4EiDF16_ffEviiT4_lPKT3_lilS3_lilPT5_i.has_indirect_call, 0
	.section	.AMDGPU.csdata,"",@progbits
; Kernel info:
; codeLenInByte = 4204
; TotalNumSgprs: 52
; NumVgprs: 48
; ScratchSize: 0
; MemoryBound: 0
; FloatMode: 240
; IeeeMode: 1
; LDSByteSize: 128 bytes/workgroup (compile time only)
; SGPRBlocks: 0
; VGPRBlocks: 5
; NumSGPRsForWavesPerEU: 52
; NumVGPRsForWavesPerEU: 48
; Occupancy: 16
; WaveLimiterHint : 1
; COMPUTE_PGM_RSRC2:SCRATCH_EN: 0
; COMPUTE_PGM_RSRC2:USER_SGPR: 6
; COMPUTE_PGM_RSRC2:TRAP_HANDLER: 0
; COMPUTE_PGM_RSRC2:TGID_X_EN: 1
; COMPUTE_PGM_RSRC2:TGID_Y_EN: 0
; COMPUTE_PGM_RSRC2:TGID_Z_EN: 1
; COMPUTE_PGM_RSRC2:TIDIG_COMP_CNT: 0
	.section	.text._ZL23rocblas_gemvt_sn_kernelILb0ELi256ELi4ElDF16_ffEviiT4_lPKT3_lilS3_lilPT5_i,"axG",@progbits,_ZL23rocblas_gemvt_sn_kernelILb0ELi256ELi4ElDF16_ffEviiT4_lPKT3_lilS3_lilPT5_i,comdat
	.globl	_ZL23rocblas_gemvt_sn_kernelILb0ELi256ELi4ElDF16_ffEviiT4_lPKT3_lilS3_lilPT5_i ; -- Begin function _ZL23rocblas_gemvt_sn_kernelILb0ELi256ELi4ElDF16_ffEviiT4_lPKT3_lilS3_lilPT5_i
	.p2align	8
	.type	_ZL23rocblas_gemvt_sn_kernelILb0ELi256ELi4ElDF16_ffEviiT4_lPKT3_lilS3_lilPT5_i,@function
_ZL23rocblas_gemvt_sn_kernelILb0ELi256ELi4ElDF16_ffEviiT4_lPKT3_lilS3_lilPT5_i: ; @_ZL23rocblas_gemvt_sn_kernelILb0ELi256ELi4ElDF16_ffEviiT4_lPKT3_lilS3_lilPT5_i
; %bb.0:
	s_clause 0x2
	s_load_dwordx4 s[12:15], s[4:5], 0x0
	s_load_dword s24, s[4:5], 0x68
	s_load_dwordx4 s[20:23], s[4:5], 0x50
	s_mov_b32 s25, 0
	s_waitcnt lgkmcnt(0)
	s_ashr_i32 s15, s13, 31
	s_mul_hi_u32 s0, s13, s7
	s_mul_i32 s1, s15, s7
	s_mul_i32 s2, s13, s7
	s_add_i32 s0, s0, s1
	s_mul_hi_u32 s1, s2, s24
	s_mul_i32 s3, s0, s24
	s_mul_i32 s0, s2, s24
	s_add_i32 s1, s1, s3
	v_cmp_neq_f32_e64 s2, s14, 0
	s_lshl_b64 s[0:1], s[0:1], 2
	s_add_u32 s33, s22, s0
	v_cmp_eq_u32_e64 s0, 0, v0
	s_addc_u32 s44, s23, s1
	s_and_b32 vcc_lo, exec_lo, s2
	s_cbranch_vccnz .LBB400_5
; %bb.1:
	s_cmp_gt_i32 s13, 0
	s_cselect_b32 s1, -1, 0
	s_and_b32 s0, s0, s1
	s_and_saveexec_b32 s8, s0
	s_cbranch_execz .LBB400_4
; %bb.2:
	s_mov_b32 s0, s7
	s_mov_b32 s7, 0
	v_mov_b32_e32 v1, 0
	s_lshl_b64 s[2:3], s[6:7], 2
	s_mov_b32 s7, s0
	s_add_u32 s0, s33, s2
	s_addc_u32 s1, s44, s3
	s_lshl_b64 s[2:3], s[24:25], 2
	s_mov_b32 s9, s13
.LBB400_3:                              ; =>This Inner Loop Header: Depth=1
	s_add_i32 s9, s9, -1
	global_store_dword v1, v1, s[0:1]
	s_add_u32 s0, s0, s2
	s_addc_u32 s1, s1, s3
	s_cmp_eq_u32 s9, 0
	s_cbranch_scc0 .LBB400_3
.LBB400_4:
	s_or_b32 exec_lo, exec_lo, s8
	s_cbranch_execz .LBB400_6
	s_branch .LBB400_80
.LBB400_5:
.LBB400_6:
	s_clause 0x4
	s_load_dword s22, s[4:5], 0x28
	s_load_dword s26, s[4:5], 0x48
	s_load_dwordx4 s[8:11], s[4:5], 0x30
	s_load_dwordx2 s[0:1], s[4:5], 0x40
	s_load_dwordx4 s[16:19], s[4:5], 0x18
	s_mul_i32 s3, s21, s7
	s_mul_hi_u32 s4, s20, s7
	s_mul_i32 s2, s20, s7
	s_add_i32 s3, s4, s3
	v_and_b32_e32 v26, 31, v0
	s_lshl_b64 s[20:21], s[2:3], 1
	v_mbcnt_lo_u32_b32 v29, -1, 0
	v_lshrrev_b32_e32 v31, 3, v0
	s_waitcnt lgkmcnt(0)
	s_ashr_i32 s23, s22, 31
	s_ashr_i32 s27, s26, 31
	s_add_u32 s5, s10, s20
	s_mul_i32 s3, s9, s7
	s_addc_u32 s9, s11, s21
	s_lshl_b64 s[30:31], s[0:1], 1
	s_mul_hi_u32 s4, s8, s7
	s_add_u32 s25, s5, s30
	s_mul_i32 s2, s8, s7
	s_addc_u32 s45, s9, s31
	s_add_i32 s3, s4, s3
	v_cmp_gt_u32_e64 s0, 32, v0
	s_lshl_b64 s[28:29], s[2:3], 1
	v_cmp_gt_u32_e64 s1, 8, v0
	s_add_u32 s2, s16, s28
	s_addc_u32 s3, s17, s29
	s_lshl_b64 s[18:19], s[18:19], 1
	s_add_u32 s2, s2, s18
	s_addc_u32 s3, s3, s19
	s_lshl_b32 s4, s6, 10
	s_ashr_i32 s5, s12, 31
	v_lshl_or_b32 v13, v0, 2, s4
	s_lshr_b32 s4, s15, 30
	s_lshr_b32 s5, s5, 30
	s_add_i32 s4, s13, s4
	s_add_i32 s5, s12, s5
	v_ashrrev_i32_e32 v14, 31, v13
	s_and_b32 s46, s4, -4
	s_and_b32 s4, s5, -4
	v_add_nc_u32_e32 v32, 4, v13
	s_sub_i32 s15, s12, s4
	v_lshlrev_b64 v[11:12], 1, v[13:14]
	v_or_b32_e32 v30, 1, v13
	v_or_b32_e32 v28, 2, v13
	v_add_nc_u32_e32 v33, s15, v13
	v_or_b32_e32 v27, 3, v13
	s_cmp_lt_i32 s46, 1
	v_add_co_u32 v9, vcc_lo, s2, v11
	v_add_co_ci_u32_e64 v10, null, s3, v12, vcc_lo
	s_cbranch_scc1 .LBB400_55
; %bb.7:
	v_cmp_gt_u32_e32 vcc_lo, 24, v29
	v_mad_i64_i32 v[5:6], null, s26, v28, 0
	v_mad_i64_i32 v[7:8], null, s26, v27, 0
	v_cndmask_b32_e64 v1, 0, 8, vcc_lo
	v_cmp_gt_u32_e32 vcc_lo, 28, v29
	s_cmp_gt_i32 s15, 0
	s_mov_b32 s7, 0
	v_lshlrev_b64 v[5:6], 1, v[5:6]
	v_add_lshl_u32 v35, v1, v29, 2
	v_cndmask_b32_e64 v2, 0, 4, vcc_lo
	v_cmp_gt_u32_e32 vcc_lo, 30, v29
	s_cselect_b32 s47, -1, 0
	s_lshl_b64 s[8:9], s[6:7], 2
	v_mov_b32_e32 v25, v10
	v_add_lshl_u32 v36, v2, v29, 2
	v_cndmask_b32_e64 v3, 0, 2, vcc_lo
	v_cmp_ne_u32_e32 vcc_lo, 31, v29
	v_mad_i64_i32 v[1:2], null, s26, v13, 0
	s_add_u32 s48, s33, s8
	v_add_lshl_u32 v37, v3, v29, 2
	v_add_co_ci_u32_e64 v4, null, 0, v29, vcc_lo
	s_addc_u32 s49, s44, s9
	s_add_u32 s8, s10, s30
	v_lshlrev_b64 v[1:2], 1, v[1:2]
	v_lshlrev_b32_e32 v38, 2, v4
	v_mad_i64_i32 v[3:4], null, s26, v30, 0
	s_addc_u32 s9, s11, s31
	s_add_u32 s8, s8, s20
	v_add_co_u32 v14, vcc_lo, s25, v1
	v_add_co_ci_u32_e64 v15, null, s45, v2, vcc_lo
	v_lshlrev_b64 v[3:4], 1, v[3:4]
	s_addc_u32 s9, s9, s21
	v_cmp_ge_i32_e64 s2, s12, v32
	v_cmp_ge_i32_e64 s3, s12, v33
	v_lshl_or_b32 v34, v29, 2, 64
	v_cmp_eq_u32_e64 s4, 0, v26
	v_add_co_u32 v16, vcc_lo, s25, v3
	v_add_co_ci_u32_e64 v17, null, s45, v4, vcc_lo
	v_lshlrev_b64 v[3:4], 1, v[7:8]
	v_add_co_u32 v18, vcc_lo, s25, v5
	v_mov_b32_e32 v5, 0
	v_add_co_ci_u32_e64 v19, null, s45, v6, vcc_lo
	v_add_co_u32 v20, vcc_lo, s25, v3
	v_mov_b32_e32 v6, v5
	v_mov_b32_e32 v7, v5
	;; [unrolled: 1-line block ×3, first 2 shown]
	v_add_co_ci_u32_e64 v21, null, s45, v4, vcc_lo
	v_add_co_u32 v22, vcc_lo, s8, v1
	v_add_co_ci_u32_e64 v23, null, s9, v2, vcc_lo
	v_mov_b32_e32 v1, v5
	v_lshlrev_b32_e32 v39, 2, v26
	v_and_b32_e32 v40, 28, v31
	v_cmp_eq_u32_e64 s5, 0, v0
	v_mov_b32_e32 v24, v9
	v_mov_b32_e32 v2, v6
	;; [unrolled: 1-line block ×4, first 2 shown]
	s_lshl_b64 s[34:35], s[26:27], 1
	s_lshl_b64 s[36:37], s[22:23], 3
	s_lshl_b64 s[38:39], s[22:23], 1
	s_lshl_b64 s[40:41], s[22:23], 2
	s_mul_hi_i32 s50, s22, 6
	s_mul_i32 s51, s22, 6
	s_branch .LBB400_9
.LBB400_8:                              ;   in Loop: Header=BB400_9 Depth=1
	s_or_b32 exec_lo, exec_lo, s8
	v_add_co_u32 v24, vcc_lo, v24, s36
	v_add_co_ci_u32_e64 v25, null, s37, v25, vcc_lo
	s_add_i32 s7, s7, 4
	s_cmp_ge_i32 s7, s46
	s_cbranch_scc1 .LBB400_56
.LBB400_9:                              ; =>This Loop Header: Depth=1
                                        ;     Child Loop BB400_40 Depth 2
                                        ;     Child Loop BB400_43 Depth 2
                                        ; implicit-def: $vgpr8
                                        ; implicit-def: $vgpr41
                                        ; implicit-def: $vgpr42
                                        ; implicit-def: $vgpr43
	s_and_saveexec_b32 s8, s2
	s_xor_b32 s8, exec_lo, s8
	s_cbranch_execnz .LBB400_36
; %bb.10:                               ;   in Loop: Header=BB400_9 Depth=1
	s_andn2_saveexec_b32 s52, s8
	s_cbranch_execnz .LBB400_37
.LBB400_11:                             ;   in Loop: Header=BB400_9 Depth=1
	s_or_b32 exec_lo, exec_lo, s52
	s_and_saveexec_b32 s8, s0
.LBB400_12:                             ;   in Loop: Header=BB400_9 Depth=1
	ds_write_b32 v39, v5
.LBB400_13:                             ;   in Loop: Header=BB400_9 Depth=1
	s_or_b32 exec_lo, exec_lo, s8
	ds_bpermute_b32 v6, v34, v43
	s_waitcnt lgkmcnt(0)
	s_waitcnt_vscnt null, 0x0
	s_barrier
	buffer_gl0_inv
	v_add_f32_e32 v6, v43, v6
	ds_bpermute_b32 v7, v35, v6
	s_waitcnt lgkmcnt(0)
	v_add_f32_e32 v6, v6, v7
	ds_bpermute_b32 v7, v36, v6
	s_waitcnt lgkmcnt(0)
	;; [unrolled: 3-line block ×3, first 2 shown]
	v_add_f32_e32 v6, v6, v7
	ds_bpermute_b32 v7, v38, v6
	s_and_saveexec_b32 s8, s4
	s_cbranch_execz .LBB400_15
; %bb.14:                               ;   in Loop: Header=BB400_9 Depth=1
	s_waitcnt lgkmcnt(0)
	v_add_f32_e32 v6, v6, v7
	ds_write_b32 v40, v6
.LBB400_15:                             ;   in Loop: Header=BB400_9 Depth=1
	s_or_b32 exec_lo, exec_lo, s8
	v_mov_b32_e32 v6, 0
	s_waitcnt lgkmcnt(0)
	s_barrier
	buffer_gl0_inv
	s_and_saveexec_b32 s8, s1
	s_cbranch_execnz .LBB400_44
; %bb.16:                               ;   in Loop: Header=BB400_9 Depth=1
	s_or_b32 exec_lo, exec_lo, s8
	s_and_saveexec_b32 s8, s0
	s_cbranch_execnz .LBB400_45
.LBB400_17:                             ;   in Loop: Header=BB400_9 Depth=1
	s_or_b32 exec_lo, exec_lo, s8
	s_and_saveexec_b32 s8, s0
.LBB400_18:                             ;   in Loop: Header=BB400_9 Depth=1
	ds_write_b32 v39, v5
.LBB400_19:                             ;   in Loop: Header=BB400_9 Depth=1
	s_or_b32 exec_lo, exec_lo, s8
	ds_bpermute_b32 v7, v34, v42
	s_waitcnt lgkmcnt(0)
	s_barrier
	buffer_gl0_inv
	v_add_f32_e32 v7, v42, v7
	ds_bpermute_b32 v42, v35, v7
	s_waitcnt lgkmcnt(0)
	v_add_f32_e32 v7, v7, v42
	ds_bpermute_b32 v42, v36, v7
	s_waitcnt lgkmcnt(0)
	;; [unrolled: 3-line block ×3, first 2 shown]
	v_add_f32_e32 v7, v7, v42
	ds_bpermute_b32 v42, v38, v7
	s_and_saveexec_b32 s8, s4
	s_cbranch_execz .LBB400_21
; %bb.20:                               ;   in Loop: Header=BB400_9 Depth=1
	s_waitcnt lgkmcnt(0)
	v_add_f32_e32 v7, v7, v42
	ds_write_b32 v40, v7
.LBB400_21:                             ;   in Loop: Header=BB400_9 Depth=1
	s_or_b32 exec_lo, exec_lo, s8
	v_mov_b32_e32 v7, 0
	s_waitcnt lgkmcnt(0)
	s_barrier
	buffer_gl0_inv
	s_and_saveexec_b32 s8, s1
	s_cbranch_execnz .LBB400_46
; %bb.22:                               ;   in Loop: Header=BB400_9 Depth=1
	s_or_b32 exec_lo, exec_lo, s8
	s_and_saveexec_b32 s8, s0
	s_cbranch_execnz .LBB400_47
.LBB400_23:                             ;   in Loop: Header=BB400_9 Depth=1
	s_or_b32 exec_lo, exec_lo, s8
	s_and_saveexec_b32 s8, s0
.LBB400_24:                             ;   in Loop: Header=BB400_9 Depth=1
	ds_write_b32 v39, v5
.LBB400_25:                             ;   in Loop: Header=BB400_9 Depth=1
	s_or_b32 exec_lo, exec_lo, s8
	ds_bpermute_b32 v42, v34, v41
	s_waitcnt lgkmcnt(0)
	s_barrier
	buffer_gl0_inv
	v_add_f32_e32 v41, v41, v42
	ds_bpermute_b32 v42, v35, v41
	s_waitcnt lgkmcnt(0)
	v_add_f32_e32 v41, v41, v42
	ds_bpermute_b32 v42, v36, v41
	s_waitcnt lgkmcnt(0)
	v_add_f32_e32 v41, v41, v42
	ds_bpermute_b32 v42, v37, v41
	s_waitcnt lgkmcnt(0)
	v_add_f32_e32 v41, v41, v42
	ds_bpermute_b32 v42, v38, v41
	s_and_saveexec_b32 s8, s4
	s_cbranch_execz .LBB400_27
; %bb.26:                               ;   in Loop: Header=BB400_9 Depth=1
	s_waitcnt lgkmcnt(0)
	v_add_f32_e32 v41, v41, v42
	ds_write_b32 v40, v41
.LBB400_27:                             ;   in Loop: Header=BB400_9 Depth=1
	s_or_b32 exec_lo, exec_lo, s8
	v_mov_b32_e32 v41, 0
	s_waitcnt lgkmcnt(0)
	s_barrier
	buffer_gl0_inv
	s_and_saveexec_b32 s8, s1
	s_cbranch_execnz .LBB400_48
; %bb.28:                               ;   in Loop: Header=BB400_9 Depth=1
	s_or_b32 exec_lo, exec_lo, s8
	s_and_saveexec_b32 s8, s0
	s_cbranch_execnz .LBB400_49
.LBB400_29:                             ;   in Loop: Header=BB400_9 Depth=1
	s_or_b32 exec_lo, exec_lo, s8
	s_and_saveexec_b32 s8, s0
.LBB400_30:                             ;   in Loop: Header=BB400_9 Depth=1
	ds_write_b32 v39, v5
.LBB400_31:                             ;   in Loop: Header=BB400_9 Depth=1
	s_or_b32 exec_lo, exec_lo, s8
	ds_bpermute_b32 v42, v34, v8
	s_waitcnt lgkmcnt(0)
	s_barrier
	buffer_gl0_inv
	v_add_f32_e32 v8, v8, v42
	ds_bpermute_b32 v42, v35, v8
	s_waitcnt lgkmcnt(0)
	v_add_f32_e32 v8, v8, v42
	ds_bpermute_b32 v42, v36, v8
	s_waitcnt lgkmcnt(0)
	;; [unrolled: 3-line block ×3, first 2 shown]
	v_add_f32_e32 v8, v8, v42
	ds_bpermute_b32 v42, v38, v8
	s_and_saveexec_b32 s8, s4
	s_cbranch_execz .LBB400_33
; %bb.32:                               ;   in Loop: Header=BB400_9 Depth=1
	s_waitcnt lgkmcnt(0)
	v_add_f32_e32 v8, v8, v42
	ds_write_b32 v40, v8
.LBB400_33:                             ;   in Loop: Header=BB400_9 Depth=1
	s_or_b32 exec_lo, exec_lo, s8
	v_mov_b32_e32 v8, 0
	s_waitcnt lgkmcnt(0)
	s_barrier
	buffer_gl0_inv
	s_and_saveexec_b32 s8, s1
	s_cbranch_execnz .LBB400_50
; %bb.34:                               ;   in Loop: Header=BB400_9 Depth=1
	s_or_b32 exec_lo, exec_lo, s8
	s_and_saveexec_b32 s8, s0
	s_cbranch_execnz .LBB400_51
.LBB400_35:                             ;   in Loop: Header=BB400_9 Depth=1
	s_or_b32 exec_lo, exec_lo, s8
	s_and_saveexec_b32 s8, s5
	s_cbranch_execz .LBB400_8
	s_branch .LBB400_52
.LBB400_36:                             ;   in Loop: Header=BB400_9 Depth=1
	s_mul_i32 s9, s7, s23
	s_mul_hi_u32 s42, s7, s22
	s_add_i32 s43, s42, s9
	s_mul_i32 s42, s7, s22
	s_or_b32 s9, s7, 1
	s_lshl_b64 s[42:43], s[42:43], 1
	s_mul_i32 s52, s9, s23
	s_mul_hi_u32 s53, s9, s22
	v_add_co_u32 v1, vcc_lo, v9, s42
	v_add_co_ci_u32_e64 v2, null, s43, v10, vcc_lo
	s_add_i32 s43, s53, s52
	s_mul_i32 s42, s9, s22
	s_or_b32 s9, s7, 2
	s_lshl_b64 s[42:43], s[42:43], 1
	s_mul_i32 s52, s9, s23
	s_mul_hi_u32 s53, s9, s22
	v_add_co_u32 v3, vcc_lo, v9, s42
	v_add_co_ci_u32_e64 v4, null, s43, v10, vcc_lo
	s_add_i32 s43, s53, s52
	s_or_b32 s52, s7, 3
	s_mul_i32 s42, s9, s22
	s_mul_i32 s9, s52, s23
	s_mul_hi_u32 s53, s52, s22
	s_lshl_b64 s[42:43], s[42:43], 1
	s_add_i32 s53, s53, s9
	s_mul_i32 s52, s52, s22
	v_add_co_u32 v6, vcc_lo, v9, s42
	v_add_co_ci_u32_e64 v7, null, s43, v10, vcc_lo
	s_lshl_b64 s[42:43], s[52:53], 1
	v_add_co_u32 v41, vcc_lo, v9, s42
	v_add_co_ci_u32_e64 v42, null, s43, v10, vcc_lo
	s_waitcnt lgkmcnt(0)
	global_load_ushort v8, v[14:15], off
	s_clause 0x3
	global_load_dwordx2 v[43:44], v[1:2], off
	global_load_dwordx2 v[45:46], v[3:4], off
	;; [unrolled: 1-line block ×4, first 2 shown]
	s_clause 0x2
	global_load_ushort v3, v[16:17], off
	global_load_ushort v4, v[18:19], off
	;; [unrolled: 1-line block ×3, first 2 shown]
	s_waitcnt vmcnt(7)
	v_cvt_f32_f16_e32 v1, v8
	s_waitcnt vmcnt(6)
	v_fma_mix_f32 v41, v8, v43, 0 op_sel_hi:[1,1,0]
	s_waitcnt vmcnt(5)
	v_fma_mix_f32 v42, v8, v45, 0 op_sel_hi:[1,1,0]
	;; [unrolled: 2-line block ×4, first 2 shown]
	s_waitcnt vmcnt(2)
	v_cvt_f32_f16_e32 v2, v3
	v_fma_mix_f32 v41, v3, v43, v41 op_sel:[0,1,0] op_sel_hi:[1,1,0]
	v_fma_mix_f32 v42, v3, v45, v42 op_sel:[0,1,0] op_sel_hi:[1,1,0]
	;; [unrolled: 1-line block ×4, first 2 shown]
	s_waitcnt vmcnt(1)
	v_cvt_f32_f16_e32 v3, v4
	v_fma_mix_f32 v41, v4, v44, v41 op_sel_hi:[1,1,0]
	v_fma_mix_f32 v42, v4, v46, v42 op_sel_hi:[1,1,0]
	;; [unrolled: 1-line block ×4, first 2 shown]
	s_waitcnt vmcnt(0)
	v_cvt_f32_f16_e32 v4, v49
	v_fma_mix_f32 v43, v49, v44, v41 op_sel:[0,1,0] op_sel_hi:[1,1,0]
	v_fma_mix_f32 v42, v49, v46, v42 op_sel:[0,1,0] op_sel_hi:[1,1,0]
	v_fma_mix_f32 v41, v49, v7, v6 op_sel:[0,1,0] op_sel_hi:[1,1,0]
	v_fma_mix_f32 v8, v49, v48, v8 op_sel:[0,1,0] op_sel_hi:[1,1,0]
	s_andn2_saveexec_b32 s52, s8
	s_cbranch_execz .LBB400_11
.LBB400_37:                             ;   in Loop: Header=BB400_9 Depth=1
	s_waitcnt lgkmcnt(0)
	v_mov_b32_e32 v8, 0
	v_mov_b32_e32 v41, 0
	;; [unrolled: 1-line block ×4, first 2 shown]
	s_and_saveexec_b32 s53, s3
	s_cbranch_execz .LBB400_54
; %bb.38:                               ;   in Loop: Header=BB400_9 Depth=1
	s_andn2_b32 vcc_lo, exec_lo, s47
	s_cbranch_vccnz .LBB400_41
; %bb.39:                               ;   in Loop: Header=BB400_9 Depth=1
	v_mov_b32_e32 v6, v22
	v_mov_b32_e32 v7, v23
	s_mov_b64 s[42:43], 0
	.p2align	6
.LBB400_40:                             ;   Parent Loop BB400_9 Depth=1
                                        ; =>  This Inner Loop Header: Depth=2
	global_load_ushort v8, v[6:7], off
	s_cmp_eq_u32 s42, 3
	v_add_co_u32 v6, vcc_lo, v6, s34
	v_add_co_ci_u32_e64 v7, null, s35, v7, vcc_lo
	s_cselect_b32 vcc_lo, -1, 0
	s_cmp_eq_u32 s42, 2
	s_cselect_b32 s8, -1, 0
	s_cmp_eq_u32 s42, 1
	s_cselect_b32 s9, -1, 0
	s_cmp_eq_u32 s42, 0
	s_waitcnt vmcnt(0)
	v_cvt_f32_f16_e32 v8, v8
	v_cndmask_b32_e32 v4, v4, v8, vcc_lo
	s_cselect_b32 vcc_lo, -1, 0
	v_cndmask_b32_e64 v3, v3, v8, s8
	v_cndmask_b32_e64 v2, v2, v8, s9
	v_cndmask_b32_e32 v1, v1, v8, vcc_lo
	s_add_u32 s42, s42, 1
	s_addc_u32 s43, s43, 0
	s_cmp_eq_u32 s15, s42
	s_cbranch_scc0 .LBB400_40
.LBB400_41:                             ;   in Loop: Header=BB400_9 Depth=1
	s_andn2_b32 vcc_lo, exec_lo, s47
	s_cbranch_vccnz .LBB400_53
; %bb.42:                               ;   in Loop: Header=BB400_9 Depth=1
	v_mov_b32_e32 v6, v24
	v_mov_b32_e32 v43, 0
	;; [unrolled: 1-line block ×6, first 2 shown]
	s_mov_b64 s[42:43], 0
	s_inst_prefetch 0x1
	.p2align	6
.LBB400_43:                             ;   Parent Loop BB400_9 Depth=1
                                        ; =>  This Inner Loop Header: Depth=2
	v_add_co_u32 v44, vcc_lo, v6, s38
	v_add_co_ci_u32_e64 v45, null, s39, v7, vcc_lo
	v_add_co_u32 v46, vcc_lo, v6, s40
	v_add_co_ci_u32_e64 v47, null, s41, v7, vcc_lo
	;; [unrolled: 2-line block ×3, first 2 shown]
	s_clause 0x3
	global_load_ushort v50, v[6:7], off
	global_load_ushort v44, v[44:45], off
	;; [unrolled: 1-line block ×4, first 2 shown]
	s_cmp_eq_u32 s42, 1
	v_add_co_u32 v6, s8, v6, 2
	s_cselect_b32 vcc_lo, -1, 0
	s_cmp_eq_u32 s42, 2
	v_cndmask_b32_e32 v47, v1, v2, vcc_lo
	s_cselect_b32 vcc_lo, -1, 0
	s_cmp_eq_u32 s42, 3
	v_add_co_ci_u32_e64 v7, null, 0, v7, s8
	v_cndmask_b32_e32 v47, v47, v3, vcc_lo
	s_cselect_b32 vcc_lo, -1, 0
	s_add_u32 s42, s42, 1
	s_addc_u32 s43, s43, 0
	s_cmp_lg_u32 s15, s42
	v_cndmask_b32_e32 v47, v47, v4, vcc_lo
	s_waitcnt vmcnt(3)
	v_fma_mix_f32 v43, v47, v50, v43 op_sel_hi:[0,1,0]
	s_waitcnt vmcnt(2)
	v_fma_mix_f32 v42, v47, v44, v42 op_sel_hi:[0,1,0]
	;; [unrolled: 2-line block ×4, first 2 shown]
	s_cbranch_scc1 .LBB400_43
	s_branch .LBB400_54
.LBB400_44:                             ;   in Loop: Header=BB400_9 Depth=1
	ds_read_b32 v6, v39
	s_or_b32 exec_lo, exec_lo, s8
	s_and_saveexec_b32 s8, s0
	s_cbranch_execz .LBB400_17
.LBB400_45:                             ;   in Loop: Header=BB400_9 Depth=1
	s_waitcnt lgkmcnt(0)
	ds_bpermute_b32 v7, v36, v6
	s_waitcnt lgkmcnt(0)
	v_add_f32_e32 v6, v6, v7
	ds_bpermute_b32 v7, v37, v6
	s_waitcnt lgkmcnt(0)
	v_add_f32_e32 v6, v6, v7
	;; [unrolled: 3-line block ×3, first 2 shown]
	s_or_b32 exec_lo, exec_lo, s8
	s_and_saveexec_b32 s8, s0
	s_cbranch_execnz .LBB400_18
	s_branch .LBB400_19
.LBB400_46:                             ;   in Loop: Header=BB400_9 Depth=1
	ds_read_b32 v7, v39
	s_or_b32 exec_lo, exec_lo, s8
	s_and_saveexec_b32 s8, s0
	s_cbranch_execz .LBB400_23
.LBB400_47:                             ;   in Loop: Header=BB400_9 Depth=1
	s_waitcnt lgkmcnt(0)
	ds_bpermute_b32 v42, v36, v7
	s_waitcnt lgkmcnt(0)
	v_add_f32_e32 v7, v7, v42
	ds_bpermute_b32 v42, v37, v7
	s_waitcnt lgkmcnt(0)
	v_add_f32_e32 v7, v7, v42
	;; [unrolled: 3-line block ×3, first 2 shown]
	s_or_b32 exec_lo, exec_lo, s8
	s_and_saveexec_b32 s8, s0
	s_cbranch_execnz .LBB400_24
	s_branch .LBB400_25
.LBB400_48:                             ;   in Loop: Header=BB400_9 Depth=1
	ds_read_b32 v41, v39
	s_or_b32 exec_lo, exec_lo, s8
	s_and_saveexec_b32 s8, s0
	s_cbranch_execz .LBB400_29
.LBB400_49:                             ;   in Loop: Header=BB400_9 Depth=1
	s_waitcnt lgkmcnt(0)
	ds_bpermute_b32 v42, v36, v41
	s_waitcnt lgkmcnt(0)
	v_add_f32_e32 v41, v41, v42
	ds_bpermute_b32 v42, v37, v41
	s_waitcnt lgkmcnt(0)
	v_add_f32_e32 v41, v41, v42
	;; [unrolled: 3-line block ×3, first 2 shown]
	s_or_b32 exec_lo, exec_lo, s8
	s_and_saveexec_b32 s8, s0
	s_cbranch_execnz .LBB400_30
	s_branch .LBB400_31
.LBB400_50:                             ;   in Loop: Header=BB400_9 Depth=1
	ds_read_b32 v8, v39
	s_or_b32 exec_lo, exec_lo, s8
	s_and_saveexec_b32 s8, s0
	s_cbranch_execz .LBB400_35
.LBB400_51:                             ;   in Loop: Header=BB400_9 Depth=1
	s_waitcnt lgkmcnt(0)
	ds_bpermute_b32 v42, v36, v8
	s_waitcnt lgkmcnt(0)
	v_add_f32_e32 v8, v8, v42
	ds_bpermute_b32 v42, v37, v8
	s_waitcnt lgkmcnt(0)
	v_add_f32_e32 v8, v8, v42
	;; [unrolled: 3-line block ×3, first 2 shown]
	s_or_b32 exec_lo, exec_lo, s8
	s_and_saveexec_b32 s8, s5
	s_cbranch_execz .LBB400_8
.LBB400_52:                             ;   in Loop: Header=BB400_9 Depth=1
	s_mul_hi_u32 s43, s7, s24
	s_mul_i32 s42, s7, s24
	v_mul_f32_e32 v6, s14, v6
	s_lshl_b64 s[42:43], s[42:43], 2
	v_mul_f32_e32 v7, s14, v7
	s_add_u32 s42, s48, s42
	s_addc_u32 s43, s49, s43
	s_or_b32 s9, s7, 1
	global_store_dword v5, v6, s[42:43]
	s_mul_hi_u32 s53, s9, s24
	s_mul_i32 s52, s9, s24
	v_mul_f32_e32 v6, s14, v41
	s_lshl_b64 s[52:53], s[52:53], 2
	s_waitcnt lgkmcnt(0)
	v_mul_f32_e32 v8, s14, v8
	s_add_u32 s52, s48, s52
	s_addc_u32 s53, s49, s53
	s_or_b32 s9, s7, 2
	global_store_dword v5, v7, s[52:53]
	s_mul_hi_u32 s55, s9, s24
	s_mul_i32 s54, s9, s24
	s_lshl_b64 s[54:55], s[54:55], 2
	s_add_u32 s42, s48, s54
	s_addc_u32 s43, s49, s55
	s_or_b32 s9, s7, 3
	s_mul_hi_u32 s55, s9, s24
	s_mul_i32 s54, s9, s24
	s_lshl_b64 s[54:55], s[54:55], 2
	s_add_u32 s52, s48, s54
	s_addc_u32 s53, s49, s55
	global_store_dword v5, v6, s[42:43]
	global_store_dword v5, v8, s[52:53]
	s_branch .LBB400_8
.LBB400_53:                             ;   in Loop: Header=BB400_9 Depth=1
	v_mov_b32_e32 v8, 0
	v_mov_b32_e32 v41, 0
	;; [unrolled: 1-line block ×4, first 2 shown]
.LBB400_54:                             ;   in Loop: Header=BB400_9 Depth=1
	s_inst_prefetch 0x2
	s_or_b32 exec_lo, exec_lo, s53
	s_or_b32 exec_lo, exec_lo, s52
	s_and_saveexec_b32 s8, s0
	s_cbranch_execnz .LBB400_12
	s_branch .LBB400_13
.LBB400_55:
	v_mov_b32_e32 v1, 0
	s_mov_b32 s7, 0
	v_mov_b32_e32 v2, v1
	v_mov_b32_e32 v3, v1
	;; [unrolled: 1-line block ×3, first 2 shown]
.LBB400_56:
	s_cmp_ge_i32 s7, s13
	s_cbranch_scc1 .LBB400_80
; %bb.57:
	v_cmp_gt_u32_e32 vcc_lo, 24, v29
	v_lshl_or_b32 v22, v29, 2, 64
	v_mad_i64_i32 v[15:16], null, s26, v27, 0
	s_cmp_gt_i32 s15, 0
	v_cndmask_b32_e64 v5, 0, 8, vcc_lo
	v_cmp_gt_u32_e32 vcc_lo, 28, v29
	s_mov_b32 s9, 0
	s_mov_b32 s8, s6
	v_cmp_ge_i32_e64 s0, s12, v32
	v_add_lshl_u32 v23, v5, v29, 2
	v_cndmask_b32_e64 v6, 0, 4, vcc_lo
	v_cmp_gt_u32_e32 vcc_lo, 30, v29
	v_cmp_ge_i32_e64 s1, s12, v33
	s_cselect_b32 s12, -1, 0
	s_lshl_b64 s[34:35], s[8:9], 2
	v_add_lshl_u32 v24, v6, v29, 2
	v_cndmask_b32_e64 v7, 0, 2, vcc_lo
	v_cmp_ne_u32_e32 vcc_lo, 31, v29
	v_mad_i64_i32 v[5:6], null, s26, v13, 0
	v_mad_i64_i32 v[13:14], null, s26, v28, 0
	s_waitcnt lgkmcnt(0)
	v_add_co_ci_u32_e64 v8, null, 0, v29, vcc_lo
	v_add_lshl_u32 v25, v7, v29, 2
	s_add_u32 s33, s33, s34
	v_lshlrev_b64 v[17:18], 1, v[5:6]
	v_lshlrev_b32_e32 v29, 2, v8
	v_mad_i64_i32 v[7:8], null, s26, v30, 0
	v_lshlrev_b64 v[13:14], 1, v[13:14]
	v_lshlrev_b64 v[15:16], 1, v[15:16]
	v_add_co_u32 v5, vcc_lo, s25, v17
	s_addc_u32 s34, s44, s35
	v_add_co_ci_u32_e64 v6, null, s45, v18, vcc_lo
	v_lshlrev_b64 v[7:8], 1, v[7:8]
	s_add_u32 s6, s10, s30
	s_addc_u32 s8, s11, s31
	s_mul_i32 s10, s23, s7
	s_mul_hi_u32 s11, s22, s7
	s_add_u32 s6, s6, s20
	v_add_co_u32 v7, vcc_lo, s25, v7
	v_add_co_ci_u32_e64 v8, null, s45, v8, vcc_lo
	v_add_co_u32 v13, vcc_lo, s25, v13
	s_addc_u32 s8, s8, s21
	s_add_i32 s11, s11, s10
	s_mul_i32 s10, s22, s7
	v_add_co_ci_u32_e64 v14, null, s45, v14, vcc_lo
	v_add_co_u32 v15, vcc_lo, s25, v15
	s_lshl_b64 s[20:21], s[10:11], 1
	v_add_co_ci_u32_e64 v16, null, s45, v16, vcc_lo
	v_add_co_u32 v17, vcc_lo, s6, v17
	s_lshl_b64 s[10:11], s[26:27], 1
	s_add_u32 s6, s28, s20
	v_add_co_ci_u32_e64 v18, null, s8, v18, vcc_lo
	s_addc_u32 s8, s29, s21
	s_add_u32 s6, s6, s18
	s_addc_u32 s8, s8, s19
	s_add_u32 s6, s16, s6
	s_addc_u32 s8, s17, s8
	v_add_co_u32 v11, vcc_lo, s6, v11
	v_cmp_gt_u32_e64 s2, 32, v0
	v_lshlrev_b32_e32 v21, 2, v26
	v_cmp_eq_u32_e64 s3, 0, v26
	v_and_b32_e32 v26, 28, v31
	v_cmp_gt_u32_e64 s4, 8, v0
	v_cmp_eq_u32_e64 s5, 0, v0
	v_add_co_ci_u32_e64 v12, null, s8, v12, vcc_lo
	v_mov_b32_e32 v0, 0
	s_lshl_b64 s[16:17], s[22:23], 1
	s_branch .LBB400_59
.LBB400_58:                             ;   in Loop: Header=BB400_59 Depth=1
	s_or_b32 exec_lo, exec_lo, s6
	v_add_co_u32 v11, vcc_lo, v11, s16
	v_add_co_ci_u32_e64 v12, null, s17, v12, vcc_lo
	s_add_i32 s7, s7, 1
	s_cmp_ge_i32 s7, s13
	s_cbranch_scc1 .LBB400_80
.LBB400_59:                             ; =>This Loop Header: Depth=1
                                        ;     Child Loop BB400_72 Depth 2
                                        ;     Child Loop BB400_75 Depth 2
	v_mov_b32_e32 v27, s9
	s_and_saveexec_b32 s6, s0
	s_xor_b32 s6, exec_lo, s6
	s_cbranch_execnz .LBB400_68
; %bb.60:                               ;   in Loop: Header=BB400_59 Depth=1
	s_andn2_saveexec_b32 s20, s6
	s_cbranch_execnz .LBB400_69
.LBB400_61:                             ;   in Loop: Header=BB400_59 Depth=1
	s_or_b32 exec_lo, exec_lo, s20
	s_and_saveexec_b32 s6, s2
.LBB400_62:                             ;   in Loop: Header=BB400_59 Depth=1
	ds_write_b32 v21, v0
.LBB400_63:                             ;   in Loop: Header=BB400_59 Depth=1
	s_or_b32 exec_lo, exec_lo, s6
	s_waitcnt lgkmcnt(0)
	ds_bpermute_b32 v19, v22, v27
	s_waitcnt lgkmcnt(0)
	s_waitcnt_vscnt null, 0x0
	s_barrier
	buffer_gl0_inv
	v_add_f32_e32 v19, v27, v19
	ds_bpermute_b32 v20, v23, v19
	s_waitcnt lgkmcnt(0)
	v_add_f32_e32 v19, v19, v20
	ds_bpermute_b32 v20, v24, v19
	s_waitcnt lgkmcnt(0)
	;; [unrolled: 3-line block ×3, first 2 shown]
	v_add_f32_e32 v19, v19, v20
	ds_bpermute_b32 v20, v29, v19
	s_and_saveexec_b32 s6, s3
	s_cbranch_execz .LBB400_65
; %bb.64:                               ;   in Loop: Header=BB400_59 Depth=1
	s_waitcnt lgkmcnt(0)
	v_add_f32_e32 v19, v19, v20
	ds_write_b32 v26, v19
.LBB400_65:                             ;   in Loop: Header=BB400_59 Depth=1
	s_or_b32 exec_lo, exec_lo, s6
	v_mov_b32_e32 v19, 0
	s_waitcnt lgkmcnt(0)
	s_barrier
	buffer_gl0_inv
	s_and_saveexec_b32 s6, s4
	s_cbranch_execnz .LBB400_77
; %bb.66:                               ;   in Loop: Header=BB400_59 Depth=1
	s_or_b32 exec_lo, exec_lo, s6
	s_and_saveexec_b32 s6, s2
	s_cbranch_execnz .LBB400_78
.LBB400_67:                             ;   in Loop: Header=BB400_59 Depth=1
	s_or_b32 exec_lo, exec_lo, s6
	s_and_saveexec_b32 s6, s5
	s_cbranch_execz .LBB400_58
	s_branch .LBB400_79
.LBB400_68:                             ;   in Loop: Header=BB400_59 Depth=1
	s_mul_i32 s8, s7, s23
	s_mul_hi_u32 s19, s7, s22
	s_mul_i32 s18, s7, s22
	s_add_i32 s19, s19, s8
	s_lshl_b64 s[18:19], s[18:19], 1
	v_add_co_u32 v1, vcc_lo, v9, s18
	v_add_co_ci_u32_e64 v2, null, s19, v10, vcc_lo
	s_waitcnt lgkmcnt(0)
	global_load_dwordx2 v[19:20], v[1:2], off
	s_clause 0x3
	global_load_ushort v1, v[5:6], off
	global_load_ushort v2, v[7:8], off
	;; [unrolled: 1-line block ×4, first 2 shown]
	s_waitcnt vmcnt(3)
	v_fma_mix_f32 v4, v1, v19, 0 op_sel_hi:[1,1,0]
	v_cvt_f32_f16_e32 v1, v1
	s_waitcnt vmcnt(2)
	v_fma_mix_f32 v4, v2, v19, v4 op_sel:[0,1,0] op_sel_hi:[1,1,0]
	v_cvt_f32_f16_e32 v2, v2
	s_waitcnt vmcnt(1)
	v_fma_mix_f32 v19, v3, v20, v4 op_sel_hi:[1,1,0]
	v_cvt_f32_f16_e32 v3, v3
	s_waitcnt vmcnt(0)
	v_cvt_f32_f16_e32 v4, v27
	v_fma_mix_f32 v27, v27, v20, v19 op_sel:[0,1,0] op_sel_hi:[1,1,0]
	s_andn2_saveexec_b32 s20, s6
	s_cbranch_execz .LBB400_61
.LBB400_69:                             ;   in Loop: Header=BB400_59 Depth=1
	s_and_saveexec_b32 s21, s1
	s_cbranch_execz .LBB400_76
; %bb.70:                               ;   in Loop: Header=BB400_59 Depth=1
	s_andn2_b32 vcc_lo, exec_lo, s12
	s_cbranch_vccnz .LBB400_73
; %bb.71:                               ;   in Loop: Header=BB400_59 Depth=1
	s_waitcnt lgkmcnt(0)
	v_mov_b32_e32 v20, v18
	v_mov_b32_e32 v19, v17
	s_mov_b64 s[18:19], 0
	.p2align	6
.LBB400_72:                             ;   Parent Loop BB400_59 Depth=1
                                        ; =>  This Inner Loop Header: Depth=2
	global_load_ushort v28, v[19:20], off
	s_cmp_eq_u32 s18, 3
	v_add_co_u32 v19, vcc_lo, v19, s10
	v_add_co_ci_u32_e64 v20, null, s11, v20, vcc_lo
	s_cselect_b32 vcc_lo, -1, 0
	s_cmp_eq_u32 s18, 2
	s_cselect_b32 s6, -1, 0
	s_cmp_eq_u32 s18, 1
	s_cselect_b32 s8, -1, 0
	s_cmp_eq_u32 s18, 0
	s_waitcnt vmcnt(0)
	v_cvt_f32_f16_e32 v28, v28
	v_cndmask_b32_e32 v4, v4, v28, vcc_lo
	s_cselect_b32 vcc_lo, -1, 0
	v_cndmask_b32_e64 v3, v3, v28, s6
	v_cndmask_b32_e64 v2, v2, v28, s8
	v_cndmask_b32_e32 v1, v1, v28, vcc_lo
	s_add_u32 s18, s18, 1
	s_addc_u32 s19, s19, 0
	s_cmp_eq_u32 s15, s18
	s_cbranch_scc0 .LBB400_72
.LBB400_73:                             ;   in Loop: Header=BB400_59 Depth=1
	s_andn2_b32 vcc_lo, exec_lo, s12
	s_cbranch_vccnz .LBB400_76
; %bb.74:                               ;   in Loop: Header=BB400_59 Depth=1
	s_waitcnt lgkmcnt(0)
	v_mov_b32_e32 v20, v12
	v_mov_b32_e32 v19, v11
	s_mov_b64 s[18:19], 0
	.p2align	6
.LBB400_75:                             ;   Parent Loop BB400_59 Depth=1
                                        ; =>  This Inner Loop Header: Depth=2
	global_load_ushort v28, v[19:20], off
	s_cmp_eq_u32 s18, 1
	s_cselect_b32 vcc_lo, -1, 0
	s_cmp_eq_u32 s18, 2
	v_cndmask_b32_e32 v30, v1, v2, vcc_lo
	s_cselect_b32 vcc_lo, -1, 0
	s_cmp_eq_u32 s18, 3
	v_cndmask_b32_e32 v30, v30, v3, vcc_lo
	s_cselect_b32 vcc_lo, -1, 0
	s_add_u32 s18, s18, 1
	s_addc_u32 s19, s19, 0
	s_cmp_lg_u32 s15, s18
	v_cndmask_b32_e32 v30, v30, v4, vcc_lo
	v_add_co_u32 v19, vcc_lo, v19, 2
	v_add_co_ci_u32_e64 v20, null, 0, v20, vcc_lo
	s_waitcnt vmcnt(0)
	v_fma_mix_f32 v27, v30, v28, v27 op_sel_hi:[0,1,0]
	s_cbranch_scc1 .LBB400_75
.LBB400_76:                             ;   in Loop: Header=BB400_59 Depth=1
	s_or_b32 exec_lo, exec_lo, s21
	s_or_b32 exec_lo, exec_lo, s20
	s_and_saveexec_b32 s6, s2
	s_cbranch_execnz .LBB400_62
	s_branch .LBB400_63
.LBB400_77:                             ;   in Loop: Header=BB400_59 Depth=1
	ds_read_b32 v19, v21
	s_or_b32 exec_lo, exec_lo, s6
	s_and_saveexec_b32 s6, s2
	s_cbranch_execz .LBB400_67
.LBB400_78:                             ;   in Loop: Header=BB400_59 Depth=1
	s_waitcnt lgkmcnt(0)
	ds_bpermute_b32 v20, v24, v19
	s_waitcnt lgkmcnt(0)
	v_add_f32_e32 v19, v19, v20
	ds_bpermute_b32 v20, v25, v19
	s_waitcnt lgkmcnt(0)
	v_add_f32_e32 v19, v19, v20
	;; [unrolled: 3-line block ×3, first 2 shown]
	s_or_b32 exec_lo, exec_lo, s6
	s_and_saveexec_b32 s6, s5
	s_cbranch_execz .LBB400_58
.LBB400_79:                             ;   in Loop: Header=BB400_59 Depth=1
	s_mul_hi_u32 s19, s7, s24
	s_mul_i32 s18, s7, s24
	s_waitcnt lgkmcnt(0)
	v_mul_f32_e32 v19, s14, v19
	s_lshl_b64 s[18:19], s[18:19], 2
	s_add_u32 s18, s33, s18
	s_addc_u32 s19, s34, s19
	global_store_dword v0, v19, s[18:19]
	s_branch .LBB400_58
.LBB400_80:
	s_endpgm
	.section	.rodata,"a",@progbits
	.p2align	6, 0x0
	.amdhsa_kernel _ZL23rocblas_gemvt_sn_kernelILb0ELi256ELi4ElDF16_ffEviiT4_lPKT3_lilS3_lilPT5_i
		.amdhsa_group_segment_fixed_size 128
		.amdhsa_private_segment_fixed_size 0
		.amdhsa_kernarg_size 360
		.amdhsa_user_sgpr_count 6
		.amdhsa_user_sgpr_private_segment_buffer 1
		.amdhsa_user_sgpr_dispatch_ptr 0
		.amdhsa_user_sgpr_queue_ptr 0
		.amdhsa_user_sgpr_kernarg_segment_ptr 1
		.amdhsa_user_sgpr_dispatch_id 0
		.amdhsa_user_sgpr_flat_scratch_init 0
		.amdhsa_user_sgpr_private_segment_size 0
		.amdhsa_wavefront_size32 1
		.amdhsa_uses_dynamic_stack 0
		.amdhsa_system_sgpr_private_segment_wavefront_offset 0
		.amdhsa_system_sgpr_workgroup_id_x 1
		.amdhsa_system_sgpr_workgroup_id_y 0
		.amdhsa_system_sgpr_workgroup_id_z 1
		.amdhsa_system_sgpr_workgroup_info 0
		.amdhsa_system_vgpr_workitem_id 0
		.amdhsa_next_free_vgpr 51
		.amdhsa_next_free_sgpr 56
		.amdhsa_reserve_vcc 1
		.amdhsa_reserve_flat_scratch 0
		.amdhsa_float_round_mode_32 0
		.amdhsa_float_round_mode_16_64 0
		.amdhsa_float_denorm_mode_32 3
		.amdhsa_float_denorm_mode_16_64 3
		.amdhsa_dx10_clamp 1
		.amdhsa_ieee_mode 1
		.amdhsa_fp16_overflow 0
		.amdhsa_workgroup_processor_mode 1
		.amdhsa_memory_ordered 1
		.amdhsa_forward_progress 1
		.amdhsa_shared_vgpr_count 0
		.amdhsa_exception_fp_ieee_invalid_op 0
		.amdhsa_exception_fp_denorm_src 0
		.amdhsa_exception_fp_ieee_div_zero 0
		.amdhsa_exception_fp_ieee_overflow 0
		.amdhsa_exception_fp_ieee_underflow 0
		.amdhsa_exception_fp_ieee_inexact 0
		.amdhsa_exception_int_div_zero 0
	.end_amdhsa_kernel
	.section	.text._ZL23rocblas_gemvt_sn_kernelILb0ELi256ELi4ElDF16_ffEviiT4_lPKT3_lilS3_lilPT5_i,"axG",@progbits,_ZL23rocblas_gemvt_sn_kernelILb0ELi256ELi4ElDF16_ffEviiT4_lPKT3_lilS3_lilPT5_i,comdat
.Lfunc_end400:
	.size	_ZL23rocblas_gemvt_sn_kernelILb0ELi256ELi4ElDF16_ffEviiT4_lPKT3_lilS3_lilPT5_i, .Lfunc_end400-_ZL23rocblas_gemvt_sn_kernelILb0ELi256ELi4ElDF16_ffEviiT4_lPKT3_lilS3_lilPT5_i
                                        ; -- End function
	.set _ZL23rocblas_gemvt_sn_kernelILb0ELi256ELi4ElDF16_ffEviiT4_lPKT3_lilS3_lilPT5_i.num_vgpr, 51
	.set _ZL23rocblas_gemvt_sn_kernelILb0ELi256ELi4ElDF16_ffEviiT4_lPKT3_lilS3_lilPT5_i.num_agpr, 0
	.set _ZL23rocblas_gemvt_sn_kernelILb0ELi256ELi4ElDF16_ffEviiT4_lPKT3_lilS3_lilPT5_i.numbered_sgpr, 56
	.set _ZL23rocblas_gemvt_sn_kernelILb0ELi256ELi4ElDF16_ffEviiT4_lPKT3_lilS3_lilPT5_i.num_named_barrier, 0
	.set _ZL23rocblas_gemvt_sn_kernelILb0ELi256ELi4ElDF16_ffEviiT4_lPKT3_lilS3_lilPT5_i.private_seg_size, 0
	.set _ZL23rocblas_gemvt_sn_kernelILb0ELi256ELi4ElDF16_ffEviiT4_lPKT3_lilS3_lilPT5_i.uses_vcc, 1
	.set _ZL23rocblas_gemvt_sn_kernelILb0ELi256ELi4ElDF16_ffEviiT4_lPKT3_lilS3_lilPT5_i.uses_flat_scratch, 0
	.set _ZL23rocblas_gemvt_sn_kernelILb0ELi256ELi4ElDF16_ffEviiT4_lPKT3_lilS3_lilPT5_i.has_dyn_sized_stack, 0
	.set _ZL23rocblas_gemvt_sn_kernelILb0ELi256ELi4ElDF16_ffEviiT4_lPKT3_lilS3_lilPT5_i.has_recursion, 0
	.set _ZL23rocblas_gemvt_sn_kernelILb0ELi256ELi4ElDF16_ffEviiT4_lPKT3_lilS3_lilPT5_i.has_indirect_call, 0
	.section	.AMDGPU.csdata,"",@progbits
; Kernel info:
; codeLenInByte = 4332
; TotalNumSgprs: 58
; NumVgprs: 51
; ScratchSize: 0
; MemoryBound: 0
; FloatMode: 240
; IeeeMode: 1
; LDSByteSize: 128 bytes/workgroup (compile time only)
; SGPRBlocks: 0
; VGPRBlocks: 6
; NumSGPRsForWavesPerEU: 58
; NumVGPRsForWavesPerEU: 51
; Occupancy: 16
; WaveLimiterHint : 1
; COMPUTE_PGM_RSRC2:SCRATCH_EN: 0
; COMPUTE_PGM_RSRC2:USER_SGPR: 6
; COMPUTE_PGM_RSRC2:TRAP_HANDLER: 0
; COMPUTE_PGM_RSRC2:TGID_X_EN: 1
; COMPUTE_PGM_RSRC2:TGID_Y_EN: 0
; COMPUTE_PGM_RSRC2:TGID_Z_EN: 1
; COMPUTE_PGM_RSRC2:TIDIG_COMP_CNT: 0
	.section	.text._ZL23rocblas_gemvt_sn_reduceILi256ELi8EffDF16_EviT2_lPT3_lilPT1_i,"axG",@progbits,_ZL23rocblas_gemvt_sn_reduceILi256ELi8EffDF16_EviT2_lPT3_lilPT1_i,comdat
	.globl	_ZL23rocblas_gemvt_sn_reduceILi256ELi8EffDF16_EviT2_lPT3_lilPT1_i ; -- Begin function _ZL23rocblas_gemvt_sn_reduceILi256ELi8EffDF16_EviT2_lPT3_lilPT1_i
	.p2align	8
	.type	_ZL23rocblas_gemvt_sn_reduceILi256ELi8EffDF16_EviT2_lPT3_lilPT1_i,@function
_ZL23rocblas_gemvt_sn_reduceILi256ELi8EffDF16_EviT2_lPT3_lilPT1_i: ; @_ZL23rocblas_gemvt_sn_reduceILi256ELi8EffDF16_EviT2_lPT3_lilPT1_i
; %bb.0:
	s_clause 0x2
	s_load_dwordx2 s[2:3], s[4:5], 0x0
	s_load_dword s0, s[4:5], 0x44
	s_load_dwordx2 s[10:11], s[4:5], 0x30
	v_lshlrev_b32_e32 v4, 3, v0
	v_mov_b32_e32 v3, 0
	s_waitcnt lgkmcnt(0)
	s_ashr_i32 s6, s2, 31
	s_mul_i32 s9, s0, s8
	s_add_u32 s0, s4, 64
	s_addc_u32 s1, s5, 0
	s_lshr_b32 s12, s6, 29
	s_add_i32 s9, s9, s7
	s_add_i32 s12, s2, s12
	s_mul_i32 s13, s9, s6
	s_and_b32 s6, s12, -8
	s_mul_hi_u32 s12, s9, s2
	s_add_i32 s13, s12, s13
	s_mul_i32 s12, s9, s2
	s_mov_b32 s9, exec_lo
	v_cmpx_gt_i32_e64 s6, v4
	s_cbranch_execz .LBB401_4
; %bb.1:
	s_load_dword s0, s[0:1], 0xc
	v_lshlrev_b32_e32 v1, 5, v0
	s_lshl_b64 s[14:15], s[12:13], 2
	v_mov_b32_e32 v3, 0
	s_waitcnt lgkmcnt(0)
	s_and_b32 s0, s0, 0xffff
	s_lshl_b32 s1, s0, 3
	s_add_u32 s14, s10, s14
	s_addc_u32 s15, s11, s15
	v_add_co_u32 v1, s14, s14, v1
	v_add_co_ci_u32_e64 v2, null, s15, 0, s14
	s_mov_b32 s14, 0
	v_add_co_u32 v1, vcc_lo, v1, 28
	v_add_co_ci_u32_e64 v2, null, 0, v2, vcc_lo
	s_lshl_b32 s15, s0, 5
	.p2align	6
.LBB401_2:                              ; =>This Inner Loop Header: Depth=1
	s_clause 0x1
	global_load_dwordx4 v[5:8], v[1:2], off offset:-28
	global_load_dwordx4 v[9:12], v[1:2], off offset:-12
	v_add_nc_u32_e32 v4, s1, v4
	v_add_co_u32 v1, vcc_lo, v1, s15
	v_add_co_ci_u32_e64 v2, null, 0, v2, vcc_lo
	v_cmp_le_i32_e64 s0, s6, v4
	s_or_b32 s14, s0, s14
	s_waitcnt vmcnt(1)
	v_add_f32_e32 v3, v3, v5
	v_add_f32_e32 v3, v3, v6
	;; [unrolled: 1-line block ×4, first 2 shown]
	s_waitcnt vmcnt(0)
	v_add_f32_e32 v3, v3, v9
	v_add_f32_e32 v3, v3, v10
	;; [unrolled: 1-line block ×4, first 2 shown]
	s_andn2_b32 exec_lo, exec_lo, s14
	s_cbranch_execnz .LBB401_2
; %bb.3:
	s_or_b32 exec_lo, exec_lo, s14
.LBB401_4:
	s_or_b32 exec_lo, exec_lo, s9
	s_sub_i32 s0, s2, s6
	v_cmp_gt_u32_e32 vcc_lo, s0, v0
	s_and_saveexec_b32 s0, vcc_lo
	s_cbranch_execz .LBB401_6
; %bb.5:
	v_xad_u32 v1, v0, -1, s2
	v_mov_b32_e32 v2, 0
	s_lshl_b64 s[12:13], s[12:13], 2
	s_add_u32 s1, s10, s12
	s_addc_u32 s2, s11, s13
	v_lshlrev_b64 v[1:2], 2, v[1:2]
	v_add_co_u32 v1, vcc_lo, s1, v1
	v_add_co_ci_u32_e64 v2, null, s2, v2, vcc_lo
	global_load_dword v1, v[1:2], off
	s_waitcnt vmcnt(0)
	v_add_f32_e32 v3, v3, v1
.LBB401_6:
	s_or_b32 exec_lo, exec_lo, s0
	v_and_b32_e32 v1, 31, v0
	v_cmp_gt_u32_e32 vcc_lo, 32, v0
	v_lshlrev_b32_e32 v2, 2, v1
	s_and_saveexec_b32 s0, vcc_lo
; %bb.7:
	v_mov_b32_e32 v4, 0
	ds_write_b32 v2, v4
; %bb.8:
	s_or_b32 exec_lo, exec_lo, s0
	v_mbcnt_lo_u32_b32 v5, -1, 0
	s_mov_b32 s1, exec_lo
	s_waitcnt lgkmcnt(0)
	s_barrier
	buffer_gl0_inv
	v_lshl_or_b32 v4, v5, 2, 64
	v_cmp_gt_u32_e64 s0, 24, v5
	ds_bpermute_b32 v4, v4, v3
	v_cndmask_b32_e64 v6, 0, 8, s0
	v_cmp_gt_u32_e64 s0, 28, v5
	v_add_lshl_u32 v6, v6, v5, 2
	s_waitcnt lgkmcnt(0)
	v_add_f32_e32 v4, v3, v4
	v_cndmask_b32_e64 v3, 0, 4, s0
	v_cmp_gt_u32_e64 s0, 30, v5
	ds_bpermute_b32 v6, v6, v4
	v_add_lshl_u32 v3, v3, v5, 2
	s_waitcnt lgkmcnt(0)
	v_add_f32_e32 v6, v4, v6
	v_cndmask_b32_e64 v4, 0, 2, s0
	v_cmp_ne_u32_e64 s0, 31, v5
	ds_bpermute_b32 v7, v3, v6
	v_add_lshl_u32 v4, v4, v5, 2
	v_add_co_ci_u32_e64 v5, null, 0, v5, s0
	v_lshlrev_b32_e32 v5, 2, v5
	s_waitcnt lgkmcnt(0)
	v_add_f32_e32 v6, v6, v7
	ds_bpermute_b32 v7, v4, v6
	s_waitcnt lgkmcnt(0)
	v_add_f32_e32 v6, v6, v7
	ds_bpermute_b32 v7, v5, v6
	v_cmpx_eq_u32_e32 0, v1
	s_cbranch_execz .LBB401_10
; %bb.9:
	v_lshrrev_b32_e32 v1, 3, v0
	s_waitcnt lgkmcnt(0)
	v_add_f32_e32 v6, v6, v7
	v_and_b32_e32 v1, 28, v1
	ds_write_b32 v1, v6
.LBB401_10:
	s_or_b32 exec_lo, exec_lo, s1
	v_mov_b32_e32 v1, 0
	s_mov_b32 s1, exec_lo
	s_waitcnt lgkmcnt(0)
	s_barrier
	buffer_gl0_inv
	v_cmpx_gt_u32_e32 8, v0
; %bb.11:
	ds_read_b32 v1, v2
; %bb.12:
	s_or_b32 exec_lo, exec_lo, s1
	s_and_saveexec_b32 s0, vcc_lo
	s_cbranch_execz .LBB401_14
; %bb.13:
	s_waitcnt lgkmcnt(0)
	ds_bpermute_b32 v2, v3, v1
	s_waitcnt lgkmcnt(0)
	v_add_f32_e32 v1, v1, v2
	ds_bpermute_b32 v2, v4, v1
	s_waitcnt lgkmcnt(0)
	v_add_f32_e32 v1, v1, v2
	;; [unrolled: 3-line block ×3, first 2 shown]
.LBB401_14:
	s_or_b32 exec_lo, exec_lo, s0
	s_mov_b32 s0, exec_lo
	v_cmpx_eq_u32_e32 0, v0
	s_cbranch_execz .LBB401_18
; %bb.15:
	s_clause 0x2
	s_load_dwordx2 s[0:1], s[4:5], 0x28
	s_load_dword s6, s[4:5], 0x20
	s_load_dwordx4 s[12:15], s[4:5], 0x10
	v_cmp_eq_f32_e64 s5, s3, 0
	s_waitcnt lgkmcnt(0)
	s_mul_i32 s1, s1, s8
	s_mul_hi_u32 s2, s0, s8
	s_mul_i32 s0, s0, s8
	s_add_i32 s1, s2, s1
	s_ashr_i32 s2, s6, 31
	s_lshl_b64 s[0:1], s[0:1], 1
	s_mul_hi_u32 s8, s6, s7
	s_add_u32 s4, s12, s0
	s_addc_u32 s9, s13, s1
	s_lshl_b64 s[0:1], s[14:15], 1
	s_mul_i32 s10, s2, s7
	s_add_u32 s2, s4, s0
	s_addc_u32 s4, s9, s1
	s_add_i32 s1, s8, s10
	s_and_b32 vcc_lo, exec_lo, s5
	s_mul_i32 s0, s6, s7
	s_cbranch_vccnz .LBB401_17
; %bb.16:
	s_lshl_b64 s[6:7], s[0:1], 1
	v_mov_b32_e32 v0, 0
	s_add_u32 s6, s2, s6
	s_addc_u32 s7, s4, s7
	global_load_ushort v0, v0, s[6:7]
	s_waitcnt vmcnt(0)
	v_fma_mix_f32 v1, s3, v0, v1 op_sel_hi:[0,1,0]
.LBB401_17:
	v_cvt_f16_f32_e32 v0, v1
	s_lshl_b64 s[0:1], s[0:1], 1
	v_mov_b32_e32 v1, 0
	s_add_u32 s0, s2, s0
	s_addc_u32 s1, s4, s1
	global_store_short v1, v0, s[0:1]
.LBB401_18:
	s_endpgm
	.section	.rodata,"a",@progbits
	.p2align	6, 0x0
	.amdhsa_kernel _ZL23rocblas_gemvt_sn_reduceILi256ELi8EffDF16_EviT2_lPT3_lilPT1_i
		.amdhsa_group_segment_fixed_size 128
		.amdhsa_private_segment_fixed_size 0
		.amdhsa_kernarg_size 320
		.amdhsa_user_sgpr_count 6
		.amdhsa_user_sgpr_private_segment_buffer 1
		.amdhsa_user_sgpr_dispatch_ptr 0
		.amdhsa_user_sgpr_queue_ptr 0
		.amdhsa_user_sgpr_kernarg_segment_ptr 1
		.amdhsa_user_sgpr_dispatch_id 0
		.amdhsa_user_sgpr_flat_scratch_init 0
		.amdhsa_user_sgpr_private_segment_size 0
		.amdhsa_wavefront_size32 1
		.amdhsa_uses_dynamic_stack 0
		.amdhsa_system_sgpr_private_segment_wavefront_offset 0
		.amdhsa_system_sgpr_workgroup_id_x 1
		.amdhsa_system_sgpr_workgroup_id_y 1
		.amdhsa_system_sgpr_workgroup_id_z 1
		.amdhsa_system_sgpr_workgroup_info 0
		.amdhsa_system_vgpr_workitem_id 0
		.amdhsa_next_free_vgpr 13
		.amdhsa_next_free_sgpr 16
		.amdhsa_reserve_vcc 1
		.amdhsa_reserve_flat_scratch 0
		.amdhsa_float_round_mode_32 0
		.amdhsa_float_round_mode_16_64 0
		.amdhsa_float_denorm_mode_32 3
		.amdhsa_float_denorm_mode_16_64 3
		.amdhsa_dx10_clamp 1
		.amdhsa_ieee_mode 1
		.amdhsa_fp16_overflow 0
		.amdhsa_workgroup_processor_mode 1
		.amdhsa_memory_ordered 1
		.amdhsa_forward_progress 1
		.amdhsa_shared_vgpr_count 0
		.amdhsa_exception_fp_ieee_invalid_op 0
		.amdhsa_exception_fp_denorm_src 0
		.amdhsa_exception_fp_ieee_div_zero 0
		.amdhsa_exception_fp_ieee_overflow 0
		.amdhsa_exception_fp_ieee_underflow 0
		.amdhsa_exception_fp_ieee_inexact 0
		.amdhsa_exception_int_div_zero 0
	.end_amdhsa_kernel
	.section	.text._ZL23rocblas_gemvt_sn_reduceILi256ELi8EffDF16_EviT2_lPT3_lilPT1_i,"axG",@progbits,_ZL23rocblas_gemvt_sn_reduceILi256ELi8EffDF16_EviT2_lPT3_lilPT1_i,comdat
.Lfunc_end401:
	.size	_ZL23rocblas_gemvt_sn_reduceILi256ELi8EffDF16_EviT2_lPT3_lilPT1_i, .Lfunc_end401-_ZL23rocblas_gemvt_sn_reduceILi256ELi8EffDF16_EviT2_lPT3_lilPT1_i
                                        ; -- End function
	.set _ZL23rocblas_gemvt_sn_reduceILi256ELi8EffDF16_EviT2_lPT3_lilPT1_i.num_vgpr, 13
	.set _ZL23rocblas_gemvt_sn_reduceILi256ELi8EffDF16_EviT2_lPT3_lilPT1_i.num_agpr, 0
	.set _ZL23rocblas_gemvt_sn_reduceILi256ELi8EffDF16_EviT2_lPT3_lilPT1_i.numbered_sgpr, 16
	.set _ZL23rocblas_gemvt_sn_reduceILi256ELi8EffDF16_EviT2_lPT3_lilPT1_i.num_named_barrier, 0
	.set _ZL23rocblas_gemvt_sn_reduceILi256ELi8EffDF16_EviT2_lPT3_lilPT1_i.private_seg_size, 0
	.set _ZL23rocblas_gemvt_sn_reduceILi256ELi8EffDF16_EviT2_lPT3_lilPT1_i.uses_vcc, 1
	.set _ZL23rocblas_gemvt_sn_reduceILi256ELi8EffDF16_EviT2_lPT3_lilPT1_i.uses_flat_scratch, 0
	.set _ZL23rocblas_gemvt_sn_reduceILi256ELi8EffDF16_EviT2_lPT3_lilPT1_i.has_dyn_sized_stack, 0
	.set _ZL23rocblas_gemvt_sn_reduceILi256ELi8EffDF16_EviT2_lPT3_lilPT1_i.has_recursion, 0
	.set _ZL23rocblas_gemvt_sn_reduceILi256ELi8EffDF16_EviT2_lPT3_lilPT1_i.has_indirect_call, 0
	.section	.AMDGPU.csdata,"",@progbits
; Kernel info:
; codeLenInByte = 944
; TotalNumSgprs: 18
; NumVgprs: 13
; ScratchSize: 0
; MemoryBound: 0
; FloatMode: 240
; IeeeMode: 1
; LDSByteSize: 128 bytes/workgroup (compile time only)
; SGPRBlocks: 0
; VGPRBlocks: 1
; NumSGPRsForWavesPerEU: 18
; NumVGPRsForWavesPerEU: 13
; Occupancy: 16
; WaveLimiterHint : 0
; COMPUTE_PGM_RSRC2:SCRATCH_EN: 0
; COMPUTE_PGM_RSRC2:USER_SGPR: 6
; COMPUTE_PGM_RSRC2:TRAP_HANDLER: 0
; COMPUTE_PGM_RSRC2:TGID_X_EN: 1
; COMPUTE_PGM_RSRC2:TGID_Y_EN: 1
; COMPUTE_PGM_RSRC2:TGID_Z_EN: 1
; COMPUTE_PGM_RSRC2:TIDIG_COMP_CNT: 0
	.section	.text._ZL32rocblas_gemvt_warp_reduce_kernelILb0ELi256EiDF16_PKfDF16_EviiT3_lPKT2_lT1_lS5_lS6_lS2_lPT4_lS6_li,"axG",@progbits,_ZL32rocblas_gemvt_warp_reduce_kernelILb0ELi256EiDF16_PKfDF16_EviiT3_lPKT2_lT1_lS5_lS6_lS2_lPT4_lS6_li,comdat
	.globl	_ZL32rocblas_gemvt_warp_reduce_kernelILb0ELi256EiDF16_PKfDF16_EviiT3_lPKT2_lT1_lS5_lS6_lS2_lPT4_lS6_li ; -- Begin function _ZL32rocblas_gemvt_warp_reduce_kernelILb0ELi256EiDF16_PKfDF16_EviiT3_lPKT2_lT1_lS5_lS6_lS2_lPT4_lS6_li
	.p2align	8
	.type	_ZL32rocblas_gemvt_warp_reduce_kernelILb0ELi256EiDF16_PKfDF16_EviiT3_lPKT2_lT1_lS5_lS6_lS2_lPT4_lS6_li,@function
_ZL32rocblas_gemvt_warp_reduce_kernelILb0ELi256EiDF16_PKfDF16_EviiT3_lPKT2_lT1_lS5_lS6_lS2_lPT4_lS6_li: ; @_ZL32rocblas_gemvt_warp_reduce_kernelILb0ELi256EiDF16_PKfDF16_EviiT3_lPKT2_lT1_lS5_lS6_lS2_lPT4_lS6_li
; %bb.0:
	s_clause 0x1
	s_load_dwordx8 s[8:15], s[4:5], 0x8
	s_load_dwordx8 s[16:23], s[4:5], 0x50
	s_waitcnt lgkmcnt(0)
	s_mul_i32 s1, s11, s7
	s_mul_hi_u32 s2, s10, s7
	s_mul_i32 s0, s10, s7
	s_add_i32 s1, s2, s1
	s_mul_i32 s2, s21, s7
	s_lshl_b64 s[0:1], s[0:1], 2
	s_mul_hi_u32 s3, s20, s7
	s_add_u32 s0, s8, s0
	s_addc_u32 s1, s9, s1
	s_add_i32 s3, s3, s2
	s_mul_i32 s2, s20, s7
	s_mov_b32 s10, 0
	s_lshl_b64 s[2:3], s[2:3], 2
	s_add_u32 s2, s18, s2
	s_addc_u32 s3, s19, s3
	s_load_dword s11, s[0:1], 0x0
	s_load_dword s9, s[2:3], 0x0
	s_waitcnt lgkmcnt(0)
	v_cmp_eq_f32_e64 s0, s11, 0
	v_cmp_eq_f32_e64 s1, s9, 1.0
	s_and_b32 s0, s0, s1
	s_and_b32 vcc_lo, exec_lo, s0
	s_cbranch_vccnz .LBB402_30
; %bb.1:
	s_clause 0x2
	s_load_dwordx2 s[0:1], s[4:5], 0x80
	s_load_dwordx2 s[2:3], s[4:5], 0x70
	s_load_dword s18, s[4:5], 0x78
	v_cmp_neq_f32_e64 s19, s11, 0
	s_waitcnt lgkmcnt(0)
	s_mul_i32 s1, s1, s7
	s_mul_hi_u32 s8, s0, s7
	s_mul_i32 s0, s0, s7
	s_add_i32 s1, s8, s1
	s_lshl_b64 s[0:1], s[0:1], 1
	s_add_u32 s0, s22, s0
	s_addc_u32 s8, s23, s1
	s_lshl_b64 s[2:3], s[2:3], 1
	s_add_u32 s1, s0, s2
	v_cmp_eq_u32_e64 s0, 0, v0
	s_addc_u32 s8, s8, s3
	s_and_b32 vcc_lo, exec_lo, s19
	s_cbranch_vccnz .LBB402_5
; %bb.2:
	s_mov_b32 s19, 0
                                        ; implicit-def: $vgpr1
                                        ; implicit-def: $sgpr2_sgpr3
	s_and_saveexec_b32 s20, s0
	s_cbranch_execz .LBB402_6
; %bb.3:
	v_cmp_eq_f32_e64 s0, s9, 0
	s_mul_i32 s2, s18, s6
	s_ashr_i32 s3, s2, 31
	s_and_b32 vcc_lo, exec_lo, s0
	s_cbranch_vccnz .LBB402_7
; %bb.4:
	s_lshl_b64 s[22:23], s[2:3], 1
	v_mov_b32_e32 v1, 0
	s_add_u32 s22, s1, s22
	s_addc_u32 s23, s8, s23
	global_load_ushort v1, v1, s[22:23]
	s_waitcnt vmcnt(0)
	v_fma_mixlo_f16 v1, s9, v1, 0 op_sel_hi:[0,1,0]
	s_branch .LBB402_8
.LBB402_5:
                                        ; implicit-def: $vgpr1
                                        ; implicit-def: $sgpr2_sgpr3
	s_cbranch_execnz .LBB402_9
	s_branch .LBB402_28
.LBB402_6:
	s_or_b32 exec_lo, exec_lo, s20
	s_and_b32 vcc_lo, exec_lo, s19
	s_cbranch_vccnz .LBB402_9
	s_branch .LBB402_28
.LBB402_7:
	v_mov_b32_e32 v1, 0
.LBB402_8:
	s_mov_b32 s10, exec_lo
	s_or_b32 exec_lo, exec_lo, s20
	s_and_b32 vcc_lo, exec_lo, s19
	s_cbranch_vccz .LBB402_28
.LBB402_9:
	s_clause 0x3
	s_load_dwordx4 s[20:23], s[4:5], 0x30
	s_load_dwordx2 s[24:25], s[4:5], 0x40
	s_load_dword s3, s[4:5], 0x0
	s_load_dword s0, s[4:5], 0x28
	s_mul_i32 s2, s17, s7
	s_mul_hi_u32 s17, s16, s7
	s_mul_i32 s16, s16, s7
	s_add_i32 s17, s17, s2
	s_load_dword s4, s[4:5], 0x48
	s_lshl_b64 s[16:17], s[16:17], 1
	v_mov_b32_e32 v7, 0
	s_waitcnt lgkmcnt(0)
	s_add_u32 s2, s22, s16
	s_addc_u32 s22, s23, s17
	v_cmp_gt_i32_e32 vcc_lo, s3, v0
	s_lshl_b64 s[16:17], s[24:25], 1
	s_mul_i32 s19, s21, s7
	s_mul_hi_u32 s21, s20, s7
	s_add_u32 s5, s2, s16
	v_cndmask_b32_e32 v1, 0, v0, vcc_lo
	s_mul_i32 s20, s20, s7
	s_addc_u32 s7, s22, s17
	s_add_i32 s21, s21, s19
	s_lshl_b64 s[16:17], s[20:21], 1
	s_mul_i32 s20, s0, s6
	s_add_u32 s0, s12, s16
	v_lshlrev_b32_e32 v1, 1, v1
	s_addc_u32 s2, s13, s17
	s_lshl_b64 s[12:13], s[14:15], 1
	s_add_u32 s0, s0, s12
	s_addc_u32 s2, s2, s13
	v_add_co_u32 v1, s0, s0, v1
	s_ashr_i32 s12, s3, 31
	s_ashr_i32 s21, s20, 31
	v_add_co_ci_u32_e64 v2, null, s2, 0, s0
	s_lshr_b32 s0, s12, 24
	s_lshl_b64 s[12:13], s[20:21], 1
	s_add_i32 s0, s3, s0
	v_add_co_u32 v1, vcc_lo, v1, s12
	v_add_co_ci_u32_e64 v2, null, s13, v2, vcc_lo
	s_and_b32 s2, s0, 0xffffff00
	s_mov_b32 s13, 0
	s_mov_b32 s12, exec_lo
	v_cmpx_gt_i32_e64 s2, v0
	s_cbranch_execz .LBB402_13
; %bb.10:
	v_mul_lo_u32 v3, v0, s4
	v_mov_b32_e32 v6, v2
	v_mov_b32_e32 v7, 0
	v_mov_b32_e32 v5, v1
	v_mov_b32_e32 v8, v0
	s_lshl_b32 s14, s4, 8
	.p2align	6
.LBB402_11:                             ; =>This Inner Loop Header: Depth=1
	v_ashrrev_i32_e32 v4, 31, v3
	v_add_nc_u32_e32 v8, 0x100, v8
	v_lshlrev_b64 v[9:10], 1, v[3:4]
	v_cmp_le_i32_e64 s0, s2, v8
	v_add_nc_u32_e32 v3, s14, v3
	s_or_b32 s13, s0, s13
	v_add_co_u32 v9, vcc_lo, s5, v9
	v_add_co_ci_u32_e64 v10, null, s7, v10, vcc_lo
	global_load_ushort v4, v[5:6], off
	global_load_ushort v9, v[9:10], off
	v_add_co_u32 v5, vcc_lo, 0x200, v5
	v_add_co_ci_u32_e64 v6, null, 0, v6, vcc_lo
	s_waitcnt vmcnt(0)
	v_mul_f16_e32 v4, v4, v9
	v_cvt_f32_f16_e32 v4, v4
	v_add_f32_e32 v7, v7, v4
	s_andn2_b32 exec_lo, exec_lo, s13
	s_cbranch_execnz .LBB402_11
; %bb.12:
	s_or_b32 exec_lo, exec_lo, s13
.LBB402_13:
	s_or_b32 exec_lo, exec_lo, s12
	v_add_nc_u32_e32 v3, s2, v0
	s_mov_b32 s0, exec_lo
	v_cmpx_gt_i32_e64 s3, v3
	s_cbranch_execz .LBB402_15
; %bb.14:
	v_mul_lo_u32 v3, s4, v3
	s_ashr_i32 s3, s2, 31
	s_lshl_b64 s[2:3], s[2:3], 1
	v_add_co_u32 v1, vcc_lo, v1, s2
	v_add_co_ci_u32_e64 v2, null, s3, v2, vcc_lo
	v_ashrrev_i32_e32 v4, 31, v3
	v_lshlrev_b64 v[3:4], 1, v[3:4]
	v_add_co_u32 v3, vcc_lo, s5, v3
	v_add_co_ci_u32_e64 v4, null, s7, v4, vcc_lo
	global_load_ushort v1, v[1:2], off
	global_load_ushort v2, v[3:4], off
	s_waitcnt vmcnt(0)
	v_mul_f16_e32 v1, v1, v2
	v_cvt_f32_f16_e32 v1, v1
	v_add_f32_e32 v7, v7, v1
.LBB402_15:
	s_or_b32 exec_lo, exec_lo, s0
	v_and_b32_e32 v5, 31, v0
	v_cmp_gt_u32_e32 vcc_lo, 32, v0
	v_lshlrev_b32_e32 v1, 2, v5
	s_and_saveexec_b32 s0, vcc_lo
; %bb.16:
	v_mov_b32_e32 v2, 0
	ds_write_b32 v1, v2
; %bb.17:
	s_or_b32 exec_lo, exec_lo, s0
	v_mbcnt_lo_u32_b32 v4, -1, 0
	s_mov_b32 s2, exec_lo
	s_waitcnt lgkmcnt(0)
	s_barrier
	buffer_gl0_inv
	v_lshl_or_b32 v2, v4, 2, 64
	v_cmp_gt_u32_e64 s0, 24, v4
	ds_bpermute_b32 v2, v2, v7
	v_cndmask_b32_e64 v3, 0, 8, s0
	v_cmp_gt_u32_e64 s0, 28, v4
	v_add_lshl_u32 v3, v3, v4, 2
	s_waitcnt lgkmcnt(0)
	v_add_f32_e32 v6, v7, v2
	v_cndmask_b32_e64 v2, 0, 4, s0
	v_cmp_gt_u32_e64 s0, 30, v4
	ds_bpermute_b32 v3, v3, v6
	v_add_lshl_u32 v2, v2, v4, 2
	s_waitcnt lgkmcnt(0)
	v_add_f32_e32 v6, v6, v3
	v_cndmask_b32_e64 v3, 0, 2, s0
	v_cmp_ne_u32_e64 s0, 31, v4
	ds_bpermute_b32 v7, v2, v6
	v_add_lshl_u32 v3, v3, v4, 2
	v_add_co_ci_u32_e64 v4, null, 0, v4, s0
	v_lshlrev_b32_e32 v4, 2, v4
	s_waitcnt lgkmcnt(0)
	v_add_f32_e32 v6, v6, v7
	ds_bpermute_b32 v7, v3, v6
	s_waitcnt lgkmcnt(0)
	v_add_f32_e32 v6, v6, v7
	ds_bpermute_b32 v7, v4, v6
	v_cmpx_eq_u32_e32 0, v5
	s_cbranch_execz .LBB402_19
; %bb.18:
	v_lshrrev_b32_e32 v5, 3, v0
	s_waitcnt lgkmcnt(0)
	v_add_f32_e32 v6, v6, v7
	v_and_b32_e32 v5, 28, v5
	ds_write_b32 v5, v6
.LBB402_19:
	s_or_b32 exec_lo, exec_lo, s2
	v_mov_b32_e32 v5, 0
	s_mov_b32 s2, exec_lo
	s_waitcnt lgkmcnt(0)
	s_barrier
	buffer_gl0_inv
	v_cmpx_gt_u32_e32 8, v0
; %bb.20:
	ds_read_b32 v5, v1
; %bb.21:
	s_or_b32 exec_lo, exec_lo, s2
	s_and_saveexec_b32 s0, vcc_lo
	s_cbranch_execz .LBB402_23
; %bb.22:
	s_waitcnt lgkmcnt(0)
	ds_bpermute_b32 v1, v2, v5
	s_waitcnt lgkmcnt(0)
	v_add_f32_e32 v1, v5, v1
	ds_bpermute_b32 v2, v3, v1
	s_waitcnt lgkmcnt(0)
	v_add_f32_e32 v1, v1, v2
	ds_bpermute_b32 v2, v4, v1
	s_waitcnt lgkmcnt(0)
	v_add_f32_e32 v5, v1, v2
.LBB402_23:
	s_or_b32 exec_lo, exec_lo, s0
	s_mov_b32 s0, exec_lo
                                        ; implicit-def: $vgpr1
                                        ; implicit-def: $sgpr2_sgpr3
	v_cmpx_eq_u32_e32 0, v0
	s_cbranch_execz .LBB402_27
; %bb.24:
	v_cmp_eq_f32_e64 s3, s9, 0
	s_waitcnt lgkmcnt(0)
	v_mul_f32_e32 v0, s11, v5
	s_mul_i32 s2, s18, s6
	s_and_b32 vcc_lo, exec_lo, s3
	s_ashr_i32 s3, s2, 31
	s_cbranch_vccnz .LBB402_26
; %bb.25:
	s_lshl_b64 s[4:5], s[2:3], 1
	v_mov_b32_e32 v1, 0
	s_add_u32 s4, s1, s4
	s_addc_u32 s5, s8, s5
	global_load_ushort v1, v1, s[4:5]
	s_waitcnt vmcnt(0)
	v_fma_mix_f32 v0, s9, v1, v0 op_sel_hi:[0,1,0]
.LBB402_26:
	v_cvt_f16_f32_e32 v1, v0
	s_or_b32 s10, s10, exec_lo
.LBB402_27:
	s_or_b32 exec_lo, exec_lo, s0
.LBB402_28:
	s_and_saveexec_b32 s0, s10
	s_cbranch_execz .LBB402_30
; %bb.29:
	s_lshl_b64 s[2:3], s[2:3], 1
	v_mov_b32_e32 v0, 0
	s_add_u32 s0, s1, s2
	s_addc_u32 s1, s8, s3
	global_store_short v0, v1, s[0:1]
.LBB402_30:
	s_endpgm
	.section	.rodata,"a",@progbits
	.p2align	6, 0x0
	.amdhsa_kernel _ZL32rocblas_gemvt_warp_reduce_kernelILb0ELi256EiDF16_PKfDF16_EviiT3_lPKT2_lT1_lS5_lS6_lS2_lPT4_lS6_li
		.amdhsa_group_segment_fixed_size 128
		.amdhsa_private_segment_fixed_size 0
		.amdhsa_kernarg_size 140
		.amdhsa_user_sgpr_count 6
		.amdhsa_user_sgpr_private_segment_buffer 1
		.amdhsa_user_sgpr_dispatch_ptr 0
		.amdhsa_user_sgpr_queue_ptr 0
		.amdhsa_user_sgpr_kernarg_segment_ptr 1
		.amdhsa_user_sgpr_dispatch_id 0
		.amdhsa_user_sgpr_flat_scratch_init 0
		.amdhsa_user_sgpr_private_segment_size 0
		.amdhsa_wavefront_size32 1
		.amdhsa_uses_dynamic_stack 0
		.amdhsa_system_sgpr_private_segment_wavefront_offset 0
		.amdhsa_system_sgpr_workgroup_id_x 1
		.amdhsa_system_sgpr_workgroup_id_y 0
		.amdhsa_system_sgpr_workgroup_id_z 1
		.amdhsa_system_sgpr_workgroup_info 0
		.amdhsa_system_vgpr_workitem_id 0
		.amdhsa_next_free_vgpr 11
		.amdhsa_next_free_sgpr 26
		.amdhsa_reserve_vcc 1
		.amdhsa_reserve_flat_scratch 0
		.amdhsa_float_round_mode_32 0
		.amdhsa_float_round_mode_16_64 0
		.amdhsa_float_denorm_mode_32 3
		.amdhsa_float_denorm_mode_16_64 3
		.amdhsa_dx10_clamp 1
		.amdhsa_ieee_mode 1
		.amdhsa_fp16_overflow 0
		.amdhsa_workgroup_processor_mode 1
		.amdhsa_memory_ordered 1
		.amdhsa_forward_progress 1
		.amdhsa_shared_vgpr_count 0
		.amdhsa_exception_fp_ieee_invalid_op 0
		.amdhsa_exception_fp_denorm_src 0
		.amdhsa_exception_fp_ieee_div_zero 0
		.amdhsa_exception_fp_ieee_overflow 0
		.amdhsa_exception_fp_ieee_underflow 0
		.amdhsa_exception_fp_ieee_inexact 0
		.amdhsa_exception_int_div_zero 0
	.end_amdhsa_kernel
	.section	.text._ZL32rocblas_gemvt_warp_reduce_kernelILb0ELi256EiDF16_PKfDF16_EviiT3_lPKT2_lT1_lS5_lS6_lS2_lPT4_lS6_li,"axG",@progbits,_ZL32rocblas_gemvt_warp_reduce_kernelILb0ELi256EiDF16_PKfDF16_EviiT3_lPKT2_lT1_lS5_lS6_lS2_lPT4_lS6_li,comdat
.Lfunc_end402:
	.size	_ZL32rocblas_gemvt_warp_reduce_kernelILb0ELi256EiDF16_PKfDF16_EviiT3_lPKT2_lT1_lS5_lS6_lS2_lPT4_lS6_li, .Lfunc_end402-_ZL32rocblas_gemvt_warp_reduce_kernelILb0ELi256EiDF16_PKfDF16_EviiT3_lPKT2_lT1_lS5_lS6_lS2_lPT4_lS6_li
                                        ; -- End function
	.set _ZL32rocblas_gemvt_warp_reduce_kernelILb0ELi256EiDF16_PKfDF16_EviiT3_lPKT2_lT1_lS5_lS6_lS2_lPT4_lS6_li.num_vgpr, 11
	.set _ZL32rocblas_gemvt_warp_reduce_kernelILb0ELi256EiDF16_PKfDF16_EviiT3_lPKT2_lT1_lS5_lS6_lS2_lPT4_lS6_li.num_agpr, 0
	.set _ZL32rocblas_gemvt_warp_reduce_kernelILb0ELi256EiDF16_PKfDF16_EviiT3_lPKT2_lT1_lS5_lS6_lS2_lPT4_lS6_li.numbered_sgpr, 26
	.set _ZL32rocblas_gemvt_warp_reduce_kernelILb0ELi256EiDF16_PKfDF16_EviiT3_lPKT2_lT1_lS5_lS6_lS2_lPT4_lS6_li.num_named_barrier, 0
	.set _ZL32rocblas_gemvt_warp_reduce_kernelILb0ELi256EiDF16_PKfDF16_EviiT3_lPKT2_lT1_lS5_lS6_lS2_lPT4_lS6_li.private_seg_size, 0
	.set _ZL32rocblas_gemvt_warp_reduce_kernelILb0ELi256EiDF16_PKfDF16_EviiT3_lPKT2_lT1_lS5_lS6_lS2_lPT4_lS6_li.uses_vcc, 1
	.set _ZL32rocblas_gemvt_warp_reduce_kernelILb0ELi256EiDF16_PKfDF16_EviiT3_lPKT2_lT1_lS5_lS6_lS2_lPT4_lS6_li.uses_flat_scratch, 0
	.set _ZL32rocblas_gemvt_warp_reduce_kernelILb0ELi256EiDF16_PKfDF16_EviiT3_lPKT2_lT1_lS5_lS6_lS2_lPT4_lS6_li.has_dyn_sized_stack, 0
	.set _ZL32rocblas_gemvt_warp_reduce_kernelILb0ELi256EiDF16_PKfDF16_EviiT3_lPKT2_lT1_lS5_lS6_lS2_lPT4_lS6_li.has_recursion, 0
	.set _ZL32rocblas_gemvt_warp_reduce_kernelILb0ELi256EiDF16_PKfDF16_EviiT3_lPKT2_lT1_lS5_lS6_lS2_lPT4_lS6_li.has_indirect_call, 0
	.section	.AMDGPU.csdata,"",@progbits
; Kernel info:
; codeLenInByte = 1376
; TotalNumSgprs: 28
; NumVgprs: 11
; ScratchSize: 0
; MemoryBound: 0
; FloatMode: 240
; IeeeMode: 1
; LDSByteSize: 128 bytes/workgroup (compile time only)
; SGPRBlocks: 0
; VGPRBlocks: 1
; NumSGPRsForWavesPerEU: 28
; NumVGPRsForWavesPerEU: 11
; Occupancy: 16
; WaveLimiterHint : 1
; COMPUTE_PGM_RSRC2:SCRATCH_EN: 0
; COMPUTE_PGM_RSRC2:USER_SGPR: 6
; COMPUTE_PGM_RSRC2:TRAP_HANDLER: 0
; COMPUTE_PGM_RSRC2:TGID_X_EN: 1
; COMPUTE_PGM_RSRC2:TGID_Y_EN: 0
; COMPUTE_PGM_RSRC2:TGID_Z_EN: 1
; COMPUTE_PGM_RSRC2:TIDIG_COMP_CNT: 0
	.section	.text._ZL32rocblas_gemvt_warp_reduce_kernelILb0ELi256ElDF16_PKfDF16_EviiT3_lPKT2_lT1_lS5_lS6_lS2_lPT4_lS6_li,"axG",@progbits,_ZL32rocblas_gemvt_warp_reduce_kernelILb0ELi256ElDF16_PKfDF16_EviiT3_lPKT2_lT1_lS5_lS6_lS2_lPT4_lS6_li,comdat
	.globl	_ZL32rocblas_gemvt_warp_reduce_kernelILb0ELi256ElDF16_PKfDF16_EviiT3_lPKT2_lT1_lS5_lS6_lS2_lPT4_lS6_li ; -- Begin function _ZL32rocblas_gemvt_warp_reduce_kernelILb0ELi256ElDF16_PKfDF16_EviiT3_lPKT2_lT1_lS5_lS6_lS2_lPT4_lS6_li
	.p2align	8
	.type	_ZL32rocblas_gemvt_warp_reduce_kernelILb0ELi256ElDF16_PKfDF16_EviiT3_lPKT2_lT1_lS5_lS6_lS2_lPT4_lS6_li,@function
_ZL32rocblas_gemvt_warp_reduce_kernelILb0ELi256ElDF16_PKfDF16_EviiT3_lPKT2_lT1_lS5_lS6_lS2_lPT4_lS6_li: ; @_ZL32rocblas_gemvt_warp_reduce_kernelILb0ELi256ElDF16_PKfDF16_EviiT3_lPKT2_lT1_lS5_lS6_lS2_lPT4_lS6_li
; %bb.0:
	s_clause 0x1
	s_load_dwordx16 s[36:51], s[4:5], 0x8
	s_load_dwordx16 s[8:23], s[4:5], 0x48
	s_waitcnt lgkmcnt(0)
	s_mul_i32 s1, s39, s7
	s_mul_hi_u32 s2, s38, s7
	s_mul_i32 s0, s38, s7
	s_add_i32 s1, s2, s1
	s_mul_i32 s2, s15, s7
	s_lshl_b64 s[0:1], s[0:1], 2
	s_mul_hi_u32 s3, s14, s7
	s_add_u32 s0, s36, s0
	s_addc_u32 s1, s37, s1
	s_add_i32 s3, s3, s2
	s_mul_i32 s2, s14, s7
	s_mov_b32 s14, 0
	s_lshl_b64 s[2:3], s[2:3], 2
	s_add_u32 s2, s12, s2
	s_addc_u32 s3, s13, s3
	s_load_dword s15, s[0:1], 0x0
	s_load_dword s13, s[2:3], 0x0
	s_waitcnt lgkmcnt(0)
	v_cmp_eq_f32_e64 s0, s15, 0
	v_cmp_eq_f32_e64 s1, s13, 1.0
	s_and_b32 s0, s0, s1
	s_and_b32 vcc_lo, exec_lo, s0
	s_cbranch_vccnz .LBB403_30
; %bb.1:
	s_mul_i32 s1, s23, s7
	s_mul_hi_u32 s2, s22, s7
	s_mul_i32 s0, s22, s7
	s_add_i32 s1, s2, s1
	v_cmp_neq_f32_e64 s22, s15, 0
	s_lshl_b64 s[0:1], s[0:1], 1
	s_add_u32 s0, s16, s0
	s_addc_u32 s12, s17, s1
	s_lshl_b64 s[2:3], s[18:19], 1
	s_add_u32 s1, s0, s2
	v_cmp_eq_u32_e64 s0, 0, v0
	s_addc_u32 s12, s12, s3
	s_and_b32 vcc_lo, exec_lo, s22
	s_cbranch_vccnz .LBB403_5
; %bb.2:
	s_mov_b32 s16, 0
                                        ; implicit-def: $vgpr1
                                        ; implicit-def: $sgpr2_sgpr3
	s_and_saveexec_b32 s17, s0
	s_cbranch_execz .LBB403_6
; %bb.3:
	s_ashr_i32 s2, s6, 31
	v_cmp_eq_f32_e64 s0, s13, 0
	s_mul_hi_u32 s3, s20, s6
	s_mul_i32 s2, s20, s2
	s_mul_i32 s14, s21, s6
	s_add_i32 s2, s3, s2
	s_and_b32 vcc_lo, exec_lo, s0
	s_add_i32 s3, s2, s14
	s_mul_i32 s2, s20, s6
	s_cbranch_vccnz .LBB403_7
; %bb.4:
	s_lshl_b64 s[18:19], s[2:3], 1
	v_mov_b32_e32 v1, 0
	s_add_u32 s18, s1, s18
	s_addc_u32 s19, s12, s19
	global_load_ushort v1, v1, s[18:19]
	s_waitcnt vmcnt(0)
	v_fma_mixlo_f16 v1, s13, v1, 0 op_sel_hi:[0,1,0]
	s_branch .LBB403_8
.LBB403_5:
                                        ; implicit-def: $vgpr1
                                        ; implicit-def: $sgpr2_sgpr3
	s_cbranch_execnz .LBB403_9
	s_branch .LBB403_28
.LBB403_6:
	s_or_b32 exec_lo, exec_lo, s17
	s_and_b32 vcc_lo, exec_lo, s16
	s_cbranch_vccnz .LBB403_9
	s_branch .LBB403_28
.LBB403_7:
	v_mov_b32_e32 v1, 0
.LBB403_8:
	s_mov_b32 s14, exec_lo
	s_or_b32 exec_lo, exec_lo, s17
	s_and_b32 vcc_lo, exec_lo, s16
	s_cbranch_vccz .LBB403_28
.LBB403_9:
	s_load_dword s5, s[4:5], 0x0
	s_mul_i32 s0, s11, s7
	s_mul_i32 s3, s47, s7
	s_mul_hi_u32 s11, s46, s7
	s_mul_i32 s2, s46, s7
	s_add_i32 s3, s11, s3
	s_mul_hi_u32 s4, s10, s7
	s_lshl_b64 s[16:17], s[2:3], 1
	s_add_i32 s3, s4, s0
	s_add_u32 s0, s40, s16
	s_addc_u32 s2, s41, s17
	s_lshl_b64 s[16:17], s[42:43], 1
	s_mul_hi_u32 s4, s44, s6
	s_add_u32 s0, s0, s16
	s_addc_u32 s2, s2, s17
	s_ashr_i32 s16, s6, 31
	s_mul_i32 s11, s45, s6
	s_mul_i32 s17, s44, s16
	;; [unrolled: 1-line block ×3, first 2 shown]
	s_add_i32 s4, s4, s17
	s_waitcnt lgkmcnt(0)
	v_cmp_gt_i32_e32 vcc_lo, s5, v0
	s_add_i32 s19, s4, s11
	s_ashr_i32 s4, s5, 31
	s_lshl_b64 s[18:19], s[18:19], 1
	s_lshr_b32 s4, s4, 24
	v_cndmask_b32_e32 v1, 0, v0, vcc_lo
	v_mov_b32_e32 v7, 0
	s_add_i32 s4, s5, s4
	s_mov_b32 s17, 0
	s_and_b32 s4, s4, 0xffffff00
	v_lshlrev_b32_e32 v1, 1, v1
	v_add_co_u32 v1, s0, s0, v1
	v_add_co_ci_u32_e64 v2, null, s2, 0, s0
	s_mul_i32 s2, s10, s7
	v_add_co_u32 v1, vcc_lo, v1, s18
	v_add_co_ci_u32_e64 v2, null, s19, v2, vcc_lo
	s_mov_b32 s7, exec_lo
	v_cmpx_gt_i32_e64 s4, v0
	s_cbranch_execz .LBB403_13
; %bb.10:
	v_mad_u64_u32 v[5:6], null, s8, v0, 0
	s_lshl_b64 s[18:19], s[50:51], 1
	s_lshl_b64 s[10:11], s[2:3], 1
	s_add_u32 s0, s48, s18
	s_addc_u32 s18, s49, s19
	s_add_u32 s0, s0, s10
	s_addc_u32 s10, s18, s11
	v_mov_b32_e32 v3, v6
	v_mov_b32_e32 v7, 0
	;; [unrolled: 1-line block ×3, first 2 shown]
	v_mad_u64_u32 v[3:4], null, s9, v0, v[3:4]
	v_mov_b32_e32 v6, v3
	v_mov_b32_e32 v4, v2
	;; [unrolled: 1-line block ×3, first 2 shown]
	v_lshlrev_b64 v[5:6], 1, v[5:6]
	v_add_co_u32 v5, vcc_lo, s0, v5
	v_add_co_ci_u32_e64 v6, null, s10, v6, vcc_lo
	s_lshl_b64 s[10:11], s[8:9], 9
	.p2align	6
.LBB403_11:                             ; =>This Inner Loop Header: Depth=1
	global_load_ushort v9, v[3:4], off
	global_load_ushort v10, v[5:6], off
	v_add_nc_u32_e32 v8, 0x100, v8
	v_add_co_u32 v3, vcc_lo, 0x200, v3
	v_add_co_ci_u32_e64 v4, null, 0, v4, vcc_lo
	v_add_co_u32 v5, vcc_lo, v5, s10
	v_cmp_le_i32_e64 s0, s4, v8
	v_add_co_ci_u32_e64 v6, null, s11, v6, vcc_lo
	s_or_b32 s17, s0, s17
	s_waitcnt vmcnt(0)
	v_mul_f16_e32 v9, v9, v10
	v_cvt_f32_f16_e32 v9, v9
	v_add_f32_e32 v7, v7, v9
	s_andn2_b32 exec_lo, exec_lo, s17
	s_cbranch_execnz .LBB403_11
; %bb.12:
	s_or_b32 exec_lo, exec_lo, s17
.LBB403_13:
	s_or_b32 exec_lo, exec_lo, s7
	v_add_nc_u32_e32 v3, s4, v0
	s_mov_b32 s0, exec_lo
	v_cmpx_gt_i32_e64 s5, v3
	s_cbranch_execz .LBB403_15
; %bb.14:
	v_ashrrev_i32_e32 v5, 31, v3
	v_mul_lo_u32 v6, s9, v3
	v_mad_u64_u32 v[3:4], null, s8, v3, 0
	s_lshl_b64 s[2:3], s[2:3], 1
	v_mul_lo_u32 v5, s8, v5
	s_add_u32 s5, s48, s2
	s_addc_u32 s7, s49, s3
	s_lshl_b64 s[2:3], s[50:51], 1
	s_add_u32 s8, s5, s2
	s_addc_u32 s7, s7, s3
	s_ashr_i32 s5, s4, 31
	v_add3_u32 v4, v4, v5, v6
	s_lshl_b64 s[2:3], s[4:5], 1
	v_add_co_u32 v1, vcc_lo, v1, s2
	v_lshlrev_b64 v[3:4], 1, v[3:4]
	v_add_co_ci_u32_e64 v2, null, s3, v2, vcc_lo
	v_add_co_u32 v3, vcc_lo, s8, v3
	v_add_co_ci_u32_e64 v4, null, s7, v4, vcc_lo
	global_load_ushort v1, v[1:2], off
	global_load_ushort v2, v[3:4], off
	s_waitcnt vmcnt(0)
	v_mul_f16_e32 v1, v1, v2
	v_cvt_f32_f16_e32 v1, v1
	v_add_f32_e32 v7, v7, v1
.LBB403_15:
	s_or_b32 exec_lo, exec_lo, s0
	v_and_b32_e32 v5, 31, v0
	v_cmp_gt_u32_e32 vcc_lo, 32, v0
	v_lshlrev_b32_e32 v1, 2, v5
	s_and_saveexec_b32 s0, vcc_lo
; %bb.16:
	v_mov_b32_e32 v2, 0
	ds_write_b32 v1, v2
; %bb.17:
	s_or_b32 exec_lo, exec_lo, s0
	v_mbcnt_lo_u32_b32 v4, -1, 0
	s_mov_b32 s2, exec_lo
	s_waitcnt lgkmcnt(0)
	s_barrier
	buffer_gl0_inv
	v_lshl_or_b32 v2, v4, 2, 64
	v_cmp_gt_u32_e64 s0, 24, v4
	ds_bpermute_b32 v2, v2, v7
	v_cndmask_b32_e64 v3, 0, 8, s0
	v_cmp_gt_u32_e64 s0, 28, v4
	v_add_lshl_u32 v3, v3, v4, 2
	s_waitcnt lgkmcnt(0)
	v_add_f32_e32 v6, v7, v2
	v_cndmask_b32_e64 v2, 0, 4, s0
	v_cmp_gt_u32_e64 s0, 30, v4
	ds_bpermute_b32 v3, v3, v6
	v_add_lshl_u32 v2, v2, v4, 2
	s_waitcnt lgkmcnt(0)
	v_add_f32_e32 v6, v6, v3
	v_cndmask_b32_e64 v3, 0, 2, s0
	v_cmp_ne_u32_e64 s0, 31, v4
	ds_bpermute_b32 v7, v2, v6
	v_add_lshl_u32 v3, v3, v4, 2
	v_add_co_ci_u32_e64 v4, null, 0, v4, s0
	v_lshlrev_b32_e32 v4, 2, v4
	s_waitcnt lgkmcnt(0)
	v_add_f32_e32 v6, v6, v7
	ds_bpermute_b32 v7, v3, v6
	s_waitcnt lgkmcnt(0)
	v_add_f32_e32 v6, v6, v7
	ds_bpermute_b32 v7, v4, v6
	v_cmpx_eq_u32_e32 0, v5
	s_cbranch_execz .LBB403_19
; %bb.18:
	v_lshrrev_b32_e32 v5, 3, v0
	s_waitcnt lgkmcnt(0)
	v_add_f32_e32 v6, v6, v7
	v_and_b32_e32 v5, 28, v5
	ds_write_b32 v5, v6
.LBB403_19:
	s_or_b32 exec_lo, exec_lo, s2
	v_mov_b32_e32 v5, 0
	s_mov_b32 s2, exec_lo
	s_waitcnt lgkmcnt(0)
	s_barrier
	buffer_gl0_inv
	v_cmpx_gt_u32_e32 8, v0
; %bb.20:
	ds_read_b32 v5, v1
; %bb.21:
	s_or_b32 exec_lo, exec_lo, s2
	s_and_saveexec_b32 s0, vcc_lo
	s_cbranch_execz .LBB403_23
; %bb.22:
	s_waitcnt lgkmcnt(0)
	ds_bpermute_b32 v1, v2, v5
	s_waitcnt lgkmcnt(0)
	v_add_f32_e32 v1, v5, v1
	ds_bpermute_b32 v2, v3, v1
	s_waitcnt lgkmcnt(0)
	v_add_f32_e32 v1, v1, v2
	;; [unrolled: 3-line block ×3, first 2 shown]
.LBB403_23:
	s_or_b32 exec_lo, exec_lo, s0
	s_mov_b32 s0, exec_lo
                                        ; implicit-def: $vgpr1
                                        ; implicit-def: $sgpr2_sgpr3
	v_cmpx_eq_u32_e32 0, v0
	s_cbranch_execz .LBB403_27
; %bb.24:
	v_cmp_eq_f32_e64 s4, s13, 0
	s_mul_i32 s2, s20, s16
	s_mul_hi_u32 s3, s20, s6
	s_waitcnt lgkmcnt(0)
	v_mul_f32_e32 v0, s15, v5
	s_add_i32 s2, s3, s2
	s_mul_i32 s3, s21, s6
	s_and_b32 vcc_lo, exec_lo, s4
	s_add_i32 s3, s2, s3
	s_mul_i32 s2, s20, s6
	s_cbranch_vccnz .LBB403_26
; %bb.25:
	s_lshl_b64 s[4:5], s[2:3], 1
	v_mov_b32_e32 v1, 0
	s_add_u32 s4, s1, s4
	s_addc_u32 s5, s12, s5
	global_load_ushort v1, v1, s[4:5]
	s_waitcnt vmcnt(0)
	v_fma_mix_f32 v0, s13, v1, v0 op_sel_hi:[0,1,0]
.LBB403_26:
	v_cvt_f16_f32_e32 v1, v0
	s_or_b32 s14, s14, exec_lo
.LBB403_27:
	s_or_b32 exec_lo, exec_lo, s0
.LBB403_28:
	s_and_saveexec_b32 s0, s14
	s_cbranch_execz .LBB403_30
; %bb.29:
	s_lshl_b64 s[2:3], s[2:3], 1
	v_mov_b32_e32 v0, 0
	s_add_u32 s0, s1, s2
	s_addc_u32 s1, s12, s3
	global_store_short v0, v1, s[0:1]
.LBB403_30:
	s_endpgm
	.section	.rodata,"a",@progbits
	.p2align	6, 0x0
	.amdhsa_kernel _ZL32rocblas_gemvt_warp_reduce_kernelILb0ELi256ElDF16_PKfDF16_EviiT3_lPKT2_lT1_lS5_lS6_lS2_lPT4_lS6_li
		.amdhsa_group_segment_fixed_size 128
		.amdhsa_private_segment_fixed_size 0
		.amdhsa_kernarg_size 140
		.amdhsa_user_sgpr_count 6
		.amdhsa_user_sgpr_private_segment_buffer 1
		.amdhsa_user_sgpr_dispatch_ptr 0
		.amdhsa_user_sgpr_queue_ptr 0
		.amdhsa_user_sgpr_kernarg_segment_ptr 1
		.amdhsa_user_sgpr_dispatch_id 0
		.amdhsa_user_sgpr_flat_scratch_init 0
		.amdhsa_user_sgpr_private_segment_size 0
		.amdhsa_wavefront_size32 1
		.amdhsa_uses_dynamic_stack 0
		.amdhsa_system_sgpr_private_segment_wavefront_offset 0
		.amdhsa_system_sgpr_workgroup_id_x 1
		.amdhsa_system_sgpr_workgroup_id_y 0
		.amdhsa_system_sgpr_workgroup_id_z 1
		.amdhsa_system_sgpr_workgroup_info 0
		.amdhsa_system_vgpr_workitem_id 0
		.amdhsa_next_free_vgpr 11
		.amdhsa_next_free_sgpr 52
		.amdhsa_reserve_vcc 1
		.amdhsa_reserve_flat_scratch 0
		.amdhsa_float_round_mode_32 0
		.amdhsa_float_round_mode_16_64 0
		.amdhsa_float_denorm_mode_32 3
		.amdhsa_float_denorm_mode_16_64 3
		.amdhsa_dx10_clamp 1
		.amdhsa_ieee_mode 1
		.amdhsa_fp16_overflow 0
		.amdhsa_workgroup_processor_mode 1
		.amdhsa_memory_ordered 1
		.amdhsa_forward_progress 1
		.amdhsa_shared_vgpr_count 0
		.amdhsa_exception_fp_ieee_invalid_op 0
		.amdhsa_exception_fp_denorm_src 0
		.amdhsa_exception_fp_ieee_div_zero 0
		.amdhsa_exception_fp_ieee_overflow 0
		.amdhsa_exception_fp_ieee_underflow 0
		.amdhsa_exception_fp_ieee_inexact 0
		.amdhsa_exception_int_div_zero 0
	.end_amdhsa_kernel
	.section	.text._ZL32rocblas_gemvt_warp_reduce_kernelILb0ELi256ElDF16_PKfDF16_EviiT3_lPKT2_lT1_lS5_lS6_lS2_lPT4_lS6_li,"axG",@progbits,_ZL32rocblas_gemvt_warp_reduce_kernelILb0ELi256ElDF16_PKfDF16_EviiT3_lPKT2_lT1_lS5_lS6_lS2_lPT4_lS6_li,comdat
.Lfunc_end403:
	.size	_ZL32rocblas_gemvt_warp_reduce_kernelILb0ELi256ElDF16_PKfDF16_EviiT3_lPKT2_lT1_lS5_lS6_lS2_lPT4_lS6_li, .Lfunc_end403-_ZL32rocblas_gemvt_warp_reduce_kernelILb0ELi256ElDF16_PKfDF16_EviiT3_lPKT2_lT1_lS5_lS6_lS2_lPT4_lS6_li
                                        ; -- End function
	.set _ZL32rocblas_gemvt_warp_reduce_kernelILb0ELi256ElDF16_PKfDF16_EviiT3_lPKT2_lT1_lS5_lS6_lS2_lPT4_lS6_li.num_vgpr, 11
	.set _ZL32rocblas_gemvt_warp_reduce_kernelILb0ELi256ElDF16_PKfDF16_EviiT3_lPKT2_lT1_lS5_lS6_lS2_lPT4_lS6_li.num_agpr, 0
	.set _ZL32rocblas_gemvt_warp_reduce_kernelILb0ELi256ElDF16_PKfDF16_EviiT3_lPKT2_lT1_lS5_lS6_lS2_lPT4_lS6_li.numbered_sgpr, 52
	.set _ZL32rocblas_gemvt_warp_reduce_kernelILb0ELi256ElDF16_PKfDF16_EviiT3_lPKT2_lT1_lS5_lS6_lS2_lPT4_lS6_li.num_named_barrier, 0
	.set _ZL32rocblas_gemvt_warp_reduce_kernelILb0ELi256ElDF16_PKfDF16_EviiT3_lPKT2_lT1_lS5_lS6_lS2_lPT4_lS6_li.private_seg_size, 0
	.set _ZL32rocblas_gemvt_warp_reduce_kernelILb0ELi256ElDF16_PKfDF16_EviiT3_lPKT2_lT1_lS5_lS6_lS2_lPT4_lS6_li.uses_vcc, 1
	.set _ZL32rocblas_gemvt_warp_reduce_kernelILb0ELi256ElDF16_PKfDF16_EviiT3_lPKT2_lT1_lS5_lS6_lS2_lPT4_lS6_li.uses_flat_scratch, 0
	.set _ZL32rocblas_gemvt_warp_reduce_kernelILb0ELi256ElDF16_PKfDF16_EviiT3_lPKT2_lT1_lS5_lS6_lS2_lPT4_lS6_li.has_dyn_sized_stack, 0
	.set _ZL32rocblas_gemvt_warp_reduce_kernelILb0ELi256ElDF16_PKfDF16_EviiT3_lPKT2_lT1_lS5_lS6_lS2_lPT4_lS6_li.has_recursion, 0
	.set _ZL32rocblas_gemvt_warp_reduce_kernelILb0ELi256ElDF16_PKfDF16_EviiT3_lPKT2_lT1_lS5_lS6_lS2_lPT4_lS6_li.has_indirect_call, 0
	.section	.AMDGPU.csdata,"",@progbits
; Kernel info:
; codeLenInByte = 1424
; TotalNumSgprs: 54
; NumVgprs: 11
; ScratchSize: 0
; MemoryBound: 0
; FloatMode: 240
; IeeeMode: 1
; LDSByteSize: 128 bytes/workgroup (compile time only)
; SGPRBlocks: 0
; VGPRBlocks: 1
; NumSGPRsForWavesPerEU: 54
; NumVGPRsForWavesPerEU: 11
; Occupancy: 16
; WaveLimiterHint : 0
; COMPUTE_PGM_RSRC2:SCRATCH_EN: 0
; COMPUTE_PGM_RSRC2:USER_SGPR: 6
; COMPUTE_PGM_RSRC2:TRAP_HANDLER: 0
; COMPUTE_PGM_RSRC2:TGID_X_EN: 1
; COMPUTE_PGM_RSRC2:TGID_Y_EN: 0
; COMPUTE_PGM_RSRC2:TGID_Z_EN: 1
; COMPUTE_PGM_RSRC2:TIDIG_COMP_CNT: 0
	.section	.text._ZL32rocblas_gemvt_warp_reduce_kernelILb0ELi256EiDF16_fDF16_EviiT3_lPKT2_lT1_lS3_lS4_lS0_lPT4_lS4_li,"axG",@progbits,_ZL32rocblas_gemvt_warp_reduce_kernelILb0ELi256EiDF16_fDF16_EviiT3_lPKT2_lT1_lS3_lS4_lS0_lPT4_lS4_li,comdat
	.globl	_ZL32rocblas_gemvt_warp_reduce_kernelILb0ELi256EiDF16_fDF16_EviiT3_lPKT2_lT1_lS3_lS4_lS0_lPT4_lS4_li ; -- Begin function _ZL32rocblas_gemvt_warp_reduce_kernelILb0ELi256EiDF16_fDF16_EviiT3_lPKT2_lT1_lS3_lS4_lS0_lPT4_lS4_li
	.p2align	8
	.type	_ZL32rocblas_gemvt_warp_reduce_kernelILb0ELi256EiDF16_fDF16_EviiT3_lPKT2_lT1_lS3_lS4_lS0_lPT4_lS4_li,@function
_ZL32rocblas_gemvt_warp_reduce_kernelILb0ELi256EiDF16_fDF16_EviiT3_lPKT2_lT1_lS3_lS4_lS0_lPT4_lS4_li: ; @_ZL32rocblas_gemvt_warp_reduce_kernelILb0ELi256EiDF16_fDF16_EviiT3_lPKT2_lT1_lS3_lS4_lS0_lPT4_lS4_li
; %bb.0:
	s_clause 0x1
	s_load_dword s12, s[4:5], 0x8
	s_load_dword s10, s[4:5], 0x58
	s_mov_b32 s11, 0
	s_waitcnt lgkmcnt(0)
	v_cmp_eq_f32_e64 s0, s12, 0
	v_cmp_eq_f32_e64 s1, s10, 1.0
	s_and_b32 s0, s0, s1
	s_and_b32 vcc_lo, exec_lo, s0
	s_cbranch_vccnz .LBB404_30
; %bb.1:
	s_clause 0x2
	s_load_dwordx2 s[8:9], s[4:5], 0x80
	s_load_dwordx4 s[0:3], s[4:5], 0x68
	s_load_dword s13, s[4:5], 0x78
	s_waitcnt lgkmcnt(0)
	s_mul_i32 s9, s9, s7
	s_mul_hi_u32 s14, s8, s7
	s_mul_i32 s8, s8, s7
	s_add_i32 s9, s14, s9
	v_cmp_neq_f32_e64 s14, s12, 0
	s_lshl_b64 s[8:9], s[8:9], 1
	s_add_u32 s8, s0, s8
	s_addc_u32 s9, s1, s9
	s_lshl_b64 s[0:1], s[2:3], 1
	s_add_u32 s8, s8, s0
	v_cmp_eq_u32_e64 s0, 0, v0
	s_addc_u32 s9, s9, s1
	s_and_b32 vcc_lo, exec_lo, s14
	s_cbranch_vccnz .LBB404_5
; %bb.2:
	s_mov_b32 s1, 0
                                        ; implicit-def: $vgpr1
                                        ; implicit-def: $sgpr2_sgpr3
	s_and_saveexec_b32 s14, s0
	s_cbranch_execz .LBB404_6
; %bb.3:
	v_cmp_eq_f32_e64 s0, s10, 0
	s_mul_i32 s2, s13, s6
	s_ashr_i32 s3, s2, 31
	s_and_b32 vcc_lo, exec_lo, s0
	s_cbranch_vccnz .LBB404_7
; %bb.4:
	s_lshl_b64 s[16:17], s[2:3], 1
	v_mov_b32_e32 v1, 0
	s_add_u32 s16, s8, s16
	s_addc_u32 s17, s9, s17
	global_load_ushort v1, v1, s[16:17]
	s_waitcnt vmcnt(0)
	v_fma_mixlo_f16 v1, s10, v1, 0 op_sel_hi:[0,1,0]
	s_branch .LBB404_8
.LBB404_5:
                                        ; implicit-def: $vgpr1
                                        ; implicit-def: $sgpr2_sgpr3
	s_cbranch_execnz .LBB404_9
	s_branch .LBB404_28
.LBB404_6:
	s_or_b32 exec_lo, exec_lo, s14
	s_and_b32 vcc_lo, exec_lo, s1
	s_cbranch_vccnz .LBB404_9
	s_branch .LBB404_28
.LBB404_7:
	v_mov_b32_e32 v1, 0
.LBB404_8:
	s_mov_b32 s11, exec_lo
	s_or_b32 exec_lo, exec_lo, s14
	s_and_b32 vcc_lo, exec_lo, s1
	s_cbranch_vccz .LBB404_28
.LBB404_9:
	s_clause 0x6
	s_load_dwordx2 s[20:21], s[4:5], 0x50
	s_load_dwordx4 s[16:19], s[4:5], 0x30
	s_load_dwordx2 s[22:23], s[4:5], 0x40
	s_load_dword s14, s[4:5], 0x0
	s_load_dwordx4 s[0:3], s[4:5], 0x18
	s_load_dword s15, s[4:5], 0x28
	s_load_dword s4, s[4:5], 0x48
	v_mov_b32_e32 v7, 0
	s_waitcnt lgkmcnt(0)
	s_mul_i32 s5, s21, s7
	s_mul_hi_u32 s21, s20, s7
	s_mul_i32 s20, s20, s7
	s_add_i32 s21, s21, s5
	v_cmp_gt_i32_e32 vcc_lo, s14, v0
	s_lshl_b64 s[20:21], s[20:21], 1
	s_mul_i32 s17, s17, s7
	s_add_u32 s5, s18, s20
	s_addc_u32 s20, s19, s21
	s_lshl_b64 s[18:19], s[22:23], 1
	s_mul_hi_u32 s24, s16, s7
	s_add_u32 s5, s5, s18
	v_cndmask_b32_e32 v1, 0, v0, vcc_lo
	s_mul_i32 s16, s16, s7
	s_addc_u32 s7, s20, s19
	s_add_i32 s17, s24, s17
	s_mul_i32 s18, s15, s6
	s_lshl_b64 s[16:17], s[16:17], 1
	v_lshlrev_b32_e32 v1, 1, v1
	s_add_u32 s15, s0, s16
	s_addc_u32 s16, s1, s17
	s_lshl_b64 s[0:1], s[2:3], 1
	s_mov_b32 s3, 0
	s_add_u32 s0, s15, s0
	s_addc_u32 s1, s16, s1
	v_add_co_u32 v1, s0, s0, v1
	s_ashr_i32 s19, s18, 31
	v_add_co_ci_u32_e64 v2, null, s1, 0, s0
	s_lshl_b64 s[0:1], s[18:19], 1
	s_ashr_i32 s2, s14, 31
	v_add_co_u32 v1, vcc_lo, v1, s0
	s_lshr_b32 s2, s2, 24
	v_add_co_ci_u32_e64 v2, null, s1, v2, vcc_lo
	s_add_i32 s2, s14, s2
	s_mov_b32 s1, exec_lo
	s_and_b32 s2, s2, 0xffffff00
	v_cmpx_gt_i32_e64 s2, v0
	s_cbranch_execz .LBB404_13
; %bb.10:
	v_mul_lo_u32 v3, v0, s4
	v_mov_b32_e32 v6, v2
	v_mov_b32_e32 v7, 0
	;; [unrolled: 1-line block ×4, first 2 shown]
	s_lshl_b32 s15, s4, 8
	.p2align	6
.LBB404_11:                             ; =>This Inner Loop Header: Depth=1
	v_ashrrev_i32_e32 v4, 31, v3
	v_add_nc_u32_e32 v8, 0x100, v8
	v_lshlrev_b64 v[9:10], 1, v[3:4]
	v_cmp_le_i32_e64 s0, s2, v8
	v_add_nc_u32_e32 v3, s15, v3
	s_or_b32 s3, s0, s3
	v_add_co_u32 v9, vcc_lo, s5, v9
	v_add_co_ci_u32_e64 v10, null, s7, v10, vcc_lo
	global_load_ushort v4, v[5:6], off
	global_load_ushort v9, v[9:10], off
	v_add_co_u32 v5, vcc_lo, 0x200, v5
	v_add_co_ci_u32_e64 v6, null, 0, v6, vcc_lo
	s_waitcnt vmcnt(0)
	v_mul_f16_e32 v4, v4, v9
	v_cvt_f32_f16_e32 v4, v4
	v_add_f32_e32 v7, v7, v4
	s_andn2_b32 exec_lo, exec_lo, s3
	s_cbranch_execnz .LBB404_11
; %bb.12:
	s_or_b32 exec_lo, exec_lo, s3
.LBB404_13:
	s_or_b32 exec_lo, exec_lo, s1
	v_add_nc_u32_e32 v3, s2, v0
	s_mov_b32 s0, exec_lo
	v_cmpx_gt_i32_e64 s14, v3
	s_cbranch_execz .LBB404_15
; %bb.14:
	v_mul_lo_u32 v3, s4, v3
	s_ashr_i32 s3, s2, 31
	s_lshl_b64 s[2:3], s[2:3], 1
	v_add_co_u32 v1, vcc_lo, v1, s2
	v_add_co_ci_u32_e64 v2, null, s3, v2, vcc_lo
	v_ashrrev_i32_e32 v4, 31, v3
	v_lshlrev_b64 v[3:4], 1, v[3:4]
	v_add_co_u32 v3, vcc_lo, s5, v3
	v_add_co_ci_u32_e64 v4, null, s7, v4, vcc_lo
	global_load_ushort v1, v[1:2], off
	global_load_ushort v2, v[3:4], off
	s_waitcnt vmcnt(0)
	v_mul_f16_e32 v1, v1, v2
	v_cvt_f32_f16_e32 v1, v1
	v_add_f32_e32 v7, v7, v1
.LBB404_15:
	s_or_b32 exec_lo, exec_lo, s0
	v_and_b32_e32 v5, 31, v0
	v_cmp_gt_u32_e32 vcc_lo, 32, v0
	v_lshlrev_b32_e32 v1, 2, v5
	s_and_saveexec_b32 s0, vcc_lo
; %bb.16:
	v_mov_b32_e32 v2, 0
	ds_write_b32 v1, v2
; %bb.17:
	s_or_b32 exec_lo, exec_lo, s0
	v_mbcnt_lo_u32_b32 v4, -1, 0
	s_mov_b32 s1, exec_lo
	s_waitcnt lgkmcnt(0)
	s_barrier
	buffer_gl0_inv
	v_lshl_or_b32 v2, v4, 2, 64
	v_cmp_gt_u32_e64 s0, 24, v4
	ds_bpermute_b32 v2, v2, v7
	v_cndmask_b32_e64 v3, 0, 8, s0
	v_cmp_gt_u32_e64 s0, 28, v4
	v_add_lshl_u32 v3, v3, v4, 2
	s_waitcnt lgkmcnt(0)
	v_add_f32_e32 v6, v7, v2
	v_cndmask_b32_e64 v2, 0, 4, s0
	v_cmp_gt_u32_e64 s0, 30, v4
	ds_bpermute_b32 v3, v3, v6
	v_add_lshl_u32 v2, v2, v4, 2
	s_waitcnt lgkmcnt(0)
	v_add_f32_e32 v6, v6, v3
	v_cndmask_b32_e64 v3, 0, 2, s0
	v_cmp_ne_u32_e64 s0, 31, v4
	ds_bpermute_b32 v7, v2, v6
	v_add_lshl_u32 v3, v3, v4, 2
	v_add_co_ci_u32_e64 v4, null, 0, v4, s0
	v_lshlrev_b32_e32 v4, 2, v4
	s_waitcnt lgkmcnt(0)
	v_add_f32_e32 v6, v6, v7
	ds_bpermute_b32 v7, v3, v6
	s_waitcnt lgkmcnt(0)
	v_add_f32_e32 v6, v6, v7
	ds_bpermute_b32 v7, v4, v6
	v_cmpx_eq_u32_e32 0, v5
	s_cbranch_execz .LBB404_19
; %bb.18:
	v_lshrrev_b32_e32 v5, 3, v0
	s_waitcnt lgkmcnt(0)
	v_add_f32_e32 v6, v6, v7
	v_and_b32_e32 v5, 28, v5
	ds_write_b32 v5, v6
.LBB404_19:
	s_or_b32 exec_lo, exec_lo, s1
	v_mov_b32_e32 v5, 0
	s_mov_b32 s1, exec_lo
	s_waitcnt lgkmcnt(0)
	s_barrier
	buffer_gl0_inv
	v_cmpx_gt_u32_e32 8, v0
; %bb.20:
	ds_read_b32 v5, v1
; %bb.21:
	s_or_b32 exec_lo, exec_lo, s1
	s_and_saveexec_b32 s0, vcc_lo
	s_cbranch_execz .LBB404_23
; %bb.22:
	s_waitcnt lgkmcnt(0)
	ds_bpermute_b32 v1, v2, v5
	s_waitcnt lgkmcnt(0)
	v_add_f32_e32 v1, v5, v1
	ds_bpermute_b32 v2, v3, v1
	s_waitcnt lgkmcnt(0)
	v_add_f32_e32 v1, v1, v2
	;; [unrolled: 3-line block ×3, first 2 shown]
.LBB404_23:
	s_or_b32 exec_lo, exec_lo, s0
	s_mov_b32 s0, exec_lo
                                        ; implicit-def: $vgpr1
                                        ; implicit-def: $sgpr2_sgpr3
	v_cmpx_eq_u32_e32 0, v0
	s_cbranch_execz .LBB404_27
; %bb.24:
	v_cmp_eq_f32_e64 s1, s10, 0
	s_waitcnt lgkmcnt(0)
	v_mul_f32_e32 v0, s12, v5
	s_mul_i32 s2, s13, s6
	s_ashr_i32 s3, s2, 31
	s_and_b32 vcc_lo, exec_lo, s1
	s_cbranch_vccnz .LBB404_26
; %bb.25:
	s_lshl_b64 s[4:5], s[2:3], 1
	v_mov_b32_e32 v1, 0
	s_add_u32 s4, s8, s4
	s_addc_u32 s5, s9, s5
	global_load_ushort v1, v1, s[4:5]
	s_waitcnt vmcnt(0)
	v_fma_mix_f32 v0, s10, v1, v0 op_sel_hi:[0,1,0]
.LBB404_26:
	v_cvt_f16_f32_e32 v1, v0
	s_or_b32 s11, s11, exec_lo
.LBB404_27:
	s_or_b32 exec_lo, exec_lo, s0
.LBB404_28:
	s_and_saveexec_b32 s0, s11
	s_cbranch_execz .LBB404_30
; %bb.29:
	s_lshl_b64 s[0:1], s[2:3], 1
	v_mov_b32_e32 v0, 0
	s_add_u32 s0, s8, s0
	s_addc_u32 s1, s9, s1
	global_store_short v0, v1, s[0:1]
.LBB404_30:
	s_endpgm
	.section	.rodata,"a",@progbits
	.p2align	6, 0x0
	.amdhsa_kernel _ZL32rocblas_gemvt_warp_reduce_kernelILb0ELi256EiDF16_fDF16_EviiT3_lPKT2_lT1_lS3_lS4_lS0_lPT4_lS4_li
		.amdhsa_group_segment_fixed_size 128
		.amdhsa_private_segment_fixed_size 0
		.amdhsa_kernarg_size 140
		.amdhsa_user_sgpr_count 6
		.amdhsa_user_sgpr_private_segment_buffer 1
		.amdhsa_user_sgpr_dispatch_ptr 0
		.amdhsa_user_sgpr_queue_ptr 0
		.amdhsa_user_sgpr_kernarg_segment_ptr 1
		.amdhsa_user_sgpr_dispatch_id 0
		.amdhsa_user_sgpr_flat_scratch_init 0
		.amdhsa_user_sgpr_private_segment_size 0
		.amdhsa_wavefront_size32 1
		.amdhsa_uses_dynamic_stack 0
		.amdhsa_system_sgpr_private_segment_wavefront_offset 0
		.amdhsa_system_sgpr_workgroup_id_x 1
		.amdhsa_system_sgpr_workgroup_id_y 0
		.amdhsa_system_sgpr_workgroup_id_z 1
		.amdhsa_system_sgpr_workgroup_info 0
		.amdhsa_system_vgpr_workitem_id 0
		.amdhsa_next_free_vgpr 11
		.amdhsa_next_free_sgpr 25
		.amdhsa_reserve_vcc 1
		.amdhsa_reserve_flat_scratch 0
		.amdhsa_float_round_mode_32 0
		.amdhsa_float_round_mode_16_64 0
		.amdhsa_float_denorm_mode_32 3
		.amdhsa_float_denorm_mode_16_64 3
		.amdhsa_dx10_clamp 1
		.amdhsa_ieee_mode 1
		.amdhsa_fp16_overflow 0
		.amdhsa_workgroup_processor_mode 1
		.amdhsa_memory_ordered 1
		.amdhsa_forward_progress 1
		.amdhsa_shared_vgpr_count 0
		.amdhsa_exception_fp_ieee_invalid_op 0
		.amdhsa_exception_fp_denorm_src 0
		.amdhsa_exception_fp_ieee_div_zero 0
		.amdhsa_exception_fp_ieee_overflow 0
		.amdhsa_exception_fp_ieee_underflow 0
		.amdhsa_exception_fp_ieee_inexact 0
		.amdhsa_exception_int_div_zero 0
	.end_amdhsa_kernel
	.section	.text._ZL32rocblas_gemvt_warp_reduce_kernelILb0ELi256EiDF16_fDF16_EviiT3_lPKT2_lT1_lS3_lS4_lS0_lPT4_lS4_li,"axG",@progbits,_ZL32rocblas_gemvt_warp_reduce_kernelILb0ELi256EiDF16_fDF16_EviiT3_lPKT2_lT1_lS3_lS4_lS0_lPT4_lS4_li,comdat
.Lfunc_end404:
	.size	_ZL32rocblas_gemvt_warp_reduce_kernelILb0ELi256EiDF16_fDF16_EviiT3_lPKT2_lT1_lS3_lS4_lS0_lPT4_lS4_li, .Lfunc_end404-_ZL32rocblas_gemvt_warp_reduce_kernelILb0ELi256EiDF16_fDF16_EviiT3_lPKT2_lT1_lS3_lS4_lS0_lPT4_lS4_li
                                        ; -- End function
	.set _ZL32rocblas_gemvt_warp_reduce_kernelILb0ELi256EiDF16_fDF16_EviiT3_lPKT2_lT1_lS3_lS4_lS0_lPT4_lS4_li.num_vgpr, 11
	.set _ZL32rocblas_gemvt_warp_reduce_kernelILb0ELi256EiDF16_fDF16_EviiT3_lPKT2_lT1_lS3_lS4_lS0_lPT4_lS4_li.num_agpr, 0
	.set _ZL32rocblas_gemvt_warp_reduce_kernelILb0ELi256EiDF16_fDF16_EviiT3_lPKT2_lT1_lS3_lS4_lS0_lPT4_lS4_li.numbered_sgpr, 25
	.set _ZL32rocblas_gemvt_warp_reduce_kernelILb0ELi256EiDF16_fDF16_EviiT3_lPKT2_lT1_lS3_lS4_lS0_lPT4_lS4_li.num_named_barrier, 0
	.set _ZL32rocblas_gemvt_warp_reduce_kernelILb0ELi256EiDF16_fDF16_EviiT3_lPKT2_lT1_lS3_lS4_lS0_lPT4_lS4_li.private_seg_size, 0
	.set _ZL32rocblas_gemvt_warp_reduce_kernelILb0ELi256EiDF16_fDF16_EviiT3_lPKT2_lT1_lS3_lS4_lS0_lPT4_lS4_li.uses_vcc, 1
	.set _ZL32rocblas_gemvt_warp_reduce_kernelILb0ELi256EiDF16_fDF16_EviiT3_lPKT2_lT1_lS3_lS4_lS0_lPT4_lS4_li.uses_flat_scratch, 0
	.set _ZL32rocblas_gemvt_warp_reduce_kernelILb0ELi256EiDF16_fDF16_EviiT3_lPKT2_lT1_lS3_lS4_lS0_lPT4_lS4_li.has_dyn_sized_stack, 0
	.set _ZL32rocblas_gemvt_warp_reduce_kernelILb0ELi256EiDF16_fDF16_EviiT3_lPKT2_lT1_lS3_lS4_lS0_lPT4_lS4_li.has_recursion, 0
	.set _ZL32rocblas_gemvt_warp_reduce_kernelILb0ELi256EiDF16_fDF16_EviiT3_lPKT2_lT1_lS3_lS4_lS0_lPT4_lS4_li.has_indirect_call, 0
	.section	.AMDGPU.csdata,"",@progbits
; Kernel info:
; codeLenInByte = 1312
; TotalNumSgprs: 27
; NumVgprs: 11
; ScratchSize: 0
; MemoryBound: 0
; FloatMode: 240
; IeeeMode: 1
; LDSByteSize: 128 bytes/workgroup (compile time only)
; SGPRBlocks: 0
; VGPRBlocks: 1
; NumSGPRsForWavesPerEU: 27
; NumVGPRsForWavesPerEU: 11
; Occupancy: 16
; WaveLimiterHint : 1
; COMPUTE_PGM_RSRC2:SCRATCH_EN: 0
; COMPUTE_PGM_RSRC2:USER_SGPR: 6
; COMPUTE_PGM_RSRC2:TRAP_HANDLER: 0
; COMPUTE_PGM_RSRC2:TGID_X_EN: 1
; COMPUTE_PGM_RSRC2:TGID_Y_EN: 0
; COMPUTE_PGM_RSRC2:TGID_Z_EN: 1
; COMPUTE_PGM_RSRC2:TIDIG_COMP_CNT: 0
	.section	.text._ZL32rocblas_gemvt_warp_reduce_kernelILb0ELi256ElDF16_fDF16_EviiT3_lPKT2_lT1_lS3_lS4_lS0_lPT4_lS4_li,"axG",@progbits,_ZL32rocblas_gemvt_warp_reduce_kernelILb0ELi256ElDF16_fDF16_EviiT3_lPKT2_lT1_lS3_lS4_lS0_lPT4_lS4_li,comdat
	.globl	_ZL32rocblas_gemvt_warp_reduce_kernelILb0ELi256ElDF16_fDF16_EviiT3_lPKT2_lT1_lS3_lS4_lS0_lPT4_lS4_li ; -- Begin function _ZL32rocblas_gemvt_warp_reduce_kernelILb0ELi256ElDF16_fDF16_EviiT3_lPKT2_lT1_lS3_lS4_lS0_lPT4_lS4_li
	.p2align	8
	.type	_ZL32rocblas_gemvt_warp_reduce_kernelILb0ELi256ElDF16_fDF16_EviiT3_lPKT2_lT1_lS3_lS4_lS0_lPT4_lS4_li,@function
_ZL32rocblas_gemvt_warp_reduce_kernelILb0ELi256ElDF16_fDF16_EviiT3_lPKT2_lT1_lS3_lS4_lS0_lPT4_lS4_li: ; @_ZL32rocblas_gemvt_warp_reduce_kernelILb0ELi256ElDF16_fDF16_EviiT3_lPKT2_lT1_lS3_lS4_lS0_lPT4_lS4_li
; %bb.0:
	s_clause 0x1
	s_load_dword s30, s[4:5], 0x8
	s_load_dword s28, s[4:5], 0x58
	s_mov_b32 s29, 0
	s_waitcnt lgkmcnt(0)
	v_cmp_eq_f32_e64 s0, s30, 0
	v_cmp_eq_f32_e64 s1, s28, 1.0
	s_and_b32 s0, s0, s1
	s_and_b32 vcc_lo, exec_lo, s0
	s_cbranch_vccnz .LBB405_30
; %bb.1:
	s_load_dwordx8 s[20:27], s[4:5], 0x68
	v_cmp_neq_f32_e64 s8, s30, 0
	s_waitcnt lgkmcnt(0)
	s_mul_i32 s1, s27, s7
	s_mul_hi_u32 s2, s26, s7
	s_mul_i32 s0, s26, s7
	s_add_i32 s1, s2, s1
	s_lshl_b64 s[0:1], s[0:1], 1
	s_add_u32 s0, s20, s0
	s_addc_u32 s9, s21, s1
	s_lshl_b64 s[2:3], s[22:23], 1
	s_add_u32 s1, s0, s2
	v_cmp_eq_u32_e64 s0, 0, v0
	s_addc_u32 s26, s9, s3
	s_and_b32 vcc_lo, exec_lo, s8
	s_cbranch_vccnz .LBB405_5
; %bb.2:
	s_mov_b32 s8, 0
                                        ; implicit-def: $vgpr1
                                        ; implicit-def: $sgpr2_sgpr3
	s_and_saveexec_b32 s9, s0
	s_cbranch_execz .LBB405_6
; %bb.3:
	s_ashr_i32 s2, s6, 31
	v_cmp_eq_f32_e64 s0, s28, 0
	s_mul_hi_u32 s3, s24, s6
	s_mul_i32 s2, s24, s2
	s_mul_i32 s10, s25, s6
	s_add_i32 s2, s3, s2
	s_and_b32 vcc_lo, exec_lo, s0
	s_add_i32 s3, s2, s10
	s_mul_i32 s2, s24, s6
	s_cbranch_vccnz .LBB405_7
; %bb.4:
	s_lshl_b64 s[10:11], s[2:3], 1
	v_mov_b32_e32 v1, 0
	s_add_u32 s10, s1, s10
	s_addc_u32 s11, s26, s11
	global_load_ushort v1, v1, s[10:11]
	s_waitcnt vmcnt(0)
	v_fma_mixlo_f16 v1, s28, v1, 0 op_sel_hi:[0,1,0]
	s_branch .LBB405_8
.LBB405_5:
                                        ; implicit-def: $vgpr1
                                        ; implicit-def: $sgpr2_sgpr3
	s_cbranch_execnz .LBB405_9
	s_branch .LBB405_28
.LBB405_6:
	s_or_b32 exec_lo, exec_lo, s9
	s_and_b32 vcc_lo, exec_lo, s8
	s_cbranch_vccnz .LBB405_9
	s_branch .LBB405_28
.LBB405_7:
	v_mov_b32_e32 v1, 0
.LBB405_8:
	s_mov_b32 s29, exec_lo
	s_or_b32 exec_lo, exec_lo, s9
	s_and_b32 vcc_lo, exec_lo, s8
	s_cbranch_vccz .LBB405_28
.LBB405_9:
	s_clause 0x1
	s_load_dwordx16 s[8:23], s[4:5], 0x18
	s_load_dword s5, s[4:5], 0x0
	v_mov_b32_e32 v7, 0
	s_waitcnt lgkmcnt(0)
	s_mul_i32 s3, s15, s7
	v_cmp_gt_i32_e32 vcc_lo, s5, v0
	s_mul_hi_u32 s15, s14, s7
	s_mul_i32 s2, s14, s7
	s_add_i32 s3, s15, s3
	s_mul_i32 s0, s23, s7
	v_cndmask_b32_e32 v1, 0, v0, vcc_lo
	s_mul_hi_u32 s4, s22, s7
	s_lshl_b64 s[34:35], s[2:3], 1
	s_add_i32 s3, s4, s0
	s_add_u32 s0, s8, s34
	v_lshlrev_b32_e32 v1, 1, v1
	s_addc_u32 s2, s9, s35
	s_lshl_b64 s[8:9], s[10:11], 1
	s_mul_hi_u32 s23, s12, s6
	s_add_u32 s0, s0, s8
	s_addc_u32 s2, s2, s9
	s_ashr_i32 s10, s6, 31
	v_add_co_u32 v1, s0, s0, v1
	v_add_co_ci_u32_e64 v2, null, s2, 0, s0
	s_mul_i32 s0, s12, s10
	s_mul_i32 s13, s13, s6
	s_add_i32 s0, s23, s0
	s_mul_i32 s14, s12, s6
	s_add_i32 s15, s0, s13
	s_ashr_i32 s4, s5, 31
	s_lshl_b64 s[8:9], s[14:15], 1
	s_lshr_b32 s2, s4, 24
	v_add_co_u32 v1, vcc_lo, v1, s8
	v_add_co_ci_u32_e64 v2, null, s9, v2, vcc_lo
	s_add_i32 s2, s5, s2
	s_mov_b32 s11, 0
	s_and_b32 s4, s2, 0xffffff00
	s_mul_i32 s2, s22, s7
	s_mov_b32 s7, exec_lo
	v_cmpx_gt_i32_e64 s4, v0
	s_cbranch_execz .LBB405_13
; %bb.10:
	v_mad_u64_u32 v[5:6], null, s20, v0, 0
	s_lshl_b64 s[12:13], s[18:19], 1
	s_lshl_b64 s[8:9], s[2:3], 1
	s_add_u32 s0, s16, s12
	s_addc_u32 s12, s17, s13
	s_add_u32 s0, s0, s8
	s_addc_u32 s8, s12, s9
	v_mov_b32_e32 v3, v6
	v_mov_b32_e32 v7, 0
	v_mov_b32_e32 v8, v0
	v_mad_u64_u32 v[3:4], null, s21, v0, v[3:4]
	v_mov_b32_e32 v6, v3
	v_mov_b32_e32 v4, v2
	;; [unrolled: 1-line block ×3, first 2 shown]
	v_lshlrev_b64 v[5:6], 1, v[5:6]
	v_add_co_u32 v5, vcc_lo, s0, v5
	v_add_co_ci_u32_e64 v6, null, s8, v6, vcc_lo
	s_lshl_b64 s[8:9], s[20:21], 9
	.p2align	6
.LBB405_11:                             ; =>This Inner Loop Header: Depth=1
	global_load_ushort v9, v[3:4], off
	global_load_ushort v10, v[5:6], off
	v_add_nc_u32_e32 v8, 0x100, v8
	v_add_co_u32 v3, vcc_lo, 0x200, v3
	v_add_co_ci_u32_e64 v4, null, 0, v4, vcc_lo
	v_add_co_u32 v5, vcc_lo, v5, s8
	v_cmp_le_i32_e64 s0, s4, v8
	v_add_co_ci_u32_e64 v6, null, s9, v6, vcc_lo
	s_or_b32 s11, s0, s11
	s_waitcnt vmcnt(0)
	v_mul_f16_e32 v9, v9, v10
	v_cvt_f32_f16_e32 v9, v9
	v_add_f32_e32 v7, v7, v9
	s_andn2_b32 exec_lo, exec_lo, s11
	s_cbranch_execnz .LBB405_11
; %bb.12:
	s_or_b32 exec_lo, exec_lo, s11
.LBB405_13:
	s_or_b32 exec_lo, exec_lo, s7
	v_add_nc_u32_e32 v3, s4, v0
	s_mov_b32 s0, exec_lo
	v_cmpx_gt_i32_e64 s5, v3
	s_cbranch_execz .LBB405_15
; %bb.14:
	v_ashrrev_i32_e32 v5, 31, v3
	v_mul_lo_u32 v6, s21, v3
	v_mad_u64_u32 v[3:4], null, s20, v3, 0
	s_lshl_b64 s[2:3], s[2:3], 1
	v_mul_lo_u32 v5, s20, v5
	s_add_u32 s5, s16, s2
	s_addc_u32 s7, s17, s3
	s_lshl_b64 s[2:3], s[18:19], 1
	s_add_u32 s8, s5, s2
	s_addc_u32 s7, s7, s3
	s_ashr_i32 s5, s4, 31
	v_add3_u32 v4, v4, v5, v6
	s_lshl_b64 s[2:3], s[4:5], 1
	v_add_co_u32 v1, vcc_lo, v1, s2
	v_lshlrev_b64 v[3:4], 1, v[3:4]
	v_add_co_ci_u32_e64 v2, null, s3, v2, vcc_lo
	v_add_co_u32 v3, vcc_lo, s8, v3
	v_add_co_ci_u32_e64 v4, null, s7, v4, vcc_lo
	global_load_ushort v1, v[1:2], off
	global_load_ushort v2, v[3:4], off
	s_waitcnt vmcnt(0)
	v_mul_f16_e32 v1, v1, v2
	v_cvt_f32_f16_e32 v1, v1
	v_add_f32_e32 v7, v7, v1
.LBB405_15:
	s_or_b32 exec_lo, exec_lo, s0
	v_and_b32_e32 v5, 31, v0
	v_cmp_gt_u32_e32 vcc_lo, 32, v0
	v_lshlrev_b32_e32 v1, 2, v5
	s_and_saveexec_b32 s0, vcc_lo
; %bb.16:
	v_mov_b32_e32 v2, 0
	ds_write_b32 v1, v2
; %bb.17:
	s_or_b32 exec_lo, exec_lo, s0
	v_mbcnt_lo_u32_b32 v4, -1, 0
	s_mov_b32 s2, exec_lo
	s_waitcnt lgkmcnt(0)
	s_barrier
	buffer_gl0_inv
	v_lshl_or_b32 v2, v4, 2, 64
	v_cmp_gt_u32_e64 s0, 24, v4
	ds_bpermute_b32 v2, v2, v7
	v_cndmask_b32_e64 v3, 0, 8, s0
	v_cmp_gt_u32_e64 s0, 28, v4
	v_add_lshl_u32 v3, v3, v4, 2
	s_waitcnt lgkmcnt(0)
	v_add_f32_e32 v6, v7, v2
	v_cndmask_b32_e64 v2, 0, 4, s0
	v_cmp_gt_u32_e64 s0, 30, v4
	ds_bpermute_b32 v3, v3, v6
	v_add_lshl_u32 v2, v2, v4, 2
	s_waitcnt lgkmcnt(0)
	v_add_f32_e32 v6, v6, v3
	v_cndmask_b32_e64 v3, 0, 2, s0
	v_cmp_ne_u32_e64 s0, 31, v4
	ds_bpermute_b32 v7, v2, v6
	v_add_lshl_u32 v3, v3, v4, 2
	v_add_co_ci_u32_e64 v4, null, 0, v4, s0
	v_lshlrev_b32_e32 v4, 2, v4
	s_waitcnt lgkmcnt(0)
	v_add_f32_e32 v6, v6, v7
	ds_bpermute_b32 v7, v3, v6
	s_waitcnt lgkmcnt(0)
	v_add_f32_e32 v6, v6, v7
	ds_bpermute_b32 v7, v4, v6
	v_cmpx_eq_u32_e32 0, v5
	s_cbranch_execz .LBB405_19
; %bb.18:
	v_lshrrev_b32_e32 v5, 3, v0
	s_waitcnt lgkmcnt(0)
	v_add_f32_e32 v6, v6, v7
	v_and_b32_e32 v5, 28, v5
	ds_write_b32 v5, v6
.LBB405_19:
	s_or_b32 exec_lo, exec_lo, s2
	v_mov_b32_e32 v5, 0
	s_mov_b32 s2, exec_lo
	s_waitcnt lgkmcnt(0)
	s_barrier
	buffer_gl0_inv
	v_cmpx_gt_u32_e32 8, v0
; %bb.20:
	ds_read_b32 v5, v1
; %bb.21:
	s_or_b32 exec_lo, exec_lo, s2
	s_and_saveexec_b32 s0, vcc_lo
	s_cbranch_execz .LBB405_23
; %bb.22:
	s_waitcnt lgkmcnt(0)
	ds_bpermute_b32 v1, v2, v5
	s_waitcnt lgkmcnt(0)
	v_add_f32_e32 v1, v5, v1
	ds_bpermute_b32 v2, v3, v1
	s_waitcnt lgkmcnt(0)
	v_add_f32_e32 v1, v1, v2
	;; [unrolled: 3-line block ×3, first 2 shown]
.LBB405_23:
	s_or_b32 exec_lo, exec_lo, s0
	s_mov_b32 s0, exec_lo
                                        ; implicit-def: $vgpr1
                                        ; implicit-def: $sgpr2_sgpr3
	v_cmpx_eq_u32_e32 0, v0
	s_cbranch_execz .LBB405_27
; %bb.24:
	v_cmp_eq_f32_e64 s4, s28, 0
	s_mul_i32 s2, s24, s10
	s_mul_hi_u32 s3, s24, s6
	s_waitcnt lgkmcnt(0)
	v_mul_f32_e32 v0, s30, v5
	s_add_i32 s2, s3, s2
	s_mul_i32 s3, s25, s6
	s_and_b32 vcc_lo, exec_lo, s4
	s_add_i32 s3, s2, s3
	s_mul_i32 s2, s24, s6
	s_cbranch_vccnz .LBB405_26
; %bb.25:
	s_lshl_b64 s[4:5], s[2:3], 1
	v_mov_b32_e32 v1, 0
	s_add_u32 s4, s1, s4
	s_addc_u32 s5, s26, s5
	global_load_ushort v1, v1, s[4:5]
	s_waitcnt vmcnt(0)
	v_fma_mix_f32 v0, s28, v1, v0 op_sel_hi:[0,1,0]
.LBB405_26:
	v_cvt_f16_f32_e32 v1, v0
	s_or_b32 s29, s29, exec_lo
.LBB405_27:
	s_or_b32 exec_lo, exec_lo, s0
.LBB405_28:
	s_and_saveexec_b32 s0, s29
	s_cbranch_execz .LBB405_30
; %bb.29:
	s_lshl_b64 s[2:3], s[2:3], 1
	v_mov_b32_e32 v0, 0
	s_add_u32 s0, s1, s2
	s_addc_u32 s1, s26, s3
	global_store_short v0, v1, s[0:1]
.LBB405_30:
	s_endpgm
	.section	.rodata,"a",@progbits
	.p2align	6, 0x0
	.amdhsa_kernel _ZL32rocblas_gemvt_warp_reduce_kernelILb0ELi256ElDF16_fDF16_EviiT3_lPKT2_lT1_lS3_lS4_lS0_lPT4_lS4_li
		.amdhsa_group_segment_fixed_size 128
		.amdhsa_private_segment_fixed_size 0
		.amdhsa_kernarg_size 140
		.amdhsa_user_sgpr_count 6
		.amdhsa_user_sgpr_private_segment_buffer 1
		.amdhsa_user_sgpr_dispatch_ptr 0
		.amdhsa_user_sgpr_queue_ptr 0
		.amdhsa_user_sgpr_kernarg_segment_ptr 1
		.amdhsa_user_sgpr_dispatch_id 0
		.amdhsa_user_sgpr_flat_scratch_init 0
		.amdhsa_user_sgpr_private_segment_size 0
		.amdhsa_wavefront_size32 1
		.amdhsa_uses_dynamic_stack 0
		.amdhsa_system_sgpr_private_segment_wavefront_offset 0
		.amdhsa_system_sgpr_workgroup_id_x 1
		.amdhsa_system_sgpr_workgroup_id_y 0
		.amdhsa_system_sgpr_workgroup_id_z 1
		.amdhsa_system_sgpr_workgroup_info 0
		.amdhsa_system_vgpr_workitem_id 0
		.amdhsa_next_free_vgpr 11
		.amdhsa_next_free_sgpr 36
		.amdhsa_reserve_vcc 1
		.amdhsa_reserve_flat_scratch 0
		.amdhsa_float_round_mode_32 0
		.amdhsa_float_round_mode_16_64 0
		.amdhsa_float_denorm_mode_32 3
		.amdhsa_float_denorm_mode_16_64 3
		.amdhsa_dx10_clamp 1
		.amdhsa_ieee_mode 1
		.amdhsa_fp16_overflow 0
		.amdhsa_workgroup_processor_mode 1
		.amdhsa_memory_ordered 1
		.amdhsa_forward_progress 1
		.amdhsa_shared_vgpr_count 0
		.amdhsa_exception_fp_ieee_invalid_op 0
		.amdhsa_exception_fp_denorm_src 0
		.amdhsa_exception_fp_ieee_div_zero 0
		.amdhsa_exception_fp_ieee_overflow 0
		.amdhsa_exception_fp_ieee_underflow 0
		.amdhsa_exception_fp_ieee_inexact 0
		.amdhsa_exception_int_div_zero 0
	.end_amdhsa_kernel
	.section	.text._ZL32rocblas_gemvt_warp_reduce_kernelILb0ELi256ElDF16_fDF16_EviiT3_lPKT2_lT1_lS3_lS4_lS0_lPT4_lS4_li,"axG",@progbits,_ZL32rocblas_gemvt_warp_reduce_kernelILb0ELi256ElDF16_fDF16_EviiT3_lPKT2_lT1_lS3_lS4_lS0_lPT4_lS4_li,comdat
.Lfunc_end405:
	.size	_ZL32rocblas_gemvt_warp_reduce_kernelILb0ELi256ElDF16_fDF16_EviiT3_lPKT2_lT1_lS3_lS4_lS0_lPT4_lS4_li, .Lfunc_end405-_ZL32rocblas_gemvt_warp_reduce_kernelILb0ELi256ElDF16_fDF16_EviiT3_lPKT2_lT1_lS3_lS4_lS0_lPT4_lS4_li
                                        ; -- End function
	.set _ZL32rocblas_gemvt_warp_reduce_kernelILb0ELi256ElDF16_fDF16_EviiT3_lPKT2_lT1_lS3_lS4_lS0_lPT4_lS4_li.num_vgpr, 11
	.set _ZL32rocblas_gemvt_warp_reduce_kernelILb0ELi256ElDF16_fDF16_EviiT3_lPKT2_lT1_lS3_lS4_lS0_lPT4_lS4_li.num_agpr, 0
	.set _ZL32rocblas_gemvt_warp_reduce_kernelILb0ELi256ElDF16_fDF16_EviiT3_lPKT2_lT1_lS3_lS4_lS0_lPT4_lS4_li.numbered_sgpr, 36
	.set _ZL32rocblas_gemvt_warp_reduce_kernelILb0ELi256ElDF16_fDF16_EviiT3_lPKT2_lT1_lS3_lS4_lS0_lPT4_lS4_li.num_named_barrier, 0
	.set _ZL32rocblas_gemvt_warp_reduce_kernelILb0ELi256ElDF16_fDF16_EviiT3_lPKT2_lT1_lS3_lS4_lS0_lPT4_lS4_li.private_seg_size, 0
	.set _ZL32rocblas_gemvt_warp_reduce_kernelILb0ELi256ElDF16_fDF16_EviiT3_lPKT2_lT1_lS3_lS4_lS0_lPT4_lS4_li.uses_vcc, 1
	.set _ZL32rocblas_gemvt_warp_reduce_kernelILb0ELi256ElDF16_fDF16_EviiT3_lPKT2_lT1_lS3_lS4_lS0_lPT4_lS4_li.uses_flat_scratch, 0
	.set _ZL32rocblas_gemvt_warp_reduce_kernelILb0ELi256ElDF16_fDF16_EviiT3_lPKT2_lT1_lS3_lS4_lS0_lPT4_lS4_li.has_dyn_sized_stack, 0
	.set _ZL32rocblas_gemvt_warp_reduce_kernelILb0ELi256ElDF16_fDF16_EviiT3_lPKT2_lT1_lS3_lS4_lS0_lPT4_lS4_li.has_recursion, 0
	.set _ZL32rocblas_gemvt_warp_reduce_kernelILb0ELi256ElDF16_fDF16_EviiT3_lPKT2_lT1_lS3_lS4_lS0_lPT4_lS4_li.has_indirect_call, 0
	.section	.AMDGPU.csdata,"",@progbits
; Kernel info:
; codeLenInByte = 1360
; TotalNumSgprs: 38
; NumVgprs: 11
; ScratchSize: 0
; MemoryBound: 0
; FloatMode: 240
; IeeeMode: 1
; LDSByteSize: 128 bytes/workgroup (compile time only)
; SGPRBlocks: 0
; VGPRBlocks: 1
; NumSGPRsForWavesPerEU: 38
; NumVGPRsForWavesPerEU: 11
; Occupancy: 16
; WaveLimiterHint : 1
; COMPUTE_PGM_RSRC2:SCRATCH_EN: 0
; COMPUTE_PGM_RSRC2:USER_SGPR: 6
; COMPUTE_PGM_RSRC2:TRAP_HANDLER: 0
; COMPUTE_PGM_RSRC2:TGID_X_EN: 1
; COMPUTE_PGM_RSRC2:TGID_Y_EN: 0
; COMPUTE_PGM_RSRC2:TGID_Z_EN: 1
; COMPUTE_PGM_RSRC2:TIDIG_COMP_CNT: 0
	.section	.text._ZL20rocblas_gemvt_kernelILb0ELi256EDF16_PKfDF16_EviiT2_lPKT1_lilS5_lilS2_lPT3_lili,"axG",@progbits,_ZL20rocblas_gemvt_kernelILb0ELi256EDF16_PKfDF16_EviiT2_lPKT1_lilS5_lilS2_lPT3_lili,comdat
	.globl	_ZL20rocblas_gemvt_kernelILb0ELi256EDF16_PKfDF16_EviiT2_lPKT1_lilS5_lilS2_lPT3_lili ; -- Begin function _ZL20rocblas_gemvt_kernelILb0ELi256EDF16_PKfDF16_EviiT2_lPKT1_lilS5_lilS2_lPT3_lili
	.p2align	8
	.type	_ZL20rocblas_gemvt_kernelILb0ELi256EDF16_PKfDF16_EviiT2_lPKT1_lilS5_lilS2_lPT3_lili,@function
_ZL20rocblas_gemvt_kernelILb0ELi256EDF16_PKfDF16_EviiT2_lPKT1_lilS5_lilS2_lPT3_lili: ; @_ZL20rocblas_gemvt_kernelILb0ELi256EDF16_PKfDF16_EviiT2_lPKT1_lilS5_lilS2_lPT3_lili
; %bb.0:
	s_clause 0x1
	s_load_dwordx8 s[8:15], s[4:5], 0x8
	s_load_dwordx8 s[16:23], s[4:5], 0x50
	s_waitcnt lgkmcnt(0)
	s_mul_i32 s1, s11, s7
	s_mul_hi_u32 s2, s10, s7
	s_mul_i32 s0, s10, s7
	s_add_i32 s1, s2, s1
	s_mul_i32 s2, s21, s7
	s_lshl_b64 s[0:1], s[0:1], 2
	s_mul_hi_u32 s3, s20, s7
	s_add_u32 s0, s8, s0
	s_addc_u32 s1, s9, s1
	s_add_i32 s3, s3, s2
	s_mul_i32 s2, s20, s7
	s_mov_b32 s21, 0
	s_lshl_b64 s[2:3], s[2:3], 2
	s_add_u32 s2, s18, s2
	s_addc_u32 s3, s19, s3
	s_load_dword s24, s[0:1], 0x0
	s_load_dword s20, s[2:3], 0x0
	s_waitcnt lgkmcnt(0)
	v_cmp_eq_f32_e64 s0, s24, 0
	v_cmp_eq_f32_e64 s1, s20, 1.0
	s_and_b32 s0, s0, s1
	s_and_b32 vcc_lo, exec_lo, s0
	s_cbranch_vccnz .LBB406_37
; %bb.1:
	s_clause 0x2
	s_load_dwordx2 s[0:1], s[4:5], 0x80
	s_load_dwordx2 s[2:3], s[4:5], 0x70
	s_load_dword s25, s[4:5], 0x78
	s_waitcnt lgkmcnt(0)
	s_mul_i32 s1, s1, s7
	s_mul_hi_u32 s8, s0, s7
	s_mul_i32 s0, s0, s7
	s_add_i32 s1, s8, s1
	v_cmp_neq_f32_e64 s8, s24, 0
	s_lshl_b64 s[0:1], s[0:1], 1
	s_add_u32 s9, s22, s0
	s_addc_u32 s10, s23, s1
	s_lshl_b64 s[0:1], s[2:3], 1
	s_add_u32 s18, s9, s0
	v_cmp_eq_u32_e64 s0, 0, v0
	s_addc_u32 s19, s10, s1
	s_and_b32 vcc_lo, exec_lo, s8
	s_cbranch_vccnz .LBB406_5
; %bb.2:
	s_mov_b32 s1, 0
                                        ; implicit-def: $vgpr1
                                        ; implicit-def: $sgpr2_sgpr3
	s_and_saveexec_b32 s8, s0
	s_cbranch_execz .LBB406_6
; %bb.3:
	v_cmp_eq_f32_e64 s0, s20, 0
	s_mul_hi_i32 s3, s25, s6
	s_mul_i32 s2, s25, s6
	s_and_b32 vcc_lo, exec_lo, s0
	s_cbranch_vccnz .LBB406_7
; %bb.4:
	s_lshl_b64 s[10:11], s[2:3], 1
	v_mov_b32_e32 v1, 0
	s_add_u32 s10, s18, s10
	s_addc_u32 s11, s19, s11
	global_load_ushort v1, v1, s[10:11]
	s_waitcnt vmcnt(0)
	v_fma_mixlo_f16 v1, s20, v1, 0 op_sel_hi:[0,1,0]
	s_branch .LBB406_8
.LBB406_5:
                                        ; implicit-def: $vgpr1
                                        ; implicit-def: $sgpr2_sgpr3
	s_cbranch_execnz .LBB406_9
	s_branch .LBB406_35
.LBB406_6:
	s_or_b32 exec_lo, exec_lo, s8
	s_and_b32 vcc_lo, exec_lo, s1
	s_cbranch_vccnz .LBB406_9
	s_branch .LBB406_35
.LBB406_7:
	v_mov_b32_e32 v1, 0
.LBB406_8:
	s_mov_b32 s21, exec_lo
	s_or_b32 exec_lo, exec_lo, s8
	s_and_b32 vcc_lo, exec_lo, s1
	s_cbranch_vccz .LBB406_35
.LBB406_9:
	s_clause 0x4
	s_load_dwordx4 s[0:3], s[4:5], 0x30
	s_load_dword s22, s[4:5], 0x0
	s_load_dword s23, s[4:5], 0x28
	s_load_dwordx2 s[8:9], s[4:5], 0x40
	s_load_dword s4, s[4:5], 0x48
	s_mul_i32 s11, s17, s7
	s_mul_hi_u32 s17, s16, s7
	s_mul_i32 s10, s16, s7
	s_add_i32 s11, s17, s11
	v_mov_b32_e32 v7, 0
	s_waitcnt lgkmcnt(0)
	s_mul_i32 s1, s1, s7
	v_cmp_gt_i32_e32 vcc_lo, s22, v0
	s_mul_hi_u32 s5, s0, s7
	s_mul_i32 s0, s0, s7
	s_add_i32 s1, s5, s1
	s_mul_hi_i32 s17, s23, s6
	v_cndmask_b32_e32 v1, 0, v0, vcc_lo
	s_lshl_b64 s[0:1], s[0:1], 1
	s_mul_i32 s16, s23, s6
	s_add_u32 s5, s12, s0
	s_addc_u32 s7, s13, s1
	v_lshlrev_b32_e32 v1, 1, v1
	s_lshl_b64 s[0:1], s[14:15], 1
	s_add_u32 s5, s5, s0
	s_addc_u32 s7, s7, s1
	v_add_co_u32 v1, s5, s5, v1
	v_add_co_ci_u32_e64 v2, null, s7, 0, s5
	s_ashr_i32 s12, s22, 31
	s_lshl_b64 s[0:1], s[16:17], 1
	s_lshr_b32 s12, s12, 24
	v_add_co_u32 v1, vcc_lo, v1, s0
	s_add_i32 s5, s22, s12
	v_add_co_ci_u32_e64 v2, null, s1, v2, vcc_lo
	s_and_b32 s0, s5, 0xffffff00
	s_cmpk_lt_i32 s22, 0x100
	s_mov_b32 s1, 0
	s_cbranch_scc1 .LBB406_12
; %bb.10:
	v_mad_i64_i32 v[3:4], null, s4, v0, 0
	s_lshl_b64 s[14:15], s[8:9], 1
	s_ashr_i32 s5, s4, 31
	s_lshl_b64 s[12:13], s[10:11], 1
	s_add_u32 s7, s2, s14
	s_addc_u32 s14, s3, s15
	s_add_u32 s7, s7, s12
	v_lshlrev_b64 v[3:4], 1, v[3:4]
	s_addc_u32 s12, s14, s13
	v_mov_b32_e32 v6, v2
	v_mov_b32_e32 v7, 0
	;; [unrolled: 1-line block ×3, first 2 shown]
	v_add_co_u32 v3, vcc_lo, s7, v3
	v_add_co_ci_u32_e64 v4, null, s12, v4, vcc_lo
	s_lshl_b64 s[12:13], s[4:5], 9
	.p2align	6
.LBB406_11:                             ; =>This Inner Loop Header: Depth=1
	global_load_ushort v8, v[5:6], off
	global_load_ushort v9, v[3:4], off
	v_add_co_u32 v3, vcc_lo, v3, s12
	v_add_co_ci_u32_e64 v4, null, s13, v4, vcc_lo
	v_add_co_u32 v5, vcc_lo, 0x200, v5
	v_add_co_ci_u32_e64 v6, null, 0, v6, vcc_lo
	s_addk_i32 s1, 0x100
	s_cmp_ge_i32 s1, s0
	s_waitcnt vmcnt(0)
	v_mul_f16_e32 v8, v8, v9
	v_cvt_f32_f16_e32 v8, v8
	v_add_f32_e32 v7, v7, v8
	s_cbranch_scc0 .LBB406_11
.LBB406_12:
	v_add_nc_u32_e32 v3, s0, v0
	s_mov_b32 s5, exec_lo
	v_cmpx_gt_i32_e64 s22, v3
	s_cbranch_execz .LBB406_14
; %bb.13:
	v_mad_i64_i32 v[3:4], null, s4, v3, 0
	s_lshl_b64 s[10:11], s[10:11], 1
	s_add_u32 s1, s2, s10
	s_addc_u32 s7, s3, s11
	s_lshl_b64 s[2:3], s[8:9], 1
	s_add_u32 s2, s1, s2
	s_addc_u32 s3, s7, s3
	s_ashr_i32 s1, s0, 31
	v_lshlrev_b64 v[3:4], 1, v[3:4]
	s_lshl_b64 s[0:1], s[0:1], 1
	v_add_co_u32 v1, vcc_lo, v1, s0
	v_add_co_ci_u32_e64 v2, null, s1, v2, vcc_lo
	v_add_co_u32 v3, vcc_lo, s2, v3
	v_add_co_ci_u32_e64 v4, null, s3, v4, vcc_lo
	global_load_ushort v1, v[1:2], off
	global_load_ushort v2, v[3:4], off
	s_waitcnt vmcnt(0)
	v_mul_f16_e32 v1, v1, v2
	v_cvt_f32_f16_e32 v1, v1
	v_add_f32_e32 v7, v7, v1
.LBB406_14:
	s_or_b32 exec_lo, exec_lo, s5
	v_lshlrev_b32_e32 v1, 2, v0
	s_mov_b32 s0, exec_lo
	ds_write_b32 v1, v7
	s_waitcnt lgkmcnt(0)
	s_barrier
	buffer_gl0_inv
	v_cmpx_gt_u32_e32 0x80, v0
	s_cbranch_execz .LBB406_16
; %bb.15:
	ds_read2st64_b32 v[2:3], v1 offset1:2
	s_waitcnt lgkmcnt(0)
	v_add_f32_e32 v2, v3, v2
	ds_write_b32 v1, v2
.LBB406_16:
	s_or_b32 exec_lo, exec_lo, s0
	s_mov_b32 s0, exec_lo
	s_waitcnt lgkmcnt(0)
	s_barrier
	buffer_gl0_inv
	v_cmpx_gt_u32_e32 64, v0
	s_cbranch_execz .LBB406_18
; %bb.17:
	ds_read2st64_b32 v[2:3], v1 offset1:1
	s_waitcnt lgkmcnt(0)
	v_add_f32_e32 v2, v3, v2
	ds_write_b32 v1, v2
.LBB406_18:
	s_or_b32 exec_lo, exec_lo, s0
	s_mov_b32 s0, exec_lo
	s_waitcnt lgkmcnt(0)
	s_barrier
	buffer_gl0_inv
	v_cmpx_gt_u32_e32 32, v0
	s_cbranch_execz .LBB406_20
; %bb.19:
	ds_read2_b32 v[2:3], v1 offset1:32
	s_waitcnt lgkmcnt(0)
	v_add_f32_e32 v2, v3, v2
	ds_write_b32 v1, v2
.LBB406_20:
	s_or_b32 exec_lo, exec_lo, s0
	s_mov_b32 s0, exec_lo
	s_waitcnt lgkmcnt(0)
	s_barrier
	buffer_gl0_inv
	v_cmpx_gt_u32_e32 16, v0
	s_cbranch_execz .LBB406_22
; %bb.21:
	ds_read2_b32 v[2:3], v1 offset1:16
	s_waitcnt lgkmcnt(0)
	v_add_f32_e32 v2, v3, v2
	ds_write_b32 v1, v2
.LBB406_22:
	s_or_b32 exec_lo, exec_lo, s0
	s_mov_b32 s0, exec_lo
	s_waitcnt lgkmcnt(0)
	s_barrier
	buffer_gl0_inv
	v_cmpx_gt_u32_e32 8, v0
	s_cbranch_execz .LBB406_24
; %bb.23:
	ds_read2_b32 v[2:3], v1 offset1:8
	s_waitcnt lgkmcnt(0)
	v_add_f32_e32 v2, v3, v2
	ds_write_b32 v1, v2
.LBB406_24:
	s_or_b32 exec_lo, exec_lo, s0
	s_mov_b32 s0, exec_lo
	s_waitcnt lgkmcnt(0)
	s_barrier
	buffer_gl0_inv
	v_cmpx_gt_u32_e32 4, v0
	s_cbranch_execz .LBB406_26
; %bb.25:
	ds_read2_b32 v[2:3], v1 offset1:4
	s_waitcnt lgkmcnt(0)
	v_add_f32_e32 v2, v3, v2
	ds_write_b32 v1, v2
.LBB406_26:
	s_or_b32 exec_lo, exec_lo, s0
	s_mov_b32 s0, exec_lo
	s_waitcnt lgkmcnt(0)
	s_barrier
	buffer_gl0_inv
	v_cmpx_gt_u32_e32 2, v0
	s_cbranch_execz .LBB406_28
; %bb.27:
	ds_read2_b32 v[2:3], v1 offset1:2
	s_waitcnt lgkmcnt(0)
	v_add_f32_e32 v2, v3, v2
	ds_write_b32 v1, v2
.LBB406_28:
	s_or_b32 exec_lo, exec_lo, s0
	v_cmp_eq_u32_e32 vcc_lo, 0, v0
	s_waitcnt lgkmcnt(0)
	s_barrier
	buffer_gl0_inv
	s_and_saveexec_b32 s0, vcc_lo
	s_cbranch_execz .LBB406_30
; %bb.29:
	v_mov_b32_e32 v2, 0
	ds_read_b64 v[0:1], v2
	s_waitcnt lgkmcnt(0)
	v_add_f32_e32 v0, v1, v0
	ds_write_b32 v2, v0
.LBB406_30:
	s_or_b32 exec_lo, exec_lo, s0
	s_waitcnt lgkmcnt(0)
	s_barrier
	buffer_gl0_inv
                                        ; implicit-def: $vgpr1
                                        ; implicit-def: $sgpr2_sgpr3
	s_and_saveexec_b32 s0, vcc_lo
	s_cbranch_execz .LBB406_34
; %bb.31:
	v_mov_b32_e32 v1, 0
	v_cmp_eq_f32_e64 s1, s20, 0
	s_mul_hi_i32 s3, s25, s6
	s_mul_i32 s2, s25, s6
	ds_read_b32 v0, v1
	s_and_b32 vcc_lo, exec_lo, s1
	s_waitcnt lgkmcnt(0)
	v_mul_f32_e32 v0, s24, v0
	s_cbranch_vccnz .LBB406_33
; %bb.32:
	s_lshl_b64 s[4:5], s[2:3], 1
	s_add_u32 s4, s18, s4
	s_addc_u32 s5, s19, s5
	global_load_ushort v1, v1, s[4:5]
	s_waitcnt vmcnt(0)
	v_fma_mix_f32 v0, s20, v1, v0 op_sel_hi:[0,1,0]
.LBB406_33:
	v_cvt_f16_f32_e32 v1, v0
	s_or_b32 s21, s21, exec_lo
.LBB406_34:
	s_or_b32 exec_lo, exec_lo, s0
.LBB406_35:
	s_and_saveexec_b32 s0, s21
	s_cbranch_execz .LBB406_37
; %bb.36:
	s_lshl_b64 s[0:1], s[2:3], 1
	v_mov_b32_e32 v0, 0
	s_add_u32 s0, s18, s0
	s_addc_u32 s1, s19, s1
	global_store_short v0, v1, s[0:1]
.LBB406_37:
	s_endpgm
	.section	.rodata,"a",@progbits
	.p2align	6, 0x0
	.amdhsa_kernel _ZL20rocblas_gemvt_kernelILb0ELi256EDF16_PKfDF16_EviiT2_lPKT1_lilS5_lilS2_lPT3_lili
		.amdhsa_group_segment_fixed_size 1024
		.amdhsa_private_segment_fixed_size 0
		.amdhsa_kernarg_size 140
		.amdhsa_user_sgpr_count 6
		.amdhsa_user_sgpr_private_segment_buffer 1
		.amdhsa_user_sgpr_dispatch_ptr 0
		.amdhsa_user_sgpr_queue_ptr 0
		.amdhsa_user_sgpr_kernarg_segment_ptr 1
		.amdhsa_user_sgpr_dispatch_id 0
		.amdhsa_user_sgpr_flat_scratch_init 0
		.amdhsa_user_sgpr_private_segment_size 0
		.amdhsa_wavefront_size32 1
		.amdhsa_uses_dynamic_stack 0
		.amdhsa_system_sgpr_private_segment_wavefront_offset 0
		.amdhsa_system_sgpr_workgroup_id_x 1
		.amdhsa_system_sgpr_workgroup_id_y 0
		.amdhsa_system_sgpr_workgroup_id_z 1
		.amdhsa_system_sgpr_workgroup_info 0
		.amdhsa_system_vgpr_workitem_id 0
		.amdhsa_next_free_vgpr 10
		.amdhsa_next_free_sgpr 26
		.amdhsa_reserve_vcc 1
		.amdhsa_reserve_flat_scratch 0
		.amdhsa_float_round_mode_32 0
		.amdhsa_float_round_mode_16_64 0
		.amdhsa_float_denorm_mode_32 3
		.amdhsa_float_denorm_mode_16_64 3
		.amdhsa_dx10_clamp 1
		.amdhsa_ieee_mode 1
		.amdhsa_fp16_overflow 0
		.amdhsa_workgroup_processor_mode 1
		.amdhsa_memory_ordered 1
		.amdhsa_forward_progress 1
		.amdhsa_shared_vgpr_count 0
		.amdhsa_exception_fp_ieee_invalid_op 0
		.amdhsa_exception_fp_denorm_src 0
		.amdhsa_exception_fp_ieee_div_zero 0
		.amdhsa_exception_fp_ieee_overflow 0
		.amdhsa_exception_fp_ieee_underflow 0
		.amdhsa_exception_fp_ieee_inexact 0
		.amdhsa_exception_int_div_zero 0
	.end_amdhsa_kernel
	.section	.text._ZL20rocblas_gemvt_kernelILb0ELi256EDF16_PKfDF16_EviiT2_lPKT1_lilS5_lilS2_lPT3_lili,"axG",@progbits,_ZL20rocblas_gemvt_kernelILb0ELi256EDF16_PKfDF16_EviiT2_lPKT1_lilS5_lilS2_lPT3_lili,comdat
.Lfunc_end406:
	.size	_ZL20rocblas_gemvt_kernelILb0ELi256EDF16_PKfDF16_EviiT2_lPKT1_lilS5_lilS2_lPT3_lili, .Lfunc_end406-_ZL20rocblas_gemvt_kernelILb0ELi256EDF16_PKfDF16_EviiT2_lPKT1_lilS5_lilS2_lPT3_lili
                                        ; -- End function
	.set _ZL20rocblas_gemvt_kernelILb0ELi256EDF16_PKfDF16_EviiT2_lPKT1_lilS5_lilS2_lPT3_lili.num_vgpr, 10
	.set _ZL20rocblas_gemvt_kernelILb0ELi256EDF16_PKfDF16_EviiT2_lPKT1_lilS5_lilS2_lPT3_lili.num_agpr, 0
	.set _ZL20rocblas_gemvt_kernelILb0ELi256EDF16_PKfDF16_EviiT2_lPKT1_lilS5_lilS2_lPT3_lili.numbered_sgpr, 26
	.set _ZL20rocblas_gemvt_kernelILb0ELi256EDF16_PKfDF16_EviiT2_lPKT1_lilS5_lilS2_lPT3_lili.num_named_barrier, 0
	.set _ZL20rocblas_gemvt_kernelILb0ELi256EDF16_PKfDF16_EviiT2_lPKT1_lilS5_lilS2_lPT3_lili.private_seg_size, 0
	.set _ZL20rocblas_gemvt_kernelILb0ELi256EDF16_PKfDF16_EviiT2_lPKT1_lilS5_lilS2_lPT3_lili.uses_vcc, 1
	.set _ZL20rocblas_gemvt_kernelILb0ELi256EDF16_PKfDF16_EviiT2_lPKT1_lilS5_lilS2_lPT3_lili.uses_flat_scratch, 0
	.set _ZL20rocblas_gemvt_kernelILb0ELi256EDF16_PKfDF16_EviiT2_lPKT1_lilS5_lilS2_lPT3_lili.has_dyn_sized_stack, 0
	.set _ZL20rocblas_gemvt_kernelILb0ELi256EDF16_PKfDF16_EviiT2_lPKT1_lilS5_lilS2_lPT3_lili.has_recursion, 0
	.set _ZL20rocblas_gemvt_kernelILb0ELi256EDF16_PKfDF16_EviiT2_lPKT1_lilS5_lilS2_lPT3_lili.has_indirect_call, 0
	.section	.AMDGPU.csdata,"",@progbits
; Kernel info:
; codeLenInByte = 1472
; TotalNumSgprs: 28
; NumVgprs: 10
; ScratchSize: 0
; MemoryBound: 0
; FloatMode: 240
; IeeeMode: 1
; LDSByteSize: 1024 bytes/workgroup (compile time only)
; SGPRBlocks: 0
; VGPRBlocks: 1
; NumSGPRsForWavesPerEU: 28
; NumVGPRsForWavesPerEU: 10
; Occupancy: 16
; WaveLimiterHint : 1
; COMPUTE_PGM_RSRC2:SCRATCH_EN: 0
; COMPUTE_PGM_RSRC2:USER_SGPR: 6
; COMPUTE_PGM_RSRC2:TRAP_HANDLER: 0
; COMPUTE_PGM_RSRC2:TGID_X_EN: 1
; COMPUTE_PGM_RSRC2:TGID_Y_EN: 0
; COMPUTE_PGM_RSRC2:TGID_Z_EN: 1
; COMPUTE_PGM_RSRC2:TIDIG_COMP_CNT: 0
	.section	.text._ZL20rocblas_gemvt_kernelILb0ELi256EDF16_fDF16_EviiT2_lPKT1_lilS3_lilS0_lPT3_lili,"axG",@progbits,_ZL20rocblas_gemvt_kernelILb0ELi256EDF16_fDF16_EviiT2_lPKT1_lilS3_lilS0_lPT3_lili,comdat
	.globl	_ZL20rocblas_gemvt_kernelILb0ELi256EDF16_fDF16_EviiT2_lPKT1_lilS3_lilS0_lPT3_lili ; -- Begin function _ZL20rocblas_gemvt_kernelILb0ELi256EDF16_fDF16_EviiT2_lPKT1_lilS3_lilS0_lPT3_lili
	.p2align	8
	.type	_ZL20rocblas_gemvt_kernelILb0ELi256EDF16_fDF16_EviiT2_lPKT1_lilS3_lilS0_lPT3_lili,@function
_ZL20rocblas_gemvt_kernelILb0ELi256EDF16_fDF16_EviiT2_lPKT1_lilS3_lilS0_lPT3_lili: ; @_ZL20rocblas_gemvt_kernelILb0ELi256EDF16_fDF16_EviiT2_lPKT1_lilS3_lilS0_lPT3_lili
; %bb.0:
	s_clause 0x1
	s_load_dword s18, s[4:5], 0x8
	s_load_dword s16, s[4:5], 0x58
	s_mov_b32 s17, 0
	s_waitcnt lgkmcnt(0)
	v_cmp_eq_f32_e64 s0, s18, 0
	v_cmp_eq_f32_e64 s1, s16, 1.0
	s_and_b32 s0, s0, s1
	s_and_b32 vcc_lo, exec_lo, s0
	s_cbranch_vccnz .LBB407_37
; %bb.1:
	s_clause 0x2
	s_load_dwordx2 s[8:9], s[4:5], 0x80
	s_load_dwordx4 s[0:3], s[4:5], 0x68
	s_load_dword s19, s[4:5], 0x78
	s_waitcnt lgkmcnt(0)
	s_mul_i32 s9, s9, s7
	s_mul_hi_u32 s10, s8, s7
	s_mul_i32 s8, s8, s7
	s_add_i32 s9, s10, s9
	v_cmp_neq_f32_e64 s10, s18, 0
	s_lshl_b64 s[8:9], s[8:9], 1
	s_add_u32 s8, s0, s8
	s_addc_u32 s9, s1, s9
	s_lshl_b64 s[0:1], s[2:3], 1
	s_add_u32 s14, s8, s0
	v_cmp_eq_u32_e64 s0, 0, v0
	s_addc_u32 s15, s9, s1
	s_and_b32 vcc_lo, exec_lo, s10
	s_cbranch_vccnz .LBB407_5
; %bb.2:
	s_mov_b32 s1, 0
                                        ; implicit-def: $vgpr1
                                        ; implicit-def: $sgpr2_sgpr3
	s_and_saveexec_b32 s8, s0
	s_cbranch_execz .LBB407_6
; %bb.3:
	v_cmp_eq_f32_e64 s0, s16, 0
	s_mul_hi_i32 s3, s19, s6
	s_mul_i32 s2, s19, s6
	s_and_b32 vcc_lo, exec_lo, s0
	s_cbranch_vccnz .LBB407_7
; %bb.4:
	s_lshl_b64 s[10:11], s[2:3], 1
	v_mov_b32_e32 v1, 0
	s_add_u32 s10, s14, s10
	s_addc_u32 s11, s15, s11
	global_load_ushort v1, v1, s[10:11]
	s_waitcnt vmcnt(0)
	v_fma_mixlo_f16 v1, s16, v1, 0 op_sel_hi:[0,1,0]
	s_branch .LBB407_8
.LBB407_5:
                                        ; implicit-def: $vgpr1
                                        ; implicit-def: $sgpr2_sgpr3
	s_cbranch_execnz .LBB407_9
	s_branch .LBB407_35
.LBB407_6:
	s_or_b32 exec_lo, exec_lo, s8
	s_and_b32 vcc_lo, exec_lo, s1
	s_cbranch_vccnz .LBB407_9
	s_branch .LBB407_35
.LBB407_7:
	v_mov_b32_e32 v1, 0
.LBB407_8:
	s_mov_b32 s17, exec_lo
	s_or_b32 exec_lo, exec_lo, s8
	s_and_b32 vcc_lo, exec_lo, s1
	s_cbranch_vccz .LBB407_35
.LBB407_9:
	s_clause 0x6
	s_load_dwordx2 s[10:11], s[4:5], 0x50
	s_load_dwordx4 s[0:3], s[4:5], 0x30
	s_load_dword s20, s[4:5], 0x0
	s_load_dword s12, s[4:5], 0x28
	s_load_dwordx4 s[24:27], s[4:5], 0x18
	s_load_dwordx2 s[8:9], s[4:5], 0x40
	s_load_dword s4, s[4:5], 0x48
	v_mov_b32_e32 v7, 0
	s_waitcnt lgkmcnt(0)
	s_mul_i32 s5, s11, s7
	s_mul_i32 s1, s1, s7
	v_cmp_gt_i32_e32 vcc_lo, s20, v0
	s_mul_hi_u32 s21, s0, s7
	s_mul_i32 s0, s0, s7
	s_add_i32 s1, s21, s1
	s_mul_hi_u32 s11, s10, s7
	v_cndmask_b32_e32 v1, 0, v0, vcc_lo
	s_lshl_b64 s[0:1], s[0:1], 1
	s_add_i32 s11, s11, s5
	s_add_u32 s5, s24, s0
	s_mul_i32 s10, s10, s7
	v_lshlrev_b32_e32 v1, 1, v1
	s_addc_u32 s7, s25, s1
	s_lshl_b64 s[0:1], s[26:27], 1
	s_mul_hi_i32 s13, s12, s6
	s_add_u32 s5, s5, s0
	s_addc_u32 s7, s7, s1
	v_add_co_u32 v1, s5, s5, v1
	s_mul_i32 s12, s12, s6
	v_add_co_ci_u32_e64 v2, null, s7, 0, s5
	s_ashr_i32 s21, s20, 31
	s_lshl_b64 s[0:1], s[12:13], 1
	s_lshr_b32 s12, s21, 24
	v_add_co_u32 v1, vcc_lo, v1, s0
	s_add_i32 s5, s20, s12
	v_add_co_ci_u32_e64 v2, null, s1, v2, vcc_lo
	s_and_b32 s0, s5, 0xffffff00
	s_cmpk_lt_i32 s20, 0x100
	s_mov_b32 s1, 0
	s_cbranch_scc1 .LBB407_12
; %bb.10:
	v_mad_i64_i32 v[3:4], null, s4, v0, 0
	s_lshl_b64 s[22:23], s[8:9], 1
	s_ashr_i32 s5, s4, 31
	s_lshl_b64 s[12:13], s[10:11], 1
	s_add_u32 s7, s2, s22
	s_addc_u32 s21, s3, s23
	s_add_u32 s7, s7, s12
	v_lshlrev_b64 v[3:4], 1, v[3:4]
	s_addc_u32 s12, s21, s13
	v_mov_b32_e32 v6, v2
	v_mov_b32_e32 v7, 0
	v_mov_b32_e32 v5, v1
	v_add_co_u32 v3, vcc_lo, s7, v3
	v_add_co_ci_u32_e64 v4, null, s12, v4, vcc_lo
	s_lshl_b64 s[12:13], s[4:5], 9
	.p2align	6
.LBB407_11:                             ; =>This Inner Loop Header: Depth=1
	global_load_ushort v8, v[5:6], off
	global_load_ushort v9, v[3:4], off
	v_add_co_u32 v3, vcc_lo, v3, s12
	v_add_co_ci_u32_e64 v4, null, s13, v4, vcc_lo
	v_add_co_u32 v5, vcc_lo, 0x200, v5
	v_add_co_ci_u32_e64 v6, null, 0, v6, vcc_lo
	s_addk_i32 s1, 0x100
	s_cmp_ge_i32 s1, s0
	s_waitcnt vmcnt(0)
	v_mul_f16_e32 v8, v8, v9
	v_cvt_f32_f16_e32 v8, v8
	v_add_f32_e32 v7, v7, v8
	s_cbranch_scc0 .LBB407_11
.LBB407_12:
	v_add_nc_u32_e32 v3, s0, v0
	s_mov_b32 s5, exec_lo
	v_cmpx_gt_i32_e64 s20, v3
	s_cbranch_execz .LBB407_14
; %bb.13:
	v_mad_i64_i32 v[3:4], null, s4, v3, 0
	s_lshl_b64 s[10:11], s[10:11], 1
	s_add_u32 s1, s2, s10
	s_addc_u32 s7, s3, s11
	s_lshl_b64 s[2:3], s[8:9], 1
	s_add_u32 s2, s1, s2
	s_addc_u32 s3, s7, s3
	s_ashr_i32 s1, s0, 31
	v_lshlrev_b64 v[3:4], 1, v[3:4]
	s_lshl_b64 s[0:1], s[0:1], 1
	v_add_co_u32 v1, vcc_lo, v1, s0
	v_add_co_ci_u32_e64 v2, null, s1, v2, vcc_lo
	v_add_co_u32 v3, vcc_lo, s2, v3
	v_add_co_ci_u32_e64 v4, null, s3, v4, vcc_lo
	global_load_ushort v1, v[1:2], off
	global_load_ushort v2, v[3:4], off
	s_waitcnt vmcnt(0)
	v_mul_f16_e32 v1, v1, v2
	v_cvt_f32_f16_e32 v1, v1
	v_add_f32_e32 v7, v7, v1
.LBB407_14:
	s_or_b32 exec_lo, exec_lo, s5
	v_lshlrev_b32_e32 v1, 2, v0
	s_mov_b32 s0, exec_lo
	ds_write_b32 v1, v7
	s_waitcnt lgkmcnt(0)
	s_barrier
	buffer_gl0_inv
	v_cmpx_gt_u32_e32 0x80, v0
	s_cbranch_execz .LBB407_16
; %bb.15:
	ds_read2st64_b32 v[2:3], v1 offset1:2
	s_waitcnt lgkmcnt(0)
	v_add_f32_e32 v2, v3, v2
	ds_write_b32 v1, v2
.LBB407_16:
	s_or_b32 exec_lo, exec_lo, s0
	s_mov_b32 s0, exec_lo
	s_waitcnt lgkmcnt(0)
	s_barrier
	buffer_gl0_inv
	v_cmpx_gt_u32_e32 64, v0
	s_cbranch_execz .LBB407_18
; %bb.17:
	ds_read2st64_b32 v[2:3], v1 offset1:1
	s_waitcnt lgkmcnt(0)
	v_add_f32_e32 v2, v3, v2
	ds_write_b32 v1, v2
.LBB407_18:
	s_or_b32 exec_lo, exec_lo, s0
	s_mov_b32 s0, exec_lo
	s_waitcnt lgkmcnt(0)
	s_barrier
	buffer_gl0_inv
	v_cmpx_gt_u32_e32 32, v0
	s_cbranch_execz .LBB407_20
; %bb.19:
	ds_read2_b32 v[2:3], v1 offset1:32
	s_waitcnt lgkmcnt(0)
	v_add_f32_e32 v2, v3, v2
	ds_write_b32 v1, v2
.LBB407_20:
	s_or_b32 exec_lo, exec_lo, s0
	s_mov_b32 s0, exec_lo
	s_waitcnt lgkmcnt(0)
	s_barrier
	buffer_gl0_inv
	v_cmpx_gt_u32_e32 16, v0
	s_cbranch_execz .LBB407_22
; %bb.21:
	ds_read2_b32 v[2:3], v1 offset1:16
	s_waitcnt lgkmcnt(0)
	v_add_f32_e32 v2, v3, v2
	ds_write_b32 v1, v2
.LBB407_22:
	s_or_b32 exec_lo, exec_lo, s0
	s_mov_b32 s0, exec_lo
	s_waitcnt lgkmcnt(0)
	s_barrier
	buffer_gl0_inv
	v_cmpx_gt_u32_e32 8, v0
	s_cbranch_execz .LBB407_24
; %bb.23:
	ds_read2_b32 v[2:3], v1 offset1:8
	s_waitcnt lgkmcnt(0)
	v_add_f32_e32 v2, v3, v2
	ds_write_b32 v1, v2
.LBB407_24:
	s_or_b32 exec_lo, exec_lo, s0
	s_mov_b32 s0, exec_lo
	s_waitcnt lgkmcnt(0)
	s_barrier
	buffer_gl0_inv
	v_cmpx_gt_u32_e32 4, v0
	s_cbranch_execz .LBB407_26
; %bb.25:
	ds_read2_b32 v[2:3], v1 offset1:4
	s_waitcnt lgkmcnt(0)
	v_add_f32_e32 v2, v3, v2
	ds_write_b32 v1, v2
.LBB407_26:
	s_or_b32 exec_lo, exec_lo, s0
	s_mov_b32 s0, exec_lo
	s_waitcnt lgkmcnt(0)
	s_barrier
	buffer_gl0_inv
	v_cmpx_gt_u32_e32 2, v0
	s_cbranch_execz .LBB407_28
; %bb.27:
	ds_read2_b32 v[2:3], v1 offset1:2
	s_waitcnt lgkmcnt(0)
	v_add_f32_e32 v2, v3, v2
	ds_write_b32 v1, v2
.LBB407_28:
	s_or_b32 exec_lo, exec_lo, s0
	v_cmp_eq_u32_e32 vcc_lo, 0, v0
	s_waitcnt lgkmcnt(0)
	s_barrier
	buffer_gl0_inv
	s_and_saveexec_b32 s0, vcc_lo
	s_cbranch_execz .LBB407_30
; %bb.29:
	v_mov_b32_e32 v2, 0
	ds_read_b64 v[0:1], v2
	s_waitcnt lgkmcnt(0)
	v_add_f32_e32 v0, v1, v0
	ds_write_b32 v2, v0
.LBB407_30:
	s_or_b32 exec_lo, exec_lo, s0
	s_waitcnt lgkmcnt(0)
	s_barrier
	buffer_gl0_inv
                                        ; implicit-def: $vgpr1
                                        ; implicit-def: $sgpr2_sgpr3
	s_and_saveexec_b32 s0, vcc_lo
	s_cbranch_execz .LBB407_34
; %bb.31:
	v_mov_b32_e32 v1, 0
	v_cmp_eq_f32_e64 s1, s16, 0
	s_mul_hi_i32 s3, s19, s6
	s_mul_i32 s2, s19, s6
	ds_read_b32 v0, v1
	s_and_b32 vcc_lo, exec_lo, s1
	s_waitcnt lgkmcnt(0)
	v_mul_f32_e32 v0, s18, v0
	s_cbranch_vccnz .LBB407_33
; %bb.32:
	s_lshl_b64 s[4:5], s[2:3], 1
	s_add_u32 s4, s14, s4
	s_addc_u32 s5, s15, s5
	global_load_ushort v1, v1, s[4:5]
	s_waitcnt vmcnt(0)
	v_fma_mix_f32 v0, s16, v1, v0 op_sel_hi:[0,1,0]
.LBB407_33:
	v_cvt_f16_f32_e32 v1, v0
	s_or_b32 s17, s17, exec_lo
.LBB407_34:
	s_or_b32 exec_lo, exec_lo, s0
.LBB407_35:
	s_and_saveexec_b32 s0, s17
	s_cbranch_execz .LBB407_37
; %bb.36:
	s_lshl_b64 s[0:1], s[2:3], 1
	v_mov_b32_e32 v0, 0
	s_add_u32 s0, s14, s0
	s_addc_u32 s1, s15, s1
	global_store_short v0, v1, s[0:1]
.LBB407_37:
	s_endpgm
	.section	.rodata,"a",@progbits
	.p2align	6, 0x0
	.amdhsa_kernel _ZL20rocblas_gemvt_kernelILb0ELi256EDF16_fDF16_EviiT2_lPKT1_lilS3_lilS0_lPT3_lili
		.amdhsa_group_segment_fixed_size 1024
		.amdhsa_private_segment_fixed_size 0
		.amdhsa_kernarg_size 140
		.amdhsa_user_sgpr_count 6
		.amdhsa_user_sgpr_private_segment_buffer 1
		.amdhsa_user_sgpr_dispatch_ptr 0
		.amdhsa_user_sgpr_queue_ptr 0
		.amdhsa_user_sgpr_kernarg_segment_ptr 1
		.amdhsa_user_sgpr_dispatch_id 0
		.amdhsa_user_sgpr_flat_scratch_init 0
		.amdhsa_user_sgpr_private_segment_size 0
		.amdhsa_wavefront_size32 1
		.amdhsa_uses_dynamic_stack 0
		.amdhsa_system_sgpr_private_segment_wavefront_offset 0
		.amdhsa_system_sgpr_workgroup_id_x 1
		.amdhsa_system_sgpr_workgroup_id_y 0
		.amdhsa_system_sgpr_workgroup_id_z 1
		.amdhsa_system_sgpr_workgroup_info 0
		.amdhsa_system_vgpr_workitem_id 0
		.amdhsa_next_free_vgpr 10
		.amdhsa_next_free_sgpr 28
		.amdhsa_reserve_vcc 1
		.amdhsa_reserve_flat_scratch 0
		.amdhsa_float_round_mode_32 0
		.amdhsa_float_round_mode_16_64 0
		.amdhsa_float_denorm_mode_32 3
		.amdhsa_float_denorm_mode_16_64 3
		.amdhsa_dx10_clamp 1
		.amdhsa_ieee_mode 1
		.amdhsa_fp16_overflow 0
		.amdhsa_workgroup_processor_mode 1
		.amdhsa_memory_ordered 1
		.amdhsa_forward_progress 1
		.amdhsa_shared_vgpr_count 0
		.amdhsa_exception_fp_ieee_invalid_op 0
		.amdhsa_exception_fp_denorm_src 0
		.amdhsa_exception_fp_ieee_div_zero 0
		.amdhsa_exception_fp_ieee_overflow 0
		.amdhsa_exception_fp_ieee_underflow 0
		.amdhsa_exception_fp_ieee_inexact 0
		.amdhsa_exception_int_div_zero 0
	.end_amdhsa_kernel
	.section	.text._ZL20rocblas_gemvt_kernelILb0ELi256EDF16_fDF16_EviiT2_lPKT1_lilS3_lilS0_lPT3_lili,"axG",@progbits,_ZL20rocblas_gemvt_kernelILb0ELi256EDF16_fDF16_EviiT2_lPKT1_lilS3_lilS0_lPT3_lili,comdat
.Lfunc_end407:
	.size	_ZL20rocblas_gemvt_kernelILb0ELi256EDF16_fDF16_EviiT2_lPKT1_lilS3_lilS0_lPT3_lili, .Lfunc_end407-_ZL20rocblas_gemvt_kernelILb0ELi256EDF16_fDF16_EviiT2_lPKT1_lilS3_lilS0_lPT3_lili
                                        ; -- End function
	.set _ZL20rocblas_gemvt_kernelILb0ELi256EDF16_fDF16_EviiT2_lPKT1_lilS3_lilS0_lPT3_lili.num_vgpr, 10
	.set _ZL20rocblas_gemvt_kernelILb0ELi256EDF16_fDF16_EviiT2_lPKT1_lilS3_lilS0_lPT3_lili.num_agpr, 0
	.set _ZL20rocblas_gemvt_kernelILb0ELi256EDF16_fDF16_EviiT2_lPKT1_lilS3_lilS0_lPT3_lili.numbered_sgpr, 28
	.set _ZL20rocblas_gemvt_kernelILb0ELi256EDF16_fDF16_EviiT2_lPKT1_lilS3_lilS0_lPT3_lili.num_named_barrier, 0
	.set _ZL20rocblas_gemvt_kernelILb0ELi256EDF16_fDF16_EviiT2_lPKT1_lilS3_lilS0_lPT3_lili.private_seg_size, 0
	.set _ZL20rocblas_gemvt_kernelILb0ELi256EDF16_fDF16_EviiT2_lPKT1_lilS3_lilS0_lPT3_lili.uses_vcc, 1
	.set _ZL20rocblas_gemvt_kernelILb0ELi256EDF16_fDF16_EviiT2_lPKT1_lilS3_lilS0_lPT3_lili.uses_flat_scratch, 0
	.set _ZL20rocblas_gemvt_kernelILb0ELi256EDF16_fDF16_EviiT2_lPKT1_lilS3_lilS0_lPT3_lili.has_dyn_sized_stack, 0
	.set _ZL20rocblas_gemvt_kernelILb0ELi256EDF16_fDF16_EviiT2_lPKT1_lilS3_lilS0_lPT3_lili.has_recursion, 0
	.set _ZL20rocblas_gemvt_kernelILb0ELi256EDF16_fDF16_EviiT2_lPKT1_lilS3_lilS0_lPT3_lili.has_indirect_call, 0
	.section	.AMDGPU.csdata,"",@progbits
; Kernel info:
; codeLenInByte = 1408
; TotalNumSgprs: 30
; NumVgprs: 10
; ScratchSize: 0
; MemoryBound: 0
; FloatMode: 240
; IeeeMode: 1
; LDSByteSize: 1024 bytes/workgroup (compile time only)
; SGPRBlocks: 0
; VGPRBlocks: 1
; NumSGPRsForWavesPerEU: 30
; NumVGPRsForWavesPerEU: 10
; Occupancy: 16
; WaveLimiterHint : 1
; COMPUTE_PGM_RSRC2:SCRATCH_EN: 0
; COMPUTE_PGM_RSRC2:USER_SGPR: 6
; COMPUTE_PGM_RSRC2:TRAP_HANDLER: 0
; COMPUTE_PGM_RSRC2:TGID_X_EN: 1
; COMPUTE_PGM_RSRC2:TGID_Y_EN: 0
; COMPUTE_PGM_RSRC2:TGID_Z_EN: 1
; COMPUTE_PGM_RSRC2:TIDIG_COMP_CNT: 0
	.section	.text._ZL32rocblas_gemvt_warp_reduce_kernelILb0ELi1024EiDF16_PKfDF16_EviiT3_lPKT2_lT1_lS5_lS6_lS2_lPT4_lS6_li,"axG",@progbits,_ZL32rocblas_gemvt_warp_reduce_kernelILb0ELi1024EiDF16_PKfDF16_EviiT3_lPKT2_lT1_lS5_lS6_lS2_lPT4_lS6_li,comdat
	.globl	_ZL32rocblas_gemvt_warp_reduce_kernelILb0ELi1024EiDF16_PKfDF16_EviiT3_lPKT2_lT1_lS5_lS6_lS2_lPT4_lS6_li ; -- Begin function _ZL32rocblas_gemvt_warp_reduce_kernelILb0ELi1024EiDF16_PKfDF16_EviiT3_lPKT2_lT1_lS5_lS6_lS2_lPT4_lS6_li
	.p2align	8
	.type	_ZL32rocblas_gemvt_warp_reduce_kernelILb0ELi1024EiDF16_PKfDF16_EviiT3_lPKT2_lT1_lS5_lS6_lS2_lPT4_lS6_li,@function
_ZL32rocblas_gemvt_warp_reduce_kernelILb0ELi1024EiDF16_PKfDF16_EviiT3_lPKT2_lT1_lS5_lS6_lS2_lPT4_lS6_li: ; @_ZL32rocblas_gemvt_warp_reduce_kernelILb0ELi1024EiDF16_PKfDF16_EviiT3_lPKT2_lT1_lS5_lS6_lS2_lPT4_lS6_li
; %bb.0:
	s_clause 0x1
	s_load_dwordx8 s[8:15], s[4:5], 0x8
	s_load_dwordx8 s[16:23], s[4:5], 0x50
	s_waitcnt lgkmcnt(0)
	s_mul_i32 s1, s11, s7
	s_mul_hi_u32 s2, s10, s7
	s_mul_i32 s0, s10, s7
	s_add_i32 s1, s2, s1
	s_mul_i32 s2, s21, s7
	s_lshl_b64 s[0:1], s[0:1], 2
	s_mul_hi_u32 s3, s20, s7
	s_add_u32 s0, s8, s0
	s_addc_u32 s1, s9, s1
	s_add_i32 s3, s3, s2
	s_mul_i32 s2, s20, s7
	s_mov_b32 s10, 0
	s_lshl_b64 s[2:3], s[2:3], 2
	s_add_u32 s2, s18, s2
	s_addc_u32 s3, s19, s3
	s_load_dword s11, s[0:1], 0x0
	s_load_dword s9, s[2:3], 0x0
	s_waitcnt lgkmcnt(0)
	v_cmp_eq_f32_e64 s0, s11, 0
	v_cmp_eq_f32_e64 s1, s9, 1.0
	s_and_b32 s0, s0, s1
	s_and_b32 vcc_lo, exec_lo, s0
	s_cbranch_vccnz .LBB408_30
; %bb.1:
	s_clause 0x2
	s_load_dwordx2 s[0:1], s[4:5], 0x80
	s_load_dwordx2 s[2:3], s[4:5], 0x70
	s_load_dword s18, s[4:5], 0x78
	v_cmp_neq_f32_e64 s19, s11, 0
	s_waitcnt lgkmcnt(0)
	s_mul_i32 s1, s1, s7
	s_mul_hi_u32 s8, s0, s7
	s_mul_i32 s0, s0, s7
	s_add_i32 s1, s8, s1
	s_lshl_b64 s[0:1], s[0:1], 1
	s_add_u32 s0, s22, s0
	s_addc_u32 s8, s23, s1
	s_lshl_b64 s[2:3], s[2:3], 1
	s_add_u32 s1, s0, s2
	v_cmp_eq_u32_e64 s0, 0, v0
	s_addc_u32 s8, s8, s3
	s_and_b32 vcc_lo, exec_lo, s19
	s_cbranch_vccnz .LBB408_5
; %bb.2:
	s_mov_b32 s19, 0
                                        ; implicit-def: $vgpr1
                                        ; implicit-def: $sgpr2_sgpr3
	s_and_saveexec_b32 s20, s0
	s_cbranch_execz .LBB408_6
; %bb.3:
	v_cmp_eq_f32_e64 s0, s9, 0
	s_mul_i32 s2, s18, s6
	s_ashr_i32 s3, s2, 31
	s_and_b32 vcc_lo, exec_lo, s0
	s_cbranch_vccnz .LBB408_7
; %bb.4:
	s_lshl_b64 s[22:23], s[2:3], 1
	v_mov_b32_e32 v1, 0
	s_add_u32 s22, s1, s22
	s_addc_u32 s23, s8, s23
	global_load_ushort v1, v1, s[22:23]
	s_waitcnt vmcnt(0)
	v_fma_mixlo_f16 v1, s9, v1, 0 op_sel_hi:[0,1,0]
	s_branch .LBB408_8
.LBB408_5:
                                        ; implicit-def: $vgpr1
                                        ; implicit-def: $sgpr2_sgpr3
	s_cbranch_execnz .LBB408_9
	s_branch .LBB408_28
.LBB408_6:
	s_or_b32 exec_lo, exec_lo, s20
	s_and_b32 vcc_lo, exec_lo, s19
	s_cbranch_vccnz .LBB408_9
	s_branch .LBB408_28
.LBB408_7:
	v_mov_b32_e32 v1, 0
.LBB408_8:
	s_mov_b32 s10, exec_lo
	s_or_b32 exec_lo, exec_lo, s20
	s_and_b32 vcc_lo, exec_lo, s19
	s_cbranch_vccz .LBB408_28
.LBB408_9:
	s_clause 0x3
	s_load_dwordx4 s[20:23], s[4:5], 0x30
	s_load_dwordx2 s[24:25], s[4:5], 0x40
	s_load_dword s3, s[4:5], 0x0
	s_load_dword s0, s[4:5], 0x28
	s_mul_i32 s2, s17, s7
	s_mul_hi_u32 s17, s16, s7
	s_mul_i32 s16, s16, s7
	s_add_i32 s17, s17, s2
	s_load_dword s4, s[4:5], 0x48
	s_lshl_b64 s[16:17], s[16:17], 1
	v_mov_b32_e32 v7, 0
	s_waitcnt lgkmcnt(0)
	s_add_u32 s2, s22, s16
	s_addc_u32 s22, s23, s17
	v_cmp_gt_i32_e32 vcc_lo, s3, v0
	s_lshl_b64 s[16:17], s[24:25], 1
	s_mul_i32 s19, s21, s7
	s_mul_hi_u32 s21, s20, s7
	s_add_u32 s5, s2, s16
	v_cndmask_b32_e32 v1, 0, v0, vcc_lo
	s_mul_i32 s20, s20, s7
	s_addc_u32 s7, s22, s17
	s_add_i32 s21, s21, s19
	s_lshl_b64 s[16:17], s[20:21], 1
	s_mul_i32 s20, s0, s6
	s_add_u32 s0, s12, s16
	v_lshlrev_b32_e32 v1, 1, v1
	s_addc_u32 s2, s13, s17
	s_lshl_b64 s[12:13], s[14:15], 1
	s_add_u32 s0, s0, s12
	s_addc_u32 s2, s2, s13
	v_add_co_u32 v1, s0, s0, v1
	s_ashr_i32 s12, s3, 31
	s_ashr_i32 s21, s20, 31
	v_add_co_ci_u32_e64 v2, null, s2, 0, s0
	s_lshr_b32 s0, s12, 22
	s_lshl_b64 s[12:13], s[20:21], 1
	s_add_i32 s0, s3, s0
	v_add_co_u32 v1, vcc_lo, v1, s12
	v_add_co_ci_u32_e64 v2, null, s13, v2, vcc_lo
	s_and_b32 s2, s0, 0xfffffc00
	s_mov_b32 s13, 0
	s_mov_b32 s12, exec_lo
	v_cmpx_gt_i32_e64 s2, v0
	s_cbranch_execz .LBB408_13
; %bb.10:
	v_mul_lo_u32 v3, v0, s4
	v_mov_b32_e32 v6, v2
	v_mov_b32_e32 v7, 0
	;; [unrolled: 1-line block ×4, first 2 shown]
	s_lshl_b32 s14, s4, 10
	.p2align	6
.LBB408_11:                             ; =>This Inner Loop Header: Depth=1
	v_ashrrev_i32_e32 v4, 31, v3
	v_add_nc_u32_e32 v8, 0x400, v8
	v_lshlrev_b64 v[9:10], 1, v[3:4]
	v_cmp_le_i32_e64 s0, s2, v8
	v_add_nc_u32_e32 v3, s14, v3
	s_or_b32 s13, s0, s13
	v_add_co_u32 v9, vcc_lo, s5, v9
	v_add_co_ci_u32_e64 v10, null, s7, v10, vcc_lo
	global_load_ushort v4, v[5:6], off
	global_load_ushort v9, v[9:10], off
	v_add_co_u32 v5, vcc_lo, 0x800, v5
	v_add_co_ci_u32_e64 v6, null, 0, v6, vcc_lo
	s_waitcnt vmcnt(0)
	v_mul_f16_e32 v4, v4, v9
	v_cvt_f32_f16_e32 v4, v4
	v_add_f32_e32 v7, v7, v4
	s_andn2_b32 exec_lo, exec_lo, s13
	s_cbranch_execnz .LBB408_11
; %bb.12:
	s_or_b32 exec_lo, exec_lo, s13
.LBB408_13:
	s_or_b32 exec_lo, exec_lo, s12
	v_or_b32_e32 v3, s2, v0
	s_mov_b32 s0, exec_lo
	v_cmpx_gt_i32_e64 s3, v3
	s_cbranch_execz .LBB408_15
; %bb.14:
	v_mul_lo_u32 v3, s4, v3
	s_ashr_i32 s3, s2, 31
	s_lshl_b64 s[2:3], s[2:3], 1
	v_add_co_u32 v1, vcc_lo, v1, s2
	v_add_co_ci_u32_e64 v2, null, s3, v2, vcc_lo
	v_ashrrev_i32_e32 v4, 31, v3
	v_lshlrev_b64 v[3:4], 1, v[3:4]
	v_add_co_u32 v3, vcc_lo, s5, v3
	v_add_co_ci_u32_e64 v4, null, s7, v4, vcc_lo
	global_load_ushort v1, v[1:2], off
	global_load_ushort v2, v[3:4], off
	s_waitcnt vmcnt(0)
	v_mul_f16_e32 v1, v1, v2
	v_cvt_f32_f16_e32 v1, v1
	v_add_f32_e32 v7, v7, v1
.LBB408_15:
	s_or_b32 exec_lo, exec_lo, s0
	v_and_b32_e32 v8, 31, v0
	v_cmp_gt_u32_e32 vcc_lo, 32, v0
	v_lshlrev_b32_e32 v1, 2, v8
	s_and_saveexec_b32 s0, vcc_lo
; %bb.16:
	v_mov_b32_e32 v2, 0
	ds_write_b32 v1, v2
; %bb.17:
	s_or_b32 exec_lo, exec_lo, s0
	v_mbcnt_lo_u32_b32 v6, -1, 0
	s_mov_b32 s2, exec_lo
	s_waitcnt lgkmcnt(0)
	s_barrier
	buffer_gl0_inv
	v_lshl_or_b32 v2, v6, 2, 64
	v_cmp_gt_u32_e64 s0, 24, v6
	ds_bpermute_b32 v4, v2, v7
	v_cndmask_b32_e64 v3, 0, 8, s0
	v_cmp_gt_u32_e64 s0, 28, v6
	v_add_lshl_u32 v3, v3, v6, 2
	s_waitcnt lgkmcnt(0)
	v_add_f32_e32 v5, v7, v4
	v_cndmask_b32_e64 v4, 0, 4, s0
	v_cmp_gt_u32_e64 s0, 30, v6
	ds_bpermute_b32 v7, v3, v5
	v_add_lshl_u32 v4, v4, v6, 2
	s_waitcnt lgkmcnt(0)
	v_add_f32_e32 v7, v5, v7
	v_cndmask_b32_e64 v5, 0, 2, s0
	v_cmp_ne_u32_e64 s0, 31, v6
	ds_bpermute_b32 v9, v4, v7
	v_add_lshl_u32 v5, v5, v6, 2
	v_add_co_ci_u32_e64 v6, null, 0, v6, s0
	v_lshlrev_b32_e32 v6, 2, v6
	s_waitcnt lgkmcnt(0)
	v_add_f32_e32 v7, v7, v9
	ds_bpermute_b32 v9, v5, v7
	s_waitcnt lgkmcnt(0)
	v_add_f32_e32 v7, v7, v9
	ds_bpermute_b32 v9, v6, v7
	v_cmpx_eq_u32_e32 0, v8
	s_cbranch_execz .LBB408_19
; %bb.18:
	v_lshrrev_b32_e32 v8, 3, v0
	s_waitcnt lgkmcnt(0)
	v_add_f32_e32 v7, v7, v9
	v_and_b32_e32 v8, 0x7c, v8
	ds_write_b32 v8, v7
.LBB408_19:
	s_or_b32 exec_lo, exec_lo, s2
	v_mov_b32_e32 v7, 0
	s_waitcnt lgkmcnt(0)
	s_barrier
	buffer_gl0_inv
	s_and_saveexec_b32 s0, vcc_lo
; %bb.20:
	ds_read_b32 v7, v1
; %bb.21:
	s_or_b32 exec_lo, exec_lo, s0
	s_and_saveexec_b32 s0, vcc_lo
	s_cbranch_execz .LBB408_23
; %bb.22:
	s_waitcnt lgkmcnt(0)
	ds_bpermute_b32 v1, v2, v7
	s_waitcnt lgkmcnt(0)
	v_add_f32_e32 v1, v7, v1
	ds_bpermute_b32 v2, v3, v1
	s_waitcnt lgkmcnt(0)
	v_add_f32_e32 v1, v1, v2
	ds_bpermute_b32 v2, v4, v1
	s_waitcnt lgkmcnt(0)
	v_add_f32_e32 v1, v1, v2
	ds_bpermute_b32 v2, v5, v1
	s_waitcnt lgkmcnt(0)
	v_add_f32_e32 v1, v1, v2
	ds_bpermute_b32 v2, v6, v1
	s_waitcnt lgkmcnt(0)
	v_add_f32_e32 v7, v1, v2
.LBB408_23:
	s_or_b32 exec_lo, exec_lo, s0
	s_mov_b32 s0, exec_lo
                                        ; implicit-def: $vgpr1
                                        ; implicit-def: $sgpr2_sgpr3
	v_cmpx_eq_u32_e32 0, v0
	s_cbranch_execz .LBB408_27
; %bb.24:
	v_cmp_eq_f32_e64 s3, s9, 0
	s_waitcnt lgkmcnt(0)
	v_mul_f32_e32 v0, s11, v7
	s_mul_i32 s2, s18, s6
	s_and_b32 vcc_lo, exec_lo, s3
	s_ashr_i32 s3, s2, 31
	s_cbranch_vccnz .LBB408_26
; %bb.25:
	s_lshl_b64 s[4:5], s[2:3], 1
	v_mov_b32_e32 v1, 0
	s_add_u32 s4, s1, s4
	s_addc_u32 s5, s8, s5
	global_load_ushort v1, v1, s[4:5]
	s_waitcnt vmcnt(0)
	v_fma_mix_f32 v0, s9, v1, v0 op_sel_hi:[0,1,0]
.LBB408_26:
	v_cvt_f16_f32_e32 v1, v0
	s_or_b32 s10, s10, exec_lo
.LBB408_27:
	s_or_b32 exec_lo, exec_lo, s0
.LBB408_28:
	s_and_saveexec_b32 s0, s10
	s_cbranch_execz .LBB408_30
; %bb.29:
	s_lshl_b64 s[2:3], s[2:3], 1
	v_mov_b32_e32 v0, 0
	s_add_u32 s0, s1, s2
	s_addc_u32 s1, s8, s3
	global_store_short v0, v1, s[0:1]
.LBB408_30:
	s_endpgm
	.section	.rodata,"a",@progbits
	.p2align	6, 0x0
	.amdhsa_kernel _ZL32rocblas_gemvt_warp_reduce_kernelILb0ELi1024EiDF16_PKfDF16_EviiT3_lPKT2_lT1_lS5_lS6_lS2_lPT4_lS6_li
		.amdhsa_group_segment_fixed_size 128
		.amdhsa_private_segment_fixed_size 0
		.amdhsa_kernarg_size 140
		.amdhsa_user_sgpr_count 6
		.amdhsa_user_sgpr_private_segment_buffer 1
		.amdhsa_user_sgpr_dispatch_ptr 0
		.amdhsa_user_sgpr_queue_ptr 0
		.amdhsa_user_sgpr_kernarg_segment_ptr 1
		.amdhsa_user_sgpr_dispatch_id 0
		.amdhsa_user_sgpr_flat_scratch_init 0
		.amdhsa_user_sgpr_private_segment_size 0
		.amdhsa_wavefront_size32 1
		.amdhsa_uses_dynamic_stack 0
		.amdhsa_system_sgpr_private_segment_wavefront_offset 0
		.amdhsa_system_sgpr_workgroup_id_x 1
		.amdhsa_system_sgpr_workgroup_id_y 0
		.amdhsa_system_sgpr_workgroup_id_z 1
		.amdhsa_system_sgpr_workgroup_info 0
		.amdhsa_system_vgpr_workitem_id 0
		.amdhsa_next_free_vgpr 11
		.amdhsa_next_free_sgpr 26
		.amdhsa_reserve_vcc 1
		.amdhsa_reserve_flat_scratch 0
		.amdhsa_float_round_mode_32 0
		.amdhsa_float_round_mode_16_64 0
		.amdhsa_float_denorm_mode_32 3
		.amdhsa_float_denorm_mode_16_64 3
		.amdhsa_dx10_clamp 1
		.amdhsa_ieee_mode 1
		.amdhsa_fp16_overflow 0
		.amdhsa_workgroup_processor_mode 1
		.amdhsa_memory_ordered 1
		.amdhsa_forward_progress 1
		.amdhsa_shared_vgpr_count 0
		.amdhsa_exception_fp_ieee_invalid_op 0
		.amdhsa_exception_fp_denorm_src 0
		.amdhsa_exception_fp_ieee_div_zero 0
		.amdhsa_exception_fp_ieee_overflow 0
		.amdhsa_exception_fp_ieee_underflow 0
		.amdhsa_exception_fp_ieee_inexact 0
		.amdhsa_exception_int_div_zero 0
	.end_amdhsa_kernel
	.section	.text._ZL32rocblas_gemvt_warp_reduce_kernelILb0ELi1024EiDF16_PKfDF16_EviiT3_lPKT2_lT1_lS5_lS6_lS2_lPT4_lS6_li,"axG",@progbits,_ZL32rocblas_gemvt_warp_reduce_kernelILb0ELi1024EiDF16_PKfDF16_EviiT3_lPKT2_lT1_lS5_lS6_lS2_lPT4_lS6_li,comdat
.Lfunc_end408:
	.size	_ZL32rocblas_gemvt_warp_reduce_kernelILb0ELi1024EiDF16_PKfDF16_EviiT3_lPKT2_lT1_lS5_lS6_lS2_lPT4_lS6_li, .Lfunc_end408-_ZL32rocblas_gemvt_warp_reduce_kernelILb0ELi1024EiDF16_PKfDF16_EviiT3_lPKT2_lT1_lS5_lS6_lS2_lPT4_lS6_li
                                        ; -- End function
	.set _ZL32rocblas_gemvt_warp_reduce_kernelILb0ELi1024EiDF16_PKfDF16_EviiT3_lPKT2_lT1_lS5_lS6_lS2_lPT4_lS6_li.num_vgpr, 11
	.set _ZL32rocblas_gemvt_warp_reduce_kernelILb0ELi1024EiDF16_PKfDF16_EviiT3_lPKT2_lT1_lS5_lS6_lS2_lPT4_lS6_li.num_agpr, 0
	.set _ZL32rocblas_gemvt_warp_reduce_kernelILb0ELi1024EiDF16_PKfDF16_EviiT3_lPKT2_lT1_lS5_lS6_lS2_lPT4_lS6_li.numbered_sgpr, 26
	.set _ZL32rocblas_gemvt_warp_reduce_kernelILb0ELi1024EiDF16_PKfDF16_EviiT3_lPKT2_lT1_lS5_lS6_lS2_lPT4_lS6_li.num_named_barrier, 0
	.set _ZL32rocblas_gemvt_warp_reduce_kernelILb0ELi1024EiDF16_PKfDF16_EviiT3_lPKT2_lT1_lS5_lS6_lS2_lPT4_lS6_li.private_seg_size, 0
	.set _ZL32rocblas_gemvt_warp_reduce_kernelILb0ELi1024EiDF16_PKfDF16_EviiT3_lPKT2_lT1_lS5_lS6_lS2_lPT4_lS6_li.uses_vcc, 1
	.set _ZL32rocblas_gemvt_warp_reduce_kernelILb0ELi1024EiDF16_PKfDF16_EviiT3_lPKT2_lT1_lS5_lS6_lS2_lPT4_lS6_li.uses_flat_scratch, 0
	.set _ZL32rocblas_gemvt_warp_reduce_kernelILb0ELi1024EiDF16_PKfDF16_EviiT3_lPKT2_lT1_lS5_lS6_lS2_lPT4_lS6_li.has_dyn_sized_stack, 0
	.set _ZL32rocblas_gemvt_warp_reduce_kernelILb0ELi1024EiDF16_PKfDF16_EviiT3_lPKT2_lT1_lS5_lS6_lS2_lPT4_lS6_li.has_recursion, 0
	.set _ZL32rocblas_gemvt_warp_reduce_kernelILb0ELi1024EiDF16_PKfDF16_EviiT3_lPKT2_lT1_lS5_lS6_lS2_lPT4_lS6_li.has_indirect_call, 0
	.section	.AMDGPU.csdata,"",@progbits
; Kernel info:
; codeLenInByte = 1408
; TotalNumSgprs: 28
; NumVgprs: 11
; ScratchSize: 0
; MemoryBound: 0
; FloatMode: 240
; IeeeMode: 1
; LDSByteSize: 128 bytes/workgroup (compile time only)
; SGPRBlocks: 0
; VGPRBlocks: 1
; NumSGPRsForWavesPerEU: 28
; NumVGPRsForWavesPerEU: 11
; Occupancy: 16
; WaveLimiterHint : 1
; COMPUTE_PGM_RSRC2:SCRATCH_EN: 0
; COMPUTE_PGM_RSRC2:USER_SGPR: 6
; COMPUTE_PGM_RSRC2:TRAP_HANDLER: 0
; COMPUTE_PGM_RSRC2:TGID_X_EN: 1
; COMPUTE_PGM_RSRC2:TGID_Y_EN: 0
; COMPUTE_PGM_RSRC2:TGID_Z_EN: 1
; COMPUTE_PGM_RSRC2:TIDIG_COMP_CNT: 0
	.section	.text._ZL32rocblas_gemvt_warp_reduce_kernelILb0ELi1024ElDF16_PKfDF16_EviiT3_lPKT2_lT1_lS5_lS6_lS2_lPT4_lS6_li,"axG",@progbits,_ZL32rocblas_gemvt_warp_reduce_kernelILb0ELi1024ElDF16_PKfDF16_EviiT3_lPKT2_lT1_lS5_lS6_lS2_lPT4_lS6_li,comdat
	.globl	_ZL32rocblas_gemvt_warp_reduce_kernelILb0ELi1024ElDF16_PKfDF16_EviiT3_lPKT2_lT1_lS5_lS6_lS2_lPT4_lS6_li ; -- Begin function _ZL32rocblas_gemvt_warp_reduce_kernelILb0ELi1024ElDF16_PKfDF16_EviiT3_lPKT2_lT1_lS5_lS6_lS2_lPT4_lS6_li
	.p2align	8
	.type	_ZL32rocblas_gemvt_warp_reduce_kernelILb0ELi1024ElDF16_PKfDF16_EviiT3_lPKT2_lT1_lS5_lS6_lS2_lPT4_lS6_li,@function
_ZL32rocblas_gemvt_warp_reduce_kernelILb0ELi1024ElDF16_PKfDF16_EviiT3_lPKT2_lT1_lS5_lS6_lS2_lPT4_lS6_li: ; @_ZL32rocblas_gemvt_warp_reduce_kernelILb0ELi1024ElDF16_PKfDF16_EviiT3_lPKT2_lT1_lS5_lS6_lS2_lPT4_lS6_li
; %bb.0:
	s_clause 0x1
	s_load_dwordx16 s[36:51], s[4:5], 0x8
	s_load_dwordx16 s[8:23], s[4:5], 0x48
	s_waitcnt lgkmcnt(0)
	s_mul_i32 s1, s39, s7
	s_mul_hi_u32 s2, s38, s7
	s_mul_i32 s0, s38, s7
	s_add_i32 s1, s2, s1
	s_mul_i32 s2, s15, s7
	s_lshl_b64 s[0:1], s[0:1], 2
	s_mul_hi_u32 s3, s14, s7
	s_add_u32 s0, s36, s0
	s_addc_u32 s1, s37, s1
	s_add_i32 s3, s3, s2
	s_mul_i32 s2, s14, s7
	s_mov_b32 s14, 0
	s_lshl_b64 s[2:3], s[2:3], 2
	s_add_u32 s2, s12, s2
	s_addc_u32 s3, s13, s3
	s_load_dword s15, s[0:1], 0x0
	s_load_dword s13, s[2:3], 0x0
	s_waitcnt lgkmcnt(0)
	v_cmp_eq_f32_e64 s0, s15, 0
	v_cmp_eq_f32_e64 s1, s13, 1.0
	s_and_b32 s0, s0, s1
	s_and_b32 vcc_lo, exec_lo, s0
	s_cbranch_vccnz .LBB409_30
; %bb.1:
	s_mul_i32 s1, s23, s7
	s_mul_hi_u32 s2, s22, s7
	s_mul_i32 s0, s22, s7
	s_add_i32 s1, s2, s1
	v_cmp_neq_f32_e64 s22, s15, 0
	s_lshl_b64 s[0:1], s[0:1], 1
	s_add_u32 s0, s16, s0
	s_addc_u32 s12, s17, s1
	s_lshl_b64 s[2:3], s[18:19], 1
	s_add_u32 s1, s0, s2
	v_cmp_eq_u32_e64 s0, 0, v0
	s_addc_u32 s12, s12, s3
	s_and_b32 vcc_lo, exec_lo, s22
	s_cbranch_vccnz .LBB409_5
; %bb.2:
	s_mov_b32 s16, 0
                                        ; implicit-def: $vgpr1
                                        ; implicit-def: $sgpr2_sgpr3
	s_and_saveexec_b32 s17, s0
	s_cbranch_execz .LBB409_6
; %bb.3:
	s_ashr_i32 s2, s6, 31
	v_cmp_eq_f32_e64 s0, s13, 0
	s_mul_hi_u32 s3, s20, s6
	s_mul_i32 s2, s20, s2
	s_mul_i32 s14, s21, s6
	s_add_i32 s2, s3, s2
	s_and_b32 vcc_lo, exec_lo, s0
	s_add_i32 s3, s2, s14
	s_mul_i32 s2, s20, s6
	s_cbranch_vccnz .LBB409_7
; %bb.4:
	s_lshl_b64 s[18:19], s[2:3], 1
	v_mov_b32_e32 v1, 0
	s_add_u32 s18, s1, s18
	s_addc_u32 s19, s12, s19
	global_load_ushort v1, v1, s[18:19]
	s_waitcnt vmcnt(0)
	v_fma_mixlo_f16 v1, s13, v1, 0 op_sel_hi:[0,1,0]
	s_branch .LBB409_8
.LBB409_5:
                                        ; implicit-def: $vgpr1
                                        ; implicit-def: $sgpr2_sgpr3
	s_cbranch_execnz .LBB409_9
	s_branch .LBB409_28
.LBB409_6:
	s_or_b32 exec_lo, exec_lo, s17
	s_and_b32 vcc_lo, exec_lo, s16
	s_cbranch_vccnz .LBB409_9
	s_branch .LBB409_28
.LBB409_7:
	v_mov_b32_e32 v1, 0
.LBB409_8:
	s_mov_b32 s14, exec_lo
	s_or_b32 exec_lo, exec_lo, s17
	s_and_b32 vcc_lo, exec_lo, s16
	s_cbranch_vccz .LBB409_28
.LBB409_9:
	s_load_dword s5, s[4:5], 0x0
	s_mul_i32 s0, s11, s7
	s_mul_i32 s3, s47, s7
	s_mul_hi_u32 s11, s46, s7
	s_mul_i32 s2, s46, s7
	s_add_i32 s3, s11, s3
	s_mul_hi_u32 s4, s10, s7
	s_lshl_b64 s[16:17], s[2:3], 1
	s_add_i32 s3, s4, s0
	s_add_u32 s0, s40, s16
	s_addc_u32 s2, s41, s17
	s_lshl_b64 s[16:17], s[42:43], 1
	s_mul_hi_u32 s4, s44, s6
	s_add_u32 s0, s0, s16
	s_addc_u32 s2, s2, s17
	s_ashr_i32 s16, s6, 31
	s_mul_i32 s11, s45, s6
	s_mul_i32 s17, s44, s16
	;; [unrolled: 1-line block ×3, first 2 shown]
	s_add_i32 s4, s4, s17
	s_waitcnt lgkmcnt(0)
	v_cmp_gt_i32_e32 vcc_lo, s5, v0
	s_add_i32 s19, s4, s11
	s_ashr_i32 s4, s5, 31
	s_lshl_b64 s[18:19], s[18:19], 1
	s_lshr_b32 s4, s4, 22
	v_cndmask_b32_e32 v1, 0, v0, vcc_lo
	v_mov_b32_e32 v7, 0
	s_add_i32 s4, s5, s4
	s_mov_b32 s17, 0
	s_and_b32 s4, s4, 0xfffffc00
	v_lshlrev_b32_e32 v1, 1, v1
	v_add_co_u32 v1, s0, s0, v1
	v_add_co_ci_u32_e64 v2, null, s2, 0, s0
	s_mul_i32 s2, s10, s7
	v_add_co_u32 v1, vcc_lo, v1, s18
	v_add_co_ci_u32_e64 v2, null, s19, v2, vcc_lo
	s_mov_b32 s7, exec_lo
	v_cmpx_gt_i32_e64 s4, v0
	s_cbranch_execz .LBB409_13
; %bb.10:
	v_mad_u64_u32 v[5:6], null, s8, v0, 0
	s_lshl_b64 s[18:19], s[50:51], 1
	s_lshl_b64 s[10:11], s[2:3], 1
	s_add_u32 s0, s48, s18
	s_addc_u32 s18, s49, s19
	s_add_u32 s0, s0, s10
	s_addc_u32 s10, s18, s11
	v_mov_b32_e32 v3, v6
	v_mov_b32_e32 v7, 0
	;; [unrolled: 1-line block ×3, first 2 shown]
	v_mad_u64_u32 v[3:4], null, s9, v0, v[3:4]
	v_mov_b32_e32 v6, v3
	v_mov_b32_e32 v4, v2
	;; [unrolled: 1-line block ×3, first 2 shown]
	v_lshlrev_b64 v[5:6], 1, v[5:6]
	v_add_co_u32 v5, vcc_lo, s0, v5
	v_add_co_ci_u32_e64 v6, null, s10, v6, vcc_lo
	s_lshl_b64 s[10:11], s[8:9], 11
	.p2align	6
.LBB409_11:                             ; =>This Inner Loop Header: Depth=1
	global_load_ushort v9, v[3:4], off
	global_load_ushort v10, v[5:6], off
	v_add_nc_u32_e32 v8, 0x400, v8
	v_add_co_u32 v3, vcc_lo, 0x800, v3
	v_add_co_ci_u32_e64 v4, null, 0, v4, vcc_lo
	v_add_co_u32 v5, vcc_lo, v5, s10
	v_cmp_le_i32_e64 s0, s4, v8
	v_add_co_ci_u32_e64 v6, null, s11, v6, vcc_lo
	s_or_b32 s17, s0, s17
	s_waitcnt vmcnt(0)
	v_mul_f16_e32 v9, v9, v10
	v_cvt_f32_f16_e32 v9, v9
	v_add_f32_e32 v7, v7, v9
	s_andn2_b32 exec_lo, exec_lo, s17
	s_cbranch_execnz .LBB409_11
; %bb.12:
	s_or_b32 exec_lo, exec_lo, s17
.LBB409_13:
	s_or_b32 exec_lo, exec_lo, s7
	v_or_b32_e32 v3, s4, v0
	s_mov_b32 s0, exec_lo
	v_cmpx_gt_i32_e64 s5, v3
	s_cbranch_execz .LBB409_15
; %bb.14:
	v_ashrrev_i32_e32 v5, 31, v3
	v_mul_lo_u32 v6, s9, v3
	v_mad_u64_u32 v[3:4], null, s8, v3, 0
	s_lshl_b64 s[2:3], s[2:3], 1
	v_mul_lo_u32 v5, s8, v5
	s_add_u32 s5, s48, s2
	s_addc_u32 s7, s49, s3
	s_lshl_b64 s[2:3], s[50:51], 1
	s_add_u32 s8, s5, s2
	s_addc_u32 s7, s7, s3
	s_ashr_i32 s5, s4, 31
	v_add3_u32 v4, v4, v5, v6
	s_lshl_b64 s[2:3], s[4:5], 1
	v_add_co_u32 v1, vcc_lo, v1, s2
	v_lshlrev_b64 v[3:4], 1, v[3:4]
	v_add_co_ci_u32_e64 v2, null, s3, v2, vcc_lo
	v_add_co_u32 v3, vcc_lo, s8, v3
	v_add_co_ci_u32_e64 v4, null, s7, v4, vcc_lo
	global_load_ushort v1, v[1:2], off
	global_load_ushort v2, v[3:4], off
	s_waitcnt vmcnt(0)
	v_mul_f16_e32 v1, v1, v2
	v_cvt_f32_f16_e32 v1, v1
	v_add_f32_e32 v7, v7, v1
.LBB409_15:
	s_or_b32 exec_lo, exec_lo, s0
	v_and_b32_e32 v8, 31, v0
	v_cmp_gt_u32_e32 vcc_lo, 32, v0
	v_lshlrev_b32_e32 v1, 2, v8
	s_and_saveexec_b32 s0, vcc_lo
; %bb.16:
	v_mov_b32_e32 v2, 0
	ds_write_b32 v1, v2
; %bb.17:
	s_or_b32 exec_lo, exec_lo, s0
	v_mbcnt_lo_u32_b32 v6, -1, 0
	s_mov_b32 s2, exec_lo
	s_waitcnt lgkmcnt(0)
	s_barrier
	buffer_gl0_inv
	v_lshl_or_b32 v2, v6, 2, 64
	v_cmp_gt_u32_e64 s0, 24, v6
	ds_bpermute_b32 v4, v2, v7
	v_cndmask_b32_e64 v3, 0, 8, s0
	v_cmp_gt_u32_e64 s0, 28, v6
	v_add_lshl_u32 v3, v3, v6, 2
	s_waitcnt lgkmcnt(0)
	v_add_f32_e32 v5, v7, v4
	v_cndmask_b32_e64 v4, 0, 4, s0
	v_cmp_gt_u32_e64 s0, 30, v6
	ds_bpermute_b32 v7, v3, v5
	v_add_lshl_u32 v4, v4, v6, 2
	s_waitcnt lgkmcnt(0)
	v_add_f32_e32 v7, v5, v7
	v_cndmask_b32_e64 v5, 0, 2, s0
	v_cmp_ne_u32_e64 s0, 31, v6
	ds_bpermute_b32 v9, v4, v7
	v_add_lshl_u32 v5, v5, v6, 2
	v_add_co_ci_u32_e64 v6, null, 0, v6, s0
	v_lshlrev_b32_e32 v6, 2, v6
	s_waitcnt lgkmcnt(0)
	v_add_f32_e32 v7, v7, v9
	ds_bpermute_b32 v9, v5, v7
	s_waitcnt lgkmcnt(0)
	v_add_f32_e32 v7, v7, v9
	ds_bpermute_b32 v9, v6, v7
	v_cmpx_eq_u32_e32 0, v8
	s_cbranch_execz .LBB409_19
; %bb.18:
	v_lshrrev_b32_e32 v8, 3, v0
	s_waitcnt lgkmcnt(0)
	v_add_f32_e32 v7, v7, v9
	v_and_b32_e32 v8, 0x7c, v8
	ds_write_b32 v8, v7
.LBB409_19:
	s_or_b32 exec_lo, exec_lo, s2
	v_mov_b32_e32 v7, 0
	s_waitcnt lgkmcnt(0)
	s_barrier
	buffer_gl0_inv
	s_and_saveexec_b32 s0, vcc_lo
; %bb.20:
	ds_read_b32 v7, v1
; %bb.21:
	s_or_b32 exec_lo, exec_lo, s0
	s_and_saveexec_b32 s0, vcc_lo
	s_cbranch_execz .LBB409_23
; %bb.22:
	s_waitcnt lgkmcnt(0)
	ds_bpermute_b32 v1, v2, v7
	s_waitcnt lgkmcnt(0)
	v_add_f32_e32 v1, v7, v1
	ds_bpermute_b32 v2, v3, v1
	s_waitcnt lgkmcnt(0)
	v_add_f32_e32 v1, v1, v2
	;; [unrolled: 3-line block ×5, first 2 shown]
.LBB409_23:
	s_or_b32 exec_lo, exec_lo, s0
	s_mov_b32 s0, exec_lo
                                        ; implicit-def: $vgpr1
                                        ; implicit-def: $sgpr2_sgpr3
	v_cmpx_eq_u32_e32 0, v0
	s_cbranch_execz .LBB409_27
; %bb.24:
	v_cmp_eq_f32_e64 s4, s13, 0
	s_mul_i32 s2, s20, s16
	s_mul_hi_u32 s3, s20, s6
	s_waitcnt lgkmcnt(0)
	v_mul_f32_e32 v0, s15, v7
	s_add_i32 s2, s3, s2
	s_mul_i32 s3, s21, s6
	s_and_b32 vcc_lo, exec_lo, s4
	s_add_i32 s3, s2, s3
	s_mul_i32 s2, s20, s6
	s_cbranch_vccnz .LBB409_26
; %bb.25:
	s_lshl_b64 s[4:5], s[2:3], 1
	v_mov_b32_e32 v1, 0
	s_add_u32 s4, s1, s4
	s_addc_u32 s5, s12, s5
	global_load_ushort v1, v1, s[4:5]
	s_waitcnt vmcnt(0)
	v_fma_mix_f32 v0, s13, v1, v0 op_sel_hi:[0,1,0]
.LBB409_26:
	v_cvt_f16_f32_e32 v1, v0
	s_or_b32 s14, s14, exec_lo
.LBB409_27:
	s_or_b32 exec_lo, exec_lo, s0
.LBB409_28:
	s_and_saveexec_b32 s0, s14
	s_cbranch_execz .LBB409_30
; %bb.29:
	s_lshl_b64 s[2:3], s[2:3], 1
	v_mov_b32_e32 v0, 0
	s_add_u32 s0, s1, s2
	s_addc_u32 s1, s12, s3
	global_store_short v0, v1, s[0:1]
.LBB409_30:
	s_endpgm
	.section	.rodata,"a",@progbits
	.p2align	6, 0x0
	.amdhsa_kernel _ZL32rocblas_gemvt_warp_reduce_kernelILb0ELi1024ElDF16_PKfDF16_EviiT3_lPKT2_lT1_lS5_lS6_lS2_lPT4_lS6_li
		.amdhsa_group_segment_fixed_size 128
		.amdhsa_private_segment_fixed_size 0
		.amdhsa_kernarg_size 140
		.amdhsa_user_sgpr_count 6
		.amdhsa_user_sgpr_private_segment_buffer 1
		.amdhsa_user_sgpr_dispatch_ptr 0
		.amdhsa_user_sgpr_queue_ptr 0
		.amdhsa_user_sgpr_kernarg_segment_ptr 1
		.amdhsa_user_sgpr_dispatch_id 0
		.amdhsa_user_sgpr_flat_scratch_init 0
		.amdhsa_user_sgpr_private_segment_size 0
		.amdhsa_wavefront_size32 1
		.amdhsa_uses_dynamic_stack 0
		.amdhsa_system_sgpr_private_segment_wavefront_offset 0
		.amdhsa_system_sgpr_workgroup_id_x 1
		.amdhsa_system_sgpr_workgroup_id_y 0
		.amdhsa_system_sgpr_workgroup_id_z 1
		.amdhsa_system_sgpr_workgroup_info 0
		.amdhsa_system_vgpr_workitem_id 0
		.amdhsa_next_free_vgpr 11
		.amdhsa_next_free_sgpr 52
		.amdhsa_reserve_vcc 1
		.amdhsa_reserve_flat_scratch 0
		.amdhsa_float_round_mode_32 0
		.amdhsa_float_round_mode_16_64 0
		.amdhsa_float_denorm_mode_32 3
		.amdhsa_float_denorm_mode_16_64 3
		.amdhsa_dx10_clamp 1
		.amdhsa_ieee_mode 1
		.amdhsa_fp16_overflow 0
		.amdhsa_workgroup_processor_mode 1
		.amdhsa_memory_ordered 1
		.amdhsa_forward_progress 1
		.amdhsa_shared_vgpr_count 0
		.amdhsa_exception_fp_ieee_invalid_op 0
		.amdhsa_exception_fp_denorm_src 0
		.amdhsa_exception_fp_ieee_div_zero 0
		.amdhsa_exception_fp_ieee_overflow 0
		.amdhsa_exception_fp_ieee_underflow 0
		.amdhsa_exception_fp_ieee_inexact 0
		.amdhsa_exception_int_div_zero 0
	.end_amdhsa_kernel
	.section	.text._ZL32rocblas_gemvt_warp_reduce_kernelILb0ELi1024ElDF16_PKfDF16_EviiT3_lPKT2_lT1_lS5_lS6_lS2_lPT4_lS6_li,"axG",@progbits,_ZL32rocblas_gemvt_warp_reduce_kernelILb0ELi1024ElDF16_PKfDF16_EviiT3_lPKT2_lT1_lS5_lS6_lS2_lPT4_lS6_li,comdat
.Lfunc_end409:
	.size	_ZL32rocblas_gemvt_warp_reduce_kernelILb0ELi1024ElDF16_PKfDF16_EviiT3_lPKT2_lT1_lS5_lS6_lS2_lPT4_lS6_li, .Lfunc_end409-_ZL32rocblas_gemvt_warp_reduce_kernelILb0ELi1024ElDF16_PKfDF16_EviiT3_lPKT2_lT1_lS5_lS6_lS2_lPT4_lS6_li
                                        ; -- End function
	.set _ZL32rocblas_gemvt_warp_reduce_kernelILb0ELi1024ElDF16_PKfDF16_EviiT3_lPKT2_lT1_lS5_lS6_lS2_lPT4_lS6_li.num_vgpr, 11
	.set _ZL32rocblas_gemvt_warp_reduce_kernelILb0ELi1024ElDF16_PKfDF16_EviiT3_lPKT2_lT1_lS5_lS6_lS2_lPT4_lS6_li.num_agpr, 0
	.set _ZL32rocblas_gemvt_warp_reduce_kernelILb0ELi1024ElDF16_PKfDF16_EviiT3_lPKT2_lT1_lS5_lS6_lS2_lPT4_lS6_li.numbered_sgpr, 52
	.set _ZL32rocblas_gemvt_warp_reduce_kernelILb0ELi1024ElDF16_PKfDF16_EviiT3_lPKT2_lT1_lS5_lS6_lS2_lPT4_lS6_li.num_named_barrier, 0
	.set _ZL32rocblas_gemvt_warp_reduce_kernelILb0ELi1024ElDF16_PKfDF16_EviiT3_lPKT2_lT1_lS5_lS6_lS2_lPT4_lS6_li.private_seg_size, 0
	.set _ZL32rocblas_gemvt_warp_reduce_kernelILb0ELi1024ElDF16_PKfDF16_EviiT3_lPKT2_lT1_lS5_lS6_lS2_lPT4_lS6_li.uses_vcc, 1
	.set _ZL32rocblas_gemvt_warp_reduce_kernelILb0ELi1024ElDF16_PKfDF16_EviiT3_lPKT2_lT1_lS5_lS6_lS2_lPT4_lS6_li.uses_flat_scratch, 0
	.set _ZL32rocblas_gemvt_warp_reduce_kernelILb0ELi1024ElDF16_PKfDF16_EviiT3_lPKT2_lT1_lS5_lS6_lS2_lPT4_lS6_li.has_dyn_sized_stack, 0
	.set _ZL32rocblas_gemvt_warp_reduce_kernelILb0ELi1024ElDF16_PKfDF16_EviiT3_lPKT2_lT1_lS5_lS6_lS2_lPT4_lS6_li.has_recursion, 0
	.set _ZL32rocblas_gemvt_warp_reduce_kernelILb0ELi1024ElDF16_PKfDF16_EviiT3_lPKT2_lT1_lS5_lS6_lS2_lPT4_lS6_li.has_indirect_call, 0
	.section	.AMDGPU.csdata,"",@progbits
; Kernel info:
; codeLenInByte = 1456
; TotalNumSgprs: 54
; NumVgprs: 11
; ScratchSize: 0
; MemoryBound: 0
; FloatMode: 240
; IeeeMode: 1
; LDSByteSize: 128 bytes/workgroup (compile time only)
; SGPRBlocks: 0
; VGPRBlocks: 1
; NumSGPRsForWavesPerEU: 54
; NumVGPRsForWavesPerEU: 11
; Occupancy: 16
; WaveLimiterHint : 0
; COMPUTE_PGM_RSRC2:SCRATCH_EN: 0
; COMPUTE_PGM_RSRC2:USER_SGPR: 6
; COMPUTE_PGM_RSRC2:TRAP_HANDLER: 0
; COMPUTE_PGM_RSRC2:TGID_X_EN: 1
; COMPUTE_PGM_RSRC2:TGID_Y_EN: 0
; COMPUTE_PGM_RSRC2:TGID_Z_EN: 1
; COMPUTE_PGM_RSRC2:TIDIG_COMP_CNT: 0
	.section	.text._ZL32rocblas_gemvt_warp_reduce_kernelILb0ELi1024EiDF16_fDF16_EviiT3_lPKT2_lT1_lS3_lS4_lS0_lPT4_lS4_li,"axG",@progbits,_ZL32rocblas_gemvt_warp_reduce_kernelILb0ELi1024EiDF16_fDF16_EviiT3_lPKT2_lT1_lS3_lS4_lS0_lPT4_lS4_li,comdat
	.globl	_ZL32rocblas_gemvt_warp_reduce_kernelILb0ELi1024EiDF16_fDF16_EviiT3_lPKT2_lT1_lS3_lS4_lS0_lPT4_lS4_li ; -- Begin function _ZL32rocblas_gemvt_warp_reduce_kernelILb0ELi1024EiDF16_fDF16_EviiT3_lPKT2_lT1_lS3_lS4_lS0_lPT4_lS4_li
	.p2align	8
	.type	_ZL32rocblas_gemvt_warp_reduce_kernelILb0ELi1024EiDF16_fDF16_EviiT3_lPKT2_lT1_lS3_lS4_lS0_lPT4_lS4_li,@function
_ZL32rocblas_gemvt_warp_reduce_kernelILb0ELi1024EiDF16_fDF16_EviiT3_lPKT2_lT1_lS3_lS4_lS0_lPT4_lS4_li: ; @_ZL32rocblas_gemvt_warp_reduce_kernelILb0ELi1024EiDF16_fDF16_EviiT3_lPKT2_lT1_lS3_lS4_lS0_lPT4_lS4_li
; %bb.0:
	s_clause 0x1
	s_load_dword s12, s[4:5], 0x8
	s_load_dword s10, s[4:5], 0x58
	s_mov_b32 s11, 0
	s_waitcnt lgkmcnt(0)
	v_cmp_eq_f32_e64 s0, s12, 0
	v_cmp_eq_f32_e64 s1, s10, 1.0
	s_and_b32 s0, s0, s1
	s_and_b32 vcc_lo, exec_lo, s0
	s_cbranch_vccnz .LBB410_30
; %bb.1:
	s_clause 0x2
	s_load_dwordx2 s[8:9], s[4:5], 0x80
	s_load_dwordx4 s[0:3], s[4:5], 0x68
	s_load_dword s13, s[4:5], 0x78
	s_waitcnt lgkmcnt(0)
	s_mul_i32 s9, s9, s7
	s_mul_hi_u32 s14, s8, s7
	s_mul_i32 s8, s8, s7
	s_add_i32 s9, s14, s9
	v_cmp_neq_f32_e64 s14, s12, 0
	s_lshl_b64 s[8:9], s[8:9], 1
	s_add_u32 s8, s0, s8
	s_addc_u32 s9, s1, s9
	s_lshl_b64 s[0:1], s[2:3], 1
	s_add_u32 s8, s8, s0
	v_cmp_eq_u32_e64 s0, 0, v0
	s_addc_u32 s9, s9, s1
	s_and_b32 vcc_lo, exec_lo, s14
	s_cbranch_vccnz .LBB410_5
; %bb.2:
	s_mov_b32 s1, 0
                                        ; implicit-def: $vgpr1
                                        ; implicit-def: $sgpr2_sgpr3
	s_and_saveexec_b32 s14, s0
	s_cbranch_execz .LBB410_6
; %bb.3:
	v_cmp_eq_f32_e64 s0, s10, 0
	s_mul_i32 s2, s13, s6
	s_ashr_i32 s3, s2, 31
	s_and_b32 vcc_lo, exec_lo, s0
	s_cbranch_vccnz .LBB410_7
; %bb.4:
	s_lshl_b64 s[16:17], s[2:3], 1
	v_mov_b32_e32 v1, 0
	s_add_u32 s16, s8, s16
	s_addc_u32 s17, s9, s17
	global_load_ushort v1, v1, s[16:17]
	s_waitcnt vmcnt(0)
	v_fma_mixlo_f16 v1, s10, v1, 0 op_sel_hi:[0,1,0]
	s_branch .LBB410_8
.LBB410_5:
                                        ; implicit-def: $vgpr1
                                        ; implicit-def: $sgpr2_sgpr3
	s_cbranch_execnz .LBB410_9
	s_branch .LBB410_28
.LBB410_6:
	s_or_b32 exec_lo, exec_lo, s14
	s_and_b32 vcc_lo, exec_lo, s1
	s_cbranch_vccnz .LBB410_9
	s_branch .LBB410_28
.LBB410_7:
	v_mov_b32_e32 v1, 0
.LBB410_8:
	s_mov_b32 s11, exec_lo
	s_or_b32 exec_lo, exec_lo, s14
	s_and_b32 vcc_lo, exec_lo, s1
	s_cbranch_vccz .LBB410_28
.LBB410_9:
	s_clause 0x6
	s_load_dwordx2 s[20:21], s[4:5], 0x50
	s_load_dwordx4 s[16:19], s[4:5], 0x30
	s_load_dwordx2 s[22:23], s[4:5], 0x40
	s_load_dword s14, s[4:5], 0x0
	s_load_dwordx4 s[0:3], s[4:5], 0x18
	s_load_dword s15, s[4:5], 0x28
	s_load_dword s4, s[4:5], 0x48
	v_mov_b32_e32 v7, 0
	s_waitcnt lgkmcnt(0)
	s_mul_i32 s5, s21, s7
	s_mul_hi_u32 s21, s20, s7
	s_mul_i32 s20, s20, s7
	s_add_i32 s21, s21, s5
	v_cmp_gt_i32_e32 vcc_lo, s14, v0
	s_lshl_b64 s[20:21], s[20:21], 1
	s_mul_i32 s17, s17, s7
	s_add_u32 s5, s18, s20
	s_addc_u32 s20, s19, s21
	s_lshl_b64 s[18:19], s[22:23], 1
	s_mul_hi_u32 s24, s16, s7
	s_add_u32 s5, s5, s18
	v_cndmask_b32_e32 v1, 0, v0, vcc_lo
	s_mul_i32 s16, s16, s7
	s_addc_u32 s7, s20, s19
	s_add_i32 s17, s24, s17
	s_mul_i32 s18, s15, s6
	s_lshl_b64 s[16:17], s[16:17], 1
	v_lshlrev_b32_e32 v1, 1, v1
	s_add_u32 s15, s0, s16
	s_addc_u32 s16, s1, s17
	s_lshl_b64 s[0:1], s[2:3], 1
	s_mov_b32 s3, 0
	s_add_u32 s0, s15, s0
	s_addc_u32 s1, s16, s1
	v_add_co_u32 v1, s0, s0, v1
	s_ashr_i32 s19, s18, 31
	v_add_co_ci_u32_e64 v2, null, s1, 0, s0
	s_lshl_b64 s[0:1], s[18:19], 1
	s_ashr_i32 s2, s14, 31
	v_add_co_u32 v1, vcc_lo, v1, s0
	s_lshr_b32 s2, s2, 22
	v_add_co_ci_u32_e64 v2, null, s1, v2, vcc_lo
	s_add_i32 s2, s14, s2
	s_mov_b32 s1, exec_lo
	s_and_b32 s2, s2, 0xfffffc00
	v_cmpx_gt_i32_e64 s2, v0
	s_cbranch_execz .LBB410_13
; %bb.10:
	v_mul_lo_u32 v3, v0, s4
	v_mov_b32_e32 v6, v2
	v_mov_b32_e32 v7, 0
	;; [unrolled: 1-line block ×4, first 2 shown]
	s_lshl_b32 s15, s4, 10
	.p2align	6
.LBB410_11:                             ; =>This Inner Loop Header: Depth=1
	v_ashrrev_i32_e32 v4, 31, v3
	v_add_nc_u32_e32 v8, 0x400, v8
	v_lshlrev_b64 v[9:10], 1, v[3:4]
	v_cmp_le_i32_e64 s0, s2, v8
	v_add_nc_u32_e32 v3, s15, v3
	s_or_b32 s3, s0, s3
	v_add_co_u32 v9, vcc_lo, s5, v9
	v_add_co_ci_u32_e64 v10, null, s7, v10, vcc_lo
	global_load_ushort v4, v[5:6], off
	global_load_ushort v9, v[9:10], off
	v_add_co_u32 v5, vcc_lo, 0x800, v5
	v_add_co_ci_u32_e64 v6, null, 0, v6, vcc_lo
	s_waitcnt vmcnt(0)
	v_mul_f16_e32 v4, v4, v9
	v_cvt_f32_f16_e32 v4, v4
	v_add_f32_e32 v7, v7, v4
	s_andn2_b32 exec_lo, exec_lo, s3
	s_cbranch_execnz .LBB410_11
; %bb.12:
	s_or_b32 exec_lo, exec_lo, s3
.LBB410_13:
	s_or_b32 exec_lo, exec_lo, s1
	v_or_b32_e32 v3, s2, v0
	s_mov_b32 s0, exec_lo
	v_cmpx_gt_i32_e64 s14, v3
	s_cbranch_execz .LBB410_15
; %bb.14:
	v_mul_lo_u32 v3, s4, v3
	s_ashr_i32 s3, s2, 31
	s_lshl_b64 s[2:3], s[2:3], 1
	v_add_co_u32 v1, vcc_lo, v1, s2
	v_add_co_ci_u32_e64 v2, null, s3, v2, vcc_lo
	v_ashrrev_i32_e32 v4, 31, v3
	v_lshlrev_b64 v[3:4], 1, v[3:4]
	v_add_co_u32 v3, vcc_lo, s5, v3
	v_add_co_ci_u32_e64 v4, null, s7, v4, vcc_lo
	global_load_ushort v1, v[1:2], off
	global_load_ushort v2, v[3:4], off
	s_waitcnt vmcnt(0)
	v_mul_f16_e32 v1, v1, v2
	v_cvt_f32_f16_e32 v1, v1
	v_add_f32_e32 v7, v7, v1
.LBB410_15:
	s_or_b32 exec_lo, exec_lo, s0
	v_and_b32_e32 v8, 31, v0
	v_cmp_gt_u32_e32 vcc_lo, 32, v0
	v_lshlrev_b32_e32 v1, 2, v8
	s_and_saveexec_b32 s0, vcc_lo
; %bb.16:
	v_mov_b32_e32 v2, 0
	ds_write_b32 v1, v2
; %bb.17:
	s_or_b32 exec_lo, exec_lo, s0
	v_mbcnt_lo_u32_b32 v6, -1, 0
	s_mov_b32 s1, exec_lo
	s_waitcnt lgkmcnt(0)
	s_barrier
	buffer_gl0_inv
	v_lshl_or_b32 v2, v6, 2, 64
	v_cmp_gt_u32_e64 s0, 24, v6
	ds_bpermute_b32 v4, v2, v7
	v_cndmask_b32_e64 v3, 0, 8, s0
	v_cmp_gt_u32_e64 s0, 28, v6
	v_add_lshl_u32 v3, v3, v6, 2
	s_waitcnt lgkmcnt(0)
	v_add_f32_e32 v5, v7, v4
	v_cndmask_b32_e64 v4, 0, 4, s0
	v_cmp_gt_u32_e64 s0, 30, v6
	ds_bpermute_b32 v7, v3, v5
	v_add_lshl_u32 v4, v4, v6, 2
	s_waitcnt lgkmcnt(0)
	v_add_f32_e32 v7, v5, v7
	v_cndmask_b32_e64 v5, 0, 2, s0
	v_cmp_ne_u32_e64 s0, 31, v6
	ds_bpermute_b32 v9, v4, v7
	v_add_lshl_u32 v5, v5, v6, 2
	v_add_co_ci_u32_e64 v6, null, 0, v6, s0
	v_lshlrev_b32_e32 v6, 2, v6
	s_waitcnt lgkmcnt(0)
	v_add_f32_e32 v7, v7, v9
	ds_bpermute_b32 v9, v5, v7
	s_waitcnt lgkmcnt(0)
	v_add_f32_e32 v7, v7, v9
	ds_bpermute_b32 v9, v6, v7
	v_cmpx_eq_u32_e32 0, v8
	s_cbranch_execz .LBB410_19
; %bb.18:
	v_lshrrev_b32_e32 v8, 3, v0
	s_waitcnt lgkmcnt(0)
	v_add_f32_e32 v7, v7, v9
	v_and_b32_e32 v8, 0x7c, v8
	ds_write_b32 v8, v7
.LBB410_19:
	s_or_b32 exec_lo, exec_lo, s1
	v_mov_b32_e32 v7, 0
	s_waitcnt lgkmcnt(0)
	s_barrier
	buffer_gl0_inv
	s_and_saveexec_b32 s0, vcc_lo
; %bb.20:
	ds_read_b32 v7, v1
; %bb.21:
	s_or_b32 exec_lo, exec_lo, s0
	s_and_saveexec_b32 s0, vcc_lo
	s_cbranch_execz .LBB410_23
; %bb.22:
	s_waitcnt lgkmcnt(0)
	ds_bpermute_b32 v1, v2, v7
	s_waitcnt lgkmcnt(0)
	v_add_f32_e32 v1, v7, v1
	ds_bpermute_b32 v2, v3, v1
	s_waitcnt lgkmcnt(0)
	v_add_f32_e32 v1, v1, v2
	;; [unrolled: 3-line block ×5, first 2 shown]
.LBB410_23:
	s_or_b32 exec_lo, exec_lo, s0
	s_mov_b32 s0, exec_lo
                                        ; implicit-def: $vgpr1
                                        ; implicit-def: $sgpr2_sgpr3
	v_cmpx_eq_u32_e32 0, v0
	s_cbranch_execz .LBB410_27
; %bb.24:
	v_cmp_eq_f32_e64 s1, s10, 0
	s_waitcnt lgkmcnt(0)
	v_mul_f32_e32 v0, s12, v7
	s_mul_i32 s2, s13, s6
	s_ashr_i32 s3, s2, 31
	s_and_b32 vcc_lo, exec_lo, s1
	s_cbranch_vccnz .LBB410_26
; %bb.25:
	s_lshl_b64 s[4:5], s[2:3], 1
	v_mov_b32_e32 v1, 0
	s_add_u32 s4, s8, s4
	s_addc_u32 s5, s9, s5
	global_load_ushort v1, v1, s[4:5]
	s_waitcnt vmcnt(0)
	v_fma_mix_f32 v0, s10, v1, v0 op_sel_hi:[0,1,0]
.LBB410_26:
	v_cvt_f16_f32_e32 v1, v0
	s_or_b32 s11, s11, exec_lo
.LBB410_27:
	s_or_b32 exec_lo, exec_lo, s0
.LBB410_28:
	s_and_saveexec_b32 s0, s11
	s_cbranch_execz .LBB410_30
; %bb.29:
	s_lshl_b64 s[0:1], s[2:3], 1
	v_mov_b32_e32 v0, 0
	s_add_u32 s0, s8, s0
	s_addc_u32 s1, s9, s1
	global_store_short v0, v1, s[0:1]
.LBB410_30:
	s_endpgm
	.section	.rodata,"a",@progbits
	.p2align	6, 0x0
	.amdhsa_kernel _ZL32rocblas_gemvt_warp_reduce_kernelILb0ELi1024EiDF16_fDF16_EviiT3_lPKT2_lT1_lS3_lS4_lS0_lPT4_lS4_li
		.amdhsa_group_segment_fixed_size 128
		.amdhsa_private_segment_fixed_size 0
		.amdhsa_kernarg_size 140
		.amdhsa_user_sgpr_count 6
		.amdhsa_user_sgpr_private_segment_buffer 1
		.amdhsa_user_sgpr_dispatch_ptr 0
		.amdhsa_user_sgpr_queue_ptr 0
		.amdhsa_user_sgpr_kernarg_segment_ptr 1
		.amdhsa_user_sgpr_dispatch_id 0
		.amdhsa_user_sgpr_flat_scratch_init 0
		.amdhsa_user_sgpr_private_segment_size 0
		.amdhsa_wavefront_size32 1
		.amdhsa_uses_dynamic_stack 0
		.amdhsa_system_sgpr_private_segment_wavefront_offset 0
		.amdhsa_system_sgpr_workgroup_id_x 1
		.amdhsa_system_sgpr_workgroup_id_y 0
		.amdhsa_system_sgpr_workgroup_id_z 1
		.amdhsa_system_sgpr_workgroup_info 0
		.amdhsa_system_vgpr_workitem_id 0
		.amdhsa_next_free_vgpr 11
		.amdhsa_next_free_sgpr 25
		.amdhsa_reserve_vcc 1
		.amdhsa_reserve_flat_scratch 0
		.amdhsa_float_round_mode_32 0
		.amdhsa_float_round_mode_16_64 0
		.amdhsa_float_denorm_mode_32 3
		.amdhsa_float_denorm_mode_16_64 3
		.amdhsa_dx10_clamp 1
		.amdhsa_ieee_mode 1
		.amdhsa_fp16_overflow 0
		.amdhsa_workgroup_processor_mode 1
		.amdhsa_memory_ordered 1
		.amdhsa_forward_progress 1
		.amdhsa_shared_vgpr_count 0
		.amdhsa_exception_fp_ieee_invalid_op 0
		.amdhsa_exception_fp_denorm_src 0
		.amdhsa_exception_fp_ieee_div_zero 0
		.amdhsa_exception_fp_ieee_overflow 0
		.amdhsa_exception_fp_ieee_underflow 0
		.amdhsa_exception_fp_ieee_inexact 0
		.amdhsa_exception_int_div_zero 0
	.end_amdhsa_kernel
	.section	.text._ZL32rocblas_gemvt_warp_reduce_kernelILb0ELi1024EiDF16_fDF16_EviiT3_lPKT2_lT1_lS3_lS4_lS0_lPT4_lS4_li,"axG",@progbits,_ZL32rocblas_gemvt_warp_reduce_kernelILb0ELi1024EiDF16_fDF16_EviiT3_lPKT2_lT1_lS3_lS4_lS0_lPT4_lS4_li,comdat
.Lfunc_end410:
	.size	_ZL32rocblas_gemvt_warp_reduce_kernelILb0ELi1024EiDF16_fDF16_EviiT3_lPKT2_lT1_lS3_lS4_lS0_lPT4_lS4_li, .Lfunc_end410-_ZL32rocblas_gemvt_warp_reduce_kernelILb0ELi1024EiDF16_fDF16_EviiT3_lPKT2_lT1_lS3_lS4_lS0_lPT4_lS4_li
                                        ; -- End function
	.set _ZL32rocblas_gemvt_warp_reduce_kernelILb0ELi1024EiDF16_fDF16_EviiT3_lPKT2_lT1_lS3_lS4_lS0_lPT4_lS4_li.num_vgpr, 11
	.set _ZL32rocblas_gemvt_warp_reduce_kernelILb0ELi1024EiDF16_fDF16_EviiT3_lPKT2_lT1_lS3_lS4_lS0_lPT4_lS4_li.num_agpr, 0
	.set _ZL32rocblas_gemvt_warp_reduce_kernelILb0ELi1024EiDF16_fDF16_EviiT3_lPKT2_lT1_lS3_lS4_lS0_lPT4_lS4_li.numbered_sgpr, 25
	.set _ZL32rocblas_gemvt_warp_reduce_kernelILb0ELi1024EiDF16_fDF16_EviiT3_lPKT2_lT1_lS3_lS4_lS0_lPT4_lS4_li.num_named_barrier, 0
	.set _ZL32rocblas_gemvt_warp_reduce_kernelILb0ELi1024EiDF16_fDF16_EviiT3_lPKT2_lT1_lS3_lS4_lS0_lPT4_lS4_li.private_seg_size, 0
	.set _ZL32rocblas_gemvt_warp_reduce_kernelILb0ELi1024EiDF16_fDF16_EviiT3_lPKT2_lT1_lS3_lS4_lS0_lPT4_lS4_li.uses_vcc, 1
	.set _ZL32rocblas_gemvt_warp_reduce_kernelILb0ELi1024EiDF16_fDF16_EviiT3_lPKT2_lT1_lS3_lS4_lS0_lPT4_lS4_li.uses_flat_scratch, 0
	.set _ZL32rocblas_gemvt_warp_reduce_kernelILb0ELi1024EiDF16_fDF16_EviiT3_lPKT2_lT1_lS3_lS4_lS0_lPT4_lS4_li.has_dyn_sized_stack, 0
	.set _ZL32rocblas_gemvt_warp_reduce_kernelILb0ELi1024EiDF16_fDF16_EviiT3_lPKT2_lT1_lS3_lS4_lS0_lPT4_lS4_li.has_recursion, 0
	.set _ZL32rocblas_gemvt_warp_reduce_kernelILb0ELi1024EiDF16_fDF16_EviiT3_lPKT2_lT1_lS3_lS4_lS0_lPT4_lS4_li.has_indirect_call, 0
	.section	.AMDGPU.csdata,"",@progbits
; Kernel info:
; codeLenInByte = 1344
; TotalNumSgprs: 27
; NumVgprs: 11
; ScratchSize: 0
; MemoryBound: 0
; FloatMode: 240
; IeeeMode: 1
; LDSByteSize: 128 bytes/workgroup (compile time only)
; SGPRBlocks: 0
; VGPRBlocks: 1
; NumSGPRsForWavesPerEU: 27
; NumVGPRsForWavesPerEU: 11
; Occupancy: 16
; WaveLimiterHint : 1
; COMPUTE_PGM_RSRC2:SCRATCH_EN: 0
; COMPUTE_PGM_RSRC2:USER_SGPR: 6
; COMPUTE_PGM_RSRC2:TRAP_HANDLER: 0
; COMPUTE_PGM_RSRC2:TGID_X_EN: 1
; COMPUTE_PGM_RSRC2:TGID_Y_EN: 0
; COMPUTE_PGM_RSRC2:TGID_Z_EN: 1
; COMPUTE_PGM_RSRC2:TIDIG_COMP_CNT: 0
	.section	.text._ZL32rocblas_gemvt_warp_reduce_kernelILb0ELi1024ElDF16_fDF16_EviiT3_lPKT2_lT1_lS3_lS4_lS0_lPT4_lS4_li,"axG",@progbits,_ZL32rocblas_gemvt_warp_reduce_kernelILb0ELi1024ElDF16_fDF16_EviiT3_lPKT2_lT1_lS3_lS4_lS0_lPT4_lS4_li,comdat
	.globl	_ZL32rocblas_gemvt_warp_reduce_kernelILb0ELi1024ElDF16_fDF16_EviiT3_lPKT2_lT1_lS3_lS4_lS0_lPT4_lS4_li ; -- Begin function _ZL32rocblas_gemvt_warp_reduce_kernelILb0ELi1024ElDF16_fDF16_EviiT3_lPKT2_lT1_lS3_lS4_lS0_lPT4_lS4_li
	.p2align	8
	.type	_ZL32rocblas_gemvt_warp_reduce_kernelILb0ELi1024ElDF16_fDF16_EviiT3_lPKT2_lT1_lS3_lS4_lS0_lPT4_lS4_li,@function
_ZL32rocblas_gemvt_warp_reduce_kernelILb0ELi1024ElDF16_fDF16_EviiT3_lPKT2_lT1_lS3_lS4_lS0_lPT4_lS4_li: ; @_ZL32rocblas_gemvt_warp_reduce_kernelILb0ELi1024ElDF16_fDF16_EviiT3_lPKT2_lT1_lS3_lS4_lS0_lPT4_lS4_li
; %bb.0:
	s_clause 0x1
	s_load_dword s30, s[4:5], 0x8
	s_load_dword s28, s[4:5], 0x58
	s_mov_b32 s29, 0
	s_waitcnt lgkmcnt(0)
	v_cmp_eq_f32_e64 s0, s30, 0
	v_cmp_eq_f32_e64 s1, s28, 1.0
	s_and_b32 s0, s0, s1
	s_and_b32 vcc_lo, exec_lo, s0
	s_cbranch_vccnz .LBB411_30
; %bb.1:
	s_load_dwordx8 s[20:27], s[4:5], 0x68
	v_cmp_neq_f32_e64 s8, s30, 0
	s_waitcnt lgkmcnt(0)
	s_mul_i32 s1, s27, s7
	s_mul_hi_u32 s2, s26, s7
	s_mul_i32 s0, s26, s7
	s_add_i32 s1, s2, s1
	s_lshl_b64 s[0:1], s[0:1], 1
	s_add_u32 s0, s20, s0
	s_addc_u32 s9, s21, s1
	s_lshl_b64 s[2:3], s[22:23], 1
	s_add_u32 s1, s0, s2
	v_cmp_eq_u32_e64 s0, 0, v0
	s_addc_u32 s26, s9, s3
	s_and_b32 vcc_lo, exec_lo, s8
	s_cbranch_vccnz .LBB411_5
; %bb.2:
	s_mov_b32 s8, 0
                                        ; implicit-def: $vgpr1
                                        ; implicit-def: $sgpr2_sgpr3
	s_and_saveexec_b32 s9, s0
	s_cbranch_execz .LBB411_6
; %bb.3:
	s_ashr_i32 s2, s6, 31
	v_cmp_eq_f32_e64 s0, s28, 0
	s_mul_hi_u32 s3, s24, s6
	s_mul_i32 s2, s24, s2
	s_mul_i32 s10, s25, s6
	s_add_i32 s2, s3, s2
	s_and_b32 vcc_lo, exec_lo, s0
	s_add_i32 s3, s2, s10
	s_mul_i32 s2, s24, s6
	s_cbranch_vccnz .LBB411_7
; %bb.4:
	s_lshl_b64 s[10:11], s[2:3], 1
	v_mov_b32_e32 v1, 0
	s_add_u32 s10, s1, s10
	s_addc_u32 s11, s26, s11
	global_load_ushort v1, v1, s[10:11]
	s_waitcnt vmcnt(0)
	v_fma_mixlo_f16 v1, s28, v1, 0 op_sel_hi:[0,1,0]
	s_branch .LBB411_8
.LBB411_5:
                                        ; implicit-def: $vgpr1
                                        ; implicit-def: $sgpr2_sgpr3
	s_cbranch_execnz .LBB411_9
	s_branch .LBB411_28
.LBB411_6:
	s_or_b32 exec_lo, exec_lo, s9
	s_and_b32 vcc_lo, exec_lo, s8
	s_cbranch_vccnz .LBB411_9
	s_branch .LBB411_28
.LBB411_7:
	v_mov_b32_e32 v1, 0
.LBB411_8:
	s_mov_b32 s29, exec_lo
	s_or_b32 exec_lo, exec_lo, s9
	s_and_b32 vcc_lo, exec_lo, s8
	s_cbranch_vccz .LBB411_28
.LBB411_9:
	s_clause 0x1
	s_load_dwordx16 s[8:23], s[4:5], 0x18
	s_load_dword s5, s[4:5], 0x0
	v_mov_b32_e32 v7, 0
	s_waitcnt lgkmcnt(0)
	s_mul_i32 s3, s15, s7
	v_cmp_gt_i32_e32 vcc_lo, s5, v0
	s_mul_hi_u32 s15, s14, s7
	s_mul_i32 s2, s14, s7
	s_add_i32 s3, s15, s3
	s_mul_i32 s0, s23, s7
	v_cndmask_b32_e32 v1, 0, v0, vcc_lo
	s_mul_hi_u32 s4, s22, s7
	s_lshl_b64 s[34:35], s[2:3], 1
	s_add_i32 s3, s4, s0
	s_add_u32 s0, s8, s34
	v_lshlrev_b32_e32 v1, 1, v1
	s_addc_u32 s2, s9, s35
	s_lshl_b64 s[8:9], s[10:11], 1
	s_mul_hi_u32 s23, s12, s6
	s_add_u32 s0, s0, s8
	s_addc_u32 s2, s2, s9
	s_ashr_i32 s10, s6, 31
	v_add_co_u32 v1, s0, s0, v1
	v_add_co_ci_u32_e64 v2, null, s2, 0, s0
	s_mul_i32 s0, s12, s10
	s_mul_i32 s13, s13, s6
	s_add_i32 s0, s23, s0
	s_mul_i32 s14, s12, s6
	s_add_i32 s15, s0, s13
	s_ashr_i32 s4, s5, 31
	s_lshl_b64 s[8:9], s[14:15], 1
	s_lshr_b32 s2, s4, 22
	v_add_co_u32 v1, vcc_lo, v1, s8
	v_add_co_ci_u32_e64 v2, null, s9, v2, vcc_lo
	s_add_i32 s2, s5, s2
	s_mov_b32 s11, 0
	s_and_b32 s4, s2, 0xfffffc00
	s_mul_i32 s2, s22, s7
	s_mov_b32 s7, exec_lo
	v_cmpx_gt_i32_e64 s4, v0
	s_cbranch_execz .LBB411_13
; %bb.10:
	v_mad_u64_u32 v[5:6], null, s20, v0, 0
	s_lshl_b64 s[12:13], s[18:19], 1
	s_lshl_b64 s[8:9], s[2:3], 1
	s_add_u32 s0, s16, s12
	s_addc_u32 s12, s17, s13
	s_add_u32 s0, s0, s8
	s_addc_u32 s8, s12, s9
	v_mov_b32_e32 v3, v6
	v_mov_b32_e32 v7, 0
	;; [unrolled: 1-line block ×3, first 2 shown]
	v_mad_u64_u32 v[3:4], null, s21, v0, v[3:4]
	v_mov_b32_e32 v6, v3
	v_mov_b32_e32 v4, v2
	v_mov_b32_e32 v3, v1
	v_lshlrev_b64 v[5:6], 1, v[5:6]
	v_add_co_u32 v5, vcc_lo, s0, v5
	v_add_co_ci_u32_e64 v6, null, s8, v6, vcc_lo
	s_lshl_b64 s[8:9], s[20:21], 11
	.p2align	6
.LBB411_11:                             ; =>This Inner Loop Header: Depth=1
	global_load_ushort v9, v[3:4], off
	global_load_ushort v10, v[5:6], off
	v_add_nc_u32_e32 v8, 0x400, v8
	v_add_co_u32 v3, vcc_lo, 0x800, v3
	v_add_co_ci_u32_e64 v4, null, 0, v4, vcc_lo
	v_add_co_u32 v5, vcc_lo, v5, s8
	v_cmp_le_i32_e64 s0, s4, v8
	v_add_co_ci_u32_e64 v6, null, s9, v6, vcc_lo
	s_or_b32 s11, s0, s11
	s_waitcnt vmcnt(0)
	v_mul_f16_e32 v9, v9, v10
	v_cvt_f32_f16_e32 v9, v9
	v_add_f32_e32 v7, v7, v9
	s_andn2_b32 exec_lo, exec_lo, s11
	s_cbranch_execnz .LBB411_11
; %bb.12:
	s_or_b32 exec_lo, exec_lo, s11
.LBB411_13:
	s_or_b32 exec_lo, exec_lo, s7
	v_or_b32_e32 v3, s4, v0
	s_mov_b32 s0, exec_lo
	v_cmpx_gt_i32_e64 s5, v3
	s_cbranch_execz .LBB411_15
; %bb.14:
	v_ashrrev_i32_e32 v5, 31, v3
	v_mul_lo_u32 v6, s21, v3
	v_mad_u64_u32 v[3:4], null, s20, v3, 0
	s_lshl_b64 s[2:3], s[2:3], 1
	v_mul_lo_u32 v5, s20, v5
	s_add_u32 s5, s16, s2
	s_addc_u32 s7, s17, s3
	s_lshl_b64 s[2:3], s[18:19], 1
	s_add_u32 s8, s5, s2
	s_addc_u32 s7, s7, s3
	s_ashr_i32 s5, s4, 31
	v_add3_u32 v4, v4, v5, v6
	s_lshl_b64 s[2:3], s[4:5], 1
	v_add_co_u32 v1, vcc_lo, v1, s2
	v_lshlrev_b64 v[3:4], 1, v[3:4]
	v_add_co_ci_u32_e64 v2, null, s3, v2, vcc_lo
	v_add_co_u32 v3, vcc_lo, s8, v3
	v_add_co_ci_u32_e64 v4, null, s7, v4, vcc_lo
	global_load_ushort v1, v[1:2], off
	global_load_ushort v2, v[3:4], off
	s_waitcnt vmcnt(0)
	v_mul_f16_e32 v1, v1, v2
	v_cvt_f32_f16_e32 v1, v1
	v_add_f32_e32 v7, v7, v1
.LBB411_15:
	s_or_b32 exec_lo, exec_lo, s0
	v_and_b32_e32 v8, 31, v0
	v_cmp_gt_u32_e32 vcc_lo, 32, v0
	v_lshlrev_b32_e32 v1, 2, v8
	s_and_saveexec_b32 s0, vcc_lo
; %bb.16:
	v_mov_b32_e32 v2, 0
	ds_write_b32 v1, v2
; %bb.17:
	s_or_b32 exec_lo, exec_lo, s0
	v_mbcnt_lo_u32_b32 v6, -1, 0
	s_mov_b32 s2, exec_lo
	s_waitcnt lgkmcnt(0)
	s_barrier
	buffer_gl0_inv
	v_lshl_or_b32 v2, v6, 2, 64
	v_cmp_gt_u32_e64 s0, 24, v6
	ds_bpermute_b32 v4, v2, v7
	v_cndmask_b32_e64 v3, 0, 8, s0
	v_cmp_gt_u32_e64 s0, 28, v6
	v_add_lshl_u32 v3, v3, v6, 2
	s_waitcnt lgkmcnt(0)
	v_add_f32_e32 v5, v7, v4
	v_cndmask_b32_e64 v4, 0, 4, s0
	v_cmp_gt_u32_e64 s0, 30, v6
	ds_bpermute_b32 v7, v3, v5
	v_add_lshl_u32 v4, v4, v6, 2
	s_waitcnt lgkmcnt(0)
	v_add_f32_e32 v7, v5, v7
	v_cndmask_b32_e64 v5, 0, 2, s0
	v_cmp_ne_u32_e64 s0, 31, v6
	ds_bpermute_b32 v9, v4, v7
	v_add_lshl_u32 v5, v5, v6, 2
	v_add_co_ci_u32_e64 v6, null, 0, v6, s0
	v_lshlrev_b32_e32 v6, 2, v6
	s_waitcnt lgkmcnt(0)
	v_add_f32_e32 v7, v7, v9
	ds_bpermute_b32 v9, v5, v7
	s_waitcnt lgkmcnt(0)
	v_add_f32_e32 v7, v7, v9
	ds_bpermute_b32 v9, v6, v7
	v_cmpx_eq_u32_e32 0, v8
	s_cbranch_execz .LBB411_19
; %bb.18:
	v_lshrrev_b32_e32 v8, 3, v0
	s_waitcnt lgkmcnt(0)
	v_add_f32_e32 v7, v7, v9
	v_and_b32_e32 v8, 0x7c, v8
	ds_write_b32 v8, v7
.LBB411_19:
	s_or_b32 exec_lo, exec_lo, s2
	v_mov_b32_e32 v7, 0
	s_waitcnt lgkmcnt(0)
	s_barrier
	buffer_gl0_inv
	s_and_saveexec_b32 s0, vcc_lo
; %bb.20:
	ds_read_b32 v7, v1
; %bb.21:
	s_or_b32 exec_lo, exec_lo, s0
	s_and_saveexec_b32 s0, vcc_lo
	s_cbranch_execz .LBB411_23
; %bb.22:
	s_waitcnt lgkmcnt(0)
	ds_bpermute_b32 v1, v2, v7
	s_waitcnt lgkmcnt(0)
	v_add_f32_e32 v1, v7, v1
	ds_bpermute_b32 v2, v3, v1
	s_waitcnt lgkmcnt(0)
	v_add_f32_e32 v1, v1, v2
	;; [unrolled: 3-line block ×5, first 2 shown]
.LBB411_23:
	s_or_b32 exec_lo, exec_lo, s0
	s_mov_b32 s0, exec_lo
                                        ; implicit-def: $vgpr1
                                        ; implicit-def: $sgpr2_sgpr3
	v_cmpx_eq_u32_e32 0, v0
	s_cbranch_execz .LBB411_27
; %bb.24:
	v_cmp_eq_f32_e64 s4, s28, 0
	s_mul_i32 s2, s24, s10
	s_mul_hi_u32 s3, s24, s6
	s_waitcnt lgkmcnt(0)
	v_mul_f32_e32 v0, s30, v7
	s_add_i32 s2, s3, s2
	s_mul_i32 s3, s25, s6
	s_and_b32 vcc_lo, exec_lo, s4
	s_add_i32 s3, s2, s3
	s_mul_i32 s2, s24, s6
	s_cbranch_vccnz .LBB411_26
; %bb.25:
	s_lshl_b64 s[4:5], s[2:3], 1
	v_mov_b32_e32 v1, 0
	s_add_u32 s4, s1, s4
	s_addc_u32 s5, s26, s5
	global_load_ushort v1, v1, s[4:5]
	s_waitcnt vmcnt(0)
	v_fma_mix_f32 v0, s28, v1, v0 op_sel_hi:[0,1,0]
.LBB411_26:
	v_cvt_f16_f32_e32 v1, v0
	s_or_b32 s29, s29, exec_lo
.LBB411_27:
	s_or_b32 exec_lo, exec_lo, s0
.LBB411_28:
	s_and_saveexec_b32 s0, s29
	s_cbranch_execz .LBB411_30
; %bb.29:
	s_lshl_b64 s[2:3], s[2:3], 1
	v_mov_b32_e32 v0, 0
	s_add_u32 s0, s1, s2
	s_addc_u32 s1, s26, s3
	global_store_short v0, v1, s[0:1]
.LBB411_30:
	s_endpgm
	.section	.rodata,"a",@progbits
	.p2align	6, 0x0
	.amdhsa_kernel _ZL32rocblas_gemvt_warp_reduce_kernelILb0ELi1024ElDF16_fDF16_EviiT3_lPKT2_lT1_lS3_lS4_lS0_lPT4_lS4_li
		.amdhsa_group_segment_fixed_size 128
		.amdhsa_private_segment_fixed_size 0
		.amdhsa_kernarg_size 140
		.amdhsa_user_sgpr_count 6
		.amdhsa_user_sgpr_private_segment_buffer 1
		.amdhsa_user_sgpr_dispatch_ptr 0
		.amdhsa_user_sgpr_queue_ptr 0
		.amdhsa_user_sgpr_kernarg_segment_ptr 1
		.amdhsa_user_sgpr_dispatch_id 0
		.amdhsa_user_sgpr_flat_scratch_init 0
		.amdhsa_user_sgpr_private_segment_size 0
		.amdhsa_wavefront_size32 1
		.amdhsa_uses_dynamic_stack 0
		.amdhsa_system_sgpr_private_segment_wavefront_offset 0
		.amdhsa_system_sgpr_workgroup_id_x 1
		.amdhsa_system_sgpr_workgroup_id_y 0
		.amdhsa_system_sgpr_workgroup_id_z 1
		.amdhsa_system_sgpr_workgroup_info 0
		.amdhsa_system_vgpr_workitem_id 0
		.amdhsa_next_free_vgpr 11
		.amdhsa_next_free_sgpr 36
		.amdhsa_reserve_vcc 1
		.amdhsa_reserve_flat_scratch 0
		.amdhsa_float_round_mode_32 0
		.amdhsa_float_round_mode_16_64 0
		.amdhsa_float_denorm_mode_32 3
		.amdhsa_float_denorm_mode_16_64 3
		.amdhsa_dx10_clamp 1
		.amdhsa_ieee_mode 1
		.amdhsa_fp16_overflow 0
		.amdhsa_workgroup_processor_mode 1
		.amdhsa_memory_ordered 1
		.amdhsa_forward_progress 1
		.amdhsa_shared_vgpr_count 0
		.amdhsa_exception_fp_ieee_invalid_op 0
		.amdhsa_exception_fp_denorm_src 0
		.amdhsa_exception_fp_ieee_div_zero 0
		.amdhsa_exception_fp_ieee_overflow 0
		.amdhsa_exception_fp_ieee_underflow 0
		.amdhsa_exception_fp_ieee_inexact 0
		.amdhsa_exception_int_div_zero 0
	.end_amdhsa_kernel
	.section	.text._ZL32rocblas_gemvt_warp_reduce_kernelILb0ELi1024ElDF16_fDF16_EviiT3_lPKT2_lT1_lS3_lS4_lS0_lPT4_lS4_li,"axG",@progbits,_ZL32rocblas_gemvt_warp_reduce_kernelILb0ELi1024ElDF16_fDF16_EviiT3_lPKT2_lT1_lS3_lS4_lS0_lPT4_lS4_li,comdat
.Lfunc_end411:
	.size	_ZL32rocblas_gemvt_warp_reduce_kernelILb0ELi1024ElDF16_fDF16_EviiT3_lPKT2_lT1_lS3_lS4_lS0_lPT4_lS4_li, .Lfunc_end411-_ZL32rocblas_gemvt_warp_reduce_kernelILb0ELi1024ElDF16_fDF16_EviiT3_lPKT2_lT1_lS3_lS4_lS0_lPT4_lS4_li
                                        ; -- End function
	.set _ZL32rocblas_gemvt_warp_reduce_kernelILb0ELi1024ElDF16_fDF16_EviiT3_lPKT2_lT1_lS3_lS4_lS0_lPT4_lS4_li.num_vgpr, 11
	.set _ZL32rocblas_gemvt_warp_reduce_kernelILb0ELi1024ElDF16_fDF16_EviiT3_lPKT2_lT1_lS3_lS4_lS0_lPT4_lS4_li.num_agpr, 0
	.set _ZL32rocblas_gemvt_warp_reduce_kernelILb0ELi1024ElDF16_fDF16_EviiT3_lPKT2_lT1_lS3_lS4_lS0_lPT4_lS4_li.numbered_sgpr, 36
	.set _ZL32rocblas_gemvt_warp_reduce_kernelILb0ELi1024ElDF16_fDF16_EviiT3_lPKT2_lT1_lS3_lS4_lS0_lPT4_lS4_li.num_named_barrier, 0
	.set _ZL32rocblas_gemvt_warp_reduce_kernelILb0ELi1024ElDF16_fDF16_EviiT3_lPKT2_lT1_lS3_lS4_lS0_lPT4_lS4_li.private_seg_size, 0
	.set _ZL32rocblas_gemvt_warp_reduce_kernelILb0ELi1024ElDF16_fDF16_EviiT3_lPKT2_lT1_lS3_lS4_lS0_lPT4_lS4_li.uses_vcc, 1
	.set _ZL32rocblas_gemvt_warp_reduce_kernelILb0ELi1024ElDF16_fDF16_EviiT3_lPKT2_lT1_lS3_lS4_lS0_lPT4_lS4_li.uses_flat_scratch, 0
	.set _ZL32rocblas_gemvt_warp_reduce_kernelILb0ELi1024ElDF16_fDF16_EviiT3_lPKT2_lT1_lS3_lS4_lS0_lPT4_lS4_li.has_dyn_sized_stack, 0
	.set _ZL32rocblas_gemvt_warp_reduce_kernelILb0ELi1024ElDF16_fDF16_EviiT3_lPKT2_lT1_lS3_lS4_lS0_lPT4_lS4_li.has_recursion, 0
	.set _ZL32rocblas_gemvt_warp_reduce_kernelILb0ELi1024ElDF16_fDF16_EviiT3_lPKT2_lT1_lS3_lS4_lS0_lPT4_lS4_li.has_indirect_call, 0
	.section	.AMDGPU.csdata,"",@progbits
; Kernel info:
; codeLenInByte = 1392
; TotalNumSgprs: 38
; NumVgprs: 11
; ScratchSize: 0
; MemoryBound: 0
; FloatMode: 240
; IeeeMode: 1
; LDSByteSize: 128 bytes/workgroup (compile time only)
; SGPRBlocks: 0
; VGPRBlocks: 1
; NumSGPRsForWavesPerEU: 38
; NumVGPRsForWavesPerEU: 11
; Occupancy: 16
; WaveLimiterHint : 1
; COMPUTE_PGM_RSRC2:SCRATCH_EN: 0
; COMPUTE_PGM_RSRC2:USER_SGPR: 6
; COMPUTE_PGM_RSRC2:TRAP_HANDLER: 0
; COMPUTE_PGM_RSRC2:TGID_X_EN: 1
; COMPUTE_PGM_RSRC2:TGID_Y_EN: 0
; COMPUTE_PGM_RSRC2:TGID_Z_EN: 1
; COMPUTE_PGM_RSRC2:TIDIG_COMP_CNT: 0
	.section	.text._ZL22rocblas_gemvtsm_kernelILb1ELi256EDF16_PKfDF16_EviiT2_lPKT1_lilS5_lilS2_lPT3_lil,"axG",@progbits,_ZL22rocblas_gemvtsm_kernelILb1ELi256EDF16_PKfDF16_EviiT2_lPKT1_lilS5_lilS2_lPT3_lil,comdat
	.globl	_ZL22rocblas_gemvtsm_kernelILb1ELi256EDF16_PKfDF16_EviiT2_lPKT1_lilS5_lilS2_lPT3_lil ; -- Begin function _ZL22rocblas_gemvtsm_kernelILb1ELi256EDF16_PKfDF16_EviiT2_lPKT1_lilS5_lilS2_lPT3_lil
	.p2align	8
	.type	_ZL22rocblas_gemvtsm_kernelILb1ELi256EDF16_PKfDF16_EviiT2_lPKT1_lilS5_lilS2_lPT3_lil,@function
_ZL22rocblas_gemvtsm_kernelILb1ELi256EDF16_PKfDF16_EviiT2_lPKT1_lilS5_lilS2_lPT3_lil: ; @_ZL22rocblas_gemvtsm_kernelILb1ELi256EDF16_PKfDF16_EviiT2_lPKT1_lilS5_lilS2_lPT3_lil
; %bb.0:
	s_clause 0x1
	s_load_dwordx8 s[8:15], s[4:5], 0x8
	s_load_dwordx8 s[16:23], s[4:5], 0x50
	s_waitcnt lgkmcnt(0)
	s_mul_i32 s1, s11, s6
	s_mul_hi_u32 s2, s10, s6
	s_mul_i32 s0, s10, s6
	s_add_i32 s1, s2, s1
	s_mul_i32 s2, s21, s6
	s_lshl_b64 s[0:1], s[0:1], 2
	s_mul_hi_u32 s3, s20, s6
	s_add_u32 s0, s8, s0
	s_addc_u32 s1, s9, s1
	s_add_i32 s3, s3, s2
	s_mul_i32 s2, s20, s6
	s_lshl_b64 s[2:3], s[2:3], 2
	s_add_u32 s2, s18, s2
	s_addc_u32 s3, s19, s3
	s_load_dword s26, s[0:1], 0x0
	s_load_dword s7, s[2:3], 0x0
	s_waitcnt lgkmcnt(0)
	v_cmp_eq_f32_e64 s0, s26, 0
	v_cmp_eq_f32_e64 s1, s7, 1.0
	s_and_b32 s0, s0, s1
	s_and_b32 vcc_lo, exec_lo, s0
	s_cbranch_vccnz .LBB412_34
; %bb.1:
	s_clause 0x3
	s_load_dwordx2 s[0:1], s[4:5], 0x80
	s_load_dwordx2 s[18:19], s[4:5], 0x70
	s_load_dword s8, s[4:5], 0x78
	s_load_dwordx2 s[10:11], s[4:5], 0x0
	v_cmp_neq_f32_e64 s2, s26, 0
	s_and_b32 vcc_lo, exec_lo, s2
	s_waitcnt lgkmcnt(0)
	s_mul_i32 s1, s1, s6
	s_mul_hi_u32 s2, s0, s6
	s_mul_i32 s20, s0, s6
	s_add_i32 s21, s2, s1
	s_cbranch_vccnz .LBB412_9
; %bb.2:
	s_cmp_gt_i32 s11, 0
	v_cmp_neq_f32_e64 s0, s7, 0
	s_cselect_b32 s2, -1, 0
	v_cndmask_b32_e64 v1, 0, 1, s2
	s_and_b32 vcc_lo, exec_lo, s0
	v_cmp_ne_u32_e64 s0, 1, v1
	s_cbranch_vccnz .LBB412_10
; %bb.3:
	s_and_b32 vcc_lo, exec_lo, s0
	s_cbranch_vccnz .LBB412_8
; %bb.4:
	v_mad_i64_i32 v[1:2], null, s8, v0, 0
	s_lshl_b64 s[24:25], s[18:19], 1
	s_ashr_i32 s9, s8, 31
	s_lshl_b64 s[0:1], s[20:21], 1
	s_add_u32 s3, s22, s24
	s_addc_u32 s24, s23, s25
	s_add_u32 s0, s3, s0
	v_lshlrev_b64 v[1:2], 1, v[1:2]
	s_addc_u32 s1, s24, s1
	v_mov_b32_e32 v3, 0
	s_mov_b32 s3, 0
	v_add_co_u32 v1, vcc_lo, s0, v1
	v_add_co_ci_u32_e64 v2, null, s1, v2, vcc_lo
	s_lshl_b64 s[0:1], s[8:9], 9
	s_branch .LBB412_6
.LBB412_5:                              ;   in Loop: Header=BB412_6 Depth=1
	s_or_b32 exec_lo, exec_lo, s9
	v_add_co_u32 v1, vcc_lo, v1, s0
	v_add_co_ci_u32_e64 v2, null, s1, v2, vcc_lo
	s_addk_i32 s3, 0x100
	s_cmp_ge_i32 s3, s11
	s_cbranch_scc1 .LBB412_8
.LBB412_6:                              ; =>This Inner Loop Header: Depth=1
	v_add_nc_u32_e32 v4, s3, v0
	s_mov_b32 s9, exec_lo
	v_cmpx_gt_i32_e64 s11, v4
	s_cbranch_execz .LBB412_5
; %bb.7:                                ;   in Loop: Header=BB412_6 Depth=1
	global_store_short v[1:2], v3, off
	s_branch .LBB412_5
.LBB412_8:
	s_cbranch_execz .LBB412_11
	s_branch .LBB412_16
.LBB412_9:
	s_branch .LBB412_17
.LBB412_10:
.LBB412_11:
	s_andn2_b32 vcc_lo, exec_lo, s2
	s_cbranch_vccnz .LBB412_16
; %bb.12:
	v_mad_i64_i32 v[1:2], null, s8, v0, 0
	s_lshl_b64 s[2:3], s[18:19], 1
	s_ashr_i32 s9, s8, 31
	s_lshl_b64 s[0:1], s[20:21], 1
	s_add_u32 s2, s22, s2
	s_addc_u32 s3, s23, s3
	s_add_u32 s0, s2, s0
	v_lshlrev_b64 v[1:2], 1, v[1:2]
	s_addc_u32 s1, s3, s1
	s_mov_b32 s2, 0
	v_add_co_u32 v1, vcc_lo, s0, v1
	v_add_co_ci_u32_e64 v2, null, s1, v2, vcc_lo
	s_lshl_b64 s[0:1], s[8:9], 9
	s_branch .LBB412_14
	.p2align	6
.LBB412_13:                             ;   in Loop: Header=BB412_14 Depth=1
	s_or_b32 exec_lo, exec_lo, s3
	v_add_co_u32 v1, vcc_lo, v1, s0
	v_add_co_ci_u32_e64 v2, null, s1, v2, vcc_lo
	s_addk_i32 s2, 0x100
	s_cmp_ge_i32 s2, s11
	s_cbranch_scc1 .LBB412_16
.LBB412_14:                             ; =>This Inner Loop Header: Depth=1
	v_add_nc_u32_e32 v3, s2, v0
	s_mov_b32 s3, exec_lo
	v_cmpx_gt_i32_e64 s11, v3
	s_cbranch_execz .LBB412_13
; %bb.15:                               ;   in Loop: Header=BB412_14 Depth=1
	global_load_ushort v3, v[1:2], off
	s_waitcnt vmcnt(0)
	v_fma_mixlo_f16 v3, s7, v3, 0 op_sel_hi:[0,1,0]
	global_store_short v[1:2], v3, off
	s_branch .LBB412_13
.LBB412_16:
	s_cbranch_execnz .LBB412_34
.LBB412_17:
	s_clause 0x1
	s_load_dwordx4 s[0:3], s[4:5], 0x30
	s_load_dwordx2 s[24:25], s[4:5], 0x40
	s_mov_b32 s9, exec_lo
	v_cmpx_gt_i32_e64 s10, v0
	s_cbranch_execz .LBB412_19
; %bb.18:
	s_load_dword s27, s[4:5], 0x48
	s_mul_i32 s17, s17, s6
	s_mul_hi_u32 s28, s16, s6
	s_mul_i32 s16, s16, s6
	s_add_i32 s17, s28, s17
	s_lshl_b64 s[16:17], s[16:17], 1
	s_waitcnt lgkmcnt(0)
	s_add_u32 s16, s2, s16
	s_addc_u32 s17, s3, s17
	s_lshl_b64 s[2:3], s[24:25], 1
	s_add_u32 s2, s16, s2
	s_addc_u32 s3, s17, s3
	v_mad_i64_i32 v[1:2], null, s27, v0, 0
	v_lshlrev_b64 v[1:2], 1, v[1:2]
	v_add_co_u32 v1, vcc_lo, s2, v1
	v_add_co_ci_u32_e64 v2, null, s3, v2, vcc_lo
	global_load_ushort v1, v[1:2], off
	v_lshlrev_b32_e32 v2, 2, v0
	s_waitcnt vmcnt(0)
	v_cvt_f32_f16_e32 v1, v1
	v_mul_f32_e32 v1, s26, v1
	ds_write_b32 v2, v1
.LBB412_19:
	s_or_b32 exec_lo, exec_lo, s9
	s_cmp_lt_i32 s11, 1
	s_waitcnt lgkmcnt(0)
	s_waitcnt_vscnt null, 0x0
	s_barrier
	buffer_gl0_inv
	s_cbranch_scc1 .LBB412_34
; %bb.20:
	s_load_dword s24, s[4:5], 0x28
	s_lshl_b64 s[2:3], s[20:21], 1
	s_mul_i32 s1, s1, s6
	s_mul_hi_u32 s20, s0, s6
	s_mul_i32 s0, s0, s6
	s_add_u32 s6, s22, s2
	s_addc_u32 s9, s23, s3
	s_lshl_b64 s[4:5], s[18:19], 1
	v_cmp_neq_f32_e64 s2, s7, 0
	s_add_u32 s3, s6, s4
	s_addc_u32 s4, s9, s5
	s_ashr_i32 s5, s8, 31
	s_waitcnt lgkmcnt(0)
	s_ashr_i32 s25, s24, 31
	s_cmp_gt_i32 s10, 0
	v_mad_i64_i32 v[1:2], null, s24, v0, 0
	s_cselect_b32 s6, -1, 0
	s_and_b32 s9, s10, 7
	s_cmp_gt_u32 s10, 7
	s_cselect_b32 s16, -1, 0
	s_and_b32 s10, s10, 0x7ffffff8
	s_cmp_lg_u32 s9, 0
	v_lshlrev_b64 v[1:2], 1, v[1:2]
	s_cselect_b32 s17, -1, 0
	s_add_i32 s1, s20, s1
	s_lshl_b64 s[14:15], s[14:15], 1
	s_lshl_b64 s[0:1], s[0:1], 1
	s_add_u32 s12, s12, s14
	s_addc_u32 s13, s13, s15
	s_add_u32 s0, s12, s0
	s_addc_u32 s1, s13, s1
	v_add_co_u32 v7, vcc_lo, s0, v1
	v_add_co_ci_u32_e64 v8, null, s1, v2, vcc_lo
	s_mov_b32 s12, 0
	v_add_co_u32 v1, vcc_lo, v7, 14
	v_add_co_ci_u32_e64 v2, null, 0, v8, vcc_lo
	s_lshl_b64 s[0:1], s[24:25], 9
	s_branch .LBB412_23
.LBB412_21:                             ;   in Loop: Header=BB412_23 Depth=1
	v_add_co_u32 v3, vcc_lo, s3, v3
	v_cvt_f16_f32_e32 v5, v9
	v_add_co_ci_u32_e64 v4, null, s4, v4, vcc_lo
	global_store_short v[3:4], v5, off
.LBB412_22:                             ;   in Loop: Header=BB412_23 Depth=1
	s_or_b32 exec_lo, exec_lo, s13
	v_add_co_u32 v1, vcc_lo, v1, s0
	v_add_co_ci_u32_e64 v2, null, s1, v2, vcc_lo
	v_add_co_u32 v7, vcc_lo, v7, s0
	v_add_co_ci_u32_e64 v8, null, s1, v8, vcc_lo
	s_addk_i32 s12, 0x100
	s_cmp_ge_i32 s12, s11
	s_cbranch_scc1 .LBB412_34
.LBB412_23:                             ; =>This Loop Header: Depth=1
                                        ;     Child Loop BB412_29 Depth 2
                                        ;     Child Loop BB412_33 Depth 2
	v_add_nc_u32_e32 v3, s12, v0
	s_mov_b32 s13, exec_lo
	v_cmpx_gt_i32_e64 s11, v3
	s_cbranch_execz .LBB412_22
; %bb.24:                               ;   in Loop: Header=BB412_23 Depth=1
	v_mad_u64_u32 v[4:5], null, v3, s8, 0
	s_andn2_b32 vcc_lo, exec_lo, s2
	v_mad_u64_u32 v[5:6], null, v3, s5, v[5:6]
	v_lshlrev_b64 v[3:4], 1, v[4:5]
	s_cbranch_vccnz .LBB412_26
; %bb.25:                               ;   in Loop: Header=BB412_23 Depth=1
	v_add_co_u32 v5, vcc_lo, s3, v3
	v_add_co_ci_u32_e64 v6, null, s4, v4, vcc_lo
	global_load_ushort v5, v[5:6], off
	s_waitcnt vmcnt(0)
	v_cvt_f32_f16_e32 v5, v5
	v_mul_f32_e32 v9, s7, v5
	s_andn2_b32 vcc_lo, exec_lo, s6
	s_cbranch_vccz .LBB412_27
	s_branch .LBB412_21
.LBB412_26:                             ;   in Loop: Header=BB412_23 Depth=1
	v_mov_b32_e32 v9, 0
	s_andn2_b32 vcc_lo, exec_lo, s6
	s_cbranch_vccnz .LBB412_21
.LBB412_27:                             ;   in Loop: Header=BB412_23 Depth=1
	s_andn2_b32 vcc_lo, exec_lo, s16
	s_mov_b32 s14, 0
	s_cbranch_vccnz .LBB412_31
; %bb.28:                               ;   in Loop: Header=BB412_23 Depth=1
	v_mov_b32_e32 v6, v2
	v_mov_b32_e32 v5, v1
	s_mov_b32 s15, 0
	.p2align	6
.LBB412_29:                             ;   Parent Loop BB412_23 Depth=1
                                        ; =>  This Inner Loop Header: Depth=2
	global_load_dwordx4 v[10:13], v[5:6], off offset:-14
	v_mov_b32_e32 v18, s14
	v_add_co_u32 v5, vcc_lo, v5, 16
	v_add_co_ci_u32_e64 v6, null, 0, v6, vcc_lo
	ds_read_b128 v[14:17], v18
	ds_read_b128 v[18:21], v18 offset:16
	s_add_i32 s15, s15, 8
	s_add_i32 s14, s14, 32
	s_cmp_eq_u32 s10, s15
	s_waitcnt vmcnt(0) lgkmcnt(1)
	v_fma_mix_f32 v9, v14, v10, v9 op_sel_hi:[0,1,0]
	v_fma_mix_f32 v9, v15, v10, v9 op_sel:[0,1,0] op_sel_hi:[0,1,0]
	v_fma_mix_f32 v9, v16, v11, v9 op_sel_hi:[0,1,0]
	v_fma_mix_f32 v9, v17, v11, v9 op_sel:[0,1,0] op_sel_hi:[0,1,0]
	s_waitcnt lgkmcnt(0)
	v_fma_mix_f32 v9, v18, v12, v9 op_sel_hi:[0,1,0]
	v_fma_mix_f32 v9, v19, v12, v9 op_sel:[0,1,0] op_sel_hi:[0,1,0]
	v_fma_mix_f32 v9, v20, v13, v9 op_sel_hi:[0,1,0]
	v_fma_mix_f32 v9, v21, v13, v9 op_sel:[0,1,0] op_sel_hi:[0,1,0]
	s_cbranch_scc0 .LBB412_29
; %bb.30:                               ;   in Loop: Header=BB412_23 Depth=1
	s_mov_b32 s14, s10
.LBB412_31:                             ;   in Loop: Header=BB412_23 Depth=1
	s_andn2_b32 vcc_lo, exec_lo, s17
	s_cbranch_vccnz .LBB412_21
; %bb.32:                               ;   in Loop: Header=BB412_23 Depth=1
	s_lshl_b32 s15, s14, 1
	s_lshl_b32 s14, s14, 2
	v_add_co_u32 v5, vcc_lo, v7, s15
	v_add_co_ci_u32_e64 v6, null, 0, v8, vcc_lo
	s_mov_b32 s15, s9
.LBB412_33:                             ;   Parent Loop BB412_23 Depth=1
                                        ; =>  This Inner Loop Header: Depth=2
	global_load_ushort v10, v[5:6], off
	v_mov_b32_e32 v11, s14
	v_add_co_u32 v5, vcc_lo, v5, 2
	v_add_co_ci_u32_e64 v6, null, 0, v6, vcc_lo
	ds_read_b32 v11, v11
	s_add_i32 s15, s15, -1
	s_add_i32 s14, s14, 4
	s_cmp_lg_u32 s15, 0
	s_waitcnt vmcnt(0) lgkmcnt(0)
	v_fma_mix_f32 v9, v11, v10, v9 op_sel_hi:[0,1,0]
	s_cbranch_scc1 .LBB412_33
	s_branch .LBB412_21
.LBB412_34:
	s_endpgm
	.section	.rodata,"a",@progbits
	.p2align	6, 0x0
	.amdhsa_kernel _ZL22rocblas_gemvtsm_kernelILb1ELi256EDF16_PKfDF16_EviiT2_lPKT1_lilS5_lilS2_lPT3_lil
		.amdhsa_group_segment_fixed_size 256
		.amdhsa_private_segment_fixed_size 0
		.amdhsa_kernarg_size 136
		.amdhsa_user_sgpr_count 6
		.amdhsa_user_sgpr_private_segment_buffer 1
		.amdhsa_user_sgpr_dispatch_ptr 0
		.amdhsa_user_sgpr_queue_ptr 0
		.amdhsa_user_sgpr_kernarg_segment_ptr 1
		.amdhsa_user_sgpr_dispatch_id 0
		.amdhsa_user_sgpr_flat_scratch_init 0
		.amdhsa_user_sgpr_private_segment_size 0
		.amdhsa_wavefront_size32 1
		.amdhsa_uses_dynamic_stack 0
		.amdhsa_system_sgpr_private_segment_wavefront_offset 0
		.amdhsa_system_sgpr_workgroup_id_x 1
		.amdhsa_system_sgpr_workgroup_id_y 0
		.amdhsa_system_sgpr_workgroup_id_z 0
		.amdhsa_system_sgpr_workgroup_info 0
		.amdhsa_system_vgpr_workitem_id 0
		.amdhsa_next_free_vgpr 22
		.amdhsa_next_free_sgpr 29
		.amdhsa_reserve_vcc 1
		.amdhsa_reserve_flat_scratch 0
		.amdhsa_float_round_mode_32 0
		.amdhsa_float_round_mode_16_64 0
		.amdhsa_float_denorm_mode_32 3
		.amdhsa_float_denorm_mode_16_64 3
		.amdhsa_dx10_clamp 1
		.amdhsa_ieee_mode 1
		.amdhsa_fp16_overflow 0
		.amdhsa_workgroup_processor_mode 1
		.amdhsa_memory_ordered 1
		.amdhsa_forward_progress 1
		.amdhsa_shared_vgpr_count 0
		.amdhsa_exception_fp_ieee_invalid_op 0
		.amdhsa_exception_fp_denorm_src 0
		.amdhsa_exception_fp_ieee_div_zero 0
		.amdhsa_exception_fp_ieee_overflow 0
		.amdhsa_exception_fp_ieee_underflow 0
		.amdhsa_exception_fp_ieee_inexact 0
		.amdhsa_exception_int_div_zero 0
	.end_amdhsa_kernel
	.section	.text._ZL22rocblas_gemvtsm_kernelILb1ELi256EDF16_PKfDF16_EviiT2_lPKT1_lilS5_lilS2_lPT3_lil,"axG",@progbits,_ZL22rocblas_gemvtsm_kernelILb1ELi256EDF16_PKfDF16_EviiT2_lPKT1_lilS5_lilS2_lPT3_lil,comdat
.Lfunc_end412:
	.size	_ZL22rocblas_gemvtsm_kernelILb1ELi256EDF16_PKfDF16_EviiT2_lPKT1_lilS5_lilS2_lPT3_lil, .Lfunc_end412-_ZL22rocblas_gemvtsm_kernelILb1ELi256EDF16_PKfDF16_EviiT2_lPKT1_lilS5_lilS2_lPT3_lil
                                        ; -- End function
	.set _ZL22rocblas_gemvtsm_kernelILb1ELi256EDF16_PKfDF16_EviiT2_lPKT1_lilS5_lilS2_lPT3_lil.num_vgpr, 22
	.set _ZL22rocblas_gemvtsm_kernelILb1ELi256EDF16_PKfDF16_EviiT2_lPKT1_lilS5_lilS2_lPT3_lil.num_agpr, 0
	.set _ZL22rocblas_gemvtsm_kernelILb1ELi256EDF16_PKfDF16_EviiT2_lPKT1_lilS5_lilS2_lPT3_lil.numbered_sgpr, 29
	.set _ZL22rocblas_gemvtsm_kernelILb1ELi256EDF16_PKfDF16_EviiT2_lPKT1_lilS5_lilS2_lPT3_lil.num_named_barrier, 0
	.set _ZL22rocblas_gemvtsm_kernelILb1ELi256EDF16_PKfDF16_EviiT2_lPKT1_lilS5_lilS2_lPT3_lil.private_seg_size, 0
	.set _ZL22rocblas_gemvtsm_kernelILb1ELi256EDF16_PKfDF16_EviiT2_lPKT1_lilS5_lilS2_lPT3_lil.uses_vcc, 1
	.set _ZL22rocblas_gemvtsm_kernelILb1ELi256EDF16_PKfDF16_EviiT2_lPKT1_lilS5_lilS2_lPT3_lil.uses_flat_scratch, 0
	.set _ZL22rocblas_gemvtsm_kernelILb1ELi256EDF16_PKfDF16_EviiT2_lPKT1_lilS5_lilS2_lPT3_lil.has_dyn_sized_stack, 0
	.set _ZL22rocblas_gemvtsm_kernelILb1ELi256EDF16_PKfDF16_EviiT2_lPKT1_lilS5_lilS2_lPT3_lil.has_recursion, 0
	.set _ZL22rocblas_gemvtsm_kernelILb1ELi256EDF16_PKfDF16_EviiT2_lPKT1_lilS5_lilS2_lPT3_lil.has_indirect_call, 0
	.section	.AMDGPU.csdata,"",@progbits
; Kernel info:
; codeLenInByte = 1460
; TotalNumSgprs: 31
; NumVgprs: 22
; ScratchSize: 0
; MemoryBound: 0
; FloatMode: 240
; IeeeMode: 1
; LDSByteSize: 256 bytes/workgroup (compile time only)
; SGPRBlocks: 0
; VGPRBlocks: 2
; NumSGPRsForWavesPerEU: 31
; NumVGPRsForWavesPerEU: 22
; Occupancy: 16
; WaveLimiterHint : 1
; COMPUTE_PGM_RSRC2:SCRATCH_EN: 0
; COMPUTE_PGM_RSRC2:USER_SGPR: 6
; COMPUTE_PGM_RSRC2:TRAP_HANDLER: 0
; COMPUTE_PGM_RSRC2:TGID_X_EN: 1
; COMPUTE_PGM_RSRC2:TGID_Y_EN: 0
; COMPUTE_PGM_RSRC2:TGID_Z_EN: 0
; COMPUTE_PGM_RSRC2:TIDIG_COMP_CNT: 0
	.section	.text._ZL22rocblas_gemvtsm_kernelILb1ELi256EDF16_fDF16_EviiT2_lPKT1_lilS3_lilS0_lPT3_lil,"axG",@progbits,_ZL22rocblas_gemvtsm_kernelILb1ELi256EDF16_fDF16_EviiT2_lPKT1_lilS3_lilS0_lPT3_lil,comdat
	.globl	_ZL22rocblas_gemvtsm_kernelILb1ELi256EDF16_fDF16_EviiT2_lPKT1_lilS3_lilS0_lPT3_lil ; -- Begin function _ZL22rocblas_gemvtsm_kernelILb1ELi256EDF16_fDF16_EviiT2_lPKT1_lilS3_lilS0_lPT3_lil
	.p2align	8
	.type	_ZL22rocblas_gemvtsm_kernelILb1ELi256EDF16_fDF16_EviiT2_lPKT1_lilS3_lilS0_lPT3_lil,@function
_ZL22rocblas_gemvtsm_kernelILb1ELi256EDF16_fDF16_EviiT2_lPKT1_lilS3_lilS0_lPT3_lil: ; @_ZL22rocblas_gemvtsm_kernelILb1ELi256EDF16_fDF16_EviiT2_lPKT1_lilS3_lilS0_lPT3_lil
; %bb.0:
	s_clause 0x1
	s_load_dwordx4 s[8:11], s[4:5], 0x0
	s_load_dword s7, s[4:5], 0x58
	s_waitcnt lgkmcnt(0)
	v_cmp_eq_f32_e64 s0, s10, 0
	v_cmp_eq_f32_e64 s1, s7, 1.0
	s_and_b32 s0, s0, s1
	s_and_b32 vcc_lo, exec_lo, s0
	s_cbranch_vccnz .LBB413_34
; %bb.1:
	s_clause 0x2
	s_load_dwordx2 s[0:1], s[4:5], 0x80
	s_load_dwordx4 s[12:15], s[4:5], 0x68
	s_load_dword s20, s[4:5], 0x78
	v_cmp_neq_f32_e64 s2, s10, 0
	s_and_b32 vcc_lo, exec_lo, s2
	s_waitcnt lgkmcnt(0)
	s_mul_i32 s1, s1, s6
	s_mul_hi_u32 s2, s0, s6
	s_mul_i32 s22, s0, s6
	s_add_i32 s23, s2, s1
	s_cbranch_vccnz .LBB413_9
; %bb.2:
	s_cmp_gt_i32 s9, 0
	v_cmp_neq_f32_e64 s0, s7, 0
	s_cselect_b32 s2, -1, 0
	v_cndmask_b32_e64 v1, 0, 1, s2
	s_and_b32 vcc_lo, exec_lo, s0
	v_cmp_ne_u32_e64 s0, 1, v1
	s_cbranch_vccnz .LBB413_10
; %bb.3:
	s_and_b32 vcc_lo, exec_lo, s0
	s_cbranch_vccnz .LBB413_8
; %bb.4:
	v_mad_i64_i32 v[1:2], null, s20, v0, 0
	s_lshl_b64 s[16:17], s[14:15], 1
	s_ashr_i32 s21, s20, 31
	s_lshl_b64 s[0:1], s[22:23], 1
	s_add_u32 s3, s12, s16
	s_addc_u32 s11, s13, s17
	s_add_u32 s0, s3, s0
	v_lshlrev_b64 v[1:2], 1, v[1:2]
	s_addc_u32 s1, s11, s1
	v_mov_b32_e32 v3, 0
	s_mov_b32 s3, 0
	v_add_co_u32 v1, vcc_lo, s0, v1
	v_add_co_ci_u32_e64 v2, null, s1, v2, vcc_lo
	s_lshl_b64 s[0:1], s[20:21], 9
	s_branch .LBB413_6
.LBB413_5:                              ;   in Loop: Header=BB413_6 Depth=1
	s_or_b32 exec_lo, exec_lo, s11
	v_add_co_u32 v1, vcc_lo, v1, s0
	v_add_co_ci_u32_e64 v2, null, s1, v2, vcc_lo
	s_addk_i32 s3, 0x100
	s_cmp_ge_i32 s3, s9
	s_cbranch_scc1 .LBB413_8
.LBB413_6:                              ; =>This Inner Loop Header: Depth=1
	v_add_nc_u32_e32 v4, s3, v0
	s_mov_b32 s11, exec_lo
	v_cmpx_gt_i32_e64 s9, v4
	s_cbranch_execz .LBB413_5
; %bb.7:                                ;   in Loop: Header=BB413_6 Depth=1
	global_store_short v[1:2], v3, off
	s_branch .LBB413_5
.LBB413_8:
	s_cbranch_execz .LBB413_11
	s_branch .LBB413_16
.LBB413_9:
	s_branch .LBB413_17
.LBB413_10:
.LBB413_11:
	s_andn2_b32 vcc_lo, exec_lo, s2
	s_cbranch_vccnz .LBB413_16
; %bb.12:
	v_mad_i64_i32 v[1:2], null, s20, v0, 0
	s_lshl_b64 s[2:3], s[14:15], 1
	s_ashr_i32 s21, s20, 31
	s_lshl_b64 s[0:1], s[22:23], 1
	s_add_u32 s2, s12, s2
	s_addc_u32 s3, s13, s3
	s_add_u32 s0, s2, s0
	v_lshlrev_b64 v[1:2], 1, v[1:2]
	s_addc_u32 s1, s3, s1
	s_mov_b32 s2, 0
	v_add_co_u32 v1, vcc_lo, s0, v1
	v_add_co_ci_u32_e64 v2, null, s1, v2, vcc_lo
	s_lshl_b64 s[0:1], s[20:21], 9
	s_branch .LBB413_14
	.p2align	6
.LBB413_13:                             ;   in Loop: Header=BB413_14 Depth=1
	s_or_b32 exec_lo, exec_lo, s3
	v_add_co_u32 v1, vcc_lo, v1, s0
	v_add_co_ci_u32_e64 v2, null, s1, v2, vcc_lo
	s_addk_i32 s2, 0x100
	s_cmp_ge_i32 s2, s9
	s_cbranch_scc1 .LBB413_16
.LBB413_14:                             ; =>This Inner Loop Header: Depth=1
	v_add_nc_u32_e32 v3, s2, v0
	s_mov_b32 s3, exec_lo
	v_cmpx_gt_i32_e64 s9, v3
	s_cbranch_execz .LBB413_13
; %bb.15:                               ;   in Loop: Header=BB413_14 Depth=1
	global_load_ushort v3, v[1:2], off
	s_waitcnt vmcnt(0)
	v_fma_mixlo_f16 v3, s7, v3, 0 op_sel_hi:[0,1,0]
	global_store_short v[1:2], v3, off
	s_branch .LBB413_13
.LBB413_16:
	s_cbranch_execnz .LBB413_34
.LBB413_17:
	s_clause 0x1
	s_load_dwordx4 s[0:3], s[4:5], 0x30
	s_load_dwordx2 s[16:17], s[4:5], 0x40
	s_mov_b32 s11, exec_lo
	v_cmpx_gt_i32_e64 s8, v0
	s_cbranch_execz .LBB413_19
; %bb.18:
	s_clause 0x1
	s_load_dwordx2 s[18:19], s[4:5], 0x50
	s_load_dword s21, s[4:5], 0x48
	s_waitcnt lgkmcnt(0)
	s_mul_i32 s19, s19, s6
	v_mad_i64_i32 v[1:2], null, s21, v0, 0
	s_mul_hi_u32 s24, s18, s6
	s_mul_i32 s18, s18, s6
	s_add_i32 s19, s24, s19
	s_lshl_b64 s[18:19], s[18:19], 1
	s_add_u32 s18, s2, s18
	v_lshlrev_b64 v[1:2], 1, v[1:2]
	s_addc_u32 s19, s3, s19
	s_lshl_b64 s[2:3], s[16:17], 1
	s_add_u32 s2, s18, s2
	s_addc_u32 s3, s19, s3
	v_add_co_u32 v1, vcc_lo, s2, v1
	v_add_co_ci_u32_e64 v2, null, s3, v2, vcc_lo
	global_load_ushort v1, v[1:2], off
	v_lshlrev_b32_e32 v2, 2, v0
	s_waitcnt vmcnt(0)
	v_cvt_f32_f16_e32 v1, v1
	v_mul_f32_e32 v1, s10, v1
	ds_write_b32 v2, v1
.LBB413_19:
	s_or_b32 exec_lo, exec_lo, s11
	s_cmp_lt_i32 s9, 1
	s_waitcnt lgkmcnt(0)
	s_waitcnt_vscnt null, 0x0
	s_barrier
	buffer_gl0_inv
	s_cbranch_scc1 .LBB413_34
; %bb.20:
	s_clause 0x1
	s_load_dword s24, s[4:5], 0x28
	s_load_dwordx4 s[16:19], s[4:5], 0x18
	s_lshl_b64 s[2:3], s[22:23], 1
	s_mul_i32 s1, s1, s6
	s_mul_hi_u32 s21, s0, s6
	s_mul_i32 s0, s0, s6
	s_add_u32 s6, s12, s2
	s_addc_u32 s10, s13, s3
	s_lshl_b64 s[4:5], s[14:15], 1
	v_cmp_neq_f32_e64 s2, s7, 0
	s_add_u32 s3, s6, s4
	s_addc_u32 s4, s10, s5
	s_ashr_i32 s5, s20, 31
	s_waitcnt lgkmcnt(0)
	s_ashr_i32 s25, s24, 31
	s_cmp_gt_i32 s8, 0
	v_mad_i64_i32 v[1:2], null, s24, v0, 0
	s_cselect_b32 s6, -1, 0
	s_and_b32 s10, s8, 7
	s_cmp_gt_u32 s8, 7
	s_cselect_b32 s11, -1, 0
	s_and_b32 s8, s8, 0x7ffffff8
	s_cmp_lg_u32 s10, 0
	v_lshlrev_b64 v[1:2], 1, v[1:2]
	s_cselect_b32 s12, -1, 0
	s_add_i32 s1, s21, s1
	s_lshl_b64 s[14:15], s[18:19], 1
	s_lshl_b64 s[0:1], s[0:1], 1
	s_add_u32 s13, s16, s14
	s_addc_u32 s14, s17, s15
	s_add_u32 s0, s13, s0
	s_addc_u32 s1, s14, s1
	v_add_co_u32 v7, vcc_lo, s0, v1
	v_add_co_ci_u32_e64 v8, null, s1, v2, vcc_lo
	s_mov_b32 s13, 0
	v_add_co_u32 v1, vcc_lo, v7, 14
	v_add_co_ci_u32_e64 v2, null, 0, v8, vcc_lo
	s_lshl_b64 s[0:1], s[24:25], 9
	s_branch .LBB413_23
.LBB413_21:                             ;   in Loop: Header=BB413_23 Depth=1
	v_add_co_u32 v3, vcc_lo, s3, v3
	v_cvt_f16_f32_e32 v5, v9
	v_add_co_ci_u32_e64 v4, null, s4, v4, vcc_lo
	global_store_short v[3:4], v5, off
.LBB413_22:                             ;   in Loop: Header=BB413_23 Depth=1
	s_or_b32 exec_lo, exec_lo, s14
	v_add_co_u32 v1, vcc_lo, v1, s0
	v_add_co_ci_u32_e64 v2, null, s1, v2, vcc_lo
	v_add_co_u32 v7, vcc_lo, v7, s0
	v_add_co_ci_u32_e64 v8, null, s1, v8, vcc_lo
	s_addk_i32 s13, 0x100
	s_cmp_ge_i32 s13, s9
	s_cbranch_scc1 .LBB413_34
.LBB413_23:                             ; =>This Loop Header: Depth=1
                                        ;     Child Loop BB413_29 Depth 2
                                        ;     Child Loop BB413_33 Depth 2
	v_add_nc_u32_e32 v3, s13, v0
	s_mov_b32 s14, exec_lo
	v_cmpx_gt_i32_e64 s9, v3
	s_cbranch_execz .LBB413_22
; %bb.24:                               ;   in Loop: Header=BB413_23 Depth=1
	v_mad_u64_u32 v[4:5], null, v3, s20, 0
	s_andn2_b32 vcc_lo, exec_lo, s2
	v_mad_u64_u32 v[5:6], null, v3, s5, v[5:6]
	v_lshlrev_b64 v[3:4], 1, v[4:5]
	s_cbranch_vccnz .LBB413_26
; %bb.25:                               ;   in Loop: Header=BB413_23 Depth=1
	v_add_co_u32 v5, vcc_lo, s3, v3
	v_add_co_ci_u32_e64 v6, null, s4, v4, vcc_lo
	global_load_ushort v5, v[5:6], off
	s_waitcnt vmcnt(0)
	v_cvt_f32_f16_e32 v5, v5
	v_mul_f32_e32 v9, s7, v5
	s_andn2_b32 vcc_lo, exec_lo, s6
	s_cbranch_vccz .LBB413_27
	s_branch .LBB413_21
.LBB413_26:                             ;   in Loop: Header=BB413_23 Depth=1
	v_mov_b32_e32 v9, 0
	s_andn2_b32 vcc_lo, exec_lo, s6
	s_cbranch_vccnz .LBB413_21
.LBB413_27:                             ;   in Loop: Header=BB413_23 Depth=1
	s_andn2_b32 vcc_lo, exec_lo, s11
	s_mov_b32 s15, 0
	s_cbranch_vccnz .LBB413_31
; %bb.28:                               ;   in Loop: Header=BB413_23 Depth=1
	v_mov_b32_e32 v6, v2
	v_mov_b32_e32 v5, v1
	s_mov_b32 s16, 0
	.p2align	6
.LBB413_29:                             ;   Parent Loop BB413_23 Depth=1
                                        ; =>  This Inner Loop Header: Depth=2
	global_load_dwordx4 v[10:13], v[5:6], off offset:-14
	v_mov_b32_e32 v18, s15
	v_add_co_u32 v5, vcc_lo, v5, 16
	v_add_co_ci_u32_e64 v6, null, 0, v6, vcc_lo
	ds_read_b128 v[14:17], v18
	ds_read_b128 v[18:21], v18 offset:16
	s_add_i32 s16, s16, 8
	s_add_i32 s15, s15, 32
	s_cmp_eq_u32 s8, s16
	s_waitcnt vmcnt(0) lgkmcnt(1)
	v_fma_mix_f32 v9, v14, v10, v9 op_sel_hi:[0,1,0]
	v_fma_mix_f32 v9, v15, v10, v9 op_sel:[0,1,0] op_sel_hi:[0,1,0]
	v_fma_mix_f32 v9, v16, v11, v9 op_sel_hi:[0,1,0]
	v_fma_mix_f32 v9, v17, v11, v9 op_sel:[0,1,0] op_sel_hi:[0,1,0]
	s_waitcnt lgkmcnt(0)
	v_fma_mix_f32 v9, v18, v12, v9 op_sel_hi:[0,1,0]
	v_fma_mix_f32 v9, v19, v12, v9 op_sel:[0,1,0] op_sel_hi:[0,1,0]
	v_fma_mix_f32 v9, v20, v13, v9 op_sel_hi:[0,1,0]
	v_fma_mix_f32 v9, v21, v13, v9 op_sel:[0,1,0] op_sel_hi:[0,1,0]
	s_cbranch_scc0 .LBB413_29
; %bb.30:                               ;   in Loop: Header=BB413_23 Depth=1
	s_mov_b32 s15, s8
.LBB413_31:                             ;   in Loop: Header=BB413_23 Depth=1
	s_andn2_b32 vcc_lo, exec_lo, s12
	s_cbranch_vccnz .LBB413_21
; %bb.32:                               ;   in Loop: Header=BB413_23 Depth=1
	s_lshl_b32 s16, s15, 1
	s_lshl_b32 s15, s15, 2
	v_add_co_u32 v5, vcc_lo, v7, s16
	v_add_co_ci_u32_e64 v6, null, 0, v8, vcc_lo
	s_mov_b32 s16, s10
.LBB413_33:                             ;   Parent Loop BB413_23 Depth=1
                                        ; =>  This Inner Loop Header: Depth=2
	global_load_ushort v10, v[5:6], off
	v_mov_b32_e32 v11, s15
	v_add_co_u32 v5, vcc_lo, v5, 2
	v_add_co_ci_u32_e64 v6, null, 0, v6, vcc_lo
	ds_read_b32 v11, v11
	s_add_i32 s16, s16, -1
	s_add_i32 s15, s15, 4
	s_cmp_lg_u32 s16, 0
	s_waitcnt vmcnt(0) lgkmcnt(0)
	v_fma_mix_f32 v9, v11, v10, v9 op_sel_hi:[0,1,0]
	s_cbranch_scc1 .LBB413_33
	s_branch .LBB413_21
.LBB413_34:
	s_endpgm
	.section	.rodata,"a",@progbits
	.p2align	6, 0x0
	.amdhsa_kernel _ZL22rocblas_gemvtsm_kernelILb1ELi256EDF16_fDF16_EviiT2_lPKT1_lilS3_lilS0_lPT3_lil
		.amdhsa_group_segment_fixed_size 256
		.amdhsa_private_segment_fixed_size 0
		.amdhsa_kernarg_size 136
		.amdhsa_user_sgpr_count 6
		.amdhsa_user_sgpr_private_segment_buffer 1
		.amdhsa_user_sgpr_dispatch_ptr 0
		.amdhsa_user_sgpr_queue_ptr 0
		.amdhsa_user_sgpr_kernarg_segment_ptr 1
		.amdhsa_user_sgpr_dispatch_id 0
		.amdhsa_user_sgpr_flat_scratch_init 0
		.amdhsa_user_sgpr_private_segment_size 0
		.amdhsa_wavefront_size32 1
		.amdhsa_uses_dynamic_stack 0
		.amdhsa_system_sgpr_private_segment_wavefront_offset 0
		.amdhsa_system_sgpr_workgroup_id_x 1
		.amdhsa_system_sgpr_workgroup_id_y 0
		.amdhsa_system_sgpr_workgroup_id_z 0
		.amdhsa_system_sgpr_workgroup_info 0
		.amdhsa_system_vgpr_workitem_id 0
		.amdhsa_next_free_vgpr 22
		.amdhsa_next_free_sgpr 26
		.amdhsa_reserve_vcc 1
		.amdhsa_reserve_flat_scratch 0
		.amdhsa_float_round_mode_32 0
		.amdhsa_float_round_mode_16_64 0
		.amdhsa_float_denorm_mode_32 3
		.amdhsa_float_denorm_mode_16_64 3
		.amdhsa_dx10_clamp 1
		.amdhsa_ieee_mode 1
		.amdhsa_fp16_overflow 0
		.amdhsa_workgroup_processor_mode 1
		.amdhsa_memory_ordered 1
		.amdhsa_forward_progress 1
		.amdhsa_shared_vgpr_count 0
		.amdhsa_exception_fp_ieee_invalid_op 0
		.amdhsa_exception_fp_denorm_src 0
		.amdhsa_exception_fp_ieee_div_zero 0
		.amdhsa_exception_fp_ieee_overflow 0
		.amdhsa_exception_fp_ieee_underflow 0
		.amdhsa_exception_fp_ieee_inexact 0
		.amdhsa_exception_int_div_zero 0
	.end_amdhsa_kernel
	.section	.text._ZL22rocblas_gemvtsm_kernelILb1ELi256EDF16_fDF16_EviiT2_lPKT1_lilS3_lilS0_lPT3_lil,"axG",@progbits,_ZL22rocblas_gemvtsm_kernelILb1ELi256EDF16_fDF16_EviiT2_lPKT1_lilS3_lilS0_lPT3_lil,comdat
.Lfunc_end413:
	.size	_ZL22rocblas_gemvtsm_kernelILb1ELi256EDF16_fDF16_EviiT2_lPKT1_lilS3_lilS0_lPT3_lil, .Lfunc_end413-_ZL22rocblas_gemvtsm_kernelILb1ELi256EDF16_fDF16_EviiT2_lPKT1_lilS3_lilS0_lPT3_lil
                                        ; -- End function
	.set _ZL22rocblas_gemvtsm_kernelILb1ELi256EDF16_fDF16_EviiT2_lPKT1_lilS3_lilS0_lPT3_lil.num_vgpr, 22
	.set _ZL22rocblas_gemvtsm_kernelILb1ELi256EDF16_fDF16_EviiT2_lPKT1_lilS3_lilS0_lPT3_lil.num_agpr, 0
	.set _ZL22rocblas_gemvtsm_kernelILb1ELi256EDF16_fDF16_EviiT2_lPKT1_lilS3_lilS0_lPT3_lil.numbered_sgpr, 26
	.set _ZL22rocblas_gemvtsm_kernelILb1ELi256EDF16_fDF16_EviiT2_lPKT1_lilS3_lilS0_lPT3_lil.num_named_barrier, 0
	.set _ZL22rocblas_gemvtsm_kernelILb1ELi256EDF16_fDF16_EviiT2_lPKT1_lilS3_lilS0_lPT3_lil.private_seg_size, 0
	.set _ZL22rocblas_gemvtsm_kernelILb1ELi256EDF16_fDF16_EviiT2_lPKT1_lilS3_lilS0_lPT3_lil.uses_vcc, 1
	.set _ZL22rocblas_gemvtsm_kernelILb1ELi256EDF16_fDF16_EviiT2_lPKT1_lilS3_lilS0_lPT3_lil.uses_flat_scratch, 0
	.set _ZL22rocblas_gemvtsm_kernelILb1ELi256EDF16_fDF16_EviiT2_lPKT1_lilS3_lilS0_lPT3_lil.has_dyn_sized_stack, 0
	.set _ZL22rocblas_gemvtsm_kernelILb1ELi256EDF16_fDF16_EviiT2_lPKT1_lilS3_lilS0_lPT3_lil.has_recursion, 0
	.set _ZL22rocblas_gemvtsm_kernelILb1ELi256EDF16_fDF16_EviiT2_lPKT1_lilS3_lilS0_lPT3_lil.has_indirect_call, 0
	.section	.AMDGPU.csdata,"",@progbits
; Kernel info:
; codeLenInByte = 1396
; TotalNumSgprs: 28
; NumVgprs: 22
; ScratchSize: 0
; MemoryBound: 0
; FloatMode: 240
; IeeeMode: 1
; LDSByteSize: 256 bytes/workgroup (compile time only)
; SGPRBlocks: 0
; VGPRBlocks: 2
; NumSGPRsForWavesPerEU: 28
; NumVGPRsForWavesPerEU: 22
; Occupancy: 16
; WaveLimiterHint : 1
; COMPUTE_PGM_RSRC2:SCRATCH_EN: 0
; COMPUTE_PGM_RSRC2:USER_SGPR: 6
; COMPUTE_PGM_RSRC2:TRAP_HANDLER: 0
; COMPUTE_PGM_RSRC2:TGID_X_EN: 1
; COMPUTE_PGM_RSRC2:TGID_Y_EN: 0
; COMPUTE_PGM_RSRC2:TGID_Z_EN: 0
; COMPUTE_PGM_RSRC2:TIDIG_COMP_CNT: 0
	.section	.text._ZL23rocblas_gemvt_sn_kernelILb1ELi256ELi4EiDF16_PKffEviiT4_lPKT3_lilS5_lilPT5_i,"axG",@progbits,_ZL23rocblas_gemvt_sn_kernelILb1ELi256ELi4EiDF16_PKffEviiT4_lPKT3_lilS5_lilPT5_i,comdat
	.globl	_ZL23rocblas_gemvt_sn_kernelILb1ELi256ELi4EiDF16_PKffEviiT4_lPKT3_lilS5_lilPT5_i ; -- Begin function _ZL23rocblas_gemvt_sn_kernelILb1ELi256ELi4EiDF16_PKffEviiT4_lPKT3_lilS5_lilPT5_i
	.p2align	8
	.type	_ZL23rocblas_gemvt_sn_kernelILb1ELi256ELi4EiDF16_PKffEviiT4_lPKT3_lilS5_lilPT5_i,@function
_ZL23rocblas_gemvt_sn_kernelILb1ELi256ELi4EiDF16_PKffEviiT4_lPKT3_lilS5_lilPT5_i: ; @_ZL23rocblas_gemvt_sn_kernelILb1ELi256ELi4EiDF16_PKffEviiT4_lPKT3_lilS5_lilPT5_i
; %bb.0:
	s_clause 0x2
	s_load_dwordx8 s[8:15], s[4:5], 0x8
	s_load_dwordx2 s[16:17], s[4:5], 0x0
	s_load_dword s18, s[4:5], 0x68
	s_mov_b32 s19, 0
	s_waitcnt lgkmcnt(0)
	s_mul_i32 s1, s11, s7
	s_mul_hi_u32 s2, s10, s7
	s_mul_i32 s0, s10, s7
	s_add_i32 s1, s2, s1
	s_mul_i32 s2, s17, s7
	s_lshl_b64 s[0:1], s[0:1], 2
	s_add_u32 s0, s8, s0
	s_addc_u32 s1, s9, s1
	s_load_dword s30, s[0:1], 0x0
	s_load_dwordx4 s[8:11], s[4:5], 0x50
	s_ashr_i32 s22, s17, 31
	s_mul_hi_u32 s0, s17, s7
	s_mul_i32 s1, s22, s7
	s_add_i32 s0, s0, s1
	s_mul_hi_u32 s1, s2, s18
	s_mul_i32 s3, s0, s18
	s_mul_i32 s0, s2, s18
	s_add_i32 s1, s1, s3
	s_lshl_b64 s[0:1], s[0:1], 2
	s_waitcnt lgkmcnt(0)
	v_cmp_neq_f32_e64 s2, s30, 0
	s_add_u32 s36, s10, s0
	v_cmp_eq_u32_e64 s0, 0, v0
	s_addc_u32 s35, s11, s1
	s_and_b32 vcc_lo, exec_lo, s2
	s_cbranch_vccnz .LBB414_5
; %bb.1:
	s_cmp_gt_i32 s17, 0
	s_cselect_b32 s1, -1, 0
	s_and_b32 s0, s0, s1
	s_and_saveexec_b32 s10, s0
	s_cbranch_execz .LBB414_4
; %bb.2:
	s_mov_b32 s0, s7
	s_mov_b32 s7, 0
	v_mov_b32_e32 v1, 0
	s_lshl_b64 s[2:3], s[6:7], 2
	s_mov_b32 s7, s0
	s_add_u32 s0, s36, s2
	s_addc_u32 s1, s35, s3
	s_lshl_b64 s[2:3], s[18:19], 2
	s_mov_b32 s11, s17
.LBB414_3:                              ; =>This Inner Loop Header: Depth=1
	s_add_i32 s11, s11, -1
	global_store_dword v1, v1, s[0:1]
	s_add_u32 s0, s0, s2
	s_addc_u32 s1, s1, s3
	s_cmp_eq_u32 s11, 0
	s_cbranch_scc0 .LBB414_3
.LBB414_4:
	s_or_b32 exec_lo, exec_lo, s10
	s_cbranch_execz .LBB414_6
	s_branch .LBB414_80
.LBB414_5:
.LBB414_6:
	s_clause 0x1
	s_load_dwordx4 s[0:3], s[4:5], 0x30
	s_load_dwordx2 s[10:11], s[4:5], 0x40
	s_mul_i32 s9, s9, s7
	s_mul_hi_u32 s19, s8, s7
	s_mul_i32 s8, s8, s7
	s_add_i32 s9, s19, s9
	s_load_dword s19, s[4:5], 0x48
	s_lshl_b64 s[8:9], s[8:9], 1
	v_and_b32_e32 v10, 31, v0
	v_mbcnt_lo_u32_b32 v24, -1, 0
	v_lshrrev_b32_e32 v25, 3, v0
	s_waitcnt lgkmcnt(0)
	s_add_u32 s8, s2, s8
	s_addc_u32 s9, s3, s9
	s_lshl_b64 s[2:3], s[10:11], 1
	s_mul_i32 s1, s1, s7
	s_mul_hi_u32 s20, s0, s7
	s_add_u32 s31, s8, s2
	s_mul_i32 s0, s0, s7
	s_addc_u32 s33, s9, s3
	s_add_i32 s1, s20, s1
	s_load_dword s10, s[4:5], 0x28
	s_lshl_b64 s[20:21], s[0:1], 1
	v_cmp_gt_u32_e64 s0, 32, v0
	s_add_u32 s1, s12, s20
	s_addc_u32 s2, s13, s21
	s_lshl_b64 s[14:15], s[14:15], 1
	s_add_u32 s3, s1, s14
	s_addc_u32 s2, s2, s15
	s_lshl_b32 s1, s6, 10
	s_ashr_i32 s4, s16, 31
	v_lshl_or_b32 v1, v0, 2, s1
	s_lshr_b32 s4, s4, 30
	s_lshr_b32 s5, s22, 30
	s_add_i32 s4, s16, s4
	s_add_i32 s5, s17, s5
	v_ashrrev_i32_e32 v2, 31, v1
	s_and_b32 s4, s4, -4
	v_mul_lo_u32 v9, s19, v1
	s_sub_i32 s34, s16, s4
	v_cmp_gt_u32_e64 s1, 8, v0
	v_lshlrev_b64 v[11:12], 1, v[1:2]
	v_add_nc_u32_e32 v26, 4, v1
	v_add_nc_u32_e32 v27, s34, v1
	s_and_b32 s37, s5, -4
	s_cmp_lt_i32 s37, 1
	v_add_co_u32 v22, vcc_lo, s3, v11
	v_add_co_ci_u32_e64 v23, null, s2, v12, vcc_lo
	s_cbranch_scc1 .LBB414_55
; %bb.7:
	v_cmp_gt_u32_e32 vcc_lo, 24, v24
	v_mul_lo_u32 v13, s19, v1
	s_cmp_gt_i32 s34, 0
	s_mov_b32 s9, 0
	s_cselect_b32 s38, -1, 0
	v_cndmask_b32_e64 v2, 0, 8, vcc_lo
	v_cmp_gt_u32_e32 vcc_lo, 28, v24
	s_waitcnt lgkmcnt(0)
	s_lshl_b32 s39, s10, 2
	s_lshl_b32 s8, s10, 1
	v_ashrrev_i32_e32 v14, 31, v13
	v_add_lshl_u32 v29, v2, v24, 2
	v_cndmask_b32_e64 v3, 0, 4, vcc_lo
	v_cmp_gt_u32_e32 vcc_lo, 30, v24
	s_add_u32 s7, s20, s14
	v_lshlrev_b64 v[5:6], 1, v[13:14]
	s_addc_u32 s22, s21, s15
	v_add_lshl_u32 v30, v3, v24, 2
	v_cndmask_b32_e64 v1, 0, 2, vcc_lo
	v_cmp_ne_u32_e32 vcc_lo, 31, v24
	s_add_u32 s7, s12, s7
	s_addc_u32 s22, s13, s22
	v_cmp_ge_i32_e64 s2, s16, v26
	v_add_lshl_u32 v31, v1, v24, 2
	v_add_nc_u32_e32 v1, s19, v13
	v_add_co_ci_u32_e64 v4, null, 0, v24, vcc_lo
	v_add_co_u32 v14, vcc_lo, s31, v5
	v_add_nc_u32_e32 v3, s19, v1
	v_ashrrev_i32_e32 v2, 31, v1
	v_lshlrev_b32_e32 v32, 2, v4
	v_add_co_ci_u32_e64 v15, null, s33, v6, vcc_lo
	v_add_nc_u32_e32 v7, s19, v3
	v_lshlrev_b64 v[1:2], 1, v[1:2]
	v_ashrrev_i32_e32 v4, 31, v3
	v_mov_b32_e32 v5, 0
	v_cmp_ge_i32_e64 s3, s16, v27
	v_ashrrev_i32_e32 v8, 31, v7
	v_lshl_or_b32 v28, v24, 2, 64
	v_lshlrev_b64 v[3:4], 1, v[3:4]
	v_add_co_u32 v16, vcc_lo, s31, v1
	v_add_co_ci_u32_e64 v17, null, s33, v2, vcc_lo
	v_lshlrev_b64 v[1:2], 1, v[7:8]
	v_add_co_u32 v18, vcc_lo, s31, v3
	v_mov_b32_e32 v6, v5
	v_mov_b32_e32 v7, v5
	;; [unrolled: 1-line block ×3, first 2 shown]
	v_add_co_ci_u32_e64 v19, null, s33, v4, vcc_lo
	v_add_co_u32 v20, vcc_lo, s31, v1
	v_add_co_ci_u32_e64 v21, null, s33, v2, vcc_lo
	v_add_co_u32 v35, vcc_lo, s7, v11
	v_mov_b32_e32 v1, v5
	v_cmp_eq_u32_e64 s4, 0, v10
	v_lshlrev_b32_e32 v33, 2, v10
	v_and_b32_e32 v34, 28, v25
	v_cmp_eq_u32_e64 s5, 0, v0
	v_add_co_ci_u32_e64 v36, null, s22, v12, vcc_lo
	v_mov_b32_e32 v2, v6
	v_mov_b32_e32 v3, v7
	;; [unrolled: 1-line block ×3, first 2 shown]
	s_mov_b32 s11, s9
	s_mul_i32 s40, s10, 3
	s_mov_b32 s41, s9
	s_mov_b32 s22, s9
	s_mov_b64 s[24:25], s[8:9]
	s_mov_b64 s[26:27], s[10:11]
	s_mov_b32 s11, 0
	s_branch .LBB414_9
.LBB414_8:                              ;   in Loop: Header=BB414_9 Depth=1
	s_or_b32 exec_lo, exec_lo, s7
	s_add_i32 s11, s11, 4
	s_add_u32 s26, s26, s39
	s_addc_u32 s27, s27, 0
	s_add_u32 s24, s24, s39
	s_addc_u32 s25, s25, 0
	;; [unrolled: 2-line block ×3, first 2 shown]
	s_add_i32 s22, s22, s39
	s_cmp_ge_i32 s11, s37
	s_cbranch_scc1 .LBB414_56
.LBB414_9:                              ; =>This Loop Header: Depth=1
                                        ;     Child Loop BB414_40 Depth 2
                                        ;     Child Loop BB414_43 Depth 2
                                        ; implicit-def: $vgpr8
                                        ; implicit-def: $vgpr37
                                        ; implicit-def: $vgpr38
                                        ; implicit-def: $vgpr39
	s_and_saveexec_b32 s7, s2
	s_xor_b32 s7, exec_lo, s7
	s_cbranch_execnz .LBB414_36
; %bb.10:                               ;   in Loop: Header=BB414_9 Depth=1
	s_andn2_saveexec_b32 s42, s7
	s_cbranch_execnz .LBB414_37
.LBB414_11:                             ;   in Loop: Header=BB414_9 Depth=1
	s_or_b32 exec_lo, exec_lo, s42
	s_and_saveexec_b32 s7, s0
.LBB414_12:                             ;   in Loop: Header=BB414_9 Depth=1
	ds_write_b32 v33, v5
.LBB414_13:                             ;   in Loop: Header=BB414_9 Depth=1
	s_or_b32 exec_lo, exec_lo, s7
	ds_bpermute_b32 v6, v28, v39
	s_waitcnt lgkmcnt(0)
	s_waitcnt_vscnt null, 0x0
	s_barrier
	buffer_gl0_inv
	v_add_f32_e32 v6, v39, v6
	ds_bpermute_b32 v7, v29, v6
	s_waitcnt lgkmcnt(0)
	v_add_f32_e32 v6, v6, v7
	ds_bpermute_b32 v7, v30, v6
	s_waitcnt lgkmcnt(0)
	;; [unrolled: 3-line block ×3, first 2 shown]
	v_add_f32_e32 v6, v6, v7
	ds_bpermute_b32 v7, v32, v6
	s_and_saveexec_b32 s7, s4
	s_cbranch_execz .LBB414_15
; %bb.14:                               ;   in Loop: Header=BB414_9 Depth=1
	s_waitcnt lgkmcnt(0)
	v_add_f32_e32 v6, v6, v7
	ds_write_b32 v34, v6
.LBB414_15:                             ;   in Loop: Header=BB414_9 Depth=1
	s_or_b32 exec_lo, exec_lo, s7
	v_mov_b32_e32 v6, 0
	s_waitcnt lgkmcnt(0)
	s_barrier
	buffer_gl0_inv
	s_and_saveexec_b32 s7, s1
	s_cbranch_execnz .LBB414_44
; %bb.16:                               ;   in Loop: Header=BB414_9 Depth=1
	s_or_b32 exec_lo, exec_lo, s7
	s_and_saveexec_b32 s7, s0
	s_cbranch_execnz .LBB414_45
.LBB414_17:                             ;   in Loop: Header=BB414_9 Depth=1
	s_or_b32 exec_lo, exec_lo, s7
	s_and_saveexec_b32 s7, s0
.LBB414_18:                             ;   in Loop: Header=BB414_9 Depth=1
	ds_write_b32 v33, v5
.LBB414_19:                             ;   in Loop: Header=BB414_9 Depth=1
	s_or_b32 exec_lo, exec_lo, s7
	ds_bpermute_b32 v7, v28, v38
	s_waitcnt lgkmcnt(0)
	s_barrier
	buffer_gl0_inv
	v_add_f32_e32 v7, v38, v7
	ds_bpermute_b32 v38, v29, v7
	s_waitcnt lgkmcnt(0)
	v_add_f32_e32 v7, v7, v38
	ds_bpermute_b32 v38, v30, v7
	s_waitcnt lgkmcnt(0)
	;; [unrolled: 3-line block ×3, first 2 shown]
	v_add_f32_e32 v7, v7, v38
	ds_bpermute_b32 v38, v32, v7
	s_and_saveexec_b32 s7, s4
	s_cbranch_execz .LBB414_21
; %bb.20:                               ;   in Loop: Header=BB414_9 Depth=1
	s_waitcnt lgkmcnt(0)
	v_add_f32_e32 v7, v7, v38
	ds_write_b32 v34, v7
.LBB414_21:                             ;   in Loop: Header=BB414_9 Depth=1
	s_or_b32 exec_lo, exec_lo, s7
	v_mov_b32_e32 v7, 0
	s_waitcnt lgkmcnt(0)
	s_barrier
	buffer_gl0_inv
	s_and_saveexec_b32 s7, s1
	s_cbranch_execnz .LBB414_46
; %bb.22:                               ;   in Loop: Header=BB414_9 Depth=1
	s_or_b32 exec_lo, exec_lo, s7
	s_and_saveexec_b32 s7, s0
	s_cbranch_execnz .LBB414_47
.LBB414_23:                             ;   in Loop: Header=BB414_9 Depth=1
	s_or_b32 exec_lo, exec_lo, s7
	s_and_saveexec_b32 s7, s0
.LBB414_24:                             ;   in Loop: Header=BB414_9 Depth=1
	ds_write_b32 v33, v5
.LBB414_25:                             ;   in Loop: Header=BB414_9 Depth=1
	s_or_b32 exec_lo, exec_lo, s7
	ds_bpermute_b32 v38, v28, v37
	s_waitcnt lgkmcnt(0)
	s_barrier
	buffer_gl0_inv
	v_add_f32_e32 v37, v37, v38
	ds_bpermute_b32 v38, v29, v37
	s_waitcnt lgkmcnt(0)
	v_add_f32_e32 v37, v37, v38
	ds_bpermute_b32 v38, v30, v37
	s_waitcnt lgkmcnt(0)
	;; [unrolled: 3-line block ×3, first 2 shown]
	v_add_f32_e32 v37, v37, v38
	ds_bpermute_b32 v38, v32, v37
	s_and_saveexec_b32 s7, s4
	s_cbranch_execz .LBB414_27
; %bb.26:                               ;   in Loop: Header=BB414_9 Depth=1
	s_waitcnt lgkmcnt(0)
	v_add_f32_e32 v37, v37, v38
	ds_write_b32 v34, v37
.LBB414_27:                             ;   in Loop: Header=BB414_9 Depth=1
	s_or_b32 exec_lo, exec_lo, s7
	v_mov_b32_e32 v37, 0
	s_waitcnt lgkmcnt(0)
	s_barrier
	buffer_gl0_inv
	s_and_saveexec_b32 s7, s1
	s_cbranch_execnz .LBB414_48
; %bb.28:                               ;   in Loop: Header=BB414_9 Depth=1
	s_or_b32 exec_lo, exec_lo, s7
	s_and_saveexec_b32 s7, s0
	s_cbranch_execnz .LBB414_49
.LBB414_29:                             ;   in Loop: Header=BB414_9 Depth=1
	s_or_b32 exec_lo, exec_lo, s7
	s_and_saveexec_b32 s7, s0
.LBB414_30:                             ;   in Loop: Header=BB414_9 Depth=1
	ds_write_b32 v33, v5
.LBB414_31:                             ;   in Loop: Header=BB414_9 Depth=1
	s_or_b32 exec_lo, exec_lo, s7
	ds_bpermute_b32 v38, v28, v8
	s_waitcnt lgkmcnt(0)
	s_barrier
	buffer_gl0_inv
	v_add_f32_e32 v8, v8, v38
	ds_bpermute_b32 v38, v29, v8
	s_waitcnt lgkmcnt(0)
	v_add_f32_e32 v8, v8, v38
	ds_bpermute_b32 v38, v30, v8
	s_waitcnt lgkmcnt(0)
	;; [unrolled: 3-line block ×3, first 2 shown]
	v_add_f32_e32 v8, v8, v38
	ds_bpermute_b32 v38, v32, v8
	s_and_saveexec_b32 s7, s4
	s_cbranch_execz .LBB414_33
; %bb.32:                               ;   in Loop: Header=BB414_9 Depth=1
	s_waitcnt lgkmcnt(0)
	v_add_f32_e32 v8, v8, v38
	ds_write_b32 v34, v8
.LBB414_33:                             ;   in Loop: Header=BB414_9 Depth=1
	s_or_b32 exec_lo, exec_lo, s7
	v_mov_b32_e32 v8, 0
	s_waitcnt lgkmcnt(0)
	s_barrier
	buffer_gl0_inv
	s_and_saveexec_b32 s7, s1
	s_cbranch_execnz .LBB414_50
; %bb.34:                               ;   in Loop: Header=BB414_9 Depth=1
	s_or_b32 exec_lo, exec_lo, s7
	s_and_saveexec_b32 s7, s0
	s_cbranch_execnz .LBB414_51
.LBB414_35:                             ;   in Loop: Header=BB414_9 Depth=1
	s_or_b32 exec_lo, exec_lo, s7
	s_and_saveexec_b32 s7, s5
	s_cbranch_execz .LBB414_8
	s_branch .LBB414_52
.LBB414_36:                             ;   in Loop: Header=BB414_9 Depth=1
	s_mul_i32 s28, s11, s10
	s_ashr_i32 s29, s28, 31
	s_add_i32 s42, s28, s10
	s_lshl_b64 s[28:29], s[28:29], 1
	s_ashr_i32 s43, s42, 31
	v_add_co_u32 v1, vcc_lo, v22, s28
	v_add_co_ci_u32_e64 v2, null, s29, v23, vcc_lo
	s_lshl_b64 s[28:29], s[42:43], 1
	s_add_i32 s42, s42, s10
	v_add_co_u32 v3, vcc_lo, v22, s28
	s_ashr_i32 s43, s42, 31
	s_add_i32 s28, s42, s10
	v_add_co_ci_u32_e64 v4, null, s29, v23, vcc_lo
	s_lshl_b64 s[42:43], s[42:43], 1
	s_ashr_i32 s29, s28, 31
	v_add_co_u32 v6, vcc_lo, v22, s42
	s_lshl_b64 s[28:29], s[28:29], 1
	v_add_co_ci_u32_e64 v7, null, s43, v23, vcc_lo
	v_add_co_u32 v37, vcc_lo, v22, s28
	v_add_co_ci_u32_e64 v38, null, s29, v23, vcc_lo
	s_waitcnt lgkmcnt(0)
	global_load_ushort v8, v[14:15], off
	s_clause 0x3
	global_load_dwordx2 v[39:40], v[1:2], off
	global_load_dwordx2 v[41:42], v[3:4], off
	;; [unrolled: 1-line block ×4, first 2 shown]
	s_clause 0x2
	global_load_ushort v3, v[16:17], off
	global_load_ushort v4, v[18:19], off
	;; [unrolled: 1-line block ×3, first 2 shown]
	s_waitcnt vmcnt(7)
	v_cvt_f32_f16_e32 v1, v8
	s_waitcnt vmcnt(6)
	v_fma_mix_f32 v37, v8, v39, 0 op_sel_hi:[1,1,0]
	s_waitcnt vmcnt(5)
	v_fma_mix_f32 v38, v8, v41, 0 op_sel_hi:[1,1,0]
	;; [unrolled: 2-line block ×4, first 2 shown]
	s_waitcnt vmcnt(2)
	v_cvt_f32_f16_e32 v2, v3
	v_fma_mix_f32 v37, v3, v39, v37 op_sel:[0,1,0] op_sel_hi:[1,1,0]
	v_fma_mix_f32 v38, v3, v41, v38 op_sel:[0,1,0] op_sel_hi:[1,1,0]
	;; [unrolled: 1-line block ×4, first 2 shown]
	s_waitcnt vmcnt(1)
	v_cvt_f32_f16_e32 v3, v4
	v_fma_mix_f32 v37, v4, v40, v37 op_sel_hi:[1,1,0]
	v_fma_mix_f32 v38, v4, v42, v38 op_sel_hi:[1,1,0]
	;; [unrolled: 1-line block ×4, first 2 shown]
	s_waitcnt vmcnt(0)
	v_cvt_f32_f16_e32 v4, v45
	v_fma_mix_f32 v39, v45, v40, v37 op_sel:[0,1,0] op_sel_hi:[1,1,0]
	v_fma_mix_f32 v38, v45, v42, v38 op_sel:[0,1,0] op_sel_hi:[1,1,0]
	v_fma_mix_f32 v37, v45, v7, v6 op_sel:[0,1,0] op_sel_hi:[1,1,0]
	v_fma_mix_f32 v8, v45, v44, v8 op_sel:[0,1,0] op_sel_hi:[1,1,0]
	s_andn2_saveexec_b32 s42, s7
	s_cbranch_execz .LBB414_11
.LBB414_37:                             ;   in Loop: Header=BB414_9 Depth=1
	s_waitcnt lgkmcnt(0)
	v_mov_b32_e32 v8, 0
	v_mov_b32_e32 v37, 0
	;; [unrolled: 1-line block ×4, first 2 shown]
	s_and_saveexec_b32 s43, s3
	s_cbranch_execz .LBB414_54
; %bb.38:                               ;   in Loop: Header=BB414_9 Depth=1
	s_andn2_b32 vcc_lo, exec_lo, s38
	s_cbranch_vccnz .LBB414_41
; %bb.39:                               ;   in Loop: Header=BB414_9 Depth=1
	v_mov_b32_e32 v6, v13
	s_mov_b64 s[28:29], 0
	.p2align	6
.LBB414_40:                             ;   Parent Loop BB414_9 Depth=1
                                        ; =>  This Inner Loop Header: Depth=2
	v_ashrrev_i32_e32 v7, 31, v6
	s_cmp_eq_u32 s28, 3
	v_lshlrev_b64 v[7:8], 1, v[6:7]
	v_add_nc_u32_e32 v6, s19, v6
	v_add_co_u32 v7, vcc_lo, s31, v7
	v_add_co_ci_u32_e64 v8, null, s33, v8, vcc_lo
	s_cselect_b32 vcc_lo, -1, 0
	s_cmp_eq_u32 s28, 2
	s_cselect_b32 s7, -1, 0
	global_load_ushort v7, v[7:8], off
	s_cmp_eq_u32 s28, 1
	s_cselect_b32 s8, -1, 0
	s_cmp_eq_u32 s28, 0
	s_waitcnt vmcnt(0)
	v_cvt_f32_f16_e32 v7, v7
	v_cndmask_b32_e32 v4, v4, v7, vcc_lo
	s_cselect_b32 vcc_lo, -1, 0
	v_cndmask_b32_e64 v3, v3, v7, s7
	v_cndmask_b32_e64 v2, v2, v7, s8
	v_cndmask_b32_e32 v1, v1, v7, vcc_lo
	s_add_u32 s28, s28, 1
	s_addc_u32 s29, s29, 0
	s_cmp_eq_u32 s34, s28
	s_cbranch_scc0 .LBB414_40
.LBB414_41:                             ;   in Loop: Header=BB414_9 Depth=1
	s_andn2_b32 vcc_lo, exec_lo, s38
	s_cbranch_vccnz .LBB414_53
; %bb.42:                               ;   in Loop: Header=BB414_9 Depth=1
	s_ashr_i32 s23, s22, 31
	v_mov_b32_e32 v39, 0
	s_lshl_b64 s[28:29], s[22:23], 1
	v_mov_b32_e32 v38, 0
	v_add_co_u32 v6, vcc_lo, v35, s28
	v_add_co_ci_u32_e64 v7, null, s29, v36, vcc_lo
	v_mov_b32_e32 v37, 0
	v_mov_b32_e32 v8, 0
	s_mov_b64 s[28:29], 0
.LBB414_43:                             ;   Parent Loop BB414_9 Depth=1
                                        ; =>  This Inner Loop Header: Depth=2
	s_cmp_eq_u32 s28, 1
	s_cselect_b32 vcc_lo, -1, 0
	s_cmp_eq_u32 s28, 2
	v_cndmask_b32_e32 v40, v1, v2, vcc_lo
	s_cselect_b32 vcc_lo, -1, 0
	s_cmp_eq_u32 s28, 3
	v_cndmask_b32_e32 v46, v40, v3, vcc_lo
	s_cselect_b32 vcc_lo, -1, 0
	s_add_i32 s44, s26, s28
	s_add_i32 s46, s24, s28
	s_ashr_i32 s45, s44, 31
	s_add_i32 s48, s40, s28
	s_ashr_i32 s47, s46, 31
	s_lshl_b64 s[44:45], s[44:45], 1
	s_ashr_i32 s49, s48, 31
	s_lshl_b64 s[46:47], s[46:47], 1
	v_add_co_u32 v40, s7, v22, s44
	s_lshl_b64 s[48:49], s[48:49], 1
	v_add_co_ci_u32_e64 v41, null, s45, v23, s7
	v_add_co_u32 v42, s7, v22, s46
	v_add_co_ci_u32_e64 v43, null, s47, v23, s7
	v_add_co_u32 v44, s7, v22, s48
	v_add_co_ci_u32_e64 v45, null, s49, v23, s7
	global_load_ushort v47, v[6:7], off
	s_clause 0x2
	global_load_ushort v40, v[40:41], off
	global_load_ushort v41, v[42:43], off
	global_load_ushort v42, v[44:45], off
	v_cndmask_b32_e32 v43, v46, v4, vcc_lo
	v_add_co_u32 v6, s7, v6, 2
	v_add_co_ci_u32_e64 v7, null, 0, v7, s7
	s_add_u32 s28, s28, 1
	s_addc_u32 s29, s29, 0
	s_cmp_lg_u32 s34, s28
	s_waitcnt vmcnt(3)
	v_fma_mix_f32 v39, v43, v47, v39 op_sel_hi:[0,1,0]
	s_waitcnt vmcnt(2)
	v_fma_mix_f32 v38, v43, v40, v38 op_sel_hi:[0,1,0]
	;; [unrolled: 2-line block ×4, first 2 shown]
	s_cbranch_scc1 .LBB414_43
	s_branch .LBB414_54
.LBB414_44:                             ;   in Loop: Header=BB414_9 Depth=1
	ds_read_b32 v6, v33
	s_or_b32 exec_lo, exec_lo, s7
	s_and_saveexec_b32 s7, s0
	s_cbranch_execz .LBB414_17
.LBB414_45:                             ;   in Loop: Header=BB414_9 Depth=1
	s_waitcnt lgkmcnt(0)
	ds_bpermute_b32 v7, v30, v6
	s_waitcnt lgkmcnt(0)
	v_add_f32_e32 v6, v6, v7
	ds_bpermute_b32 v7, v31, v6
	s_waitcnt lgkmcnt(0)
	v_add_f32_e32 v6, v6, v7
	;; [unrolled: 3-line block ×3, first 2 shown]
	s_or_b32 exec_lo, exec_lo, s7
	s_and_saveexec_b32 s7, s0
	s_cbranch_execnz .LBB414_18
	s_branch .LBB414_19
.LBB414_46:                             ;   in Loop: Header=BB414_9 Depth=1
	ds_read_b32 v7, v33
	s_or_b32 exec_lo, exec_lo, s7
	s_and_saveexec_b32 s7, s0
	s_cbranch_execz .LBB414_23
.LBB414_47:                             ;   in Loop: Header=BB414_9 Depth=1
	s_waitcnt lgkmcnt(0)
	ds_bpermute_b32 v38, v30, v7
	s_waitcnt lgkmcnt(0)
	v_add_f32_e32 v7, v7, v38
	ds_bpermute_b32 v38, v31, v7
	s_waitcnt lgkmcnt(0)
	v_add_f32_e32 v7, v7, v38
	;; [unrolled: 3-line block ×3, first 2 shown]
	s_or_b32 exec_lo, exec_lo, s7
	s_and_saveexec_b32 s7, s0
	s_cbranch_execnz .LBB414_24
	s_branch .LBB414_25
.LBB414_48:                             ;   in Loop: Header=BB414_9 Depth=1
	ds_read_b32 v37, v33
	s_or_b32 exec_lo, exec_lo, s7
	s_and_saveexec_b32 s7, s0
	s_cbranch_execz .LBB414_29
.LBB414_49:                             ;   in Loop: Header=BB414_9 Depth=1
	s_waitcnt lgkmcnt(0)
	ds_bpermute_b32 v38, v30, v37
	s_waitcnt lgkmcnt(0)
	v_add_f32_e32 v37, v37, v38
	ds_bpermute_b32 v38, v31, v37
	s_waitcnt lgkmcnt(0)
	v_add_f32_e32 v37, v37, v38
	;; [unrolled: 3-line block ×3, first 2 shown]
	s_or_b32 exec_lo, exec_lo, s7
	s_and_saveexec_b32 s7, s0
	s_cbranch_execnz .LBB414_30
	s_branch .LBB414_31
.LBB414_50:                             ;   in Loop: Header=BB414_9 Depth=1
	ds_read_b32 v8, v33
	s_or_b32 exec_lo, exec_lo, s7
	s_and_saveexec_b32 s7, s0
	s_cbranch_execz .LBB414_35
.LBB414_51:                             ;   in Loop: Header=BB414_9 Depth=1
	s_waitcnt lgkmcnt(0)
	ds_bpermute_b32 v38, v30, v8
	s_waitcnt lgkmcnt(0)
	v_add_f32_e32 v8, v8, v38
	ds_bpermute_b32 v38, v31, v8
	s_waitcnt lgkmcnt(0)
	v_add_f32_e32 v8, v8, v38
	;; [unrolled: 3-line block ×3, first 2 shown]
	s_or_b32 exec_lo, exec_lo, s7
	s_and_saveexec_b32 s7, s5
	s_cbranch_execz .LBB414_8
.LBB414_52:                             ;   in Loop: Header=BB414_9 Depth=1
	s_mul_i32 s8, s11, s18
	v_mul_f32_e32 v6, s30, v6
	s_add_i32 s8, s8, s6
	v_mul_f32_e32 v7, s30, v7
	s_lshl_b64 s[28:29], s[8:9], 2
	v_mul_f32_e32 v37, s30, v37
	s_add_u32 s28, s36, s28
	s_addc_u32 s29, s35, s29
	s_add_i32 s8, s8, s18
	global_store_dword v5, v6, s[28:29]
	s_lshl_b64 s[42:43], s[8:9], 2
	s_waitcnt lgkmcnt(0)
	v_mul_f32_e32 v6, s30, v8
	s_add_u32 s42, s36, s42
	s_addc_u32 s43, s35, s43
	s_add_i32 s8, s8, s18
	global_store_dword v5, v7, s[42:43]
	s_lshl_b64 s[44:45], s[8:9], 2
	s_add_u32 s28, s36, s44
	s_addc_u32 s29, s35, s45
	s_add_i32 s8, s8, s18
	s_lshl_b64 s[44:45], s[8:9], 2
	s_add_u32 s42, s36, s44
	s_addc_u32 s43, s35, s45
	global_store_dword v5, v37, s[28:29]
	global_store_dword v5, v6, s[42:43]
	s_branch .LBB414_8
.LBB414_53:                             ;   in Loop: Header=BB414_9 Depth=1
	v_mov_b32_e32 v8, 0
	v_mov_b32_e32 v37, 0
	;; [unrolled: 1-line block ×4, first 2 shown]
.LBB414_54:                             ;   in Loop: Header=BB414_9 Depth=1
	s_or_b32 exec_lo, exec_lo, s43
	s_or_b32 exec_lo, exec_lo, s42
	s_and_saveexec_b32 s7, s0
	s_cbranch_execnz .LBB414_12
	s_branch .LBB414_13
.LBB414_55:
	v_mov_b32_e32 v1, 0
	s_mov_b32 s11, 0
	v_mov_b32_e32 v2, v1
	v_mov_b32_e32 v3, v1
	;; [unrolled: 1-line block ×3, first 2 shown]
.LBB414_56:
	s_cmp_ge_i32 s11, s17
	s_cbranch_scc1 .LBB414_80
; %bb.57:
	v_cmp_gt_u32_e32 vcc_lo, 24, v24
	v_lshlrev_b32_e32 v17, 2, v10
	v_cmp_eq_u32_e64 s3, 0, v10
	v_ashrrev_i32_e32 v10, 31, v9
	v_cmp_ge_i32_e64 s0, s16, v26
	v_cndmask_b32_e64 v5, 0, 8, vcc_lo
	v_cmp_gt_u32_e32 vcc_lo, 28, v24
	v_lshl_or_b32 v18, v24, 2, 64
	v_lshlrev_b64 v[13:14], 1, v[9:10]
	v_cmp_ge_i32_e64 s1, s16, v27
	v_add_lshl_u32 v19, v5, v24, 2
	v_cndmask_b32_e64 v6, 0, 4, vcc_lo
	v_cmp_gt_u32_e32 vcc_lo, 30, v24
	v_add_nc_u32_e32 v5, s19, v9
	s_cmp_gt_i32 s34, 0
	s_mov_b32 s7, 0
	v_add_lshl_u32 v20, v6, v24, 2
	v_cndmask_b32_e64 v7, 0, 2, vcc_lo
	v_cmp_ne_u32_e32 vcc_lo, 31, v24
	v_ashrrev_i32_e32 v6, 31, v5
	s_cselect_b32 s16, -1, 0
	s_lshl_b64 s[8:9], s[6:7], 2
	v_add_lshl_u32 v21, v7, v24, 2
	v_add_nc_u32_e32 v7, s19, v5
	s_waitcnt lgkmcnt(0)
	v_add_co_ci_u32_e64 v8, null, 0, v24, vcc_lo
	v_lshlrev_b64 v[15:16], 1, v[5:6]
	v_add_co_u32 v5, vcc_lo, s31, v13
	v_add_nc_u32_e32 v26, s19, v7
	v_lshlrev_b32_e32 v24, 2, v8
	v_ashrrev_i32_e32 v8, 31, v7
	v_add_co_ci_u32_e64 v6, null, s33, v14, vcc_lo
	v_ashrrev_i32_e32 v27, 31, v26
	s_add_u32 s22, s36, s8
	v_lshlrev_b64 v[13:14], 1, v[7:8]
	v_add_co_u32 v7, vcc_lo, s31, v15
	v_add_co_ci_u32_e64 v8, null, s33, v16, vcc_lo
	v_lshlrev_b64 v[15:16], 1, v[26:27]
	s_addc_u32 s23, s35, s9
	v_add_co_u32 v13, vcc_lo, s31, v13
	s_add_u32 s6, s20, s14
	s_addc_u32 s8, s21, s15
	v_add_co_ci_u32_e64 v14, null, s33, v14, vcc_lo
	v_add_co_u32 v15, vcc_lo, s31, v15
	s_add_u32 s6, s12, s6
	v_cmp_gt_u32_e64 s2, 32, v0
	v_cmp_gt_u32_e64 s4, 8, v0
	v_cmp_eq_u32_e64 s5, 0, v0
	v_add_co_ci_u32_e64 v16, null, s33, v16, vcc_lo
	s_addc_u32 s8, s13, s8
	v_add_co_u32 v0, vcc_lo, s6, v11
	v_and_b32_e32 v25, 28, v25
	v_add_co_ci_u32_e64 v12, null, s8, v12, vcc_lo
	v_mov_b32_e32 v26, 0
	s_mul_i32 s12, s11, s10
	s_branch .LBB414_59
.LBB414_58:                             ;   in Loop: Header=BB414_59 Depth=1
	s_or_b32 exec_lo, exec_lo, s6
	s_add_i32 s11, s11, 1
	s_add_i32 s12, s12, s10
	s_cmp_ge_i32 s11, s17
	s_cbranch_scc1 .LBB414_80
.LBB414_59:                             ; =>This Loop Header: Depth=1
                                        ;     Child Loop BB414_72 Depth 2
                                        ;     Child Loop BB414_75 Depth 2
	v_mov_b32_e32 v27, s7
	s_and_saveexec_b32 s6, s0
	s_xor_b32 s6, exec_lo, s6
	s_cbranch_execnz .LBB414_68
; %bb.60:                               ;   in Loop: Header=BB414_59 Depth=1
	s_andn2_saveexec_b32 s20, s6
	s_cbranch_execnz .LBB414_69
.LBB414_61:                             ;   in Loop: Header=BB414_59 Depth=1
	s_or_b32 exec_lo, exec_lo, s20
	s_and_saveexec_b32 s6, s2
.LBB414_62:                             ;   in Loop: Header=BB414_59 Depth=1
	ds_write_b32 v17, v26
.LBB414_63:                             ;   in Loop: Header=BB414_59 Depth=1
	s_or_b32 exec_lo, exec_lo, s6
	s_waitcnt lgkmcnt(0)
	ds_bpermute_b32 v10, v18, v27
	s_waitcnt lgkmcnt(0)
	s_waitcnt_vscnt null, 0x0
	s_barrier
	buffer_gl0_inv
	v_add_f32_e32 v10, v27, v10
	ds_bpermute_b32 v11, v19, v10
	s_waitcnt lgkmcnt(0)
	v_add_f32_e32 v10, v10, v11
	ds_bpermute_b32 v11, v20, v10
	s_waitcnt lgkmcnt(0)
	;; [unrolled: 3-line block ×3, first 2 shown]
	v_add_f32_e32 v10, v10, v11
	ds_bpermute_b32 v11, v24, v10
	s_and_saveexec_b32 s6, s3
	s_cbranch_execz .LBB414_65
; %bb.64:                               ;   in Loop: Header=BB414_59 Depth=1
	s_waitcnt lgkmcnt(0)
	v_add_f32_e32 v10, v10, v11
	ds_write_b32 v25, v10
.LBB414_65:                             ;   in Loop: Header=BB414_59 Depth=1
	s_or_b32 exec_lo, exec_lo, s6
	v_mov_b32_e32 v10, 0
	s_waitcnt lgkmcnt(0)
	s_barrier
	buffer_gl0_inv
	s_and_saveexec_b32 s6, s4
	s_cbranch_execnz .LBB414_77
; %bb.66:                               ;   in Loop: Header=BB414_59 Depth=1
	s_or_b32 exec_lo, exec_lo, s6
	s_and_saveexec_b32 s6, s2
	s_cbranch_execnz .LBB414_78
.LBB414_67:                             ;   in Loop: Header=BB414_59 Depth=1
	s_or_b32 exec_lo, exec_lo, s6
	s_and_saveexec_b32 s6, s5
	s_cbranch_execz .LBB414_58
	s_branch .LBB414_79
.LBB414_68:                             ;   in Loop: Header=BB414_59 Depth=1
	s_mul_i32 s8, s11, s10
	s_ashr_i32 s9, s8, 31
	s_lshl_b64 s[8:9], s[8:9], 1
	v_add_co_u32 v1, vcc_lo, v22, s8
	v_add_co_ci_u32_e64 v2, null, s9, v23, vcc_lo
	s_waitcnt lgkmcnt(0)
	global_load_dwordx2 v[10:11], v[1:2], off
	s_clause 0x3
	global_load_ushort v1, v[5:6], off
	global_load_ushort v2, v[7:8], off
	;; [unrolled: 1-line block ×4, first 2 shown]
	s_waitcnt vmcnt(3)
	v_fma_mix_f32 v4, v1, v10, 0 op_sel_hi:[1,1,0]
	v_cvt_f32_f16_e32 v1, v1
	s_waitcnt vmcnt(2)
	v_fma_mix_f32 v4, v2, v10, v4 op_sel:[0,1,0] op_sel_hi:[1,1,0]
	v_cvt_f32_f16_e32 v2, v2
	s_waitcnt vmcnt(1)
	v_fma_mix_f32 v10, v3, v11, v4 op_sel_hi:[1,1,0]
	v_cvt_f32_f16_e32 v3, v3
	s_waitcnt vmcnt(0)
	v_cvt_f32_f16_e32 v4, v27
	v_fma_mix_f32 v27, v27, v11, v10 op_sel:[0,1,0] op_sel_hi:[1,1,0]
	s_andn2_saveexec_b32 s20, s6
	s_cbranch_execz .LBB414_61
.LBB414_69:                             ;   in Loop: Header=BB414_59 Depth=1
	s_and_saveexec_b32 s21, s1
	s_cbranch_execz .LBB414_76
; %bb.70:                               ;   in Loop: Header=BB414_59 Depth=1
	s_andn2_b32 vcc_lo, exec_lo, s16
	s_cbranch_vccnz .LBB414_73
; %bb.71:                               ;   in Loop: Header=BB414_59 Depth=1
	s_waitcnt lgkmcnt(0)
	v_mov_b32_e32 v10, v9
	s_mov_b64 s[14:15], 0
	.p2align	6
.LBB414_72:                             ;   Parent Loop BB414_59 Depth=1
                                        ; =>  This Inner Loop Header: Depth=2
	v_ashrrev_i32_e32 v11, 31, v10
	s_cmp_eq_u32 s14, 3
	v_lshlrev_b64 v[28:29], 1, v[10:11]
	v_add_nc_u32_e32 v10, s19, v10
	v_add_co_u32 v28, vcc_lo, s31, v28
	v_add_co_ci_u32_e64 v29, null, s33, v29, vcc_lo
	s_cselect_b32 vcc_lo, -1, 0
	s_cmp_eq_u32 s14, 2
	s_cselect_b32 s6, -1, 0
	global_load_ushort v11, v[28:29], off
	s_cmp_eq_u32 s14, 1
	s_cselect_b32 s8, -1, 0
	s_cmp_eq_u32 s14, 0
	s_waitcnt vmcnt(0)
	v_cvt_f32_f16_e32 v11, v11
	v_cndmask_b32_e32 v4, v4, v11, vcc_lo
	s_cselect_b32 vcc_lo, -1, 0
	v_cndmask_b32_e64 v3, v3, v11, s6
	v_cndmask_b32_e64 v2, v2, v11, s8
	v_cndmask_b32_e32 v1, v1, v11, vcc_lo
	s_add_u32 s14, s14, 1
	s_addc_u32 s15, s15, 0
	s_cmp_eq_u32 s34, s14
	s_cbranch_scc0 .LBB414_72
.LBB414_73:                             ;   in Loop: Header=BB414_59 Depth=1
	s_andn2_b32 vcc_lo, exec_lo, s16
	s_cbranch_vccnz .LBB414_76
; %bb.74:                               ;   in Loop: Header=BB414_59 Depth=1
	s_ashr_i32 s13, s12, 31
	s_lshl_b64 s[8:9], s[12:13], 1
	s_waitcnt lgkmcnt(0)
	v_add_co_u32 v10, vcc_lo, v0, s8
	v_add_co_ci_u32_e64 v11, null, s9, v12, vcc_lo
	s_mov_b64 s[8:9], 0
	.p2align	6
.LBB414_75:                             ;   Parent Loop BB414_59 Depth=1
                                        ; =>  This Inner Loop Header: Depth=2
	global_load_ushort v28, v[10:11], off
	s_cmp_eq_u32 s8, 1
	s_cselect_b32 vcc_lo, -1, 0
	s_cmp_eq_u32 s8, 2
	v_cndmask_b32_e32 v29, v1, v2, vcc_lo
	s_cselect_b32 vcc_lo, -1, 0
	s_cmp_eq_u32 s8, 3
	v_cndmask_b32_e32 v29, v29, v3, vcc_lo
	s_cselect_b32 vcc_lo, -1, 0
	s_add_u32 s8, s8, 1
	s_addc_u32 s9, s9, 0
	s_cmp_lg_u32 s34, s8
	v_cndmask_b32_e32 v29, v29, v4, vcc_lo
	v_add_co_u32 v10, vcc_lo, v10, 2
	v_add_co_ci_u32_e64 v11, null, 0, v11, vcc_lo
	s_waitcnt vmcnt(0)
	v_fma_mix_f32 v27, v29, v28, v27 op_sel_hi:[0,1,0]
	s_cbranch_scc1 .LBB414_75
.LBB414_76:                             ;   in Loop: Header=BB414_59 Depth=1
	s_or_b32 exec_lo, exec_lo, s21
	s_or_b32 exec_lo, exec_lo, s20
	s_and_saveexec_b32 s6, s2
	s_cbranch_execnz .LBB414_62
	s_branch .LBB414_63
.LBB414_77:                             ;   in Loop: Header=BB414_59 Depth=1
	ds_read_b32 v10, v17
	s_or_b32 exec_lo, exec_lo, s6
	s_and_saveexec_b32 s6, s2
	s_cbranch_execz .LBB414_67
.LBB414_78:                             ;   in Loop: Header=BB414_59 Depth=1
	s_waitcnt lgkmcnt(0)
	ds_bpermute_b32 v11, v20, v10
	s_waitcnt lgkmcnt(0)
	v_add_f32_e32 v10, v10, v11
	ds_bpermute_b32 v11, v21, v10
	s_waitcnt lgkmcnt(0)
	v_add_f32_e32 v10, v10, v11
	;; [unrolled: 3-line block ×3, first 2 shown]
	s_or_b32 exec_lo, exec_lo, s6
	s_and_saveexec_b32 s6, s5
	s_cbranch_execz .LBB414_58
.LBB414_79:                             ;   in Loop: Header=BB414_59 Depth=1
	s_mul_hi_u32 s9, s11, s18
	s_mul_i32 s8, s11, s18
	s_waitcnt lgkmcnt(0)
	v_mul_f32_e32 v10, s30, v10
	s_lshl_b64 s[8:9], s[8:9], 2
	s_add_u32 s8, s22, s8
	s_addc_u32 s9, s23, s9
	global_store_dword v26, v10, s[8:9]
	s_branch .LBB414_58
.LBB414_80:
	s_endpgm
	.section	.rodata,"a",@progbits
	.p2align	6, 0x0
	.amdhsa_kernel _ZL23rocblas_gemvt_sn_kernelILb1ELi256ELi4EiDF16_PKffEviiT4_lPKT3_lilS5_lilPT5_i
		.amdhsa_group_segment_fixed_size 128
		.amdhsa_private_segment_fixed_size 0
		.amdhsa_kernarg_size 360
		.amdhsa_user_sgpr_count 6
		.amdhsa_user_sgpr_private_segment_buffer 1
		.amdhsa_user_sgpr_dispatch_ptr 0
		.amdhsa_user_sgpr_queue_ptr 0
		.amdhsa_user_sgpr_kernarg_segment_ptr 1
		.amdhsa_user_sgpr_dispatch_id 0
		.amdhsa_user_sgpr_flat_scratch_init 0
		.amdhsa_user_sgpr_private_segment_size 0
		.amdhsa_wavefront_size32 1
		.amdhsa_uses_dynamic_stack 0
		.amdhsa_system_sgpr_private_segment_wavefront_offset 0
		.amdhsa_system_sgpr_workgroup_id_x 1
		.amdhsa_system_sgpr_workgroup_id_y 0
		.amdhsa_system_sgpr_workgroup_id_z 1
		.amdhsa_system_sgpr_workgroup_info 0
		.amdhsa_system_vgpr_workitem_id 0
		.amdhsa_next_free_vgpr 48
		.amdhsa_next_free_sgpr 50
		.amdhsa_reserve_vcc 1
		.amdhsa_reserve_flat_scratch 0
		.amdhsa_float_round_mode_32 0
		.amdhsa_float_round_mode_16_64 0
		.amdhsa_float_denorm_mode_32 3
		.amdhsa_float_denorm_mode_16_64 3
		.amdhsa_dx10_clamp 1
		.amdhsa_ieee_mode 1
		.amdhsa_fp16_overflow 0
		.amdhsa_workgroup_processor_mode 1
		.amdhsa_memory_ordered 1
		.amdhsa_forward_progress 1
		.amdhsa_shared_vgpr_count 0
		.amdhsa_exception_fp_ieee_invalid_op 0
		.amdhsa_exception_fp_denorm_src 0
		.amdhsa_exception_fp_ieee_div_zero 0
		.amdhsa_exception_fp_ieee_overflow 0
		.amdhsa_exception_fp_ieee_underflow 0
		.amdhsa_exception_fp_ieee_inexact 0
		.amdhsa_exception_int_div_zero 0
	.end_amdhsa_kernel
	.section	.text._ZL23rocblas_gemvt_sn_kernelILb1ELi256ELi4EiDF16_PKffEviiT4_lPKT3_lilS5_lilPT5_i,"axG",@progbits,_ZL23rocblas_gemvt_sn_kernelILb1ELi256ELi4EiDF16_PKffEviiT4_lPKT3_lilS5_lilPT5_i,comdat
.Lfunc_end414:
	.size	_ZL23rocblas_gemvt_sn_kernelILb1ELi256ELi4EiDF16_PKffEviiT4_lPKT3_lilS5_lilPT5_i, .Lfunc_end414-_ZL23rocblas_gemvt_sn_kernelILb1ELi256ELi4EiDF16_PKffEviiT4_lPKT3_lilS5_lilPT5_i
                                        ; -- End function
	.set _ZL23rocblas_gemvt_sn_kernelILb1ELi256ELi4EiDF16_PKffEviiT4_lPKT3_lilS5_lilPT5_i.num_vgpr, 48
	.set _ZL23rocblas_gemvt_sn_kernelILb1ELi256ELi4EiDF16_PKffEviiT4_lPKT3_lilS5_lilPT5_i.num_agpr, 0
	.set _ZL23rocblas_gemvt_sn_kernelILb1ELi256ELi4EiDF16_PKffEviiT4_lPKT3_lilS5_lilPT5_i.numbered_sgpr, 50
	.set _ZL23rocblas_gemvt_sn_kernelILb1ELi256ELi4EiDF16_PKffEviiT4_lPKT3_lilS5_lilPT5_i.num_named_barrier, 0
	.set _ZL23rocblas_gemvt_sn_kernelILb1ELi256ELi4EiDF16_PKffEviiT4_lPKT3_lilS5_lilPT5_i.private_seg_size, 0
	.set _ZL23rocblas_gemvt_sn_kernelILb1ELi256ELi4EiDF16_PKffEviiT4_lPKT3_lilS5_lilPT5_i.uses_vcc, 1
	.set _ZL23rocblas_gemvt_sn_kernelILb1ELi256ELi4EiDF16_PKffEviiT4_lPKT3_lilS5_lilPT5_i.uses_flat_scratch, 0
	.set _ZL23rocblas_gemvt_sn_kernelILb1ELi256ELi4EiDF16_PKffEviiT4_lPKT3_lilS5_lilPT5_i.has_dyn_sized_stack, 0
	.set _ZL23rocblas_gemvt_sn_kernelILb1ELi256ELi4EiDF16_PKffEviiT4_lPKT3_lilS5_lilPT5_i.has_recursion, 0
	.set _ZL23rocblas_gemvt_sn_kernelILb1ELi256ELi4EiDF16_PKffEviiT4_lPKT3_lilS5_lilPT5_i.has_indirect_call, 0
	.section	.AMDGPU.csdata,"",@progbits
; Kernel info:
; codeLenInByte = 4268
; TotalNumSgprs: 52
; NumVgprs: 48
; ScratchSize: 0
; MemoryBound: 0
; FloatMode: 240
; IeeeMode: 1
; LDSByteSize: 128 bytes/workgroup (compile time only)
; SGPRBlocks: 0
; VGPRBlocks: 5
; NumSGPRsForWavesPerEU: 52
; NumVGPRsForWavesPerEU: 48
; Occupancy: 16
; WaveLimiterHint : 1
; COMPUTE_PGM_RSRC2:SCRATCH_EN: 0
; COMPUTE_PGM_RSRC2:USER_SGPR: 6
; COMPUTE_PGM_RSRC2:TRAP_HANDLER: 0
; COMPUTE_PGM_RSRC2:TGID_X_EN: 1
; COMPUTE_PGM_RSRC2:TGID_Y_EN: 0
; COMPUTE_PGM_RSRC2:TGID_Z_EN: 1
; COMPUTE_PGM_RSRC2:TIDIG_COMP_CNT: 0
	.section	.text._ZL23rocblas_gemvt_sn_kernelILb1ELi256ELi4ElDF16_PKffEviiT4_lPKT3_lilS5_lilPT5_i,"axG",@progbits,_ZL23rocblas_gemvt_sn_kernelILb1ELi256ELi4ElDF16_PKffEviiT4_lPKT3_lilS5_lilPT5_i,comdat
	.globl	_ZL23rocblas_gemvt_sn_kernelILb1ELi256ELi4ElDF16_PKffEviiT4_lPKT3_lilS5_lilPT5_i ; -- Begin function _ZL23rocblas_gemvt_sn_kernelILb1ELi256ELi4ElDF16_PKffEviiT4_lPKT3_lilS5_lilPT5_i
	.p2align	8
	.type	_ZL23rocblas_gemvt_sn_kernelILb1ELi256ELi4ElDF16_PKffEviiT4_lPKT3_lilS5_lilPT5_i,@function
_ZL23rocblas_gemvt_sn_kernelILb1ELi256ELi4ElDF16_PKffEviiT4_lPKT3_lilS5_lilPT5_i: ; @_ZL23rocblas_gemvt_sn_kernelILb1ELi256ELi4ElDF16_PKffEviiT4_lPKT3_lilS5_lilPT5_i
; %bb.0:
	s_clause 0x2
	s_load_dwordx8 s[8:15], s[4:5], 0x8
	s_load_dwordx2 s[20:21], s[4:5], 0x0
	s_load_dword s22, s[4:5], 0x68
	s_mov_b32 s23, 0
	s_waitcnt lgkmcnt(0)
	s_mul_i32 s1, s11, s7
	s_mul_hi_u32 s2, s10, s7
	s_mul_i32 s0, s10, s7
	s_add_i32 s1, s2, s1
	s_mul_i32 s2, s21, s7
	s_lshl_b64 s[0:1], s[0:1], 2
	s_add_u32 s0, s8, s0
	s_addc_u32 s1, s9, s1
	s_load_dword s33, s[0:1], 0x0
	s_load_dwordx4 s[16:19], s[4:5], 0x50
	s_ashr_i32 s30, s21, 31
	s_mul_hi_u32 s0, s21, s7
	s_mul_i32 s1, s30, s7
	s_add_i32 s0, s0, s1
	s_mul_hi_u32 s1, s2, s22
	s_mul_i32 s3, s0, s22
	s_mul_i32 s0, s2, s22
	s_add_i32 s1, s1, s3
	s_lshl_b64 s[0:1], s[0:1], 2
	s_waitcnt lgkmcnt(0)
	v_cmp_neq_f32_e64 s2, s33, 0
	s_add_u32 s42, s18, s0
	v_cmp_eq_u32_e64 s0, 0, v0
	s_addc_u32 s43, s19, s1
	s_and_b32 vcc_lo, exec_lo, s2
	s_cbranch_vccnz .LBB415_5
; %bb.1:
	s_cmp_gt_i32 s21, 0
	s_cselect_b32 s1, -1, 0
	s_and_b32 s0, s0, s1
	s_and_saveexec_b32 s8, s0
	s_cbranch_execz .LBB415_4
; %bb.2:
	s_mov_b32 s0, s7
	s_mov_b32 s7, 0
	v_mov_b32_e32 v1, 0
	s_lshl_b64 s[2:3], s[6:7], 2
	s_mov_b32 s7, s0
	s_add_u32 s0, s42, s2
	s_addc_u32 s1, s43, s3
	s_lshl_b64 s[2:3], s[22:23], 2
	s_mov_b32 s9, s21
.LBB415_3:                              ; =>This Inner Loop Header: Depth=1
	s_add_i32 s9, s9, -1
	global_store_dword v1, v1, s[0:1]
	s_add_u32 s0, s0, s2
	s_addc_u32 s1, s1, s3
	s_cmp_eq_u32 s9, 0
	s_cbranch_scc0 .LBB415_3
.LBB415_4:
	s_or_b32 exec_lo, exec_lo, s8
	s_cbranch_execz .LBB415_6
	s_branch .LBB415_80
.LBB415_5:
.LBB415_6:
	s_clause 0x3
	s_load_dword s18, s[4:5], 0x28
	s_load_dword s24, s[4:5], 0x48
	s_load_dwordx4 s[8:11], s[4:5], 0x30
	s_load_dwordx2 s[0:1], s[4:5], 0x40
	s_mul_i32 s3, s17, s7
	s_mul_hi_u32 s4, s16, s7
	s_mul_i32 s2, s16, s7
	s_add_i32 s3, s4, s3
	v_and_b32_e32 v26, 31, v0
	s_lshl_b64 s[16:17], s[2:3], 1
	v_mbcnt_lo_u32_b32 v29, -1, 0
	v_lshrrev_b32_e32 v31, 3, v0
	s_waitcnt lgkmcnt(0)
	s_ashr_i32 s19, s18, 31
	s_ashr_i32 s25, s24, 31
	s_add_u32 s5, s10, s16
	s_mul_i32 s3, s9, s7
	s_addc_u32 s9, s11, s17
	s_lshl_b64 s[28:29], s[0:1], 1
	s_mul_hi_u32 s4, s8, s7
	s_add_u32 s44, s5, s28
	s_mul_i32 s2, s8, s7
	s_addc_u32 s45, s9, s29
	s_add_i32 s3, s4, s3
	v_cmp_gt_u32_e64 s0, 32, v0
	s_lshl_b64 s[26:27], s[2:3], 1
	v_cmp_gt_u32_e64 s1, 8, v0
	s_add_u32 s2, s12, s26
	s_addc_u32 s3, s13, s27
	s_lshl_b64 s[14:15], s[14:15], 1
	s_add_u32 s2, s2, s14
	s_addc_u32 s3, s3, s15
	s_lshl_b32 s4, s6, 10
	s_ashr_i32 s5, s20, 31
	v_lshl_or_b32 v13, v0, 2, s4
	s_lshr_b32 s4, s30, 30
	s_lshr_b32 s5, s5, 30
	s_add_i32 s4, s21, s4
	s_add_i32 s5, s20, s5
	v_ashrrev_i32_e32 v14, 31, v13
	s_and_b32 s46, s4, -4
	s_and_b32 s4, s5, -4
	v_add_nc_u32_e32 v32, 4, v13
	s_sub_i32 s23, s20, s4
	v_lshlrev_b64 v[11:12], 1, v[13:14]
	v_or_b32_e32 v30, 1, v13
	v_or_b32_e32 v28, 2, v13
	v_add_nc_u32_e32 v33, s23, v13
	v_or_b32_e32 v27, 3, v13
	s_cmp_lt_i32 s46, 1
	v_add_co_u32 v9, vcc_lo, s2, v11
	v_add_co_ci_u32_e64 v10, null, s3, v12, vcc_lo
	s_cbranch_scc1 .LBB415_55
; %bb.7:
	v_cmp_gt_u32_e32 vcc_lo, 24, v29
	v_mad_i64_i32 v[5:6], null, s24, v28, 0
	v_mad_i64_i32 v[7:8], null, s24, v27, 0
	v_cndmask_b32_e64 v1, 0, 8, vcc_lo
	v_cmp_gt_u32_e32 vcc_lo, 28, v29
	s_cmp_gt_i32 s23, 0
	s_mov_b32 s7, 0
	v_lshlrev_b64 v[5:6], 1, v[5:6]
	v_add_lshl_u32 v35, v1, v29, 2
	v_cndmask_b32_e64 v2, 0, 4, vcc_lo
	v_cmp_gt_u32_e32 vcc_lo, 30, v29
	s_cselect_b32 s47, -1, 0
	s_lshl_b64 s[8:9], s[6:7], 2
	v_mov_b32_e32 v25, v10
	v_add_lshl_u32 v36, v2, v29, 2
	v_cndmask_b32_e64 v3, 0, 2, vcc_lo
	v_cmp_ne_u32_e32 vcc_lo, 31, v29
	v_mad_i64_i32 v[1:2], null, s24, v13, 0
	s_add_u32 s48, s42, s8
	v_add_lshl_u32 v37, v3, v29, 2
	v_add_co_ci_u32_e64 v4, null, 0, v29, vcc_lo
	s_addc_u32 s49, s43, s9
	s_add_u32 s8, s10, s28
	v_lshlrev_b64 v[1:2], 1, v[1:2]
	v_lshlrev_b32_e32 v38, 2, v4
	v_mad_i64_i32 v[3:4], null, s24, v30, 0
	s_addc_u32 s9, s11, s29
	s_add_u32 s8, s8, s16
	v_add_co_u32 v14, vcc_lo, s44, v1
	v_add_co_ci_u32_e64 v15, null, s45, v2, vcc_lo
	v_lshlrev_b64 v[3:4], 1, v[3:4]
	s_addc_u32 s9, s9, s17
	v_cmp_ge_i32_e64 s2, s20, v32
	v_cmp_ge_i32_e64 s3, s20, v33
	v_lshl_or_b32 v34, v29, 2, 64
	v_cmp_eq_u32_e64 s4, 0, v26
	v_add_co_u32 v16, vcc_lo, s44, v3
	v_add_co_ci_u32_e64 v17, null, s45, v4, vcc_lo
	v_lshlrev_b64 v[3:4], 1, v[7:8]
	v_add_co_u32 v18, vcc_lo, s44, v5
	v_mov_b32_e32 v5, 0
	v_add_co_ci_u32_e64 v19, null, s45, v6, vcc_lo
	v_add_co_u32 v20, vcc_lo, s44, v3
	v_mov_b32_e32 v6, v5
	v_mov_b32_e32 v7, v5
	;; [unrolled: 1-line block ×3, first 2 shown]
	v_add_co_ci_u32_e64 v21, null, s45, v4, vcc_lo
	v_add_co_u32 v22, vcc_lo, s8, v1
	v_add_co_ci_u32_e64 v23, null, s9, v2, vcc_lo
	v_mov_b32_e32 v1, v5
	v_lshlrev_b32_e32 v39, 2, v26
	v_and_b32_e32 v40, 28, v31
	v_cmp_eq_u32_e64 s5, 0, v0
	v_mov_b32_e32 v24, v9
	v_mov_b32_e32 v2, v6
	;; [unrolled: 1-line block ×4, first 2 shown]
	s_lshl_b64 s[30:31], s[24:25], 1
	s_lshl_b64 s[34:35], s[18:19], 3
	;; [unrolled: 1-line block ×4, first 2 shown]
	s_mul_hi_i32 s50, s18, 6
	s_mul_i32 s51, s18, 6
	s_branch .LBB415_9
.LBB415_8:                              ;   in Loop: Header=BB415_9 Depth=1
	s_or_b32 exec_lo, exec_lo, s8
	v_add_co_u32 v24, vcc_lo, v24, s34
	v_add_co_ci_u32_e64 v25, null, s35, v25, vcc_lo
	s_add_i32 s7, s7, 4
	s_cmp_ge_i32 s7, s46
	s_cbranch_scc1 .LBB415_56
.LBB415_9:                              ; =>This Loop Header: Depth=1
                                        ;     Child Loop BB415_40 Depth 2
                                        ;     Child Loop BB415_43 Depth 2
                                        ; implicit-def: $vgpr8
                                        ; implicit-def: $vgpr41
                                        ; implicit-def: $vgpr42
                                        ; implicit-def: $vgpr43
	s_and_saveexec_b32 s8, s2
	s_xor_b32 s8, exec_lo, s8
	s_cbranch_execnz .LBB415_36
; %bb.10:                               ;   in Loop: Header=BB415_9 Depth=1
	s_andn2_saveexec_b32 s52, s8
	s_cbranch_execnz .LBB415_37
.LBB415_11:                             ;   in Loop: Header=BB415_9 Depth=1
	s_or_b32 exec_lo, exec_lo, s52
	s_and_saveexec_b32 s8, s0
.LBB415_12:                             ;   in Loop: Header=BB415_9 Depth=1
	ds_write_b32 v39, v5
.LBB415_13:                             ;   in Loop: Header=BB415_9 Depth=1
	s_or_b32 exec_lo, exec_lo, s8
	ds_bpermute_b32 v6, v34, v43
	s_waitcnt lgkmcnt(0)
	s_waitcnt_vscnt null, 0x0
	s_barrier
	buffer_gl0_inv
	v_add_f32_e32 v6, v43, v6
	ds_bpermute_b32 v7, v35, v6
	s_waitcnt lgkmcnt(0)
	v_add_f32_e32 v6, v6, v7
	ds_bpermute_b32 v7, v36, v6
	s_waitcnt lgkmcnt(0)
	;; [unrolled: 3-line block ×3, first 2 shown]
	v_add_f32_e32 v6, v6, v7
	ds_bpermute_b32 v7, v38, v6
	s_and_saveexec_b32 s8, s4
	s_cbranch_execz .LBB415_15
; %bb.14:                               ;   in Loop: Header=BB415_9 Depth=1
	s_waitcnt lgkmcnt(0)
	v_add_f32_e32 v6, v6, v7
	ds_write_b32 v40, v6
.LBB415_15:                             ;   in Loop: Header=BB415_9 Depth=1
	s_or_b32 exec_lo, exec_lo, s8
	v_mov_b32_e32 v6, 0
	s_waitcnt lgkmcnt(0)
	s_barrier
	buffer_gl0_inv
	s_and_saveexec_b32 s8, s1
	s_cbranch_execnz .LBB415_44
; %bb.16:                               ;   in Loop: Header=BB415_9 Depth=1
	s_or_b32 exec_lo, exec_lo, s8
	s_and_saveexec_b32 s8, s0
	s_cbranch_execnz .LBB415_45
.LBB415_17:                             ;   in Loop: Header=BB415_9 Depth=1
	s_or_b32 exec_lo, exec_lo, s8
	s_and_saveexec_b32 s8, s0
.LBB415_18:                             ;   in Loop: Header=BB415_9 Depth=1
	ds_write_b32 v39, v5
.LBB415_19:                             ;   in Loop: Header=BB415_9 Depth=1
	s_or_b32 exec_lo, exec_lo, s8
	ds_bpermute_b32 v7, v34, v42
	s_waitcnt lgkmcnt(0)
	s_barrier
	buffer_gl0_inv
	v_add_f32_e32 v7, v42, v7
	ds_bpermute_b32 v42, v35, v7
	s_waitcnt lgkmcnt(0)
	v_add_f32_e32 v7, v7, v42
	ds_bpermute_b32 v42, v36, v7
	s_waitcnt lgkmcnt(0)
	;; [unrolled: 3-line block ×3, first 2 shown]
	v_add_f32_e32 v7, v7, v42
	ds_bpermute_b32 v42, v38, v7
	s_and_saveexec_b32 s8, s4
	s_cbranch_execz .LBB415_21
; %bb.20:                               ;   in Loop: Header=BB415_9 Depth=1
	s_waitcnt lgkmcnt(0)
	v_add_f32_e32 v7, v7, v42
	ds_write_b32 v40, v7
.LBB415_21:                             ;   in Loop: Header=BB415_9 Depth=1
	s_or_b32 exec_lo, exec_lo, s8
	v_mov_b32_e32 v7, 0
	s_waitcnt lgkmcnt(0)
	s_barrier
	buffer_gl0_inv
	s_and_saveexec_b32 s8, s1
	s_cbranch_execnz .LBB415_46
; %bb.22:                               ;   in Loop: Header=BB415_9 Depth=1
	s_or_b32 exec_lo, exec_lo, s8
	s_and_saveexec_b32 s8, s0
	s_cbranch_execnz .LBB415_47
.LBB415_23:                             ;   in Loop: Header=BB415_9 Depth=1
	s_or_b32 exec_lo, exec_lo, s8
	s_and_saveexec_b32 s8, s0
.LBB415_24:                             ;   in Loop: Header=BB415_9 Depth=1
	ds_write_b32 v39, v5
.LBB415_25:                             ;   in Loop: Header=BB415_9 Depth=1
	s_or_b32 exec_lo, exec_lo, s8
	ds_bpermute_b32 v42, v34, v41
	s_waitcnt lgkmcnt(0)
	s_barrier
	buffer_gl0_inv
	v_add_f32_e32 v41, v41, v42
	ds_bpermute_b32 v42, v35, v41
	s_waitcnt lgkmcnt(0)
	v_add_f32_e32 v41, v41, v42
	ds_bpermute_b32 v42, v36, v41
	s_waitcnt lgkmcnt(0)
	;; [unrolled: 3-line block ×3, first 2 shown]
	v_add_f32_e32 v41, v41, v42
	ds_bpermute_b32 v42, v38, v41
	s_and_saveexec_b32 s8, s4
	s_cbranch_execz .LBB415_27
; %bb.26:                               ;   in Loop: Header=BB415_9 Depth=1
	s_waitcnt lgkmcnt(0)
	v_add_f32_e32 v41, v41, v42
	ds_write_b32 v40, v41
.LBB415_27:                             ;   in Loop: Header=BB415_9 Depth=1
	s_or_b32 exec_lo, exec_lo, s8
	v_mov_b32_e32 v41, 0
	s_waitcnt lgkmcnt(0)
	s_barrier
	buffer_gl0_inv
	s_and_saveexec_b32 s8, s1
	s_cbranch_execnz .LBB415_48
; %bb.28:                               ;   in Loop: Header=BB415_9 Depth=1
	s_or_b32 exec_lo, exec_lo, s8
	s_and_saveexec_b32 s8, s0
	s_cbranch_execnz .LBB415_49
.LBB415_29:                             ;   in Loop: Header=BB415_9 Depth=1
	s_or_b32 exec_lo, exec_lo, s8
	s_and_saveexec_b32 s8, s0
.LBB415_30:                             ;   in Loop: Header=BB415_9 Depth=1
	ds_write_b32 v39, v5
.LBB415_31:                             ;   in Loop: Header=BB415_9 Depth=1
	s_or_b32 exec_lo, exec_lo, s8
	ds_bpermute_b32 v42, v34, v8
	s_waitcnt lgkmcnt(0)
	s_barrier
	buffer_gl0_inv
	v_add_f32_e32 v8, v8, v42
	ds_bpermute_b32 v42, v35, v8
	s_waitcnt lgkmcnt(0)
	v_add_f32_e32 v8, v8, v42
	ds_bpermute_b32 v42, v36, v8
	s_waitcnt lgkmcnt(0)
	;; [unrolled: 3-line block ×3, first 2 shown]
	v_add_f32_e32 v8, v8, v42
	ds_bpermute_b32 v42, v38, v8
	s_and_saveexec_b32 s8, s4
	s_cbranch_execz .LBB415_33
; %bb.32:                               ;   in Loop: Header=BB415_9 Depth=1
	s_waitcnt lgkmcnt(0)
	v_add_f32_e32 v8, v8, v42
	ds_write_b32 v40, v8
.LBB415_33:                             ;   in Loop: Header=BB415_9 Depth=1
	s_or_b32 exec_lo, exec_lo, s8
	v_mov_b32_e32 v8, 0
	s_waitcnt lgkmcnt(0)
	s_barrier
	buffer_gl0_inv
	s_and_saveexec_b32 s8, s1
	s_cbranch_execnz .LBB415_50
; %bb.34:                               ;   in Loop: Header=BB415_9 Depth=1
	s_or_b32 exec_lo, exec_lo, s8
	s_and_saveexec_b32 s8, s0
	s_cbranch_execnz .LBB415_51
.LBB415_35:                             ;   in Loop: Header=BB415_9 Depth=1
	s_or_b32 exec_lo, exec_lo, s8
	s_and_saveexec_b32 s8, s5
	s_cbranch_execz .LBB415_8
	s_branch .LBB415_52
.LBB415_36:                             ;   in Loop: Header=BB415_9 Depth=1
	s_mul_i32 s9, s7, s19
	s_mul_hi_u32 s40, s7, s18
	s_add_i32 s41, s40, s9
	s_mul_i32 s40, s7, s18
	s_or_b32 s9, s7, 1
	s_lshl_b64 s[40:41], s[40:41], 1
	s_mul_i32 s52, s9, s19
	s_mul_hi_u32 s53, s9, s18
	v_add_co_u32 v1, vcc_lo, v9, s40
	v_add_co_ci_u32_e64 v2, null, s41, v10, vcc_lo
	s_add_i32 s41, s53, s52
	s_mul_i32 s40, s9, s18
	s_or_b32 s9, s7, 2
	s_lshl_b64 s[40:41], s[40:41], 1
	s_mul_i32 s52, s9, s19
	s_mul_hi_u32 s53, s9, s18
	v_add_co_u32 v3, vcc_lo, v9, s40
	v_add_co_ci_u32_e64 v4, null, s41, v10, vcc_lo
	s_add_i32 s41, s53, s52
	s_or_b32 s52, s7, 3
	s_mul_i32 s40, s9, s18
	s_mul_i32 s9, s52, s19
	s_mul_hi_u32 s53, s52, s18
	s_lshl_b64 s[40:41], s[40:41], 1
	s_add_i32 s53, s53, s9
	s_mul_i32 s52, s52, s18
	v_add_co_u32 v6, vcc_lo, v9, s40
	v_add_co_ci_u32_e64 v7, null, s41, v10, vcc_lo
	s_lshl_b64 s[40:41], s[52:53], 1
	v_add_co_u32 v41, vcc_lo, v9, s40
	v_add_co_ci_u32_e64 v42, null, s41, v10, vcc_lo
	s_waitcnt lgkmcnt(0)
	global_load_ushort v8, v[14:15], off
	s_clause 0x3
	global_load_dwordx2 v[43:44], v[1:2], off
	global_load_dwordx2 v[45:46], v[3:4], off
	;; [unrolled: 1-line block ×4, first 2 shown]
	s_clause 0x2
	global_load_ushort v3, v[16:17], off
	global_load_ushort v4, v[18:19], off
	;; [unrolled: 1-line block ×3, first 2 shown]
	s_waitcnt vmcnt(7)
	v_cvt_f32_f16_e32 v1, v8
	s_waitcnt vmcnt(6)
	v_fma_mix_f32 v41, v8, v43, 0 op_sel_hi:[1,1,0]
	s_waitcnt vmcnt(5)
	v_fma_mix_f32 v42, v8, v45, 0 op_sel_hi:[1,1,0]
	;; [unrolled: 2-line block ×4, first 2 shown]
	s_waitcnt vmcnt(2)
	v_cvt_f32_f16_e32 v2, v3
	v_fma_mix_f32 v41, v3, v43, v41 op_sel:[0,1,0] op_sel_hi:[1,1,0]
	v_fma_mix_f32 v42, v3, v45, v42 op_sel:[0,1,0] op_sel_hi:[1,1,0]
	;; [unrolled: 1-line block ×4, first 2 shown]
	s_waitcnt vmcnt(1)
	v_cvt_f32_f16_e32 v3, v4
	v_fma_mix_f32 v41, v4, v44, v41 op_sel_hi:[1,1,0]
	v_fma_mix_f32 v42, v4, v46, v42 op_sel_hi:[1,1,0]
	;; [unrolled: 1-line block ×4, first 2 shown]
	s_waitcnt vmcnt(0)
	v_cvt_f32_f16_e32 v4, v49
	v_fma_mix_f32 v43, v49, v44, v41 op_sel:[0,1,0] op_sel_hi:[1,1,0]
	v_fma_mix_f32 v42, v49, v46, v42 op_sel:[0,1,0] op_sel_hi:[1,1,0]
	;; [unrolled: 1-line block ×4, first 2 shown]
	s_andn2_saveexec_b32 s52, s8
	s_cbranch_execz .LBB415_11
.LBB415_37:                             ;   in Loop: Header=BB415_9 Depth=1
	s_waitcnt lgkmcnt(0)
	v_mov_b32_e32 v8, 0
	v_mov_b32_e32 v41, 0
	;; [unrolled: 1-line block ×4, first 2 shown]
	s_and_saveexec_b32 s53, s3
	s_cbranch_execz .LBB415_54
; %bb.38:                               ;   in Loop: Header=BB415_9 Depth=1
	s_andn2_b32 vcc_lo, exec_lo, s47
	s_cbranch_vccnz .LBB415_41
; %bb.39:                               ;   in Loop: Header=BB415_9 Depth=1
	v_mov_b32_e32 v6, v22
	v_mov_b32_e32 v7, v23
	s_mov_b64 s[40:41], 0
	.p2align	6
.LBB415_40:                             ;   Parent Loop BB415_9 Depth=1
                                        ; =>  This Inner Loop Header: Depth=2
	global_load_ushort v8, v[6:7], off
	s_cmp_eq_u32 s40, 3
	v_add_co_u32 v6, vcc_lo, v6, s30
	v_add_co_ci_u32_e64 v7, null, s31, v7, vcc_lo
	s_cselect_b32 vcc_lo, -1, 0
	s_cmp_eq_u32 s40, 2
	s_cselect_b32 s8, -1, 0
	s_cmp_eq_u32 s40, 1
	s_cselect_b32 s9, -1, 0
	s_cmp_eq_u32 s40, 0
	s_waitcnt vmcnt(0)
	v_cvt_f32_f16_e32 v8, v8
	v_cndmask_b32_e32 v4, v4, v8, vcc_lo
	s_cselect_b32 vcc_lo, -1, 0
	v_cndmask_b32_e64 v3, v3, v8, s8
	v_cndmask_b32_e64 v2, v2, v8, s9
	v_cndmask_b32_e32 v1, v1, v8, vcc_lo
	s_add_u32 s40, s40, 1
	s_addc_u32 s41, s41, 0
	s_cmp_eq_u32 s23, s40
	s_cbranch_scc0 .LBB415_40
.LBB415_41:                             ;   in Loop: Header=BB415_9 Depth=1
	s_andn2_b32 vcc_lo, exec_lo, s47
	s_cbranch_vccnz .LBB415_53
; %bb.42:                               ;   in Loop: Header=BB415_9 Depth=1
	v_mov_b32_e32 v6, v24
	v_mov_b32_e32 v43, 0
	;; [unrolled: 1-line block ×6, first 2 shown]
	s_mov_b64 s[40:41], 0
	s_inst_prefetch 0x1
	.p2align	6
.LBB415_43:                             ;   Parent Loop BB415_9 Depth=1
                                        ; =>  This Inner Loop Header: Depth=2
	v_add_co_u32 v44, vcc_lo, v6, s36
	v_add_co_ci_u32_e64 v45, null, s37, v7, vcc_lo
	v_add_co_u32 v46, vcc_lo, v6, s38
	v_add_co_ci_u32_e64 v47, null, s39, v7, vcc_lo
	;; [unrolled: 2-line block ×3, first 2 shown]
	s_clause 0x3
	global_load_ushort v50, v[6:7], off
	global_load_ushort v44, v[44:45], off
	;; [unrolled: 1-line block ×4, first 2 shown]
	s_cmp_eq_u32 s40, 1
	v_add_co_u32 v6, s8, v6, 2
	s_cselect_b32 vcc_lo, -1, 0
	s_cmp_eq_u32 s40, 2
	v_cndmask_b32_e32 v47, v1, v2, vcc_lo
	s_cselect_b32 vcc_lo, -1, 0
	s_cmp_eq_u32 s40, 3
	v_add_co_ci_u32_e64 v7, null, 0, v7, s8
	v_cndmask_b32_e32 v47, v47, v3, vcc_lo
	s_cselect_b32 vcc_lo, -1, 0
	s_add_u32 s40, s40, 1
	s_addc_u32 s41, s41, 0
	s_cmp_lg_u32 s23, s40
	v_cndmask_b32_e32 v47, v47, v4, vcc_lo
	s_waitcnt vmcnt(3)
	v_fma_mix_f32 v43, v47, v50, v43 op_sel_hi:[0,1,0]
	s_waitcnt vmcnt(2)
	v_fma_mix_f32 v42, v47, v44, v42 op_sel_hi:[0,1,0]
	;; [unrolled: 2-line block ×4, first 2 shown]
	s_cbranch_scc1 .LBB415_43
	s_branch .LBB415_54
.LBB415_44:                             ;   in Loop: Header=BB415_9 Depth=1
	ds_read_b32 v6, v39
	s_or_b32 exec_lo, exec_lo, s8
	s_and_saveexec_b32 s8, s0
	s_cbranch_execz .LBB415_17
.LBB415_45:                             ;   in Loop: Header=BB415_9 Depth=1
	s_waitcnt lgkmcnt(0)
	ds_bpermute_b32 v7, v36, v6
	s_waitcnt lgkmcnt(0)
	v_add_f32_e32 v6, v6, v7
	ds_bpermute_b32 v7, v37, v6
	s_waitcnt lgkmcnt(0)
	v_add_f32_e32 v6, v6, v7
	;; [unrolled: 3-line block ×3, first 2 shown]
	s_or_b32 exec_lo, exec_lo, s8
	s_and_saveexec_b32 s8, s0
	s_cbranch_execnz .LBB415_18
	s_branch .LBB415_19
.LBB415_46:                             ;   in Loop: Header=BB415_9 Depth=1
	ds_read_b32 v7, v39
	s_or_b32 exec_lo, exec_lo, s8
	s_and_saveexec_b32 s8, s0
	s_cbranch_execz .LBB415_23
.LBB415_47:                             ;   in Loop: Header=BB415_9 Depth=1
	s_waitcnt lgkmcnt(0)
	ds_bpermute_b32 v42, v36, v7
	s_waitcnt lgkmcnt(0)
	v_add_f32_e32 v7, v7, v42
	ds_bpermute_b32 v42, v37, v7
	s_waitcnt lgkmcnt(0)
	v_add_f32_e32 v7, v7, v42
	ds_bpermute_b32 v42, v38, v7
	s_waitcnt lgkmcnt(0)
	v_add_f32_e32 v7, v7, v42
	s_or_b32 exec_lo, exec_lo, s8
	s_and_saveexec_b32 s8, s0
	s_cbranch_execnz .LBB415_24
	s_branch .LBB415_25
.LBB415_48:                             ;   in Loop: Header=BB415_9 Depth=1
	ds_read_b32 v41, v39
	s_or_b32 exec_lo, exec_lo, s8
	s_and_saveexec_b32 s8, s0
	s_cbranch_execz .LBB415_29
.LBB415_49:                             ;   in Loop: Header=BB415_9 Depth=1
	s_waitcnt lgkmcnt(0)
	ds_bpermute_b32 v42, v36, v41
	s_waitcnt lgkmcnt(0)
	v_add_f32_e32 v41, v41, v42
	ds_bpermute_b32 v42, v37, v41
	s_waitcnt lgkmcnt(0)
	v_add_f32_e32 v41, v41, v42
	;; [unrolled: 3-line block ×3, first 2 shown]
	s_or_b32 exec_lo, exec_lo, s8
	s_and_saveexec_b32 s8, s0
	s_cbranch_execnz .LBB415_30
	s_branch .LBB415_31
.LBB415_50:                             ;   in Loop: Header=BB415_9 Depth=1
	ds_read_b32 v8, v39
	s_or_b32 exec_lo, exec_lo, s8
	s_and_saveexec_b32 s8, s0
	s_cbranch_execz .LBB415_35
.LBB415_51:                             ;   in Loop: Header=BB415_9 Depth=1
	s_waitcnt lgkmcnt(0)
	ds_bpermute_b32 v42, v36, v8
	s_waitcnt lgkmcnt(0)
	v_add_f32_e32 v8, v8, v42
	ds_bpermute_b32 v42, v37, v8
	s_waitcnt lgkmcnt(0)
	v_add_f32_e32 v8, v8, v42
	;; [unrolled: 3-line block ×3, first 2 shown]
	s_or_b32 exec_lo, exec_lo, s8
	s_and_saveexec_b32 s8, s5
	s_cbranch_execz .LBB415_8
.LBB415_52:                             ;   in Loop: Header=BB415_9 Depth=1
	s_mul_hi_u32 s41, s7, s22
	s_mul_i32 s40, s7, s22
	v_mul_f32_e32 v6, s33, v6
	s_lshl_b64 s[40:41], s[40:41], 2
	v_mul_f32_e32 v7, s33, v7
	s_add_u32 s40, s48, s40
	s_addc_u32 s41, s49, s41
	s_or_b32 s9, s7, 1
	global_store_dword v5, v6, s[40:41]
	s_mul_hi_u32 s53, s9, s22
	s_mul_i32 s52, s9, s22
	v_mul_f32_e32 v6, s33, v41
	s_lshl_b64 s[52:53], s[52:53], 2
	s_waitcnt lgkmcnt(0)
	v_mul_f32_e32 v8, s33, v8
	s_add_u32 s52, s48, s52
	s_addc_u32 s53, s49, s53
	s_or_b32 s9, s7, 2
	global_store_dword v5, v7, s[52:53]
	s_mul_hi_u32 s55, s9, s22
	s_mul_i32 s54, s9, s22
	s_lshl_b64 s[54:55], s[54:55], 2
	s_add_u32 s40, s48, s54
	s_addc_u32 s41, s49, s55
	s_or_b32 s9, s7, 3
	s_mul_hi_u32 s55, s9, s22
	s_mul_i32 s54, s9, s22
	s_lshl_b64 s[54:55], s[54:55], 2
	s_add_u32 s52, s48, s54
	s_addc_u32 s53, s49, s55
	global_store_dword v5, v6, s[40:41]
	global_store_dword v5, v8, s[52:53]
	s_branch .LBB415_8
.LBB415_53:                             ;   in Loop: Header=BB415_9 Depth=1
	v_mov_b32_e32 v8, 0
	v_mov_b32_e32 v41, 0
	;; [unrolled: 1-line block ×4, first 2 shown]
.LBB415_54:                             ;   in Loop: Header=BB415_9 Depth=1
	s_inst_prefetch 0x2
	s_or_b32 exec_lo, exec_lo, s53
	s_or_b32 exec_lo, exec_lo, s52
	s_and_saveexec_b32 s8, s0
	s_cbranch_execnz .LBB415_12
	s_branch .LBB415_13
.LBB415_55:
	v_mov_b32_e32 v1, 0
	s_mov_b32 s7, 0
	v_mov_b32_e32 v2, v1
	v_mov_b32_e32 v3, v1
	;; [unrolled: 1-line block ×3, first 2 shown]
.LBB415_56:
	s_cmp_ge_i32 s7, s21
	s_cbranch_scc1 .LBB415_80
; %bb.57:
	v_cmp_gt_u32_e32 vcc_lo, 24, v29
	v_lshl_or_b32 v22, v29, 2, 64
	v_mad_i64_i32 v[15:16], null, s24, v27, 0
	s_cmp_gt_i32 s23, 0
	v_cndmask_b32_e64 v5, 0, 8, vcc_lo
	v_cmp_gt_u32_e32 vcc_lo, 28, v29
	s_mov_b32 s9, 0
	s_mov_b32 s8, s6
	v_cmp_ge_i32_e64 s0, s20, v32
	v_add_lshl_u32 v23, v5, v29, 2
	v_cndmask_b32_e64 v6, 0, 4, vcc_lo
	v_cmp_gt_u32_e32 vcc_lo, 30, v29
	v_cmp_ge_i32_e64 s1, s20, v33
	s_cselect_b32 s20, -1, 0
	s_lshl_b64 s[30:31], s[8:9], 2
	v_add_lshl_u32 v24, v6, v29, 2
	v_cndmask_b32_e64 v7, 0, 2, vcc_lo
	v_cmp_ne_u32_e32 vcc_lo, 31, v29
	v_mad_i64_i32 v[5:6], null, s24, v13, 0
	v_mad_i64_i32 v[13:14], null, s24, v28, 0
	s_waitcnt lgkmcnt(0)
	v_add_co_ci_u32_e64 v8, null, 0, v29, vcc_lo
	v_add_lshl_u32 v25, v7, v29, 2
	s_add_u32 s30, s42, s30
	v_lshlrev_b64 v[17:18], 1, v[5:6]
	v_lshlrev_b32_e32 v29, 2, v8
	v_mad_i64_i32 v[7:8], null, s24, v30, 0
	v_lshlrev_b64 v[13:14], 1, v[13:14]
	v_lshlrev_b64 v[15:16], 1, v[15:16]
	v_add_co_u32 v5, vcc_lo, s44, v17
	s_addc_u32 s31, s43, s31
	v_add_co_ci_u32_e64 v6, null, s45, v18, vcc_lo
	v_lshlrev_b64 v[7:8], 1, v[7:8]
	s_add_u32 s6, s10, s28
	s_addc_u32 s8, s11, s29
	s_mul_i32 s10, s19, s7
	s_mul_hi_u32 s11, s18, s7
	s_add_u32 s6, s6, s16
	v_add_co_u32 v7, vcc_lo, s44, v7
	v_add_co_ci_u32_e64 v8, null, s45, v8, vcc_lo
	v_add_co_u32 v13, vcc_lo, s44, v13
	s_addc_u32 s8, s8, s17
	s_add_i32 s11, s11, s10
	s_mul_i32 s10, s18, s7
	v_add_co_ci_u32_e64 v14, null, s45, v14, vcc_lo
	v_add_co_u32 v15, vcc_lo, s44, v15
	s_lshl_b64 s[16:17], s[10:11], 1
	v_add_co_ci_u32_e64 v16, null, s45, v16, vcc_lo
	v_add_co_u32 v17, vcc_lo, s6, v17
	s_lshl_b64 s[10:11], s[24:25], 1
	s_add_u32 s6, s26, s16
	v_add_co_ci_u32_e64 v18, null, s8, v18, vcc_lo
	s_addc_u32 s8, s27, s17
	s_add_u32 s6, s6, s14
	s_addc_u32 s8, s8, s15
	s_add_u32 s6, s12, s6
	s_addc_u32 s8, s13, s8
	v_add_co_u32 v11, vcc_lo, s6, v11
	v_cmp_gt_u32_e64 s2, 32, v0
	v_lshlrev_b32_e32 v21, 2, v26
	v_cmp_eq_u32_e64 s3, 0, v26
	v_and_b32_e32 v26, 28, v31
	v_cmp_gt_u32_e64 s4, 8, v0
	v_cmp_eq_u32_e64 s5, 0, v0
	v_add_co_ci_u32_e64 v12, null, s8, v12, vcc_lo
	v_mov_b32_e32 v0, 0
	s_lshl_b64 s[12:13], s[18:19], 1
	s_branch .LBB415_59
.LBB415_58:                             ;   in Loop: Header=BB415_59 Depth=1
	s_or_b32 exec_lo, exec_lo, s6
	v_add_co_u32 v11, vcc_lo, v11, s12
	v_add_co_ci_u32_e64 v12, null, s13, v12, vcc_lo
	s_add_i32 s7, s7, 1
	s_cmp_ge_i32 s7, s21
	s_cbranch_scc1 .LBB415_80
.LBB415_59:                             ; =>This Loop Header: Depth=1
                                        ;     Child Loop BB415_72 Depth 2
                                        ;     Child Loop BB415_75 Depth 2
	v_mov_b32_e32 v27, s9
	s_and_saveexec_b32 s6, s0
	s_xor_b32 s6, exec_lo, s6
	s_cbranch_execnz .LBB415_68
; %bb.60:                               ;   in Loop: Header=BB415_59 Depth=1
	s_andn2_saveexec_b32 s16, s6
	s_cbranch_execnz .LBB415_69
.LBB415_61:                             ;   in Loop: Header=BB415_59 Depth=1
	s_or_b32 exec_lo, exec_lo, s16
	s_and_saveexec_b32 s6, s2
.LBB415_62:                             ;   in Loop: Header=BB415_59 Depth=1
	ds_write_b32 v21, v0
.LBB415_63:                             ;   in Loop: Header=BB415_59 Depth=1
	s_or_b32 exec_lo, exec_lo, s6
	s_waitcnt lgkmcnt(0)
	ds_bpermute_b32 v19, v22, v27
	s_waitcnt lgkmcnt(0)
	s_waitcnt_vscnt null, 0x0
	s_barrier
	buffer_gl0_inv
	v_add_f32_e32 v19, v27, v19
	ds_bpermute_b32 v20, v23, v19
	s_waitcnt lgkmcnt(0)
	v_add_f32_e32 v19, v19, v20
	ds_bpermute_b32 v20, v24, v19
	s_waitcnt lgkmcnt(0)
	;; [unrolled: 3-line block ×3, first 2 shown]
	v_add_f32_e32 v19, v19, v20
	ds_bpermute_b32 v20, v29, v19
	s_and_saveexec_b32 s6, s3
	s_cbranch_execz .LBB415_65
; %bb.64:                               ;   in Loop: Header=BB415_59 Depth=1
	s_waitcnt lgkmcnt(0)
	v_add_f32_e32 v19, v19, v20
	ds_write_b32 v26, v19
.LBB415_65:                             ;   in Loop: Header=BB415_59 Depth=1
	s_or_b32 exec_lo, exec_lo, s6
	v_mov_b32_e32 v19, 0
	s_waitcnt lgkmcnt(0)
	s_barrier
	buffer_gl0_inv
	s_and_saveexec_b32 s6, s4
	s_cbranch_execnz .LBB415_77
; %bb.66:                               ;   in Loop: Header=BB415_59 Depth=1
	s_or_b32 exec_lo, exec_lo, s6
	s_and_saveexec_b32 s6, s2
	s_cbranch_execnz .LBB415_78
.LBB415_67:                             ;   in Loop: Header=BB415_59 Depth=1
	s_or_b32 exec_lo, exec_lo, s6
	s_and_saveexec_b32 s6, s5
	s_cbranch_execz .LBB415_58
	s_branch .LBB415_79
.LBB415_68:                             ;   in Loop: Header=BB415_59 Depth=1
	s_mul_i32 s8, s7, s19
	s_mul_hi_u32 s15, s7, s18
	s_mul_i32 s14, s7, s18
	s_add_i32 s15, s15, s8
	s_lshl_b64 s[14:15], s[14:15], 1
	v_add_co_u32 v1, vcc_lo, v9, s14
	v_add_co_ci_u32_e64 v2, null, s15, v10, vcc_lo
	s_waitcnt lgkmcnt(0)
	global_load_dwordx2 v[19:20], v[1:2], off
	s_clause 0x3
	global_load_ushort v1, v[5:6], off
	global_load_ushort v2, v[7:8], off
	;; [unrolled: 1-line block ×4, first 2 shown]
	s_waitcnt vmcnt(3)
	v_fma_mix_f32 v4, v1, v19, 0 op_sel_hi:[1,1,0]
	v_cvt_f32_f16_e32 v1, v1
	s_waitcnt vmcnt(2)
	v_fma_mix_f32 v4, v2, v19, v4 op_sel:[0,1,0] op_sel_hi:[1,1,0]
	v_cvt_f32_f16_e32 v2, v2
	s_waitcnt vmcnt(1)
	v_fma_mix_f32 v19, v3, v20, v4 op_sel_hi:[1,1,0]
	v_cvt_f32_f16_e32 v3, v3
	s_waitcnt vmcnt(0)
	v_cvt_f32_f16_e32 v4, v27
	v_fma_mix_f32 v27, v27, v20, v19 op_sel:[0,1,0] op_sel_hi:[1,1,0]
	s_andn2_saveexec_b32 s16, s6
	s_cbranch_execz .LBB415_61
.LBB415_69:                             ;   in Loop: Header=BB415_59 Depth=1
	s_and_saveexec_b32 s17, s1
	s_cbranch_execz .LBB415_76
; %bb.70:                               ;   in Loop: Header=BB415_59 Depth=1
	s_andn2_b32 vcc_lo, exec_lo, s20
	s_cbranch_vccnz .LBB415_73
; %bb.71:                               ;   in Loop: Header=BB415_59 Depth=1
	s_waitcnt lgkmcnt(0)
	v_mov_b32_e32 v20, v18
	v_mov_b32_e32 v19, v17
	s_mov_b64 s[14:15], 0
	.p2align	6
.LBB415_72:                             ;   Parent Loop BB415_59 Depth=1
                                        ; =>  This Inner Loop Header: Depth=2
	global_load_ushort v28, v[19:20], off
	s_cmp_eq_u32 s14, 3
	v_add_co_u32 v19, vcc_lo, v19, s10
	v_add_co_ci_u32_e64 v20, null, s11, v20, vcc_lo
	s_cselect_b32 vcc_lo, -1, 0
	s_cmp_eq_u32 s14, 2
	s_cselect_b32 s6, -1, 0
	s_cmp_eq_u32 s14, 1
	s_cselect_b32 s8, -1, 0
	s_cmp_eq_u32 s14, 0
	s_waitcnt vmcnt(0)
	v_cvt_f32_f16_e32 v28, v28
	v_cndmask_b32_e32 v4, v4, v28, vcc_lo
	s_cselect_b32 vcc_lo, -1, 0
	v_cndmask_b32_e64 v3, v3, v28, s6
	v_cndmask_b32_e64 v2, v2, v28, s8
	v_cndmask_b32_e32 v1, v1, v28, vcc_lo
	s_add_u32 s14, s14, 1
	s_addc_u32 s15, s15, 0
	s_cmp_eq_u32 s23, s14
	s_cbranch_scc0 .LBB415_72
.LBB415_73:                             ;   in Loop: Header=BB415_59 Depth=1
	s_andn2_b32 vcc_lo, exec_lo, s20
	s_cbranch_vccnz .LBB415_76
; %bb.74:                               ;   in Loop: Header=BB415_59 Depth=1
	s_waitcnt lgkmcnt(0)
	v_mov_b32_e32 v20, v12
	v_mov_b32_e32 v19, v11
	s_mov_b64 s[14:15], 0
	.p2align	6
.LBB415_75:                             ;   Parent Loop BB415_59 Depth=1
                                        ; =>  This Inner Loop Header: Depth=2
	global_load_ushort v28, v[19:20], off
	s_cmp_eq_u32 s14, 1
	s_cselect_b32 vcc_lo, -1, 0
	s_cmp_eq_u32 s14, 2
	v_cndmask_b32_e32 v30, v1, v2, vcc_lo
	s_cselect_b32 vcc_lo, -1, 0
	s_cmp_eq_u32 s14, 3
	v_cndmask_b32_e32 v30, v30, v3, vcc_lo
	s_cselect_b32 vcc_lo, -1, 0
	s_add_u32 s14, s14, 1
	s_addc_u32 s15, s15, 0
	s_cmp_lg_u32 s23, s14
	v_cndmask_b32_e32 v30, v30, v4, vcc_lo
	v_add_co_u32 v19, vcc_lo, v19, 2
	v_add_co_ci_u32_e64 v20, null, 0, v20, vcc_lo
	s_waitcnt vmcnt(0)
	v_fma_mix_f32 v27, v30, v28, v27 op_sel_hi:[0,1,0]
	s_cbranch_scc1 .LBB415_75
.LBB415_76:                             ;   in Loop: Header=BB415_59 Depth=1
	s_or_b32 exec_lo, exec_lo, s17
	s_or_b32 exec_lo, exec_lo, s16
	s_and_saveexec_b32 s6, s2
	s_cbranch_execnz .LBB415_62
	s_branch .LBB415_63
.LBB415_77:                             ;   in Loop: Header=BB415_59 Depth=1
	ds_read_b32 v19, v21
	s_or_b32 exec_lo, exec_lo, s6
	s_and_saveexec_b32 s6, s2
	s_cbranch_execz .LBB415_67
.LBB415_78:                             ;   in Loop: Header=BB415_59 Depth=1
	s_waitcnt lgkmcnt(0)
	ds_bpermute_b32 v20, v24, v19
	s_waitcnt lgkmcnt(0)
	v_add_f32_e32 v19, v19, v20
	ds_bpermute_b32 v20, v25, v19
	s_waitcnt lgkmcnt(0)
	v_add_f32_e32 v19, v19, v20
	;; [unrolled: 3-line block ×3, first 2 shown]
	s_or_b32 exec_lo, exec_lo, s6
	s_and_saveexec_b32 s6, s5
	s_cbranch_execz .LBB415_58
.LBB415_79:                             ;   in Loop: Header=BB415_59 Depth=1
	s_mul_hi_u32 s15, s7, s22
	s_mul_i32 s14, s7, s22
	s_waitcnt lgkmcnt(0)
	v_mul_f32_e32 v19, s33, v19
	s_lshl_b64 s[14:15], s[14:15], 2
	s_add_u32 s14, s30, s14
	s_addc_u32 s15, s31, s15
	global_store_dword v0, v19, s[14:15]
	s_branch .LBB415_58
.LBB415_80:
	s_endpgm
	.section	.rodata,"a",@progbits
	.p2align	6, 0x0
	.amdhsa_kernel _ZL23rocblas_gemvt_sn_kernelILb1ELi256ELi4ElDF16_PKffEviiT4_lPKT3_lilS5_lilPT5_i
		.amdhsa_group_segment_fixed_size 128
		.amdhsa_private_segment_fixed_size 0
		.amdhsa_kernarg_size 360
		.amdhsa_user_sgpr_count 6
		.amdhsa_user_sgpr_private_segment_buffer 1
		.amdhsa_user_sgpr_dispatch_ptr 0
		.amdhsa_user_sgpr_queue_ptr 0
		.amdhsa_user_sgpr_kernarg_segment_ptr 1
		.amdhsa_user_sgpr_dispatch_id 0
		.amdhsa_user_sgpr_flat_scratch_init 0
		.amdhsa_user_sgpr_private_segment_size 0
		.amdhsa_wavefront_size32 1
		.amdhsa_uses_dynamic_stack 0
		.amdhsa_system_sgpr_private_segment_wavefront_offset 0
		.amdhsa_system_sgpr_workgroup_id_x 1
		.amdhsa_system_sgpr_workgroup_id_y 0
		.amdhsa_system_sgpr_workgroup_id_z 1
		.amdhsa_system_sgpr_workgroup_info 0
		.amdhsa_system_vgpr_workitem_id 0
		.amdhsa_next_free_vgpr 51
		.amdhsa_next_free_sgpr 56
		.amdhsa_reserve_vcc 1
		.amdhsa_reserve_flat_scratch 0
		.amdhsa_float_round_mode_32 0
		.amdhsa_float_round_mode_16_64 0
		.amdhsa_float_denorm_mode_32 3
		.amdhsa_float_denorm_mode_16_64 3
		.amdhsa_dx10_clamp 1
		.amdhsa_ieee_mode 1
		.amdhsa_fp16_overflow 0
		.amdhsa_workgroup_processor_mode 1
		.amdhsa_memory_ordered 1
		.amdhsa_forward_progress 1
		.amdhsa_shared_vgpr_count 0
		.amdhsa_exception_fp_ieee_invalid_op 0
		.amdhsa_exception_fp_denorm_src 0
		.amdhsa_exception_fp_ieee_div_zero 0
		.amdhsa_exception_fp_ieee_overflow 0
		.amdhsa_exception_fp_ieee_underflow 0
		.amdhsa_exception_fp_ieee_inexact 0
		.amdhsa_exception_int_div_zero 0
	.end_amdhsa_kernel
	.section	.text._ZL23rocblas_gemvt_sn_kernelILb1ELi256ELi4ElDF16_PKffEviiT4_lPKT3_lilS5_lilPT5_i,"axG",@progbits,_ZL23rocblas_gemvt_sn_kernelILb1ELi256ELi4ElDF16_PKffEviiT4_lPKT3_lilS5_lilPT5_i,comdat
.Lfunc_end415:
	.size	_ZL23rocblas_gemvt_sn_kernelILb1ELi256ELi4ElDF16_PKffEviiT4_lPKT3_lilS5_lilPT5_i, .Lfunc_end415-_ZL23rocblas_gemvt_sn_kernelILb1ELi256ELi4ElDF16_PKffEviiT4_lPKT3_lilS5_lilPT5_i
                                        ; -- End function
	.set _ZL23rocblas_gemvt_sn_kernelILb1ELi256ELi4ElDF16_PKffEviiT4_lPKT3_lilS5_lilPT5_i.num_vgpr, 51
	.set _ZL23rocblas_gemvt_sn_kernelILb1ELi256ELi4ElDF16_PKffEviiT4_lPKT3_lilS5_lilPT5_i.num_agpr, 0
	.set _ZL23rocblas_gemvt_sn_kernelILb1ELi256ELi4ElDF16_PKffEviiT4_lPKT3_lilS5_lilPT5_i.numbered_sgpr, 56
	.set _ZL23rocblas_gemvt_sn_kernelILb1ELi256ELi4ElDF16_PKffEviiT4_lPKT3_lilS5_lilPT5_i.num_named_barrier, 0
	.set _ZL23rocblas_gemvt_sn_kernelILb1ELi256ELi4ElDF16_PKffEviiT4_lPKT3_lilS5_lilPT5_i.private_seg_size, 0
	.set _ZL23rocblas_gemvt_sn_kernelILb1ELi256ELi4ElDF16_PKffEviiT4_lPKT3_lilS5_lilPT5_i.uses_vcc, 1
	.set _ZL23rocblas_gemvt_sn_kernelILb1ELi256ELi4ElDF16_PKffEviiT4_lPKT3_lilS5_lilPT5_i.uses_flat_scratch, 0
	.set _ZL23rocblas_gemvt_sn_kernelILb1ELi256ELi4ElDF16_PKffEviiT4_lPKT3_lilS5_lilPT5_i.has_dyn_sized_stack, 0
	.set _ZL23rocblas_gemvt_sn_kernelILb1ELi256ELi4ElDF16_PKffEviiT4_lPKT3_lilS5_lilPT5_i.has_recursion, 0
	.set _ZL23rocblas_gemvt_sn_kernelILb1ELi256ELi4ElDF16_PKffEviiT4_lPKT3_lilS5_lilPT5_i.has_indirect_call, 0
	.section	.AMDGPU.csdata,"",@progbits
; Kernel info:
; codeLenInByte = 4332
; TotalNumSgprs: 58
; NumVgprs: 51
; ScratchSize: 0
; MemoryBound: 0
; FloatMode: 240
; IeeeMode: 1
; LDSByteSize: 128 bytes/workgroup (compile time only)
; SGPRBlocks: 0
; VGPRBlocks: 6
; NumSGPRsForWavesPerEU: 58
; NumVGPRsForWavesPerEU: 51
; Occupancy: 16
; WaveLimiterHint : 1
; COMPUTE_PGM_RSRC2:SCRATCH_EN: 0
; COMPUTE_PGM_RSRC2:USER_SGPR: 6
; COMPUTE_PGM_RSRC2:TRAP_HANDLER: 0
; COMPUTE_PGM_RSRC2:TGID_X_EN: 1
; COMPUTE_PGM_RSRC2:TGID_Y_EN: 0
; COMPUTE_PGM_RSRC2:TGID_Z_EN: 1
; COMPUTE_PGM_RSRC2:TIDIG_COMP_CNT: 0
	.section	.text._ZL23rocblas_gemvt_sn_kernelILb1ELi256ELi4EiDF16_ffEviiT4_lPKT3_lilS3_lilPT5_i,"axG",@progbits,_ZL23rocblas_gemvt_sn_kernelILb1ELi256ELi4EiDF16_ffEviiT4_lPKT3_lilS3_lilPT5_i,comdat
	.globl	_ZL23rocblas_gemvt_sn_kernelILb1ELi256ELi4EiDF16_ffEviiT4_lPKT3_lilS3_lilPT5_i ; -- Begin function _ZL23rocblas_gemvt_sn_kernelILb1ELi256ELi4EiDF16_ffEviiT4_lPKT3_lilS3_lilPT5_i
	.p2align	8
	.type	_ZL23rocblas_gemvt_sn_kernelILb1ELi256ELi4EiDF16_ffEviiT4_lPKT3_lilS3_lilPT5_i,@function
_ZL23rocblas_gemvt_sn_kernelILb1ELi256ELi4EiDF16_ffEviiT4_lPKT3_lilS3_lilPT5_i: ; @_ZL23rocblas_gemvt_sn_kernelILb1ELi256ELi4EiDF16_ffEviiT4_lPKT3_lilS3_lilPT5_i
; %bb.0:
	s_clause 0x2
	s_load_dwordx4 s[12:15], s[4:5], 0x0
	s_load_dword s20, s[4:5], 0x68
	s_load_dwordx4 s[8:11], s[4:5], 0x50
	s_mov_b32 s21, 0
	s_waitcnt lgkmcnt(0)
	s_ashr_i32 s24, s13, 31
	s_mul_hi_u32 s0, s13, s7
	s_mul_i32 s1, s24, s7
	s_mul_i32 s2, s13, s7
	s_add_i32 s0, s0, s1
	s_mul_hi_u32 s1, s2, s20
	s_mul_i32 s3, s0, s20
	s_mul_i32 s0, s2, s20
	s_add_i32 s1, s1, s3
	v_cmp_neq_f32_e64 s2, s14, 0
	s_lshl_b64 s[0:1], s[0:1], 2
	s_add_u32 s36, s10, s0
	v_cmp_eq_u32_e64 s0, 0, v0
	s_addc_u32 s35, s11, s1
	s_and_b32 vcc_lo, exec_lo, s2
	s_cbranch_vccnz .LBB416_5
; %bb.1:
	s_cmp_gt_i32 s13, 0
	s_cselect_b32 s1, -1, 0
	s_and_b32 s0, s0, s1
	s_and_saveexec_b32 s10, s0
	s_cbranch_execz .LBB416_4
; %bb.2:
	s_mov_b32 s0, s7
	s_mov_b32 s7, 0
	v_mov_b32_e32 v1, 0
	s_lshl_b64 s[2:3], s[6:7], 2
	s_mov_b32 s7, s0
	s_add_u32 s0, s36, s2
	s_addc_u32 s1, s35, s3
	s_lshl_b64 s[2:3], s[20:21], 2
	s_mov_b32 s11, s13
.LBB416_3:                              ; =>This Inner Loop Header: Depth=1
	s_add_i32 s11, s11, -1
	global_store_dword v1, v1, s[0:1]
	s_add_u32 s0, s0, s2
	s_addc_u32 s1, s1, s3
	s_cmp_eq_u32 s11, 0
	s_cbranch_scc0 .LBB416_3
.LBB416_4:
	s_or_b32 exec_lo, exec_lo, s10
	s_cbranch_execz .LBB416_6
	s_branch .LBB416_80
.LBB416_5:
.LBB416_6:
	s_clause 0x2
	s_load_dwordx4 s[0:3], s[4:5], 0x30
	s_load_dwordx2 s[22:23], s[4:5], 0x40
	s_load_dwordx4 s[16:19], s[4:5], 0x18
	s_mul_i32 s9, s9, s7
	s_mul_hi_u32 s10, s8, s7
	s_mul_i32 s8, s8, s7
	s_add_i32 s9, s10, s9
	s_clause 0x1
	s_load_dword s10, s[4:5], 0x28
	s_load_dword s33, s[4:5], 0x48
	s_lshl_b64 s[8:9], s[8:9], 1
	v_and_b32_e32 v10, 31, v0
	v_mbcnt_lo_u32_b32 v24, -1, 0
	v_lshrrev_b32_e32 v25, 3, v0
	s_waitcnt lgkmcnt(0)
	s_add_u32 s8, s2, s8
	s_addc_u32 s9, s3, s9
	s_lshl_b64 s[2:3], s[22:23], 1
	s_mul_i32 s1, s1, s7
	s_mul_hi_u32 s11, s0, s7
	s_add_u32 s15, s8, s2
	s_mul_i32 s0, s0, s7
	s_addc_u32 s21, s9, s3
	s_add_i32 s1, s11, s1
	s_lshl_b64 s[22:23], s[0:1], 1
	v_cmp_gt_u32_e64 s0, 32, v0
	s_add_u32 s1, s16, s22
	s_addc_u32 s2, s17, s23
	s_lshl_b64 s[18:19], s[18:19], 1
	s_add_u32 s3, s1, s18
	s_addc_u32 s2, s2, s19
	s_lshl_b32 s1, s6, 10
	s_ashr_i32 s4, s12, 31
	v_lshl_or_b32 v1, v0, 2, s1
	s_lshr_b32 s4, s4, 30
	s_lshr_b32 s5, s24, 30
	s_add_i32 s4, s12, s4
	s_add_i32 s5, s13, s5
	v_ashrrev_i32_e32 v2, 31, v1
	s_and_b32 s4, s4, -4
	v_mul_lo_u32 v9, s33, v1
	s_sub_i32 s34, s12, s4
	v_cmp_gt_u32_e64 s1, 8, v0
	v_lshlrev_b64 v[11:12], 1, v[1:2]
	v_add_nc_u32_e32 v26, 4, v1
	v_add_nc_u32_e32 v27, s34, v1
	s_and_b32 s37, s5, -4
	s_cmp_lt_i32 s37, 1
	v_add_co_u32 v22, vcc_lo, s3, v11
	v_add_co_ci_u32_e64 v23, null, s2, v12, vcc_lo
	s_cbranch_scc1 .LBB416_55
; %bb.7:
	v_cmp_gt_u32_e32 vcc_lo, 24, v24
	v_mul_lo_u32 v13, s33, v1
	s_cmp_gt_i32 s34, 0
	s_mov_b32 s9, 0
	s_cselect_b32 s38, -1, 0
	v_cndmask_b32_e64 v2, 0, 8, vcc_lo
	v_cmp_gt_u32_e32 vcc_lo, 28, v24
	s_lshl_b32 s39, s10, 2
	s_lshl_b32 s8, s10, 1
	v_ashrrev_i32_e32 v14, 31, v13
	v_add_lshl_u32 v29, v2, v24, 2
	v_cndmask_b32_e64 v3, 0, 4, vcc_lo
	v_cmp_gt_u32_e32 vcc_lo, 30, v24
	s_add_u32 s7, s22, s18
	v_lshlrev_b64 v[5:6], 1, v[13:14]
	s_addc_u32 s24, s23, s19
	v_add_lshl_u32 v30, v3, v24, 2
	v_cndmask_b32_e64 v1, 0, 2, vcc_lo
	v_cmp_ne_u32_e32 vcc_lo, 31, v24
	s_add_u32 s7, s16, s7
	s_addc_u32 s24, s17, s24
	v_cmp_ge_i32_e64 s2, s12, v26
	v_add_lshl_u32 v31, v1, v24, 2
	v_add_nc_u32_e32 v1, s33, v13
	v_add_co_ci_u32_e64 v4, null, 0, v24, vcc_lo
	v_add_co_u32 v14, vcc_lo, s15, v5
	v_add_nc_u32_e32 v3, s33, v1
	v_ashrrev_i32_e32 v2, 31, v1
	v_lshlrev_b32_e32 v32, 2, v4
	v_add_co_ci_u32_e64 v15, null, s21, v6, vcc_lo
	v_add_nc_u32_e32 v7, s33, v3
	v_lshlrev_b64 v[1:2], 1, v[1:2]
	v_ashrrev_i32_e32 v4, 31, v3
	v_mov_b32_e32 v5, 0
	v_cmp_ge_i32_e64 s3, s12, v27
	v_ashrrev_i32_e32 v8, 31, v7
	v_lshl_or_b32 v28, v24, 2, 64
	v_lshlrev_b64 v[3:4], 1, v[3:4]
	v_add_co_u32 v16, vcc_lo, s15, v1
	v_add_co_ci_u32_e64 v17, null, s21, v2, vcc_lo
	v_lshlrev_b64 v[1:2], 1, v[7:8]
	v_add_co_u32 v18, vcc_lo, s15, v3
	v_mov_b32_e32 v6, v5
	v_mov_b32_e32 v7, v5
	;; [unrolled: 1-line block ×3, first 2 shown]
	v_add_co_ci_u32_e64 v19, null, s21, v4, vcc_lo
	v_add_co_u32 v20, vcc_lo, s15, v1
	v_add_co_ci_u32_e64 v21, null, s21, v2, vcc_lo
	v_add_co_u32 v35, vcc_lo, s7, v11
	v_mov_b32_e32 v1, v5
	v_cmp_eq_u32_e64 s4, 0, v10
	v_lshlrev_b32_e32 v33, 2, v10
	v_and_b32_e32 v34, 28, v25
	v_cmp_eq_u32_e64 s5, 0, v0
	v_add_co_ci_u32_e64 v36, null, s24, v12, vcc_lo
	v_mov_b32_e32 v2, v6
	v_mov_b32_e32 v3, v7
	;; [unrolled: 1-line block ×3, first 2 shown]
	s_mov_b32 s11, s9
	s_mul_i32 s40, s10, 3
	s_mov_b32 s41, s9
	s_mov_b32 s24, s9
	s_mov_b64 s[26:27], s[8:9]
	s_mov_b64 s[28:29], s[10:11]
	s_mov_b32 s11, 0
	s_branch .LBB416_9
.LBB416_8:                              ;   in Loop: Header=BB416_9 Depth=1
	s_or_b32 exec_lo, exec_lo, s7
	s_add_i32 s11, s11, 4
	s_add_u32 s28, s28, s39
	s_addc_u32 s29, s29, 0
	s_add_u32 s26, s26, s39
	s_addc_u32 s27, s27, 0
	;; [unrolled: 2-line block ×3, first 2 shown]
	s_add_i32 s24, s24, s39
	s_cmp_ge_i32 s11, s37
	s_cbranch_scc1 .LBB416_56
.LBB416_9:                              ; =>This Loop Header: Depth=1
                                        ;     Child Loop BB416_40 Depth 2
                                        ;     Child Loop BB416_43 Depth 2
                                        ; implicit-def: $vgpr8
                                        ; implicit-def: $vgpr37
                                        ; implicit-def: $vgpr38
                                        ; implicit-def: $vgpr39
	s_and_saveexec_b32 s7, s2
	s_xor_b32 s7, exec_lo, s7
	s_cbranch_execnz .LBB416_36
; %bb.10:                               ;   in Loop: Header=BB416_9 Depth=1
	s_andn2_saveexec_b32 s42, s7
	s_cbranch_execnz .LBB416_37
.LBB416_11:                             ;   in Loop: Header=BB416_9 Depth=1
	s_or_b32 exec_lo, exec_lo, s42
	s_and_saveexec_b32 s7, s0
.LBB416_12:                             ;   in Loop: Header=BB416_9 Depth=1
	ds_write_b32 v33, v5
.LBB416_13:                             ;   in Loop: Header=BB416_9 Depth=1
	s_or_b32 exec_lo, exec_lo, s7
	ds_bpermute_b32 v6, v28, v39
	s_waitcnt lgkmcnt(0)
	s_waitcnt_vscnt null, 0x0
	s_barrier
	buffer_gl0_inv
	v_add_f32_e32 v6, v39, v6
	ds_bpermute_b32 v7, v29, v6
	s_waitcnt lgkmcnt(0)
	v_add_f32_e32 v6, v6, v7
	ds_bpermute_b32 v7, v30, v6
	s_waitcnt lgkmcnt(0)
	v_add_f32_e32 v6, v6, v7
	ds_bpermute_b32 v7, v31, v6
	s_waitcnt lgkmcnt(0)
	v_add_f32_e32 v6, v6, v7
	ds_bpermute_b32 v7, v32, v6
	s_and_saveexec_b32 s7, s4
	s_cbranch_execz .LBB416_15
; %bb.14:                               ;   in Loop: Header=BB416_9 Depth=1
	s_waitcnt lgkmcnt(0)
	v_add_f32_e32 v6, v6, v7
	ds_write_b32 v34, v6
.LBB416_15:                             ;   in Loop: Header=BB416_9 Depth=1
	s_or_b32 exec_lo, exec_lo, s7
	v_mov_b32_e32 v6, 0
	s_waitcnt lgkmcnt(0)
	s_barrier
	buffer_gl0_inv
	s_and_saveexec_b32 s7, s1
	s_cbranch_execnz .LBB416_44
; %bb.16:                               ;   in Loop: Header=BB416_9 Depth=1
	s_or_b32 exec_lo, exec_lo, s7
	s_and_saveexec_b32 s7, s0
	s_cbranch_execnz .LBB416_45
.LBB416_17:                             ;   in Loop: Header=BB416_9 Depth=1
	s_or_b32 exec_lo, exec_lo, s7
	s_and_saveexec_b32 s7, s0
.LBB416_18:                             ;   in Loop: Header=BB416_9 Depth=1
	ds_write_b32 v33, v5
.LBB416_19:                             ;   in Loop: Header=BB416_9 Depth=1
	s_or_b32 exec_lo, exec_lo, s7
	ds_bpermute_b32 v7, v28, v38
	s_waitcnt lgkmcnt(0)
	s_barrier
	buffer_gl0_inv
	v_add_f32_e32 v7, v38, v7
	ds_bpermute_b32 v38, v29, v7
	s_waitcnt lgkmcnt(0)
	v_add_f32_e32 v7, v7, v38
	ds_bpermute_b32 v38, v30, v7
	s_waitcnt lgkmcnt(0)
	;; [unrolled: 3-line block ×3, first 2 shown]
	v_add_f32_e32 v7, v7, v38
	ds_bpermute_b32 v38, v32, v7
	s_and_saveexec_b32 s7, s4
	s_cbranch_execz .LBB416_21
; %bb.20:                               ;   in Loop: Header=BB416_9 Depth=1
	s_waitcnt lgkmcnt(0)
	v_add_f32_e32 v7, v7, v38
	ds_write_b32 v34, v7
.LBB416_21:                             ;   in Loop: Header=BB416_9 Depth=1
	s_or_b32 exec_lo, exec_lo, s7
	v_mov_b32_e32 v7, 0
	s_waitcnt lgkmcnt(0)
	s_barrier
	buffer_gl0_inv
	s_and_saveexec_b32 s7, s1
	s_cbranch_execnz .LBB416_46
; %bb.22:                               ;   in Loop: Header=BB416_9 Depth=1
	s_or_b32 exec_lo, exec_lo, s7
	s_and_saveexec_b32 s7, s0
	s_cbranch_execnz .LBB416_47
.LBB416_23:                             ;   in Loop: Header=BB416_9 Depth=1
	s_or_b32 exec_lo, exec_lo, s7
	s_and_saveexec_b32 s7, s0
.LBB416_24:                             ;   in Loop: Header=BB416_9 Depth=1
	ds_write_b32 v33, v5
.LBB416_25:                             ;   in Loop: Header=BB416_9 Depth=1
	s_or_b32 exec_lo, exec_lo, s7
	ds_bpermute_b32 v38, v28, v37
	s_waitcnt lgkmcnt(0)
	s_barrier
	buffer_gl0_inv
	v_add_f32_e32 v37, v37, v38
	ds_bpermute_b32 v38, v29, v37
	s_waitcnt lgkmcnt(0)
	v_add_f32_e32 v37, v37, v38
	ds_bpermute_b32 v38, v30, v37
	s_waitcnt lgkmcnt(0)
	;; [unrolled: 3-line block ×3, first 2 shown]
	v_add_f32_e32 v37, v37, v38
	ds_bpermute_b32 v38, v32, v37
	s_and_saveexec_b32 s7, s4
	s_cbranch_execz .LBB416_27
; %bb.26:                               ;   in Loop: Header=BB416_9 Depth=1
	s_waitcnt lgkmcnt(0)
	v_add_f32_e32 v37, v37, v38
	ds_write_b32 v34, v37
.LBB416_27:                             ;   in Loop: Header=BB416_9 Depth=1
	s_or_b32 exec_lo, exec_lo, s7
	v_mov_b32_e32 v37, 0
	s_waitcnt lgkmcnt(0)
	s_barrier
	buffer_gl0_inv
	s_and_saveexec_b32 s7, s1
	s_cbranch_execnz .LBB416_48
; %bb.28:                               ;   in Loop: Header=BB416_9 Depth=1
	s_or_b32 exec_lo, exec_lo, s7
	s_and_saveexec_b32 s7, s0
	s_cbranch_execnz .LBB416_49
.LBB416_29:                             ;   in Loop: Header=BB416_9 Depth=1
	s_or_b32 exec_lo, exec_lo, s7
	s_and_saveexec_b32 s7, s0
.LBB416_30:                             ;   in Loop: Header=BB416_9 Depth=1
	ds_write_b32 v33, v5
.LBB416_31:                             ;   in Loop: Header=BB416_9 Depth=1
	s_or_b32 exec_lo, exec_lo, s7
	ds_bpermute_b32 v38, v28, v8
	s_waitcnt lgkmcnt(0)
	s_barrier
	buffer_gl0_inv
	v_add_f32_e32 v8, v8, v38
	ds_bpermute_b32 v38, v29, v8
	s_waitcnt lgkmcnt(0)
	v_add_f32_e32 v8, v8, v38
	ds_bpermute_b32 v38, v30, v8
	s_waitcnt lgkmcnt(0)
	;; [unrolled: 3-line block ×3, first 2 shown]
	v_add_f32_e32 v8, v8, v38
	ds_bpermute_b32 v38, v32, v8
	s_and_saveexec_b32 s7, s4
	s_cbranch_execz .LBB416_33
; %bb.32:                               ;   in Loop: Header=BB416_9 Depth=1
	s_waitcnt lgkmcnt(0)
	v_add_f32_e32 v8, v8, v38
	ds_write_b32 v34, v8
.LBB416_33:                             ;   in Loop: Header=BB416_9 Depth=1
	s_or_b32 exec_lo, exec_lo, s7
	v_mov_b32_e32 v8, 0
	s_waitcnt lgkmcnt(0)
	s_barrier
	buffer_gl0_inv
	s_and_saveexec_b32 s7, s1
	s_cbranch_execnz .LBB416_50
; %bb.34:                               ;   in Loop: Header=BB416_9 Depth=1
	s_or_b32 exec_lo, exec_lo, s7
	s_and_saveexec_b32 s7, s0
	s_cbranch_execnz .LBB416_51
.LBB416_35:                             ;   in Loop: Header=BB416_9 Depth=1
	s_or_b32 exec_lo, exec_lo, s7
	s_and_saveexec_b32 s7, s5
	s_cbranch_execz .LBB416_8
	s_branch .LBB416_52
.LBB416_36:                             ;   in Loop: Header=BB416_9 Depth=1
	s_mul_i32 s30, s11, s10
	s_ashr_i32 s31, s30, 31
	s_add_i32 s42, s30, s10
	s_lshl_b64 s[30:31], s[30:31], 1
	s_ashr_i32 s43, s42, 31
	v_add_co_u32 v1, vcc_lo, v22, s30
	v_add_co_ci_u32_e64 v2, null, s31, v23, vcc_lo
	s_lshl_b64 s[30:31], s[42:43], 1
	s_add_i32 s42, s42, s10
	v_add_co_u32 v3, vcc_lo, v22, s30
	s_ashr_i32 s43, s42, 31
	s_add_i32 s30, s42, s10
	v_add_co_ci_u32_e64 v4, null, s31, v23, vcc_lo
	s_lshl_b64 s[42:43], s[42:43], 1
	s_ashr_i32 s31, s30, 31
	v_add_co_u32 v6, vcc_lo, v22, s42
	s_lshl_b64 s[30:31], s[30:31], 1
	v_add_co_ci_u32_e64 v7, null, s43, v23, vcc_lo
	v_add_co_u32 v37, vcc_lo, v22, s30
	v_add_co_ci_u32_e64 v38, null, s31, v23, vcc_lo
	s_waitcnt lgkmcnt(0)
	global_load_ushort v8, v[14:15], off
	s_clause 0x3
	global_load_dwordx2 v[39:40], v[1:2], off
	global_load_dwordx2 v[41:42], v[3:4], off
	global_load_dwordx2 v[6:7], v[6:7], off
	global_load_dwordx2 v[43:44], v[37:38], off
	s_clause 0x2
	global_load_ushort v3, v[16:17], off
	global_load_ushort v4, v[18:19], off
	;; [unrolled: 1-line block ×3, first 2 shown]
	s_waitcnt vmcnt(7)
	v_cvt_f32_f16_e32 v1, v8
	s_waitcnt vmcnt(6)
	v_fma_mix_f32 v37, v8, v39, 0 op_sel_hi:[1,1,0]
	s_waitcnt vmcnt(5)
	v_fma_mix_f32 v38, v8, v41, 0 op_sel_hi:[1,1,0]
	;; [unrolled: 2-line block ×4, first 2 shown]
	s_waitcnt vmcnt(2)
	v_cvt_f32_f16_e32 v2, v3
	v_fma_mix_f32 v37, v3, v39, v37 op_sel:[0,1,0] op_sel_hi:[1,1,0]
	v_fma_mix_f32 v38, v3, v41, v38 op_sel:[0,1,0] op_sel_hi:[1,1,0]
	;; [unrolled: 1-line block ×4, first 2 shown]
	s_waitcnt vmcnt(1)
	v_cvt_f32_f16_e32 v3, v4
	v_fma_mix_f32 v37, v4, v40, v37 op_sel_hi:[1,1,0]
	v_fma_mix_f32 v38, v4, v42, v38 op_sel_hi:[1,1,0]
	;; [unrolled: 1-line block ×4, first 2 shown]
	s_waitcnt vmcnt(0)
	v_cvt_f32_f16_e32 v4, v45
	v_fma_mix_f32 v39, v45, v40, v37 op_sel:[0,1,0] op_sel_hi:[1,1,0]
	v_fma_mix_f32 v38, v45, v42, v38 op_sel:[0,1,0] op_sel_hi:[1,1,0]
	;; [unrolled: 1-line block ×4, first 2 shown]
	s_andn2_saveexec_b32 s42, s7
	s_cbranch_execz .LBB416_11
.LBB416_37:                             ;   in Loop: Header=BB416_9 Depth=1
	s_waitcnt lgkmcnt(0)
	v_mov_b32_e32 v8, 0
	v_mov_b32_e32 v37, 0
	;; [unrolled: 1-line block ×4, first 2 shown]
	s_and_saveexec_b32 s43, s3
	s_cbranch_execz .LBB416_54
; %bb.38:                               ;   in Loop: Header=BB416_9 Depth=1
	s_andn2_b32 vcc_lo, exec_lo, s38
	s_cbranch_vccnz .LBB416_41
; %bb.39:                               ;   in Loop: Header=BB416_9 Depth=1
	v_mov_b32_e32 v6, v13
	s_mov_b64 s[30:31], 0
	.p2align	6
.LBB416_40:                             ;   Parent Loop BB416_9 Depth=1
                                        ; =>  This Inner Loop Header: Depth=2
	v_ashrrev_i32_e32 v7, 31, v6
	s_cmp_eq_u32 s30, 3
	v_lshlrev_b64 v[7:8], 1, v[6:7]
	v_add_nc_u32_e32 v6, s33, v6
	v_add_co_u32 v7, vcc_lo, s15, v7
	v_add_co_ci_u32_e64 v8, null, s21, v8, vcc_lo
	s_cselect_b32 vcc_lo, -1, 0
	s_cmp_eq_u32 s30, 2
	s_cselect_b32 s7, -1, 0
	global_load_ushort v7, v[7:8], off
	s_cmp_eq_u32 s30, 1
	s_cselect_b32 s8, -1, 0
	s_cmp_eq_u32 s30, 0
	s_waitcnt vmcnt(0)
	v_cvt_f32_f16_e32 v7, v7
	v_cndmask_b32_e32 v4, v4, v7, vcc_lo
	s_cselect_b32 vcc_lo, -1, 0
	v_cndmask_b32_e64 v3, v3, v7, s7
	v_cndmask_b32_e64 v2, v2, v7, s8
	v_cndmask_b32_e32 v1, v1, v7, vcc_lo
	s_add_u32 s30, s30, 1
	s_addc_u32 s31, s31, 0
	s_cmp_eq_u32 s34, s30
	s_cbranch_scc0 .LBB416_40
.LBB416_41:                             ;   in Loop: Header=BB416_9 Depth=1
	s_andn2_b32 vcc_lo, exec_lo, s38
	s_cbranch_vccnz .LBB416_53
; %bb.42:                               ;   in Loop: Header=BB416_9 Depth=1
	s_ashr_i32 s25, s24, 31
	v_mov_b32_e32 v39, 0
	s_lshl_b64 s[30:31], s[24:25], 1
	v_mov_b32_e32 v38, 0
	v_add_co_u32 v6, vcc_lo, v35, s30
	v_add_co_ci_u32_e64 v7, null, s31, v36, vcc_lo
	v_mov_b32_e32 v37, 0
	v_mov_b32_e32 v8, 0
	s_mov_b64 s[30:31], 0
.LBB416_43:                             ;   Parent Loop BB416_9 Depth=1
                                        ; =>  This Inner Loop Header: Depth=2
	s_cmp_eq_u32 s30, 1
	s_cselect_b32 vcc_lo, -1, 0
	s_cmp_eq_u32 s30, 2
	v_cndmask_b32_e32 v40, v1, v2, vcc_lo
	s_cselect_b32 vcc_lo, -1, 0
	s_cmp_eq_u32 s30, 3
	v_cndmask_b32_e32 v46, v40, v3, vcc_lo
	s_cselect_b32 vcc_lo, -1, 0
	s_add_i32 s44, s28, s30
	s_add_i32 s46, s26, s30
	s_ashr_i32 s45, s44, 31
	s_add_i32 s48, s40, s30
	s_ashr_i32 s47, s46, 31
	s_lshl_b64 s[44:45], s[44:45], 1
	s_ashr_i32 s49, s48, 31
	s_lshl_b64 s[46:47], s[46:47], 1
	v_add_co_u32 v40, s7, v22, s44
	s_lshl_b64 s[48:49], s[48:49], 1
	v_add_co_ci_u32_e64 v41, null, s45, v23, s7
	v_add_co_u32 v42, s7, v22, s46
	v_add_co_ci_u32_e64 v43, null, s47, v23, s7
	v_add_co_u32 v44, s7, v22, s48
	v_add_co_ci_u32_e64 v45, null, s49, v23, s7
	global_load_ushort v47, v[6:7], off
	s_clause 0x2
	global_load_ushort v40, v[40:41], off
	global_load_ushort v41, v[42:43], off
	;; [unrolled: 1-line block ×3, first 2 shown]
	v_cndmask_b32_e32 v43, v46, v4, vcc_lo
	v_add_co_u32 v6, s7, v6, 2
	v_add_co_ci_u32_e64 v7, null, 0, v7, s7
	s_add_u32 s30, s30, 1
	s_addc_u32 s31, s31, 0
	s_cmp_lg_u32 s34, s30
	s_waitcnt vmcnt(3)
	v_fma_mix_f32 v39, v43, v47, v39 op_sel_hi:[0,1,0]
	s_waitcnt vmcnt(2)
	v_fma_mix_f32 v38, v43, v40, v38 op_sel_hi:[0,1,0]
	;; [unrolled: 2-line block ×4, first 2 shown]
	s_cbranch_scc1 .LBB416_43
	s_branch .LBB416_54
.LBB416_44:                             ;   in Loop: Header=BB416_9 Depth=1
	ds_read_b32 v6, v33
	s_or_b32 exec_lo, exec_lo, s7
	s_and_saveexec_b32 s7, s0
	s_cbranch_execz .LBB416_17
.LBB416_45:                             ;   in Loop: Header=BB416_9 Depth=1
	s_waitcnt lgkmcnt(0)
	ds_bpermute_b32 v7, v30, v6
	s_waitcnt lgkmcnt(0)
	v_add_f32_e32 v6, v6, v7
	ds_bpermute_b32 v7, v31, v6
	s_waitcnt lgkmcnt(0)
	v_add_f32_e32 v6, v6, v7
	;; [unrolled: 3-line block ×3, first 2 shown]
	s_or_b32 exec_lo, exec_lo, s7
	s_and_saveexec_b32 s7, s0
	s_cbranch_execnz .LBB416_18
	s_branch .LBB416_19
.LBB416_46:                             ;   in Loop: Header=BB416_9 Depth=1
	ds_read_b32 v7, v33
	s_or_b32 exec_lo, exec_lo, s7
	s_and_saveexec_b32 s7, s0
	s_cbranch_execz .LBB416_23
.LBB416_47:                             ;   in Loop: Header=BB416_9 Depth=1
	s_waitcnt lgkmcnt(0)
	ds_bpermute_b32 v38, v30, v7
	s_waitcnt lgkmcnt(0)
	v_add_f32_e32 v7, v7, v38
	ds_bpermute_b32 v38, v31, v7
	s_waitcnt lgkmcnt(0)
	v_add_f32_e32 v7, v7, v38
	;; [unrolled: 3-line block ×3, first 2 shown]
	s_or_b32 exec_lo, exec_lo, s7
	s_and_saveexec_b32 s7, s0
	s_cbranch_execnz .LBB416_24
	s_branch .LBB416_25
.LBB416_48:                             ;   in Loop: Header=BB416_9 Depth=1
	ds_read_b32 v37, v33
	s_or_b32 exec_lo, exec_lo, s7
	s_and_saveexec_b32 s7, s0
	s_cbranch_execz .LBB416_29
.LBB416_49:                             ;   in Loop: Header=BB416_9 Depth=1
	s_waitcnt lgkmcnt(0)
	ds_bpermute_b32 v38, v30, v37
	s_waitcnt lgkmcnt(0)
	v_add_f32_e32 v37, v37, v38
	ds_bpermute_b32 v38, v31, v37
	s_waitcnt lgkmcnt(0)
	v_add_f32_e32 v37, v37, v38
	;; [unrolled: 3-line block ×3, first 2 shown]
	s_or_b32 exec_lo, exec_lo, s7
	s_and_saveexec_b32 s7, s0
	s_cbranch_execnz .LBB416_30
	s_branch .LBB416_31
.LBB416_50:                             ;   in Loop: Header=BB416_9 Depth=1
	ds_read_b32 v8, v33
	s_or_b32 exec_lo, exec_lo, s7
	s_and_saveexec_b32 s7, s0
	s_cbranch_execz .LBB416_35
.LBB416_51:                             ;   in Loop: Header=BB416_9 Depth=1
	s_waitcnt lgkmcnt(0)
	ds_bpermute_b32 v38, v30, v8
	s_waitcnt lgkmcnt(0)
	v_add_f32_e32 v8, v8, v38
	ds_bpermute_b32 v38, v31, v8
	s_waitcnt lgkmcnt(0)
	v_add_f32_e32 v8, v8, v38
	;; [unrolled: 3-line block ×3, first 2 shown]
	s_or_b32 exec_lo, exec_lo, s7
	s_and_saveexec_b32 s7, s5
	s_cbranch_execz .LBB416_8
.LBB416_52:                             ;   in Loop: Header=BB416_9 Depth=1
	s_mul_i32 s8, s11, s20
	v_mul_f32_e32 v6, s14, v6
	s_add_i32 s8, s8, s6
	v_mul_f32_e32 v7, s14, v7
	s_lshl_b64 s[30:31], s[8:9], 2
	v_mul_f32_e32 v37, s14, v37
	s_add_u32 s30, s36, s30
	s_addc_u32 s31, s35, s31
	s_add_i32 s8, s8, s20
	global_store_dword v5, v6, s[30:31]
	s_lshl_b64 s[42:43], s[8:9], 2
	s_waitcnt lgkmcnt(0)
	v_mul_f32_e32 v6, s14, v8
	s_add_u32 s42, s36, s42
	s_addc_u32 s43, s35, s43
	s_add_i32 s8, s8, s20
	global_store_dword v5, v7, s[42:43]
	s_lshl_b64 s[44:45], s[8:9], 2
	s_add_u32 s30, s36, s44
	s_addc_u32 s31, s35, s45
	s_add_i32 s8, s8, s20
	s_lshl_b64 s[44:45], s[8:9], 2
	s_add_u32 s42, s36, s44
	s_addc_u32 s43, s35, s45
	global_store_dword v5, v37, s[30:31]
	global_store_dword v5, v6, s[42:43]
	s_branch .LBB416_8
.LBB416_53:                             ;   in Loop: Header=BB416_9 Depth=1
	v_mov_b32_e32 v8, 0
	v_mov_b32_e32 v37, 0
	;; [unrolled: 1-line block ×4, first 2 shown]
.LBB416_54:                             ;   in Loop: Header=BB416_9 Depth=1
	s_or_b32 exec_lo, exec_lo, s43
	s_or_b32 exec_lo, exec_lo, s42
	s_and_saveexec_b32 s7, s0
	s_cbranch_execnz .LBB416_12
	s_branch .LBB416_13
.LBB416_55:
	v_mov_b32_e32 v1, 0
	s_mov_b32 s11, 0
	v_mov_b32_e32 v2, v1
	v_mov_b32_e32 v3, v1
	;; [unrolled: 1-line block ×3, first 2 shown]
.LBB416_56:
	s_cmp_ge_i32 s11, s13
	s_cbranch_scc1 .LBB416_80
; %bb.57:
	v_cmp_gt_u32_e32 vcc_lo, 24, v24
	v_lshlrev_b32_e32 v17, 2, v10
	v_cmp_eq_u32_e64 s3, 0, v10
	v_ashrrev_i32_e32 v10, 31, v9
	v_cmp_ge_i32_e64 s0, s12, v26
	v_cndmask_b32_e64 v5, 0, 8, vcc_lo
	v_cmp_gt_u32_e32 vcc_lo, 28, v24
	v_lshl_or_b32 v18, v24, 2, 64
	v_lshlrev_b64 v[13:14], 1, v[9:10]
	v_cmp_ge_i32_e64 s1, s12, v27
	v_add_lshl_u32 v19, v5, v24, 2
	v_cndmask_b32_e64 v6, 0, 4, vcc_lo
	v_cmp_gt_u32_e32 vcc_lo, 30, v24
	v_add_nc_u32_e32 v5, s33, v9
	s_cmp_gt_i32 s34, 0
	s_mov_b32 s7, 0
	v_add_lshl_u32 v20, v6, v24, 2
	v_cndmask_b32_e64 v7, 0, 2, vcc_lo
	v_cmp_ne_u32_e32 vcc_lo, 31, v24
	v_ashrrev_i32_e32 v6, 31, v5
	s_cselect_b32 s12, -1, 0
	s_lshl_b64 s[8:9], s[6:7], 2
	v_add_lshl_u32 v21, v7, v24, 2
	v_add_nc_u32_e32 v7, s33, v5
	s_waitcnt lgkmcnt(0)
	v_add_co_ci_u32_e64 v8, null, 0, v24, vcc_lo
	v_lshlrev_b64 v[15:16], 1, v[5:6]
	v_add_co_u32 v5, vcc_lo, s15, v13
	v_add_nc_u32_e32 v26, s33, v7
	v_lshlrev_b32_e32 v24, 2, v8
	v_ashrrev_i32_e32 v8, 31, v7
	v_add_co_ci_u32_e64 v6, null, s21, v14, vcc_lo
	v_ashrrev_i32_e32 v27, 31, v26
	s_add_u32 s24, s36, s8
	v_lshlrev_b64 v[13:14], 1, v[7:8]
	v_add_co_u32 v7, vcc_lo, s15, v15
	v_add_co_ci_u32_e64 v8, null, s21, v16, vcc_lo
	v_lshlrev_b64 v[15:16], 1, v[26:27]
	s_addc_u32 s25, s35, s9
	v_add_co_u32 v13, vcc_lo, s15, v13
	s_add_u32 s6, s22, s18
	s_addc_u32 s8, s23, s19
	v_add_co_ci_u32_e64 v14, null, s21, v14, vcc_lo
	v_add_co_u32 v15, vcc_lo, s15, v15
	s_add_u32 s6, s16, s6
	v_cmp_gt_u32_e64 s2, 32, v0
	v_cmp_gt_u32_e64 s4, 8, v0
	v_cmp_eq_u32_e64 s5, 0, v0
	v_add_co_ci_u32_e64 v16, null, s21, v16, vcc_lo
	s_addc_u32 s8, s17, s8
	v_add_co_u32 v0, vcc_lo, s6, v11
	v_and_b32_e32 v25, 28, v25
	v_add_co_ci_u32_e64 v12, null, s8, v12, vcc_lo
	v_mov_b32_e32 v26, 0
	s_mul_i32 s16, s11, s10
	s_branch .LBB416_59
.LBB416_58:                             ;   in Loop: Header=BB416_59 Depth=1
	s_or_b32 exec_lo, exec_lo, s6
	s_add_i32 s11, s11, 1
	s_add_i32 s16, s16, s10
	s_cmp_ge_i32 s11, s13
	s_cbranch_scc1 .LBB416_80
.LBB416_59:                             ; =>This Loop Header: Depth=1
                                        ;     Child Loop BB416_72 Depth 2
                                        ;     Child Loop BB416_75 Depth 2
	v_mov_b32_e32 v27, s7
	s_and_saveexec_b32 s6, s0
	s_xor_b32 s6, exec_lo, s6
	s_cbranch_execnz .LBB416_68
; %bb.60:                               ;   in Loop: Header=BB416_59 Depth=1
	s_andn2_saveexec_b32 s22, s6
	s_cbranch_execnz .LBB416_69
.LBB416_61:                             ;   in Loop: Header=BB416_59 Depth=1
	s_or_b32 exec_lo, exec_lo, s22
	s_and_saveexec_b32 s6, s2
.LBB416_62:                             ;   in Loop: Header=BB416_59 Depth=1
	ds_write_b32 v17, v26
.LBB416_63:                             ;   in Loop: Header=BB416_59 Depth=1
	s_or_b32 exec_lo, exec_lo, s6
	s_waitcnt lgkmcnt(0)
	ds_bpermute_b32 v10, v18, v27
	s_waitcnt lgkmcnt(0)
	s_waitcnt_vscnt null, 0x0
	s_barrier
	buffer_gl0_inv
	v_add_f32_e32 v10, v27, v10
	ds_bpermute_b32 v11, v19, v10
	s_waitcnt lgkmcnt(0)
	v_add_f32_e32 v10, v10, v11
	ds_bpermute_b32 v11, v20, v10
	s_waitcnt lgkmcnt(0)
	;; [unrolled: 3-line block ×3, first 2 shown]
	v_add_f32_e32 v10, v10, v11
	ds_bpermute_b32 v11, v24, v10
	s_and_saveexec_b32 s6, s3
	s_cbranch_execz .LBB416_65
; %bb.64:                               ;   in Loop: Header=BB416_59 Depth=1
	s_waitcnt lgkmcnt(0)
	v_add_f32_e32 v10, v10, v11
	ds_write_b32 v25, v10
.LBB416_65:                             ;   in Loop: Header=BB416_59 Depth=1
	s_or_b32 exec_lo, exec_lo, s6
	v_mov_b32_e32 v10, 0
	s_waitcnt lgkmcnt(0)
	s_barrier
	buffer_gl0_inv
	s_and_saveexec_b32 s6, s4
	s_cbranch_execnz .LBB416_77
; %bb.66:                               ;   in Loop: Header=BB416_59 Depth=1
	s_or_b32 exec_lo, exec_lo, s6
	s_and_saveexec_b32 s6, s2
	s_cbranch_execnz .LBB416_78
.LBB416_67:                             ;   in Loop: Header=BB416_59 Depth=1
	s_or_b32 exec_lo, exec_lo, s6
	s_and_saveexec_b32 s6, s5
	s_cbranch_execz .LBB416_58
	s_branch .LBB416_79
.LBB416_68:                             ;   in Loop: Header=BB416_59 Depth=1
	s_mul_i32 s8, s11, s10
	s_ashr_i32 s9, s8, 31
	s_lshl_b64 s[8:9], s[8:9], 1
	v_add_co_u32 v1, vcc_lo, v22, s8
	v_add_co_ci_u32_e64 v2, null, s9, v23, vcc_lo
	s_waitcnt lgkmcnt(0)
	global_load_dwordx2 v[10:11], v[1:2], off
	s_clause 0x3
	global_load_ushort v1, v[5:6], off
	global_load_ushort v2, v[7:8], off
	global_load_ushort v3, v[13:14], off
	global_load_ushort v27, v[15:16], off
	s_waitcnt vmcnt(3)
	v_fma_mix_f32 v4, v1, v10, 0 op_sel_hi:[1,1,0]
	v_cvt_f32_f16_e32 v1, v1
	s_waitcnt vmcnt(2)
	v_fma_mix_f32 v4, v2, v10, v4 op_sel:[0,1,0] op_sel_hi:[1,1,0]
	v_cvt_f32_f16_e32 v2, v2
	s_waitcnt vmcnt(1)
	v_fma_mix_f32 v10, v3, v11, v4 op_sel_hi:[1,1,0]
	v_cvt_f32_f16_e32 v3, v3
	s_waitcnt vmcnt(0)
	v_cvt_f32_f16_e32 v4, v27
	v_fma_mix_f32 v27, v27, v11, v10 op_sel:[0,1,0] op_sel_hi:[1,1,0]
	s_andn2_saveexec_b32 s22, s6
	s_cbranch_execz .LBB416_61
.LBB416_69:                             ;   in Loop: Header=BB416_59 Depth=1
	s_and_saveexec_b32 s23, s1
	s_cbranch_execz .LBB416_76
; %bb.70:                               ;   in Loop: Header=BB416_59 Depth=1
	s_andn2_b32 vcc_lo, exec_lo, s12
	s_cbranch_vccnz .LBB416_73
; %bb.71:                               ;   in Loop: Header=BB416_59 Depth=1
	s_waitcnt lgkmcnt(0)
	v_mov_b32_e32 v10, v9
	s_mov_b64 s[18:19], 0
	.p2align	6
.LBB416_72:                             ;   Parent Loop BB416_59 Depth=1
                                        ; =>  This Inner Loop Header: Depth=2
	v_ashrrev_i32_e32 v11, 31, v10
	s_cmp_eq_u32 s18, 3
	v_lshlrev_b64 v[28:29], 1, v[10:11]
	v_add_nc_u32_e32 v10, s33, v10
	v_add_co_u32 v28, vcc_lo, s15, v28
	v_add_co_ci_u32_e64 v29, null, s21, v29, vcc_lo
	s_cselect_b32 vcc_lo, -1, 0
	s_cmp_eq_u32 s18, 2
	s_cselect_b32 s6, -1, 0
	global_load_ushort v11, v[28:29], off
	s_cmp_eq_u32 s18, 1
	s_cselect_b32 s8, -1, 0
	s_cmp_eq_u32 s18, 0
	s_waitcnt vmcnt(0)
	v_cvt_f32_f16_e32 v11, v11
	v_cndmask_b32_e32 v4, v4, v11, vcc_lo
	s_cselect_b32 vcc_lo, -1, 0
	v_cndmask_b32_e64 v3, v3, v11, s6
	v_cndmask_b32_e64 v2, v2, v11, s8
	v_cndmask_b32_e32 v1, v1, v11, vcc_lo
	s_add_u32 s18, s18, 1
	s_addc_u32 s19, s19, 0
	s_cmp_eq_u32 s34, s18
	s_cbranch_scc0 .LBB416_72
.LBB416_73:                             ;   in Loop: Header=BB416_59 Depth=1
	s_andn2_b32 vcc_lo, exec_lo, s12
	s_cbranch_vccnz .LBB416_76
; %bb.74:                               ;   in Loop: Header=BB416_59 Depth=1
	s_ashr_i32 s17, s16, 31
	s_lshl_b64 s[8:9], s[16:17], 1
	s_waitcnt lgkmcnt(0)
	v_add_co_u32 v10, vcc_lo, v0, s8
	v_add_co_ci_u32_e64 v11, null, s9, v12, vcc_lo
	s_mov_b64 s[8:9], 0
	.p2align	6
.LBB416_75:                             ;   Parent Loop BB416_59 Depth=1
                                        ; =>  This Inner Loop Header: Depth=2
	global_load_ushort v28, v[10:11], off
	s_cmp_eq_u32 s8, 1
	s_cselect_b32 vcc_lo, -1, 0
	s_cmp_eq_u32 s8, 2
	v_cndmask_b32_e32 v29, v1, v2, vcc_lo
	s_cselect_b32 vcc_lo, -1, 0
	s_cmp_eq_u32 s8, 3
	v_cndmask_b32_e32 v29, v29, v3, vcc_lo
	s_cselect_b32 vcc_lo, -1, 0
	s_add_u32 s8, s8, 1
	s_addc_u32 s9, s9, 0
	s_cmp_lg_u32 s34, s8
	v_cndmask_b32_e32 v29, v29, v4, vcc_lo
	v_add_co_u32 v10, vcc_lo, v10, 2
	v_add_co_ci_u32_e64 v11, null, 0, v11, vcc_lo
	s_waitcnt vmcnt(0)
	v_fma_mix_f32 v27, v29, v28, v27 op_sel_hi:[0,1,0]
	s_cbranch_scc1 .LBB416_75
.LBB416_76:                             ;   in Loop: Header=BB416_59 Depth=1
	s_or_b32 exec_lo, exec_lo, s23
	s_or_b32 exec_lo, exec_lo, s22
	s_and_saveexec_b32 s6, s2
	s_cbranch_execnz .LBB416_62
	s_branch .LBB416_63
.LBB416_77:                             ;   in Loop: Header=BB416_59 Depth=1
	ds_read_b32 v10, v17
	s_or_b32 exec_lo, exec_lo, s6
	s_and_saveexec_b32 s6, s2
	s_cbranch_execz .LBB416_67
.LBB416_78:                             ;   in Loop: Header=BB416_59 Depth=1
	s_waitcnt lgkmcnt(0)
	ds_bpermute_b32 v11, v20, v10
	s_waitcnt lgkmcnt(0)
	v_add_f32_e32 v10, v10, v11
	ds_bpermute_b32 v11, v21, v10
	s_waitcnt lgkmcnt(0)
	v_add_f32_e32 v10, v10, v11
	;; [unrolled: 3-line block ×3, first 2 shown]
	s_or_b32 exec_lo, exec_lo, s6
	s_and_saveexec_b32 s6, s5
	s_cbranch_execz .LBB416_58
.LBB416_79:                             ;   in Loop: Header=BB416_59 Depth=1
	s_mul_hi_u32 s9, s11, s20
	s_mul_i32 s8, s11, s20
	s_waitcnt lgkmcnt(0)
	v_mul_f32_e32 v10, s14, v10
	s_lshl_b64 s[8:9], s[8:9], 2
	s_add_u32 s8, s24, s8
	s_addc_u32 s9, s25, s9
	global_store_dword v26, v10, s[8:9]
	s_branch .LBB416_58
.LBB416_80:
	s_endpgm
	.section	.rodata,"a",@progbits
	.p2align	6, 0x0
	.amdhsa_kernel _ZL23rocblas_gemvt_sn_kernelILb1ELi256ELi4EiDF16_ffEviiT4_lPKT3_lilS3_lilPT5_i
		.amdhsa_group_segment_fixed_size 128
		.amdhsa_private_segment_fixed_size 0
		.amdhsa_kernarg_size 360
		.amdhsa_user_sgpr_count 6
		.amdhsa_user_sgpr_private_segment_buffer 1
		.amdhsa_user_sgpr_dispatch_ptr 0
		.amdhsa_user_sgpr_queue_ptr 0
		.amdhsa_user_sgpr_kernarg_segment_ptr 1
		.amdhsa_user_sgpr_dispatch_id 0
		.amdhsa_user_sgpr_flat_scratch_init 0
		.amdhsa_user_sgpr_private_segment_size 0
		.amdhsa_wavefront_size32 1
		.amdhsa_uses_dynamic_stack 0
		.amdhsa_system_sgpr_private_segment_wavefront_offset 0
		.amdhsa_system_sgpr_workgroup_id_x 1
		.amdhsa_system_sgpr_workgroup_id_y 0
		.amdhsa_system_sgpr_workgroup_id_z 1
		.amdhsa_system_sgpr_workgroup_info 0
		.amdhsa_system_vgpr_workitem_id 0
		.amdhsa_next_free_vgpr 48
		.amdhsa_next_free_sgpr 50
		.amdhsa_reserve_vcc 1
		.amdhsa_reserve_flat_scratch 0
		.amdhsa_float_round_mode_32 0
		.amdhsa_float_round_mode_16_64 0
		.amdhsa_float_denorm_mode_32 3
		.amdhsa_float_denorm_mode_16_64 3
		.amdhsa_dx10_clamp 1
		.amdhsa_ieee_mode 1
		.amdhsa_fp16_overflow 0
		.amdhsa_workgroup_processor_mode 1
		.amdhsa_memory_ordered 1
		.amdhsa_forward_progress 1
		.amdhsa_shared_vgpr_count 0
		.amdhsa_exception_fp_ieee_invalid_op 0
		.amdhsa_exception_fp_denorm_src 0
		.amdhsa_exception_fp_ieee_div_zero 0
		.amdhsa_exception_fp_ieee_overflow 0
		.amdhsa_exception_fp_ieee_underflow 0
		.amdhsa_exception_fp_ieee_inexact 0
		.amdhsa_exception_int_div_zero 0
	.end_amdhsa_kernel
	.section	.text._ZL23rocblas_gemvt_sn_kernelILb1ELi256ELi4EiDF16_ffEviiT4_lPKT3_lilS3_lilPT5_i,"axG",@progbits,_ZL23rocblas_gemvt_sn_kernelILb1ELi256ELi4EiDF16_ffEviiT4_lPKT3_lilS3_lilPT5_i,comdat
.Lfunc_end416:
	.size	_ZL23rocblas_gemvt_sn_kernelILb1ELi256ELi4EiDF16_ffEviiT4_lPKT3_lilS3_lilPT5_i, .Lfunc_end416-_ZL23rocblas_gemvt_sn_kernelILb1ELi256ELi4EiDF16_ffEviiT4_lPKT3_lilS3_lilPT5_i
                                        ; -- End function
	.set _ZL23rocblas_gemvt_sn_kernelILb1ELi256ELi4EiDF16_ffEviiT4_lPKT3_lilS3_lilPT5_i.num_vgpr, 48
	.set _ZL23rocblas_gemvt_sn_kernelILb1ELi256ELi4EiDF16_ffEviiT4_lPKT3_lilS3_lilPT5_i.num_agpr, 0
	.set _ZL23rocblas_gemvt_sn_kernelILb1ELi256ELi4EiDF16_ffEviiT4_lPKT3_lilS3_lilPT5_i.numbered_sgpr, 50
	.set _ZL23rocblas_gemvt_sn_kernelILb1ELi256ELi4EiDF16_ffEviiT4_lPKT3_lilS3_lilPT5_i.num_named_barrier, 0
	.set _ZL23rocblas_gemvt_sn_kernelILb1ELi256ELi4EiDF16_ffEviiT4_lPKT3_lilS3_lilPT5_i.private_seg_size, 0
	.set _ZL23rocblas_gemvt_sn_kernelILb1ELi256ELi4EiDF16_ffEviiT4_lPKT3_lilS3_lilPT5_i.uses_vcc, 1
	.set _ZL23rocblas_gemvt_sn_kernelILb1ELi256ELi4EiDF16_ffEviiT4_lPKT3_lilS3_lilPT5_i.uses_flat_scratch, 0
	.set _ZL23rocblas_gemvt_sn_kernelILb1ELi256ELi4EiDF16_ffEviiT4_lPKT3_lilS3_lilPT5_i.has_dyn_sized_stack, 0
	.set _ZL23rocblas_gemvt_sn_kernelILb1ELi256ELi4EiDF16_ffEviiT4_lPKT3_lilS3_lilPT5_i.has_recursion, 0
	.set _ZL23rocblas_gemvt_sn_kernelILb1ELi256ELi4EiDF16_ffEviiT4_lPKT3_lilS3_lilPT5_i.has_indirect_call, 0
	.section	.AMDGPU.csdata,"",@progbits
; Kernel info:
; codeLenInByte = 4204
; TotalNumSgprs: 52
; NumVgprs: 48
; ScratchSize: 0
; MemoryBound: 0
; FloatMode: 240
; IeeeMode: 1
; LDSByteSize: 128 bytes/workgroup (compile time only)
; SGPRBlocks: 0
; VGPRBlocks: 5
; NumSGPRsForWavesPerEU: 52
; NumVGPRsForWavesPerEU: 48
; Occupancy: 16
; WaveLimiterHint : 1
; COMPUTE_PGM_RSRC2:SCRATCH_EN: 0
; COMPUTE_PGM_RSRC2:USER_SGPR: 6
; COMPUTE_PGM_RSRC2:TRAP_HANDLER: 0
; COMPUTE_PGM_RSRC2:TGID_X_EN: 1
; COMPUTE_PGM_RSRC2:TGID_Y_EN: 0
; COMPUTE_PGM_RSRC2:TGID_Z_EN: 1
; COMPUTE_PGM_RSRC2:TIDIG_COMP_CNT: 0
	.section	.text._ZL23rocblas_gemvt_sn_kernelILb1ELi256ELi4ElDF16_ffEviiT4_lPKT3_lilS3_lilPT5_i,"axG",@progbits,_ZL23rocblas_gemvt_sn_kernelILb1ELi256ELi4ElDF16_ffEviiT4_lPKT3_lilS3_lilPT5_i,comdat
	.globl	_ZL23rocblas_gemvt_sn_kernelILb1ELi256ELi4ElDF16_ffEviiT4_lPKT3_lilS3_lilPT5_i ; -- Begin function _ZL23rocblas_gemvt_sn_kernelILb1ELi256ELi4ElDF16_ffEviiT4_lPKT3_lilS3_lilPT5_i
	.p2align	8
	.type	_ZL23rocblas_gemvt_sn_kernelILb1ELi256ELi4ElDF16_ffEviiT4_lPKT3_lilS3_lilPT5_i,@function
_ZL23rocblas_gemvt_sn_kernelILb1ELi256ELi4ElDF16_ffEviiT4_lPKT3_lilS3_lilPT5_i: ; @_ZL23rocblas_gemvt_sn_kernelILb1ELi256ELi4ElDF16_ffEviiT4_lPKT3_lilS3_lilPT5_i
; %bb.0:
	s_clause 0x2
	s_load_dwordx4 s[12:15], s[4:5], 0x0
	s_load_dword s24, s[4:5], 0x68
	s_load_dwordx4 s[20:23], s[4:5], 0x50
	s_mov_b32 s25, 0
	s_waitcnt lgkmcnt(0)
	s_ashr_i32 s15, s13, 31
	s_mul_hi_u32 s0, s13, s7
	s_mul_i32 s1, s15, s7
	s_mul_i32 s2, s13, s7
	s_add_i32 s0, s0, s1
	s_mul_hi_u32 s1, s2, s24
	s_mul_i32 s3, s0, s24
	s_mul_i32 s0, s2, s24
	s_add_i32 s1, s1, s3
	v_cmp_neq_f32_e64 s2, s14, 0
	s_lshl_b64 s[0:1], s[0:1], 2
	s_add_u32 s33, s22, s0
	v_cmp_eq_u32_e64 s0, 0, v0
	s_addc_u32 s44, s23, s1
	s_and_b32 vcc_lo, exec_lo, s2
	s_cbranch_vccnz .LBB417_5
; %bb.1:
	s_cmp_gt_i32 s13, 0
	s_cselect_b32 s1, -1, 0
	s_and_b32 s0, s0, s1
	s_and_saveexec_b32 s8, s0
	s_cbranch_execz .LBB417_4
; %bb.2:
	s_mov_b32 s0, s7
	s_mov_b32 s7, 0
	v_mov_b32_e32 v1, 0
	s_lshl_b64 s[2:3], s[6:7], 2
	s_mov_b32 s7, s0
	s_add_u32 s0, s33, s2
	s_addc_u32 s1, s44, s3
	s_lshl_b64 s[2:3], s[24:25], 2
	s_mov_b32 s9, s13
.LBB417_3:                              ; =>This Inner Loop Header: Depth=1
	s_add_i32 s9, s9, -1
	global_store_dword v1, v1, s[0:1]
	s_add_u32 s0, s0, s2
	s_addc_u32 s1, s1, s3
	s_cmp_eq_u32 s9, 0
	s_cbranch_scc0 .LBB417_3
.LBB417_4:
	s_or_b32 exec_lo, exec_lo, s8
	s_cbranch_execz .LBB417_6
	s_branch .LBB417_80
.LBB417_5:
.LBB417_6:
	s_clause 0x4
	s_load_dword s22, s[4:5], 0x28
	s_load_dword s26, s[4:5], 0x48
	s_load_dwordx4 s[8:11], s[4:5], 0x30
	s_load_dwordx2 s[0:1], s[4:5], 0x40
	s_load_dwordx4 s[16:19], s[4:5], 0x18
	s_mul_i32 s3, s21, s7
	s_mul_hi_u32 s4, s20, s7
	s_mul_i32 s2, s20, s7
	s_add_i32 s3, s4, s3
	v_and_b32_e32 v26, 31, v0
	s_lshl_b64 s[20:21], s[2:3], 1
	v_mbcnt_lo_u32_b32 v29, -1, 0
	v_lshrrev_b32_e32 v31, 3, v0
	s_waitcnt lgkmcnt(0)
	s_ashr_i32 s23, s22, 31
	s_ashr_i32 s27, s26, 31
	s_add_u32 s5, s10, s20
	s_mul_i32 s3, s9, s7
	s_addc_u32 s9, s11, s21
	s_lshl_b64 s[30:31], s[0:1], 1
	s_mul_hi_u32 s4, s8, s7
	s_add_u32 s25, s5, s30
	s_mul_i32 s2, s8, s7
	s_addc_u32 s45, s9, s31
	s_add_i32 s3, s4, s3
	v_cmp_gt_u32_e64 s0, 32, v0
	s_lshl_b64 s[28:29], s[2:3], 1
	v_cmp_gt_u32_e64 s1, 8, v0
	s_add_u32 s2, s16, s28
	s_addc_u32 s3, s17, s29
	s_lshl_b64 s[18:19], s[18:19], 1
	s_add_u32 s2, s2, s18
	s_addc_u32 s3, s3, s19
	s_lshl_b32 s4, s6, 10
	s_ashr_i32 s5, s12, 31
	v_lshl_or_b32 v13, v0, 2, s4
	s_lshr_b32 s4, s15, 30
	s_lshr_b32 s5, s5, 30
	s_add_i32 s4, s13, s4
	s_add_i32 s5, s12, s5
	v_ashrrev_i32_e32 v14, 31, v13
	s_and_b32 s46, s4, -4
	s_and_b32 s4, s5, -4
	v_add_nc_u32_e32 v32, 4, v13
	s_sub_i32 s15, s12, s4
	v_lshlrev_b64 v[11:12], 1, v[13:14]
	v_or_b32_e32 v30, 1, v13
	v_or_b32_e32 v28, 2, v13
	v_add_nc_u32_e32 v33, s15, v13
	v_or_b32_e32 v27, 3, v13
	s_cmp_lt_i32 s46, 1
	v_add_co_u32 v9, vcc_lo, s2, v11
	v_add_co_ci_u32_e64 v10, null, s3, v12, vcc_lo
	s_cbranch_scc1 .LBB417_55
; %bb.7:
	v_cmp_gt_u32_e32 vcc_lo, 24, v29
	v_mad_i64_i32 v[5:6], null, s26, v28, 0
	v_mad_i64_i32 v[7:8], null, s26, v27, 0
	v_cndmask_b32_e64 v1, 0, 8, vcc_lo
	v_cmp_gt_u32_e32 vcc_lo, 28, v29
	s_cmp_gt_i32 s15, 0
	s_mov_b32 s7, 0
	v_lshlrev_b64 v[5:6], 1, v[5:6]
	v_add_lshl_u32 v35, v1, v29, 2
	v_cndmask_b32_e64 v2, 0, 4, vcc_lo
	v_cmp_gt_u32_e32 vcc_lo, 30, v29
	s_cselect_b32 s47, -1, 0
	s_lshl_b64 s[8:9], s[6:7], 2
	v_mov_b32_e32 v25, v10
	v_add_lshl_u32 v36, v2, v29, 2
	v_cndmask_b32_e64 v3, 0, 2, vcc_lo
	v_cmp_ne_u32_e32 vcc_lo, 31, v29
	v_mad_i64_i32 v[1:2], null, s26, v13, 0
	s_add_u32 s48, s33, s8
	v_add_lshl_u32 v37, v3, v29, 2
	v_add_co_ci_u32_e64 v4, null, 0, v29, vcc_lo
	s_addc_u32 s49, s44, s9
	s_add_u32 s8, s10, s30
	v_lshlrev_b64 v[1:2], 1, v[1:2]
	v_lshlrev_b32_e32 v38, 2, v4
	v_mad_i64_i32 v[3:4], null, s26, v30, 0
	s_addc_u32 s9, s11, s31
	s_add_u32 s8, s8, s20
	v_add_co_u32 v14, vcc_lo, s25, v1
	v_add_co_ci_u32_e64 v15, null, s45, v2, vcc_lo
	v_lshlrev_b64 v[3:4], 1, v[3:4]
	s_addc_u32 s9, s9, s21
	v_cmp_ge_i32_e64 s2, s12, v32
	v_cmp_ge_i32_e64 s3, s12, v33
	v_lshl_or_b32 v34, v29, 2, 64
	v_cmp_eq_u32_e64 s4, 0, v26
	v_add_co_u32 v16, vcc_lo, s25, v3
	v_add_co_ci_u32_e64 v17, null, s45, v4, vcc_lo
	v_lshlrev_b64 v[3:4], 1, v[7:8]
	v_add_co_u32 v18, vcc_lo, s25, v5
	v_mov_b32_e32 v5, 0
	v_add_co_ci_u32_e64 v19, null, s45, v6, vcc_lo
	v_add_co_u32 v20, vcc_lo, s25, v3
	v_mov_b32_e32 v6, v5
	v_mov_b32_e32 v7, v5
	;; [unrolled: 1-line block ×3, first 2 shown]
	v_add_co_ci_u32_e64 v21, null, s45, v4, vcc_lo
	v_add_co_u32 v22, vcc_lo, s8, v1
	v_add_co_ci_u32_e64 v23, null, s9, v2, vcc_lo
	v_mov_b32_e32 v1, v5
	v_lshlrev_b32_e32 v39, 2, v26
	v_and_b32_e32 v40, 28, v31
	v_cmp_eq_u32_e64 s5, 0, v0
	v_mov_b32_e32 v24, v9
	v_mov_b32_e32 v2, v6
	;; [unrolled: 1-line block ×4, first 2 shown]
	s_lshl_b64 s[34:35], s[26:27], 1
	s_lshl_b64 s[36:37], s[22:23], 3
	;; [unrolled: 1-line block ×4, first 2 shown]
	s_mul_hi_i32 s50, s22, 6
	s_mul_i32 s51, s22, 6
	s_branch .LBB417_9
.LBB417_8:                              ;   in Loop: Header=BB417_9 Depth=1
	s_or_b32 exec_lo, exec_lo, s8
	v_add_co_u32 v24, vcc_lo, v24, s36
	v_add_co_ci_u32_e64 v25, null, s37, v25, vcc_lo
	s_add_i32 s7, s7, 4
	s_cmp_ge_i32 s7, s46
	s_cbranch_scc1 .LBB417_56
.LBB417_9:                              ; =>This Loop Header: Depth=1
                                        ;     Child Loop BB417_40 Depth 2
                                        ;     Child Loop BB417_43 Depth 2
                                        ; implicit-def: $vgpr8
                                        ; implicit-def: $vgpr41
                                        ; implicit-def: $vgpr42
                                        ; implicit-def: $vgpr43
	s_and_saveexec_b32 s8, s2
	s_xor_b32 s8, exec_lo, s8
	s_cbranch_execnz .LBB417_36
; %bb.10:                               ;   in Loop: Header=BB417_9 Depth=1
	s_andn2_saveexec_b32 s52, s8
	s_cbranch_execnz .LBB417_37
.LBB417_11:                             ;   in Loop: Header=BB417_9 Depth=1
	s_or_b32 exec_lo, exec_lo, s52
	s_and_saveexec_b32 s8, s0
.LBB417_12:                             ;   in Loop: Header=BB417_9 Depth=1
	ds_write_b32 v39, v5
.LBB417_13:                             ;   in Loop: Header=BB417_9 Depth=1
	s_or_b32 exec_lo, exec_lo, s8
	ds_bpermute_b32 v6, v34, v43
	s_waitcnt lgkmcnt(0)
	s_waitcnt_vscnt null, 0x0
	s_barrier
	buffer_gl0_inv
	v_add_f32_e32 v6, v43, v6
	ds_bpermute_b32 v7, v35, v6
	s_waitcnt lgkmcnt(0)
	v_add_f32_e32 v6, v6, v7
	ds_bpermute_b32 v7, v36, v6
	s_waitcnt lgkmcnt(0)
	;; [unrolled: 3-line block ×3, first 2 shown]
	v_add_f32_e32 v6, v6, v7
	ds_bpermute_b32 v7, v38, v6
	s_and_saveexec_b32 s8, s4
	s_cbranch_execz .LBB417_15
; %bb.14:                               ;   in Loop: Header=BB417_9 Depth=1
	s_waitcnt lgkmcnt(0)
	v_add_f32_e32 v6, v6, v7
	ds_write_b32 v40, v6
.LBB417_15:                             ;   in Loop: Header=BB417_9 Depth=1
	s_or_b32 exec_lo, exec_lo, s8
	v_mov_b32_e32 v6, 0
	s_waitcnt lgkmcnt(0)
	s_barrier
	buffer_gl0_inv
	s_and_saveexec_b32 s8, s1
	s_cbranch_execnz .LBB417_44
; %bb.16:                               ;   in Loop: Header=BB417_9 Depth=1
	s_or_b32 exec_lo, exec_lo, s8
	s_and_saveexec_b32 s8, s0
	s_cbranch_execnz .LBB417_45
.LBB417_17:                             ;   in Loop: Header=BB417_9 Depth=1
	s_or_b32 exec_lo, exec_lo, s8
	s_and_saveexec_b32 s8, s0
.LBB417_18:                             ;   in Loop: Header=BB417_9 Depth=1
	ds_write_b32 v39, v5
.LBB417_19:                             ;   in Loop: Header=BB417_9 Depth=1
	s_or_b32 exec_lo, exec_lo, s8
	ds_bpermute_b32 v7, v34, v42
	s_waitcnt lgkmcnt(0)
	s_barrier
	buffer_gl0_inv
	v_add_f32_e32 v7, v42, v7
	ds_bpermute_b32 v42, v35, v7
	s_waitcnt lgkmcnt(0)
	v_add_f32_e32 v7, v7, v42
	ds_bpermute_b32 v42, v36, v7
	s_waitcnt lgkmcnt(0)
	v_add_f32_e32 v7, v7, v42
	ds_bpermute_b32 v42, v37, v7
	s_waitcnt lgkmcnt(0)
	v_add_f32_e32 v7, v7, v42
	ds_bpermute_b32 v42, v38, v7
	s_and_saveexec_b32 s8, s4
	s_cbranch_execz .LBB417_21
; %bb.20:                               ;   in Loop: Header=BB417_9 Depth=1
	s_waitcnt lgkmcnt(0)
	v_add_f32_e32 v7, v7, v42
	ds_write_b32 v40, v7
.LBB417_21:                             ;   in Loop: Header=BB417_9 Depth=1
	s_or_b32 exec_lo, exec_lo, s8
	v_mov_b32_e32 v7, 0
	s_waitcnt lgkmcnt(0)
	s_barrier
	buffer_gl0_inv
	s_and_saveexec_b32 s8, s1
	s_cbranch_execnz .LBB417_46
; %bb.22:                               ;   in Loop: Header=BB417_9 Depth=1
	s_or_b32 exec_lo, exec_lo, s8
	s_and_saveexec_b32 s8, s0
	s_cbranch_execnz .LBB417_47
.LBB417_23:                             ;   in Loop: Header=BB417_9 Depth=1
	s_or_b32 exec_lo, exec_lo, s8
	s_and_saveexec_b32 s8, s0
.LBB417_24:                             ;   in Loop: Header=BB417_9 Depth=1
	ds_write_b32 v39, v5
.LBB417_25:                             ;   in Loop: Header=BB417_9 Depth=1
	s_or_b32 exec_lo, exec_lo, s8
	ds_bpermute_b32 v42, v34, v41
	s_waitcnt lgkmcnt(0)
	s_barrier
	buffer_gl0_inv
	v_add_f32_e32 v41, v41, v42
	ds_bpermute_b32 v42, v35, v41
	s_waitcnt lgkmcnt(0)
	v_add_f32_e32 v41, v41, v42
	ds_bpermute_b32 v42, v36, v41
	s_waitcnt lgkmcnt(0)
	;; [unrolled: 3-line block ×3, first 2 shown]
	v_add_f32_e32 v41, v41, v42
	ds_bpermute_b32 v42, v38, v41
	s_and_saveexec_b32 s8, s4
	s_cbranch_execz .LBB417_27
; %bb.26:                               ;   in Loop: Header=BB417_9 Depth=1
	s_waitcnt lgkmcnt(0)
	v_add_f32_e32 v41, v41, v42
	ds_write_b32 v40, v41
.LBB417_27:                             ;   in Loop: Header=BB417_9 Depth=1
	s_or_b32 exec_lo, exec_lo, s8
	v_mov_b32_e32 v41, 0
	s_waitcnt lgkmcnt(0)
	s_barrier
	buffer_gl0_inv
	s_and_saveexec_b32 s8, s1
	s_cbranch_execnz .LBB417_48
; %bb.28:                               ;   in Loop: Header=BB417_9 Depth=1
	s_or_b32 exec_lo, exec_lo, s8
	s_and_saveexec_b32 s8, s0
	s_cbranch_execnz .LBB417_49
.LBB417_29:                             ;   in Loop: Header=BB417_9 Depth=1
	s_or_b32 exec_lo, exec_lo, s8
	s_and_saveexec_b32 s8, s0
.LBB417_30:                             ;   in Loop: Header=BB417_9 Depth=1
	ds_write_b32 v39, v5
.LBB417_31:                             ;   in Loop: Header=BB417_9 Depth=1
	s_or_b32 exec_lo, exec_lo, s8
	ds_bpermute_b32 v42, v34, v8
	s_waitcnt lgkmcnt(0)
	s_barrier
	buffer_gl0_inv
	v_add_f32_e32 v8, v8, v42
	ds_bpermute_b32 v42, v35, v8
	s_waitcnt lgkmcnt(0)
	v_add_f32_e32 v8, v8, v42
	ds_bpermute_b32 v42, v36, v8
	s_waitcnt lgkmcnt(0)
	v_add_f32_e32 v8, v8, v42
	ds_bpermute_b32 v42, v37, v8
	s_waitcnt lgkmcnt(0)
	v_add_f32_e32 v8, v8, v42
	ds_bpermute_b32 v42, v38, v8
	s_and_saveexec_b32 s8, s4
	s_cbranch_execz .LBB417_33
; %bb.32:                               ;   in Loop: Header=BB417_9 Depth=1
	s_waitcnt lgkmcnt(0)
	v_add_f32_e32 v8, v8, v42
	ds_write_b32 v40, v8
.LBB417_33:                             ;   in Loop: Header=BB417_9 Depth=1
	s_or_b32 exec_lo, exec_lo, s8
	v_mov_b32_e32 v8, 0
	s_waitcnt lgkmcnt(0)
	s_barrier
	buffer_gl0_inv
	s_and_saveexec_b32 s8, s1
	s_cbranch_execnz .LBB417_50
; %bb.34:                               ;   in Loop: Header=BB417_9 Depth=1
	s_or_b32 exec_lo, exec_lo, s8
	s_and_saveexec_b32 s8, s0
	s_cbranch_execnz .LBB417_51
.LBB417_35:                             ;   in Loop: Header=BB417_9 Depth=1
	s_or_b32 exec_lo, exec_lo, s8
	s_and_saveexec_b32 s8, s5
	s_cbranch_execz .LBB417_8
	s_branch .LBB417_52
.LBB417_36:                             ;   in Loop: Header=BB417_9 Depth=1
	s_mul_i32 s9, s7, s23
	s_mul_hi_u32 s42, s7, s22
	s_add_i32 s43, s42, s9
	s_mul_i32 s42, s7, s22
	s_or_b32 s9, s7, 1
	s_lshl_b64 s[42:43], s[42:43], 1
	s_mul_i32 s52, s9, s23
	s_mul_hi_u32 s53, s9, s22
	v_add_co_u32 v1, vcc_lo, v9, s42
	v_add_co_ci_u32_e64 v2, null, s43, v10, vcc_lo
	s_add_i32 s43, s53, s52
	s_mul_i32 s42, s9, s22
	s_or_b32 s9, s7, 2
	s_lshl_b64 s[42:43], s[42:43], 1
	s_mul_i32 s52, s9, s23
	s_mul_hi_u32 s53, s9, s22
	v_add_co_u32 v3, vcc_lo, v9, s42
	v_add_co_ci_u32_e64 v4, null, s43, v10, vcc_lo
	s_add_i32 s43, s53, s52
	s_or_b32 s52, s7, 3
	s_mul_i32 s42, s9, s22
	s_mul_i32 s9, s52, s23
	s_mul_hi_u32 s53, s52, s22
	s_lshl_b64 s[42:43], s[42:43], 1
	s_add_i32 s53, s53, s9
	s_mul_i32 s52, s52, s22
	v_add_co_u32 v6, vcc_lo, v9, s42
	v_add_co_ci_u32_e64 v7, null, s43, v10, vcc_lo
	s_lshl_b64 s[42:43], s[52:53], 1
	v_add_co_u32 v41, vcc_lo, v9, s42
	v_add_co_ci_u32_e64 v42, null, s43, v10, vcc_lo
	s_waitcnt lgkmcnt(0)
	global_load_ushort v8, v[14:15], off
	s_clause 0x3
	global_load_dwordx2 v[43:44], v[1:2], off
	global_load_dwordx2 v[45:46], v[3:4], off
	;; [unrolled: 1-line block ×4, first 2 shown]
	s_clause 0x2
	global_load_ushort v3, v[16:17], off
	global_load_ushort v4, v[18:19], off
	global_load_ushort v49, v[20:21], off
	s_waitcnt vmcnt(7)
	v_cvt_f32_f16_e32 v1, v8
	s_waitcnt vmcnt(6)
	v_fma_mix_f32 v41, v8, v43, 0 op_sel_hi:[1,1,0]
	s_waitcnt vmcnt(5)
	v_fma_mix_f32 v42, v8, v45, 0 op_sel_hi:[1,1,0]
	;; [unrolled: 2-line block ×4, first 2 shown]
	s_waitcnt vmcnt(2)
	v_cvt_f32_f16_e32 v2, v3
	v_fma_mix_f32 v41, v3, v43, v41 op_sel:[0,1,0] op_sel_hi:[1,1,0]
	v_fma_mix_f32 v42, v3, v45, v42 op_sel:[0,1,0] op_sel_hi:[1,1,0]
	;; [unrolled: 1-line block ×4, first 2 shown]
	s_waitcnt vmcnt(1)
	v_cvt_f32_f16_e32 v3, v4
	v_fma_mix_f32 v41, v4, v44, v41 op_sel_hi:[1,1,0]
	v_fma_mix_f32 v42, v4, v46, v42 op_sel_hi:[1,1,0]
	;; [unrolled: 1-line block ×4, first 2 shown]
	s_waitcnt vmcnt(0)
	v_cvt_f32_f16_e32 v4, v49
	v_fma_mix_f32 v43, v49, v44, v41 op_sel:[0,1,0] op_sel_hi:[1,1,0]
	v_fma_mix_f32 v42, v49, v46, v42 op_sel:[0,1,0] op_sel_hi:[1,1,0]
	;; [unrolled: 1-line block ×4, first 2 shown]
	s_andn2_saveexec_b32 s52, s8
	s_cbranch_execz .LBB417_11
.LBB417_37:                             ;   in Loop: Header=BB417_9 Depth=1
	s_waitcnt lgkmcnt(0)
	v_mov_b32_e32 v8, 0
	v_mov_b32_e32 v41, 0
	;; [unrolled: 1-line block ×4, first 2 shown]
	s_and_saveexec_b32 s53, s3
	s_cbranch_execz .LBB417_54
; %bb.38:                               ;   in Loop: Header=BB417_9 Depth=1
	s_andn2_b32 vcc_lo, exec_lo, s47
	s_cbranch_vccnz .LBB417_41
; %bb.39:                               ;   in Loop: Header=BB417_9 Depth=1
	v_mov_b32_e32 v6, v22
	v_mov_b32_e32 v7, v23
	s_mov_b64 s[42:43], 0
	.p2align	6
.LBB417_40:                             ;   Parent Loop BB417_9 Depth=1
                                        ; =>  This Inner Loop Header: Depth=2
	global_load_ushort v8, v[6:7], off
	s_cmp_eq_u32 s42, 3
	v_add_co_u32 v6, vcc_lo, v6, s34
	v_add_co_ci_u32_e64 v7, null, s35, v7, vcc_lo
	s_cselect_b32 vcc_lo, -1, 0
	s_cmp_eq_u32 s42, 2
	s_cselect_b32 s8, -1, 0
	s_cmp_eq_u32 s42, 1
	s_cselect_b32 s9, -1, 0
	s_cmp_eq_u32 s42, 0
	s_waitcnt vmcnt(0)
	v_cvt_f32_f16_e32 v8, v8
	v_cndmask_b32_e32 v4, v4, v8, vcc_lo
	s_cselect_b32 vcc_lo, -1, 0
	v_cndmask_b32_e64 v3, v3, v8, s8
	v_cndmask_b32_e64 v2, v2, v8, s9
	v_cndmask_b32_e32 v1, v1, v8, vcc_lo
	s_add_u32 s42, s42, 1
	s_addc_u32 s43, s43, 0
	s_cmp_eq_u32 s15, s42
	s_cbranch_scc0 .LBB417_40
.LBB417_41:                             ;   in Loop: Header=BB417_9 Depth=1
	s_andn2_b32 vcc_lo, exec_lo, s47
	s_cbranch_vccnz .LBB417_53
; %bb.42:                               ;   in Loop: Header=BB417_9 Depth=1
	v_mov_b32_e32 v6, v24
	v_mov_b32_e32 v43, 0
	;; [unrolled: 1-line block ×6, first 2 shown]
	s_mov_b64 s[42:43], 0
	s_inst_prefetch 0x1
	.p2align	6
.LBB417_43:                             ;   Parent Loop BB417_9 Depth=1
                                        ; =>  This Inner Loop Header: Depth=2
	v_add_co_u32 v44, vcc_lo, v6, s38
	v_add_co_ci_u32_e64 v45, null, s39, v7, vcc_lo
	v_add_co_u32 v46, vcc_lo, v6, s40
	v_add_co_ci_u32_e64 v47, null, s41, v7, vcc_lo
	;; [unrolled: 2-line block ×3, first 2 shown]
	s_clause 0x3
	global_load_ushort v50, v[6:7], off
	global_load_ushort v44, v[44:45], off
	;; [unrolled: 1-line block ×4, first 2 shown]
	s_cmp_eq_u32 s42, 1
	v_add_co_u32 v6, s8, v6, 2
	s_cselect_b32 vcc_lo, -1, 0
	s_cmp_eq_u32 s42, 2
	v_cndmask_b32_e32 v47, v1, v2, vcc_lo
	s_cselect_b32 vcc_lo, -1, 0
	s_cmp_eq_u32 s42, 3
	v_add_co_ci_u32_e64 v7, null, 0, v7, s8
	v_cndmask_b32_e32 v47, v47, v3, vcc_lo
	s_cselect_b32 vcc_lo, -1, 0
	s_add_u32 s42, s42, 1
	s_addc_u32 s43, s43, 0
	s_cmp_lg_u32 s15, s42
	v_cndmask_b32_e32 v47, v47, v4, vcc_lo
	s_waitcnt vmcnt(3)
	v_fma_mix_f32 v43, v47, v50, v43 op_sel_hi:[0,1,0]
	s_waitcnt vmcnt(2)
	v_fma_mix_f32 v42, v47, v44, v42 op_sel_hi:[0,1,0]
	;; [unrolled: 2-line block ×4, first 2 shown]
	s_cbranch_scc1 .LBB417_43
	s_branch .LBB417_54
.LBB417_44:                             ;   in Loop: Header=BB417_9 Depth=1
	ds_read_b32 v6, v39
	s_or_b32 exec_lo, exec_lo, s8
	s_and_saveexec_b32 s8, s0
	s_cbranch_execz .LBB417_17
.LBB417_45:                             ;   in Loop: Header=BB417_9 Depth=1
	s_waitcnt lgkmcnt(0)
	ds_bpermute_b32 v7, v36, v6
	s_waitcnt lgkmcnt(0)
	v_add_f32_e32 v6, v6, v7
	ds_bpermute_b32 v7, v37, v6
	s_waitcnt lgkmcnt(0)
	v_add_f32_e32 v6, v6, v7
	;; [unrolled: 3-line block ×3, first 2 shown]
	s_or_b32 exec_lo, exec_lo, s8
	s_and_saveexec_b32 s8, s0
	s_cbranch_execnz .LBB417_18
	s_branch .LBB417_19
.LBB417_46:                             ;   in Loop: Header=BB417_9 Depth=1
	ds_read_b32 v7, v39
	s_or_b32 exec_lo, exec_lo, s8
	s_and_saveexec_b32 s8, s0
	s_cbranch_execz .LBB417_23
.LBB417_47:                             ;   in Loop: Header=BB417_9 Depth=1
	s_waitcnt lgkmcnt(0)
	ds_bpermute_b32 v42, v36, v7
	s_waitcnt lgkmcnt(0)
	v_add_f32_e32 v7, v7, v42
	ds_bpermute_b32 v42, v37, v7
	s_waitcnt lgkmcnt(0)
	v_add_f32_e32 v7, v7, v42
	;; [unrolled: 3-line block ×3, first 2 shown]
	s_or_b32 exec_lo, exec_lo, s8
	s_and_saveexec_b32 s8, s0
	s_cbranch_execnz .LBB417_24
	s_branch .LBB417_25
.LBB417_48:                             ;   in Loop: Header=BB417_9 Depth=1
	ds_read_b32 v41, v39
	s_or_b32 exec_lo, exec_lo, s8
	s_and_saveexec_b32 s8, s0
	s_cbranch_execz .LBB417_29
.LBB417_49:                             ;   in Loop: Header=BB417_9 Depth=1
	s_waitcnt lgkmcnt(0)
	ds_bpermute_b32 v42, v36, v41
	s_waitcnt lgkmcnt(0)
	v_add_f32_e32 v41, v41, v42
	ds_bpermute_b32 v42, v37, v41
	s_waitcnt lgkmcnt(0)
	v_add_f32_e32 v41, v41, v42
	;; [unrolled: 3-line block ×3, first 2 shown]
	s_or_b32 exec_lo, exec_lo, s8
	s_and_saveexec_b32 s8, s0
	s_cbranch_execnz .LBB417_30
	s_branch .LBB417_31
.LBB417_50:                             ;   in Loop: Header=BB417_9 Depth=1
	ds_read_b32 v8, v39
	s_or_b32 exec_lo, exec_lo, s8
	s_and_saveexec_b32 s8, s0
	s_cbranch_execz .LBB417_35
.LBB417_51:                             ;   in Loop: Header=BB417_9 Depth=1
	s_waitcnt lgkmcnt(0)
	ds_bpermute_b32 v42, v36, v8
	s_waitcnt lgkmcnt(0)
	v_add_f32_e32 v8, v8, v42
	ds_bpermute_b32 v42, v37, v8
	s_waitcnt lgkmcnt(0)
	v_add_f32_e32 v8, v8, v42
	;; [unrolled: 3-line block ×3, first 2 shown]
	s_or_b32 exec_lo, exec_lo, s8
	s_and_saveexec_b32 s8, s5
	s_cbranch_execz .LBB417_8
.LBB417_52:                             ;   in Loop: Header=BB417_9 Depth=1
	s_mul_hi_u32 s43, s7, s24
	s_mul_i32 s42, s7, s24
	v_mul_f32_e32 v6, s14, v6
	s_lshl_b64 s[42:43], s[42:43], 2
	v_mul_f32_e32 v7, s14, v7
	s_add_u32 s42, s48, s42
	s_addc_u32 s43, s49, s43
	s_or_b32 s9, s7, 1
	global_store_dword v5, v6, s[42:43]
	s_mul_hi_u32 s53, s9, s24
	s_mul_i32 s52, s9, s24
	v_mul_f32_e32 v6, s14, v41
	s_lshl_b64 s[52:53], s[52:53], 2
	s_waitcnt lgkmcnt(0)
	v_mul_f32_e32 v8, s14, v8
	s_add_u32 s52, s48, s52
	s_addc_u32 s53, s49, s53
	s_or_b32 s9, s7, 2
	global_store_dword v5, v7, s[52:53]
	s_mul_hi_u32 s55, s9, s24
	s_mul_i32 s54, s9, s24
	s_lshl_b64 s[54:55], s[54:55], 2
	s_add_u32 s42, s48, s54
	s_addc_u32 s43, s49, s55
	s_or_b32 s9, s7, 3
	s_mul_hi_u32 s55, s9, s24
	s_mul_i32 s54, s9, s24
	s_lshl_b64 s[54:55], s[54:55], 2
	s_add_u32 s52, s48, s54
	s_addc_u32 s53, s49, s55
	global_store_dword v5, v6, s[42:43]
	global_store_dword v5, v8, s[52:53]
	s_branch .LBB417_8
.LBB417_53:                             ;   in Loop: Header=BB417_9 Depth=1
	v_mov_b32_e32 v8, 0
	v_mov_b32_e32 v41, 0
	;; [unrolled: 1-line block ×4, first 2 shown]
.LBB417_54:                             ;   in Loop: Header=BB417_9 Depth=1
	s_inst_prefetch 0x2
	s_or_b32 exec_lo, exec_lo, s53
	s_or_b32 exec_lo, exec_lo, s52
	s_and_saveexec_b32 s8, s0
	s_cbranch_execnz .LBB417_12
	s_branch .LBB417_13
.LBB417_55:
	v_mov_b32_e32 v1, 0
	s_mov_b32 s7, 0
	v_mov_b32_e32 v2, v1
	v_mov_b32_e32 v3, v1
	;; [unrolled: 1-line block ×3, first 2 shown]
.LBB417_56:
	s_cmp_ge_i32 s7, s13
	s_cbranch_scc1 .LBB417_80
; %bb.57:
	v_cmp_gt_u32_e32 vcc_lo, 24, v29
	v_lshl_or_b32 v22, v29, 2, 64
	v_mad_i64_i32 v[15:16], null, s26, v27, 0
	s_cmp_gt_i32 s15, 0
	v_cndmask_b32_e64 v5, 0, 8, vcc_lo
	v_cmp_gt_u32_e32 vcc_lo, 28, v29
	s_mov_b32 s9, 0
	s_mov_b32 s8, s6
	v_cmp_ge_i32_e64 s0, s12, v32
	v_add_lshl_u32 v23, v5, v29, 2
	v_cndmask_b32_e64 v6, 0, 4, vcc_lo
	v_cmp_gt_u32_e32 vcc_lo, 30, v29
	v_cmp_ge_i32_e64 s1, s12, v33
	s_cselect_b32 s12, -1, 0
	s_lshl_b64 s[34:35], s[8:9], 2
	v_add_lshl_u32 v24, v6, v29, 2
	v_cndmask_b32_e64 v7, 0, 2, vcc_lo
	v_cmp_ne_u32_e32 vcc_lo, 31, v29
	v_mad_i64_i32 v[5:6], null, s26, v13, 0
	v_mad_i64_i32 v[13:14], null, s26, v28, 0
	s_waitcnt lgkmcnt(0)
	v_add_co_ci_u32_e64 v8, null, 0, v29, vcc_lo
	v_add_lshl_u32 v25, v7, v29, 2
	s_add_u32 s33, s33, s34
	v_lshlrev_b64 v[17:18], 1, v[5:6]
	v_lshlrev_b32_e32 v29, 2, v8
	v_mad_i64_i32 v[7:8], null, s26, v30, 0
	v_lshlrev_b64 v[13:14], 1, v[13:14]
	v_lshlrev_b64 v[15:16], 1, v[15:16]
	v_add_co_u32 v5, vcc_lo, s25, v17
	s_addc_u32 s34, s44, s35
	v_add_co_ci_u32_e64 v6, null, s45, v18, vcc_lo
	v_lshlrev_b64 v[7:8], 1, v[7:8]
	s_add_u32 s6, s10, s30
	s_addc_u32 s8, s11, s31
	s_mul_i32 s10, s23, s7
	s_mul_hi_u32 s11, s22, s7
	s_add_u32 s6, s6, s20
	v_add_co_u32 v7, vcc_lo, s25, v7
	v_add_co_ci_u32_e64 v8, null, s45, v8, vcc_lo
	v_add_co_u32 v13, vcc_lo, s25, v13
	s_addc_u32 s8, s8, s21
	s_add_i32 s11, s11, s10
	s_mul_i32 s10, s22, s7
	v_add_co_ci_u32_e64 v14, null, s45, v14, vcc_lo
	v_add_co_u32 v15, vcc_lo, s25, v15
	s_lshl_b64 s[20:21], s[10:11], 1
	v_add_co_ci_u32_e64 v16, null, s45, v16, vcc_lo
	v_add_co_u32 v17, vcc_lo, s6, v17
	s_lshl_b64 s[10:11], s[26:27], 1
	s_add_u32 s6, s28, s20
	v_add_co_ci_u32_e64 v18, null, s8, v18, vcc_lo
	s_addc_u32 s8, s29, s21
	s_add_u32 s6, s6, s18
	s_addc_u32 s8, s8, s19
	s_add_u32 s6, s16, s6
	s_addc_u32 s8, s17, s8
	v_add_co_u32 v11, vcc_lo, s6, v11
	v_cmp_gt_u32_e64 s2, 32, v0
	v_lshlrev_b32_e32 v21, 2, v26
	v_cmp_eq_u32_e64 s3, 0, v26
	v_and_b32_e32 v26, 28, v31
	v_cmp_gt_u32_e64 s4, 8, v0
	v_cmp_eq_u32_e64 s5, 0, v0
	v_add_co_ci_u32_e64 v12, null, s8, v12, vcc_lo
	v_mov_b32_e32 v0, 0
	s_lshl_b64 s[16:17], s[22:23], 1
	s_branch .LBB417_59
.LBB417_58:                             ;   in Loop: Header=BB417_59 Depth=1
	s_or_b32 exec_lo, exec_lo, s6
	v_add_co_u32 v11, vcc_lo, v11, s16
	v_add_co_ci_u32_e64 v12, null, s17, v12, vcc_lo
	s_add_i32 s7, s7, 1
	s_cmp_ge_i32 s7, s13
	s_cbranch_scc1 .LBB417_80
.LBB417_59:                             ; =>This Loop Header: Depth=1
                                        ;     Child Loop BB417_72 Depth 2
                                        ;     Child Loop BB417_75 Depth 2
	v_mov_b32_e32 v27, s9
	s_and_saveexec_b32 s6, s0
	s_xor_b32 s6, exec_lo, s6
	s_cbranch_execnz .LBB417_68
; %bb.60:                               ;   in Loop: Header=BB417_59 Depth=1
	s_andn2_saveexec_b32 s20, s6
	s_cbranch_execnz .LBB417_69
.LBB417_61:                             ;   in Loop: Header=BB417_59 Depth=1
	s_or_b32 exec_lo, exec_lo, s20
	s_and_saveexec_b32 s6, s2
.LBB417_62:                             ;   in Loop: Header=BB417_59 Depth=1
	ds_write_b32 v21, v0
.LBB417_63:                             ;   in Loop: Header=BB417_59 Depth=1
	s_or_b32 exec_lo, exec_lo, s6
	s_waitcnt lgkmcnt(0)
	ds_bpermute_b32 v19, v22, v27
	s_waitcnt lgkmcnt(0)
	s_waitcnt_vscnt null, 0x0
	s_barrier
	buffer_gl0_inv
	v_add_f32_e32 v19, v27, v19
	ds_bpermute_b32 v20, v23, v19
	s_waitcnt lgkmcnt(0)
	v_add_f32_e32 v19, v19, v20
	ds_bpermute_b32 v20, v24, v19
	s_waitcnt lgkmcnt(0)
	;; [unrolled: 3-line block ×3, first 2 shown]
	v_add_f32_e32 v19, v19, v20
	ds_bpermute_b32 v20, v29, v19
	s_and_saveexec_b32 s6, s3
	s_cbranch_execz .LBB417_65
; %bb.64:                               ;   in Loop: Header=BB417_59 Depth=1
	s_waitcnt lgkmcnt(0)
	v_add_f32_e32 v19, v19, v20
	ds_write_b32 v26, v19
.LBB417_65:                             ;   in Loop: Header=BB417_59 Depth=1
	s_or_b32 exec_lo, exec_lo, s6
	v_mov_b32_e32 v19, 0
	s_waitcnt lgkmcnt(0)
	s_barrier
	buffer_gl0_inv
	s_and_saveexec_b32 s6, s4
	s_cbranch_execnz .LBB417_77
; %bb.66:                               ;   in Loop: Header=BB417_59 Depth=1
	s_or_b32 exec_lo, exec_lo, s6
	s_and_saveexec_b32 s6, s2
	s_cbranch_execnz .LBB417_78
.LBB417_67:                             ;   in Loop: Header=BB417_59 Depth=1
	s_or_b32 exec_lo, exec_lo, s6
	s_and_saveexec_b32 s6, s5
	s_cbranch_execz .LBB417_58
	s_branch .LBB417_79
.LBB417_68:                             ;   in Loop: Header=BB417_59 Depth=1
	s_mul_i32 s8, s7, s23
	s_mul_hi_u32 s19, s7, s22
	s_mul_i32 s18, s7, s22
	s_add_i32 s19, s19, s8
	s_lshl_b64 s[18:19], s[18:19], 1
	v_add_co_u32 v1, vcc_lo, v9, s18
	v_add_co_ci_u32_e64 v2, null, s19, v10, vcc_lo
	s_waitcnt lgkmcnt(0)
	global_load_dwordx2 v[19:20], v[1:2], off
	s_clause 0x3
	global_load_ushort v1, v[5:6], off
	global_load_ushort v2, v[7:8], off
	;; [unrolled: 1-line block ×4, first 2 shown]
	s_waitcnt vmcnt(3)
	v_fma_mix_f32 v4, v1, v19, 0 op_sel_hi:[1,1,0]
	v_cvt_f32_f16_e32 v1, v1
	s_waitcnt vmcnt(2)
	v_fma_mix_f32 v4, v2, v19, v4 op_sel:[0,1,0] op_sel_hi:[1,1,0]
	v_cvt_f32_f16_e32 v2, v2
	s_waitcnt vmcnt(1)
	v_fma_mix_f32 v19, v3, v20, v4 op_sel_hi:[1,1,0]
	v_cvt_f32_f16_e32 v3, v3
	s_waitcnt vmcnt(0)
	v_cvt_f32_f16_e32 v4, v27
	v_fma_mix_f32 v27, v27, v20, v19 op_sel:[0,1,0] op_sel_hi:[1,1,0]
	s_andn2_saveexec_b32 s20, s6
	s_cbranch_execz .LBB417_61
.LBB417_69:                             ;   in Loop: Header=BB417_59 Depth=1
	s_and_saveexec_b32 s21, s1
	s_cbranch_execz .LBB417_76
; %bb.70:                               ;   in Loop: Header=BB417_59 Depth=1
	s_andn2_b32 vcc_lo, exec_lo, s12
	s_cbranch_vccnz .LBB417_73
; %bb.71:                               ;   in Loop: Header=BB417_59 Depth=1
	s_waitcnt lgkmcnt(0)
	v_mov_b32_e32 v20, v18
	v_mov_b32_e32 v19, v17
	s_mov_b64 s[18:19], 0
	.p2align	6
.LBB417_72:                             ;   Parent Loop BB417_59 Depth=1
                                        ; =>  This Inner Loop Header: Depth=2
	global_load_ushort v28, v[19:20], off
	s_cmp_eq_u32 s18, 3
	v_add_co_u32 v19, vcc_lo, v19, s10
	v_add_co_ci_u32_e64 v20, null, s11, v20, vcc_lo
	s_cselect_b32 vcc_lo, -1, 0
	s_cmp_eq_u32 s18, 2
	s_cselect_b32 s6, -1, 0
	s_cmp_eq_u32 s18, 1
	s_cselect_b32 s8, -1, 0
	s_cmp_eq_u32 s18, 0
	s_waitcnt vmcnt(0)
	v_cvt_f32_f16_e32 v28, v28
	v_cndmask_b32_e32 v4, v4, v28, vcc_lo
	s_cselect_b32 vcc_lo, -1, 0
	v_cndmask_b32_e64 v3, v3, v28, s6
	v_cndmask_b32_e64 v2, v2, v28, s8
	v_cndmask_b32_e32 v1, v1, v28, vcc_lo
	s_add_u32 s18, s18, 1
	s_addc_u32 s19, s19, 0
	s_cmp_eq_u32 s15, s18
	s_cbranch_scc0 .LBB417_72
.LBB417_73:                             ;   in Loop: Header=BB417_59 Depth=1
	s_andn2_b32 vcc_lo, exec_lo, s12
	s_cbranch_vccnz .LBB417_76
; %bb.74:                               ;   in Loop: Header=BB417_59 Depth=1
	s_waitcnt lgkmcnt(0)
	v_mov_b32_e32 v20, v12
	v_mov_b32_e32 v19, v11
	s_mov_b64 s[18:19], 0
	.p2align	6
.LBB417_75:                             ;   Parent Loop BB417_59 Depth=1
                                        ; =>  This Inner Loop Header: Depth=2
	global_load_ushort v28, v[19:20], off
	s_cmp_eq_u32 s18, 1
	s_cselect_b32 vcc_lo, -1, 0
	s_cmp_eq_u32 s18, 2
	v_cndmask_b32_e32 v30, v1, v2, vcc_lo
	s_cselect_b32 vcc_lo, -1, 0
	s_cmp_eq_u32 s18, 3
	v_cndmask_b32_e32 v30, v30, v3, vcc_lo
	s_cselect_b32 vcc_lo, -1, 0
	s_add_u32 s18, s18, 1
	s_addc_u32 s19, s19, 0
	s_cmp_lg_u32 s15, s18
	v_cndmask_b32_e32 v30, v30, v4, vcc_lo
	v_add_co_u32 v19, vcc_lo, v19, 2
	v_add_co_ci_u32_e64 v20, null, 0, v20, vcc_lo
	s_waitcnt vmcnt(0)
	v_fma_mix_f32 v27, v30, v28, v27 op_sel_hi:[0,1,0]
	s_cbranch_scc1 .LBB417_75
.LBB417_76:                             ;   in Loop: Header=BB417_59 Depth=1
	s_or_b32 exec_lo, exec_lo, s21
	s_or_b32 exec_lo, exec_lo, s20
	s_and_saveexec_b32 s6, s2
	s_cbranch_execnz .LBB417_62
	s_branch .LBB417_63
.LBB417_77:                             ;   in Loop: Header=BB417_59 Depth=1
	ds_read_b32 v19, v21
	s_or_b32 exec_lo, exec_lo, s6
	s_and_saveexec_b32 s6, s2
	s_cbranch_execz .LBB417_67
.LBB417_78:                             ;   in Loop: Header=BB417_59 Depth=1
	s_waitcnt lgkmcnt(0)
	ds_bpermute_b32 v20, v24, v19
	s_waitcnt lgkmcnt(0)
	v_add_f32_e32 v19, v19, v20
	ds_bpermute_b32 v20, v25, v19
	s_waitcnt lgkmcnt(0)
	v_add_f32_e32 v19, v19, v20
	;; [unrolled: 3-line block ×3, first 2 shown]
	s_or_b32 exec_lo, exec_lo, s6
	s_and_saveexec_b32 s6, s5
	s_cbranch_execz .LBB417_58
.LBB417_79:                             ;   in Loop: Header=BB417_59 Depth=1
	s_mul_hi_u32 s19, s7, s24
	s_mul_i32 s18, s7, s24
	s_waitcnt lgkmcnt(0)
	v_mul_f32_e32 v19, s14, v19
	s_lshl_b64 s[18:19], s[18:19], 2
	s_add_u32 s18, s33, s18
	s_addc_u32 s19, s34, s19
	global_store_dword v0, v19, s[18:19]
	s_branch .LBB417_58
.LBB417_80:
	s_endpgm
	.section	.rodata,"a",@progbits
	.p2align	6, 0x0
	.amdhsa_kernel _ZL23rocblas_gemvt_sn_kernelILb1ELi256ELi4ElDF16_ffEviiT4_lPKT3_lilS3_lilPT5_i
		.amdhsa_group_segment_fixed_size 128
		.amdhsa_private_segment_fixed_size 0
		.amdhsa_kernarg_size 360
		.amdhsa_user_sgpr_count 6
		.amdhsa_user_sgpr_private_segment_buffer 1
		.amdhsa_user_sgpr_dispatch_ptr 0
		.amdhsa_user_sgpr_queue_ptr 0
		.amdhsa_user_sgpr_kernarg_segment_ptr 1
		.amdhsa_user_sgpr_dispatch_id 0
		.amdhsa_user_sgpr_flat_scratch_init 0
		.amdhsa_user_sgpr_private_segment_size 0
		.amdhsa_wavefront_size32 1
		.amdhsa_uses_dynamic_stack 0
		.amdhsa_system_sgpr_private_segment_wavefront_offset 0
		.amdhsa_system_sgpr_workgroup_id_x 1
		.amdhsa_system_sgpr_workgroup_id_y 0
		.amdhsa_system_sgpr_workgroup_id_z 1
		.amdhsa_system_sgpr_workgroup_info 0
		.amdhsa_system_vgpr_workitem_id 0
		.amdhsa_next_free_vgpr 51
		.amdhsa_next_free_sgpr 56
		.amdhsa_reserve_vcc 1
		.amdhsa_reserve_flat_scratch 0
		.amdhsa_float_round_mode_32 0
		.amdhsa_float_round_mode_16_64 0
		.amdhsa_float_denorm_mode_32 3
		.amdhsa_float_denorm_mode_16_64 3
		.amdhsa_dx10_clamp 1
		.amdhsa_ieee_mode 1
		.amdhsa_fp16_overflow 0
		.amdhsa_workgroup_processor_mode 1
		.amdhsa_memory_ordered 1
		.amdhsa_forward_progress 1
		.amdhsa_shared_vgpr_count 0
		.amdhsa_exception_fp_ieee_invalid_op 0
		.amdhsa_exception_fp_denorm_src 0
		.amdhsa_exception_fp_ieee_div_zero 0
		.amdhsa_exception_fp_ieee_overflow 0
		.amdhsa_exception_fp_ieee_underflow 0
		.amdhsa_exception_fp_ieee_inexact 0
		.amdhsa_exception_int_div_zero 0
	.end_amdhsa_kernel
	.section	.text._ZL23rocblas_gemvt_sn_kernelILb1ELi256ELi4ElDF16_ffEviiT4_lPKT3_lilS3_lilPT5_i,"axG",@progbits,_ZL23rocblas_gemvt_sn_kernelILb1ELi256ELi4ElDF16_ffEviiT4_lPKT3_lilS3_lilPT5_i,comdat
.Lfunc_end417:
	.size	_ZL23rocblas_gemvt_sn_kernelILb1ELi256ELi4ElDF16_ffEviiT4_lPKT3_lilS3_lilPT5_i, .Lfunc_end417-_ZL23rocblas_gemvt_sn_kernelILb1ELi256ELi4ElDF16_ffEviiT4_lPKT3_lilS3_lilPT5_i
                                        ; -- End function
	.set _ZL23rocblas_gemvt_sn_kernelILb1ELi256ELi4ElDF16_ffEviiT4_lPKT3_lilS3_lilPT5_i.num_vgpr, 51
	.set _ZL23rocblas_gemvt_sn_kernelILb1ELi256ELi4ElDF16_ffEviiT4_lPKT3_lilS3_lilPT5_i.num_agpr, 0
	.set _ZL23rocblas_gemvt_sn_kernelILb1ELi256ELi4ElDF16_ffEviiT4_lPKT3_lilS3_lilPT5_i.numbered_sgpr, 56
	.set _ZL23rocblas_gemvt_sn_kernelILb1ELi256ELi4ElDF16_ffEviiT4_lPKT3_lilS3_lilPT5_i.num_named_barrier, 0
	.set _ZL23rocblas_gemvt_sn_kernelILb1ELi256ELi4ElDF16_ffEviiT4_lPKT3_lilS3_lilPT5_i.private_seg_size, 0
	.set _ZL23rocblas_gemvt_sn_kernelILb1ELi256ELi4ElDF16_ffEviiT4_lPKT3_lilS3_lilPT5_i.uses_vcc, 1
	.set _ZL23rocblas_gemvt_sn_kernelILb1ELi256ELi4ElDF16_ffEviiT4_lPKT3_lilS3_lilPT5_i.uses_flat_scratch, 0
	.set _ZL23rocblas_gemvt_sn_kernelILb1ELi256ELi4ElDF16_ffEviiT4_lPKT3_lilS3_lilPT5_i.has_dyn_sized_stack, 0
	.set _ZL23rocblas_gemvt_sn_kernelILb1ELi256ELi4ElDF16_ffEviiT4_lPKT3_lilS3_lilPT5_i.has_recursion, 0
	.set _ZL23rocblas_gemvt_sn_kernelILb1ELi256ELi4ElDF16_ffEviiT4_lPKT3_lilS3_lilPT5_i.has_indirect_call, 0
	.section	.AMDGPU.csdata,"",@progbits
; Kernel info:
; codeLenInByte = 4332
; TotalNumSgprs: 58
; NumVgprs: 51
; ScratchSize: 0
; MemoryBound: 0
; FloatMode: 240
; IeeeMode: 1
; LDSByteSize: 128 bytes/workgroup (compile time only)
; SGPRBlocks: 0
; VGPRBlocks: 6
; NumSGPRsForWavesPerEU: 58
; NumVGPRsForWavesPerEU: 51
; Occupancy: 16
; WaveLimiterHint : 1
; COMPUTE_PGM_RSRC2:SCRATCH_EN: 0
; COMPUTE_PGM_RSRC2:USER_SGPR: 6
; COMPUTE_PGM_RSRC2:TRAP_HANDLER: 0
; COMPUTE_PGM_RSRC2:TGID_X_EN: 1
; COMPUTE_PGM_RSRC2:TGID_Y_EN: 0
; COMPUTE_PGM_RSRC2:TGID_Z_EN: 1
; COMPUTE_PGM_RSRC2:TIDIG_COMP_CNT: 0
	.section	.text._ZL20rocblas_gemvt_kernelILb1ELi256EDF16_PKfDF16_EviiT2_lPKT1_lilS5_lilS2_lPT3_lili,"axG",@progbits,_ZL20rocblas_gemvt_kernelILb1ELi256EDF16_PKfDF16_EviiT2_lPKT1_lilS5_lilS2_lPT3_lili,comdat
	.globl	_ZL20rocblas_gemvt_kernelILb1ELi256EDF16_PKfDF16_EviiT2_lPKT1_lilS5_lilS2_lPT3_lili ; -- Begin function _ZL20rocblas_gemvt_kernelILb1ELi256EDF16_PKfDF16_EviiT2_lPKT1_lilS5_lilS2_lPT3_lili
	.p2align	8
	.type	_ZL20rocblas_gemvt_kernelILb1ELi256EDF16_PKfDF16_EviiT2_lPKT1_lilS5_lilS2_lPT3_lili,@function
_ZL20rocblas_gemvt_kernelILb1ELi256EDF16_PKfDF16_EviiT2_lPKT1_lilS5_lilS2_lPT3_lili: ; @_ZL20rocblas_gemvt_kernelILb1ELi256EDF16_PKfDF16_EviiT2_lPKT1_lilS5_lilS2_lPT3_lili
; %bb.0:
	s_clause 0x1
	s_load_dwordx8 s[8:15], s[4:5], 0x8
	s_load_dwordx8 s[16:23], s[4:5], 0x50
	s_waitcnt lgkmcnt(0)
	s_mul_i32 s1, s11, s7
	s_mul_hi_u32 s2, s10, s7
	s_mul_i32 s0, s10, s7
	s_add_i32 s1, s2, s1
	s_mul_i32 s2, s21, s7
	s_lshl_b64 s[0:1], s[0:1], 2
	s_mul_hi_u32 s3, s20, s7
	s_add_u32 s0, s8, s0
	s_addc_u32 s1, s9, s1
	s_add_i32 s3, s3, s2
	s_mul_i32 s2, s20, s7
	s_mov_b32 s21, 0
	s_lshl_b64 s[2:3], s[2:3], 2
	s_add_u32 s2, s18, s2
	s_addc_u32 s3, s19, s3
	s_load_dword s24, s[0:1], 0x0
	s_load_dword s20, s[2:3], 0x0
	s_waitcnt lgkmcnt(0)
	v_cmp_eq_f32_e64 s0, s24, 0
	v_cmp_eq_f32_e64 s1, s20, 1.0
	s_and_b32 s0, s0, s1
	s_and_b32 vcc_lo, exec_lo, s0
	s_cbranch_vccnz .LBB418_37
; %bb.1:
	s_clause 0x2
	s_load_dwordx2 s[0:1], s[4:5], 0x80
	s_load_dwordx2 s[2:3], s[4:5], 0x70
	s_load_dword s25, s[4:5], 0x78
	s_waitcnt lgkmcnt(0)
	s_mul_i32 s1, s1, s7
	s_mul_hi_u32 s8, s0, s7
	s_mul_i32 s0, s0, s7
	s_add_i32 s1, s8, s1
	v_cmp_neq_f32_e64 s8, s24, 0
	s_lshl_b64 s[0:1], s[0:1], 1
	s_add_u32 s9, s22, s0
	s_addc_u32 s10, s23, s1
	s_lshl_b64 s[0:1], s[2:3], 1
	s_add_u32 s18, s9, s0
	v_cmp_eq_u32_e64 s0, 0, v0
	s_addc_u32 s19, s10, s1
	s_and_b32 vcc_lo, exec_lo, s8
	s_cbranch_vccnz .LBB418_5
; %bb.2:
	s_mov_b32 s1, 0
                                        ; implicit-def: $vgpr1
                                        ; implicit-def: $sgpr2_sgpr3
	s_and_saveexec_b32 s8, s0
	s_cbranch_execz .LBB418_6
; %bb.3:
	v_cmp_eq_f32_e64 s0, s20, 0
	s_mul_hi_i32 s3, s25, s6
	s_mul_i32 s2, s25, s6
	s_and_b32 vcc_lo, exec_lo, s0
	s_cbranch_vccnz .LBB418_7
; %bb.4:
	s_lshl_b64 s[10:11], s[2:3], 1
	v_mov_b32_e32 v1, 0
	s_add_u32 s10, s18, s10
	s_addc_u32 s11, s19, s11
	global_load_ushort v1, v1, s[10:11]
	s_waitcnt vmcnt(0)
	v_fma_mixlo_f16 v1, s20, v1, 0 op_sel_hi:[0,1,0]
	s_branch .LBB418_8
.LBB418_5:
                                        ; implicit-def: $vgpr1
                                        ; implicit-def: $sgpr2_sgpr3
	s_cbranch_execnz .LBB418_9
	s_branch .LBB418_35
.LBB418_6:
	s_or_b32 exec_lo, exec_lo, s8
	s_and_b32 vcc_lo, exec_lo, s1
	s_cbranch_vccnz .LBB418_9
	s_branch .LBB418_35
.LBB418_7:
	v_mov_b32_e32 v1, 0
.LBB418_8:
	s_mov_b32 s21, exec_lo
	s_or_b32 exec_lo, exec_lo, s8
	s_and_b32 vcc_lo, exec_lo, s1
	s_cbranch_vccz .LBB418_35
.LBB418_9:
	s_clause 0x4
	s_load_dwordx4 s[0:3], s[4:5], 0x30
	s_load_dword s22, s[4:5], 0x0
	s_load_dword s23, s[4:5], 0x28
	s_load_dwordx2 s[8:9], s[4:5], 0x40
	s_load_dword s4, s[4:5], 0x48
	s_mul_i32 s11, s17, s7
	s_mul_hi_u32 s17, s16, s7
	s_mul_i32 s10, s16, s7
	s_add_i32 s11, s17, s11
	v_mov_b32_e32 v7, 0
	s_waitcnt lgkmcnt(0)
	s_mul_i32 s1, s1, s7
	v_cmp_gt_i32_e32 vcc_lo, s22, v0
	s_mul_hi_u32 s5, s0, s7
	s_mul_i32 s0, s0, s7
	s_add_i32 s1, s5, s1
	s_mul_hi_i32 s17, s23, s6
	v_cndmask_b32_e32 v1, 0, v0, vcc_lo
	s_lshl_b64 s[0:1], s[0:1], 1
	s_mul_i32 s16, s23, s6
	s_add_u32 s5, s12, s0
	s_addc_u32 s7, s13, s1
	v_lshlrev_b32_e32 v1, 1, v1
	s_lshl_b64 s[0:1], s[14:15], 1
	s_add_u32 s5, s5, s0
	s_addc_u32 s7, s7, s1
	v_add_co_u32 v1, s5, s5, v1
	v_add_co_ci_u32_e64 v2, null, s7, 0, s5
	s_ashr_i32 s12, s22, 31
	s_lshl_b64 s[0:1], s[16:17], 1
	s_lshr_b32 s12, s12, 24
	v_add_co_u32 v1, vcc_lo, v1, s0
	s_add_i32 s5, s22, s12
	v_add_co_ci_u32_e64 v2, null, s1, v2, vcc_lo
	s_and_b32 s0, s5, 0xffffff00
	s_cmpk_lt_i32 s22, 0x100
	s_mov_b32 s1, 0
	s_cbranch_scc1 .LBB418_12
; %bb.10:
	v_mad_i64_i32 v[3:4], null, s4, v0, 0
	s_lshl_b64 s[14:15], s[8:9], 1
	s_ashr_i32 s5, s4, 31
	s_lshl_b64 s[12:13], s[10:11], 1
	s_add_u32 s7, s2, s14
	s_addc_u32 s14, s3, s15
	s_add_u32 s7, s7, s12
	v_lshlrev_b64 v[3:4], 1, v[3:4]
	s_addc_u32 s12, s14, s13
	v_mov_b32_e32 v6, v2
	v_mov_b32_e32 v7, 0
	;; [unrolled: 1-line block ×3, first 2 shown]
	v_add_co_u32 v3, vcc_lo, s7, v3
	v_add_co_ci_u32_e64 v4, null, s12, v4, vcc_lo
	s_lshl_b64 s[12:13], s[4:5], 9
	.p2align	6
.LBB418_11:                             ; =>This Inner Loop Header: Depth=1
	global_load_ushort v8, v[5:6], off
	global_load_ushort v9, v[3:4], off
	v_add_co_u32 v3, vcc_lo, v3, s12
	v_add_co_ci_u32_e64 v4, null, s13, v4, vcc_lo
	v_add_co_u32 v5, vcc_lo, 0x200, v5
	v_add_co_ci_u32_e64 v6, null, 0, v6, vcc_lo
	s_addk_i32 s1, 0x100
	s_cmp_ge_i32 s1, s0
	s_waitcnt vmcnt(0)
	v_mul_f16_e32 v8, v8, v9
	v_cvt_f32_f16_e32 v8, v8
	v_add_f32_e32 v7, v7, v8
	s_cbranch_scc0 .LBB418_11
.LBB418_12:
	v_add_nc_u32_e32 v3, s0, v0
	s_mov_b32 s5, exec_lo
	v_cmpx_gt_i32_e64 s22, v3
	s_cbranch_execz .LBB418_14
; %bb.13:
	v_mad_i64_i32 v[3:4], null, s4, v3, 0
	s_lshl_b64 s[10:11], s[10:11], 1
	s_add_u32 s1, s2, s10
	s_addc_u32 s7, s3, s11
	s_lshl_b64 s[2:3], s[8:9], 1
	s_add_u32 s2, s1, s2
	s_addc_u32 s3, s7, s3
	s_ashr_i32 s1, s0, 31
	v_lshlrev_b64 v[3:4], 1, v[3:4]
	s_lshl_b64 s[0:1], s[0:1], 1
	v_add_co_u32 v1, vcc_lo, v1, s0
	v_add_co_ci_u32_e64 v2, null, s1, v2, vcc_lo
	v_add_co_u32 v3, vcc_lo, s2, v3
	v_add_co_ci_u32_e64 v4, null, s3, v4, vcc_lo
	global_load_ushort v1, v[1:2], off
	global_load_ushort v2, v[3:4], off
	s_waitcnt vmcnt(0)
	v_mul_f16_e32 v1, v1, v2
	v_cvt_f32_f16_e32 v1, v1
	v_add_f32_e32 v7, v7, v1
.LBB418_14:
	s_or_b32 exec_lo, exec_lo, s5
	v_lshlrev_b32_e32 v1, 2, v0
	s_mov_b32 s0, exec_lo
	ds_write_b32 v1, v7
	s_waitcnt lgkmcnt(0)
	s_barrier
	buffer_gl0_inv
	v_cmpx_gt_u32_e32 0x80, v0
	s_cbranch_execz .LBB418_16
; %bb.15:
	ds_read2st64_b32 v[2:3], v1 offset1:2
	s_waitcnt lgkmcnt(0)
	v_add_f32_e32 v2, v3, v2
	ds_write_b32 v1, v2
.LBB418_16:
	s_or_b32 exec_lo, exec_lo, s0
	s_mov_b32 s0, exec_lo
	s_waitcnt lgkmcnt(0)
	s_barrier
	buffer_gl0_inv
	v_cmpx_gt_u32_e32 64, v0
	s_cbranch_execz .LBB418_18
; %bb.17:
	ds_read2st64_b32 v[2:3], v1 offset1:1
	s_waitcnt lgkmcnt(0)
	v_add_f32_e32 v2, v3, v2
	ds_write_b32 v1, v2
.LBB418_18:
	s_or_b32 exec_lo, exec_lo, s0
	s_mov_b32 s0, exec_lo
	s_waitcnt lgkmcnt(0)
	s_barrier
	buffer_gl0_inv
	v_cmpx_gt_u32_e32 32, v0
	s_cbranch_execz .LBB418_20
; %bb.19:
	ds_read2_b32 v[2:3], v1 offset1:32
	s_waitcnt lgkmcnt(0)
	v_add_f32_e32 v2, v3, v2
	ds_write_b32 v1, v2
.LBB418_20:
	s_or_b32 exec_lo, exec_lo, s0
	s_mov_b32 s0, exec_lo
	s_waitcnt lgkmcnt(0)
	s_barrier
	buffer_gl0_inv
	v_cmpx_gt_u32_e32 16, v0
	s_cbranch_execz .LBB418_22
; %bb.21:
	ds_read2_b32 v[2:3], v1 offset1:16
	s_waitcnt lgkmcnt(0)
	v_add_f32_e32 v2, v3, v2
	ds_write_b32 v1, v2
.LBB418_22:
	;; [unrolled: 13-line block ×5, first 2 shown]
	s_or_b32 exec_lo, exec_lo, s0
	v_cmp_eq_u32_e32 vcc_lo, 0, v0
	s_waitcnt lgkmcnt(0)
	s_barrier
	buffer_gl0_inv
	s_and_saveexec_b32 s0, vcc_lo
	s_cbranch_execz .LBB418_30
; %bb.29:
	v_mov_b32_e32 v2, 0
	ds_read_b64 v[0:1], v2
	s_waitcnt lgkmcnt(0)
	v_add_f32_e32 v0, v1, v0
	ds_write_b32 v2, v0
.LBB418_30:
	s_or_b32 exec_lo, exec_lo, s0
	s_waitcnt lgkmcnt(0)
	s_barrier
	buffer_gl0_inv
                                        ; implicit-def: $vgpr1
                                        ; implicit-def: $sgpr2_sgpr3
	s_and_saveexec_b32 s0, vcc_lo
	s_cbranch_execz .LBB418_34
; %bb.31:
	v_mov_b32_e32 v1, 0
	v_cmp_eq_f32_e64 s1, s20, 0
	s_mul_hi_i32 s3, s25, s6
	s_mul_i32 s2, s25, s6
	ds_read_b32 v0, v1
	s_and_b32 vcc_lo, exec_lo, s1
	s_waitcnt lgkmcnt(0)
	v_mul_f32_e32 v0, s24, v0
	s_cbranch_vccnz .LBB418_33
; %bb.32:
	s_lshl_b64 s[4:5], s[2:3], 1
	s_add_u32 s4, s18, s4
	s_addc_u32 s5, s19, s5
	global_load_ushort v1, v1, s[4:5]
	s_waitcnt vmcnt(0)
	v_fma_mix_f32 v0, s20, v1, v0 op_sel_hi:[0,1,0]
.LBB418_33:
	v_cvt_f16_f32_e32 v1, v0
	s_or_b32 s21, s21, exec_lo
.LBB418_34:
	s_or_b32 exec_lo, exec_lo, s0
.LBB418_35:
	s_and_saveexec_b32 s0, s21
	s_cbranch_execz .LBB418_37
; %bb.36:
	s_lshl_b64 s[0:1], s[2:3], 1
	v_mov_b32_e32 v0, 0
	s_add_u32 s0, s18, s0
	s_addc_u32 s1, s19, s1
	global_store_short v0, v1, s[0:1]
.LBB418_37:
	s_endpgm
	.section	.rodata,"a",@progbits
	.p2align	6, 0x0
	.amdhsa_kernel _ZL20rocblas_gemvt_kernelILb1ELi256EDF16_PKfDF16_EviiT2_lPKT1_lilS5_lilS2_lPT3_lili
		.amdhsa_group_segment_fixed_size 1024
		.amdhsa_private_segment_fixed_size 0
		.amdhsa_kernarg_size 140
		.amdhsa_user_sgpr_count 6
		.amdhsa_user_sgpr_private_segment_buffer 1
		.amdhsa_user_sgpr_dispatch_ptr 0
		.amdhsa_user_sgpr_queue_ptr 0
		.amdhsa_user_sgpr_kernarg_segment_ptr 1
		.amdhsa_user_sgpr_dispatch_id 0
		.amdhsa_user_sgpr_flat_scratch_init 0
		.amdhsa_user_sgpr_private_segment_size 0
		.amdhsa_wavefront_size32 1
		.amdhsa_uses_dynamic_stack 0
		.amdhsa_system_sgpr_private_segment_wavefront_offset 0
		.amdhsa_system_sgpr_workgroup_id_x 1
		.amdhsa_system_sgpr_workgroup_id_y 0
		.amdhsa_system_sgpr_workgroup_id_z 1
		.amdhsa_system_sgpr_workgroup_info 0
		.amdhsa_system_vgpr_workitem_id 0
		.amdhsa_next_free_vgpr 10
		.amdhsa_next_free_sgpr 26
		.amdhsa_reserve_vcc 1
		.amdhsa_reserve_flat_scratch 0
		.amdhsa_float_round_mode_32 0
		.amdhsa_float_round_mode_16_64 0
		.amdhsa_float_denorm_mode_32 3
		.amdhsa_float_denorm_mode_16_64 3
		.amdhsa_dx10_clamp 1
		.amdhsa_ieee_mode 1
		.amdhsa_fp16_overflow 0
		.amdhsa_workgroup_processor_mode 1
		.amdhsa_memory_ordered 1
		.amdhsa_forward_progress 1
		.amdhsa_shared_vgpr_count 0
		.amdhsa_exception_fp_ieee_invalid_op 0
		.amdhsa_exception_fp_denorm_src 0
		.amdhsa_exception_fp_ieee_div_zero 0
		.amdhsa_exception_fp_ieee_overflow 0
		.amdhsa_exception_fp_ieee_underflow 0
		.amdhsa_exception_fp_ieee_inexact 0
		.amdhsa_exception_int_div_zero 0
	.end_amdhsa_kernel
	.section	.text._ZL20rocblas_gemvt_kernelILb1ELi256EDF16_PKfDF16_EviiT2_lPKT1_lilS5_lilS2_lPT3_lili,"axG",@progbits,_ZL20rocblas_gemvt_kernelILb1ELi256EDF16_PKfDF16_EviiT2_lPKT1_lilS5_lilS2_lPT3_lili,comdat
.Lfunc_end418:
	.size	_ZL20rocblas_gemvt_kernelILb1ELi256EDF16_PKfDF16_EviiT2_lPKT1_lilS5_lilS2_lPT3_lili, .Lfunc_end418-_ZL20rocblas_gemvt_kernelILb1ELi256EDF16_PKfDF16_EviiT2_lPKT1_lilS5_lilS2_lPT3_lili
                                        ; -- End function
	.set _ZL20rocblas_gemvt_kernelILb1ELi256EDF16_PKfDF16_EviiT2_lPKT1_lilS5_lilS2_lPT3_lili.num_vgpr, 10
	.set _ZL20rocblas_gemvt_kernelILb1ELi256EDF16_PKfDF16_EviiT2_lPKT1_lilS5_lilS2_lPT3_lili.num_agpr, 0
	.set _ZL20rocblas_gemvt_kernelILb1ELi256EDF16_PKfDF16_EviiT2_lPKT1_lilS5_lilS2_lPT3_lili.numbered_sgpr, 26
	.set _ZL20rocblas_gemvt_kernelILb1ELi256EDF16_PKfDF16_EviiT2_lPKT1_lilS5_lilS2_lPT3_lili.num_named_barrier, 0
	.set _ZL20rocblas_gemvt_kernelILb1ELi256EDF16_PKfDF16_EviiT2_lPKT1_lilS5_lilS2_lPT3_lili.private_seg_size, 0
	.set _ZL20rocblas_gemvt_kernelILb1ELi256EDF16_PKfDF16_EviiT2_lPKT1_lilS5_lilS2_lPT3_lili.uses_vcc, 1
	.set _ZL20rocblas_gemvt_kernelILb1ELi256EDF16_PKfDF16_EviiT2_lPKT1_lilS5_lilS2_lPT3_lili.uses_flat_scratch, 0
	.set _ZL20rocblas_gemvt_kernelILb1ELi256EDF16_PKfDF16_EviiT2_lPKT1_lilS5_lilS2_lPT3_lili.has_dyn_sized_stack, 0
	.set _ZL20rocblas_gemvt_kernelILb1ELi256EDF16_PKfDF16_EviiT2_lPKT1_lilS5_lilS2_lPT3_lili.has_recursion, 0
	.set _ZL20rocblas_gemvt_kernelILb1ELi256EDF16_PKfDF16_EviiT2_lPKT1_lilS5_lilS2_lPT3_lili.has_indirect_call, 0
	.section	.AMDGPU.csdata,"",@progbits
; Kernel info:
; codeLenInByte = 1472
; TotalNumSgprs: 28
; NumVgprs: 10
; ScratchSize: 0
; MemoryBound: 0
; FloatMode: 240
; IeeeMode: 1
; LDSByteSize: 1024 bytes/workgroup (compile time only)
; SGPRBlocks: 0
; VGPRBlocks: 1
; NumSGPRsForWavesPerEU: 28
; NumVGPRsForWavesPerEU: 10
; Occupancy: 16
; WaveLimiterHint : 1
; COMPUTE_PGM_RSRC2:SCRATCH_EN: 0
; COMPUTE_PGM_RSRC2:USER_SGPR: 6
; COMPUTE_PGM_RSRC2:TRAP_HANDLER: 0
; COMPUTE_PGM_RSRC2:TGID_X_EN: 1
; COMPUTE_PGM_RSRC2:TGID_Y_EN: 0
; COMPUTE_PGM_RSRC2:TGID_Z_EN: 1
; COMPUTE_PGM_RSRC2:TIDIG_COMP_CNT: 0
	.section	.text._ZL20rocblas_gemvt_kernelILb1ELi256EDF16_fDF16_EviiT2_lPKT1_lilS3_lilS0_lPT3_lili,"axG",@progbits,_ZL20rocblas_gemvt_kernelILb1ELi256EDF16_fDF16_EviiT2_lPKT1_lilS3_lilS0_lPT3_lili,comdat
	.globl	_ZL20rocblas_gemvt_kernelILb1ELi256EDF16_fDF16_EviiT2_lPKT1_lilS3_lilS0_lPT3_lili ; -- Begin function _ZL20rocblas_gemvt_kernelILb1ELi256EDF16_fDF16_EviiT2_lPKT1_lilS3_lilS0_lPT3_lili
	.p2align	8
	.type	_ZL20rocblas_gemvt_kernelILb1ELi256EDF16_fDF16_EviiT2_lPKT1_lilS3_lilS0_lPT3_lili,@function
_ZL20rocblas_gemvt_kernelILb1ELi256EDF16_fDF16_EviiT2_lPKT1_lilS3_lilS0_lPT3_lili: ; @_ZL20rocblas_gemvt_kernelILb1ELi256EDF16_fDF16_EviiT2_lPKT1_lilS3_lilS0_lPT3_lili
; %bb.0:
	s_clause 0x1
	s_load_dword s18, s[4:5], 0x8
	s_load_dword s16, s[4:5], 0x58
	s_mov_b32 s17, 0
	s_waitcnt lgkmcnt(0)
	v_cmp_eq_f32_e64 s0, s18, 0
	v_cmp_eq_f32_e64 s1, s16, 1.0
	s_and_b32 s0, s0, s1
	s_and_b32 vcc_lo, exec_lo, s0
	s_cbranch_vccnz .LBB419_37
; %bb.1:
	s_clause 0x2
	s_load_dwordx2 s[8:9], s[4:5], 0x80
	s_load_dwordx4 s[0:3], s[4:5], 0x68
	s_load_dword s19, s[4:5], 0x78
	s_waitcnt lgkmcnt(0)
	s_mul_i32 s9, s9, s7
	s_mul_hi_u32 s10, s8, s7
	s_mul_i32 s8, s8, s7
	s_add_i32 s9, s10, s9
	v_cmp_neq_f32_e64 s10, s18, 0
	s_lshl_b64 s[8:9], s[8:9], 1
	s_add_u32 s8, s0, s8
	s_addc_u32 s9, s1, s9
	s_lshl_b64 s[0:1], s[2:3], 1
	s_add_u32 s14, s8, s0
	v_cmp_eq_u32_e64 s0, 0, v0
	s_addc_u32 s15, s9, s1
	s_and_b32 vcc_lo, exec_lo, s10
	s_cbranch_vccnz .LBB419_5
; %bb.2:
	s_mov_b32 s1, 0
                                        ; implicit-def: $vgpr1
                                        ; implicit-def: $sgpr2_sgpr3
	s_and_saveexec_b32 s8, s0
	s_cbranch_execz .LBB419_6
; %bb.3:
	v_cmp_eq_f32_e64 s0, s16, 0
	s_mul_hi_i32 s3, s19, s6
	s_mul_i32 s2, s19, s6
	s_and_b32 vcc_lo, exec_lo, s0
	s_cbranch_vccnz .LBB419_7
; %bb.4:
	s_lshl_b64 s[10:11], s[2:3], 1
	v_mov_b32_e32 v1, 0
	s_add_u32 s10, s14, s10
	s_addc_u32 s11, s15, s11
	global_load_ushort v1, v1, s[10:11]
	s_waitcnt vmcnt(0)
	v_fma_mixlo_f16 v1, s16, v1, 0 op_sel_hi:[0,1,0]
	s_branch .LBB419_8
.LBB419_5:
                                        ; implicit-def: $vgpr1
                                        ; implicit-def: $sgpr2_sgpr3
	s_cbranch_execnz .LBB419_9
	s_branch .LBB419_35
.LBB419_6:
	s_or_b32 exec_lo, exec_lo, s8
	s_and_b32 vcc_lo, exec_lo, s1
	s_cbranch_vccnz .LBB419_9
	s_branch .LBB419_35
.LBB419_7:
	v_mov_b32_e32 v1, 0
.LBB419_8:
	s_mov_b32 s17, exec_lo
	s_or_b32 exec_lo, exec_lo, s8
	s_and_b32 vcc_lo, exec_lo, s1
	s_cbranch_vccz .LBB419_35
.LBB419_9:
	s_clause 0x6
	s_load_dwordx2 s[10:11], s[4:5], 0x50
	s_load_dwordx4 s[0:3], s[4:5], 0x30
	s_load_dword s20, s[4:5], 0x0
	s_load_dword s12, s[4:5], 0x28
	s_load_dwordx4 s[24:27], s[4:5], 0x18
	s_load_dwordx2 s[8:9], s[4:5], 0x40
	s_load_dword s4, s[4:5], 0x48
	v_mov_b32_e32 v7, 0
	s_waitcnt lgkmcnt(0)
	s_mul_i32 s5, s11, s7
	s_mul_i32 s1, s1, s7
	v_cmp_gt_i32_e32 vcc_lo, s20, v0
	s_mul_hi_u32 s21, s0, s7
	s_mul_i32 s0, s0, s7
	s_add_i32 s1, s21, s1
	s_mul_hi_u32 s11, s10, s7
	v_cndmask_b32_e32 v1, 0, v0, vcc_lo
	s_lshl_b64 s[0:1], s[0:1], 1
	s_add_i32 s11, s11, s5
	s_add_u32 s5, s24, s0
	s_mul_i32 s10, s10, s7
	v_lshlrev_b32_e32 v1, 1, v1
	s_addc_u32 s7, s25, s1
	s_lshl_b64 s[0:1], s[26:27], 1
	s_mul_hi_i32 s13, s12, s6
	s_add_u32 s5, s5, s0
	s_addc_u32 s7, s7, s1
	v_add_co_u32 v1, s5, s5, v1
	s_mul_i32 s12, s12, s6
	v_add_co_ci_u32_e64 v2, null, s7, 0, s5
	s_ashr_i32 s21, s20, 31
	s_lshl_b64 s[0:1], s[12:13], 1
	s_lshr_b32 s12, s21, 24
	v_add_co_u32 v1, vcc_lo, v1, s0
	s_add_i32 s5, s20, s12
	v_add_co_ci_u32_e64 v2, null, s1, v2, vcc_lo
	s_and_b32 s0, s5, 0xffffff00
	s_cmpk_lt_i32 s20, 0x100
	s_mov_b32 s1, 0
	s_cbranch_scc1 .LBB419_12
; %bb.10:
	v_mad_i64_i32 v[3:4], null, s4, v0, 0
	s_lshl_b64 s[22:23], s[8:9], 1
	s_ashr_i32 s5, s4, 31
	s_lshl_b64 s[12:13], s[10:11], 1
	s_add_u32 s7, s2, s22
	s_addc_u32 s21, s3, s23
	s_add_u32 s7, s7, s12
	v_lshlrev_b64 v[3:4], 1, v[3:4]
	s_addc_u32 s12, s21, s13
	v_mov_b32_e32 v6, v2
	v_mov_b32_e32 v7, 0
	;; [unrolled: 1-line block ×3, first 2 shown]
	v_add_co_u32 v3, vcc_lo, s7, v3
	v_add_co_ci_u32_e64 v4, null, s12, v4, vcc_lo
	s_lshl_b64 s[12:13], s[4:5], 9
	.p2align	6
.LBB419_11:                             ; =>This Inner Loop Header: Depth=1
	global_load_ushort v8, v[5:6], off
	global_load_ushort v9, v[3:4], off
	v_add_co_u32 v3, vcc_lo, v3, s12
	v_add_co_ci_u32_e64 v4, null, s13, v4, vcc_lo
	v_add_co_u32 v5, vcc_lo, 0x200, v5
	v_add_co_ci_u32_e64 v6, null, 0, v6, vcc_lo
	s_addk_i32 s1, 0x100
	s_cmp_ge_i32 s1, s0
	s_waitcnt vmcnt(0)
	v_mul_f16_e32 v8, v8, v9
	v_cvt_f32_f16_e32 v8, v8
	v_add_f32_e32 v7, v7, v8
	s_cbranch_scc0 .LBB419_11
.LBB419_12:
	v_add_nc_u32_e32 v3, s0, v0
	s_mov_b32 s5, exec_lo
	v_cmpx_gt_i32_e64 s20, v3
	s_cbranch_execz .LBB419_14
; %bb.13:
	v_mad_i64_i32 v[3:4], null, s4, v3, 0
	s_lshl_b64 s[10:11], s[10:11], 1
	s_add_u32 s1, s2, s10
	s_addc_u32 s7, s3, s11
	s_lshl_b64 s[2:3], s[8:9], 1
	s_add_u32 s2, s1, s2
	s_addc_u32 s3, s7, s3
	s_ashr_i32 s1, s0, 31
	v_lshlrev_b64 v[3:4], 1, v[3:4]
	s_lshl_b64 s[0:1], s[0:1], 1
	v_add_co_u32 v1, vcc_lo, v1, s0
	v_add_co_ci_u32_e64 v2, null, s1, v2, vcc_lo
	v_add_co_u32 v3, vcc_lo, s2, v3
	v_add_co_ci_u32_e64 v4, null, s3, v4, vcc_lo
	global_load_ushort v1, v[1:2], off
	global_load_ushort v2, v[3:4], off
	s_waitcnt vmcnt(0)
	v_mul_f16_e32 v1, v1, v2
	v_cvt_f32_f16_e32 v1, v1
	v_add_f32_e32 v7, v7, v1
.LBB419_14:
	s_or_b32 exec_lo, exec_lo, s5
	v_lshlrev_b32_e32 v1, 2, v0
	s_mov_b32 s0, exec_lo
	ds_write_b32 v1, v7
	s_waitcnt lgkmcnt(0)
	s_barrier
	buffer_gl0_inv
	v_cmpx_gt_u32_e32 0x80, v0
	s_cbranch_execz .LBB419_16
; %bb.15:
	ds_read2st64_b32 v[2:3], v1 offset1:2
	s_waitcnt lgkmcnt(0)
	v_add_f32_e32 v2, v3, v2
	ds_write_b32 v1, v2
.LBB419_16:
	s_or_b32 exec_lo, exec_lo, s0
	s_mov_b32 s0, exec_lo
	s_waitcnt lgkmcnt(0)
	s_barrier
	buffer_gl0_inv
	v_cmpx_gt_u32_e32 64, v0
	s_cbranch_execz .LBB419_18
; %bb.17:
	ds_read2st64_b32 v[2:3], v1 offset1:1
	s_waitcnt lgkmcnt(0)
	v_add_f32_e32 v2, v3, v2
	ds_write_b32 v1, v2
.LBB419_18:
	s_or_b32 exec_lo, exec_lo, s0
	s_mov_b32 s0, exec_lo
	s_waitcnt lgkmcnt(0)
	s_barrier
	buffer_gl0_inv
	v_cmpx_gt_u32_e32 32, v0
	s_cbranch_execz .LBB419_20
; %bb.19:
	ds_read2_b32 v[2:3], v1 offset1:32
	s_waitcnt lgkmcnt(0)
	v_add_f32_e32 v2, v3, v2
	ds_write_b32 v1, v2
.LBB419_20:
	s_or_b32 exec_lo, exec_lo, s0
	s_mov_b32 s0, exec_lo
	s_waitcnt lgkmcnt(0)
	s_barrier
	buffer_gl0_inv
	v_cmpx_gt_u32_e32 16, v0
	s_cbranch_execz .LBB419_22
; %bb.21:
	ds_read2_b32 v[2:3], v1 offset1:16
	s_waitcnt lgkmcnt(0)
	v_add_f32_e32 v2, v3, v2
	ds_write_b32 v1, v2
.LBB419_22:
	;; [unrolled: 13-line block ×5, first 2 shown]
	s_or_b32 exec_lo, exec_lo, s0
	v_cmp_eq_u32_e32 vcc_lo, 0, v0
	s_waitcnt lgkmcnt(0)
	s_barrier
	buffer_gl0_inv
	s_and_saveexec_b32 s0, vcc_lo
	s_cbranch_execz .LBB419_30
; %bb.29:
	v_mov_b32_e32 v2, 0
	ds_read_b64 v[0:1], v2
	s_waitcnt lgkmcnt(0)
	v_add_f32_e32 v0, v1, v0
	ds_write_b32 v2, v0
.LBB419_30:
	s_or_b32 exec_lo, exec_lo, s0
	s_waitcnt lgkmcnt(0)
	s_barrier
	buffer_gl0_inv
                                        ; implicit-def: $vgpr1
                                        ; implicit-def: $sgpr2_sgpr3
	s_and_saveexec_b32 s0, vcc_lo
	s_cbranch_execz .LBB419_34
; %bb.31:
	v_mov_b32_e32 v1, 0
	v_cmp_eq_f32_e64 s1, s16, 0
	s_mul_hi_i32 s3, s19, s6
	s_mul_i32 s2, s19, s6
	ds_read_b32 v0, v1
	s_and_b32 vcc_lo, exec_lo, s1
	s_waitcnt lgkmcnt(0)
	v_mul_f32_e32 v0, s18, v0
	s_cbranch_vccnz .LBB419_33
; %bb.32:
	s_lshl_b64 s[4:5], s[2:3], 1
	s_add_u32 s4, s14, s4
	s_addc_u32 s5, s15, s5
	global_load_ushort v1, v1, s[4:5]
	s_waitcnt vmcnt(0)
	v_fma_mix_f32 v0, s16, v1, v0 op_sel_hi:[0,1,0]
.LBB419_33:
	v_cvt_f16_f32_e32 v1, v0
	s_or_b32 s17, s17, exec_lo
.LBB419_34:
	s_or_b32 exec_lo, exec_lo, s0
.LBB419_35:
	s_and_saveexec_b32 s0, s17
	s_cbranch_execz .LBB419_37
; %bb.36:
	s_lshl_b64 s[0:1], s[2:3], 1
	v_mov_b32_e32 v0, 0
	s_add_u32 s0, s14, s0
	s_addc_u32 s1, s15, s1
	global_store_short v0, v1, s[0:1]
.LBB419_37:
	s_endpgm
	.section	.rodata,"a",@progbits
	.p2align	6, 0x0
	.amdhsa_kernel _ZL20rocblas_gemvt_kernelILb1ELi256EDF16_fDF16_EviiT2_lPKT1_lilS3_lilS0_lPT3_lili
		.amdhsa_group_segment_fixed_size 1024
		.amdhsa_private_segment_fixed_size 0
		.amdhsa_kernarg_size 140
		.amdhsa_user_sgpr_count 6
		.amdhsa_user_sgpr_private_segment_buffer 1
		.amdhsa_user_sgpr_dispatch_ptr 0
		.amdhsa_user_sgpr_queue_ptr 0
		.amdhsa_user_sgpr_kernarg_segment_ptr 1
		.amdhsa_user_sgpr_dispatch_id 0
		.amdhsa_user_sgpr_flat_scratch_init 0
		.amdhsa_user_sgpr_private_segment_size 0
		.amdhsa_wavefront_size32 1
		.amdhsa_uses_dynamic_stack 0
		.amdhsa_system_sgpr_private_segment_wavefront_offset 0
		.amdhsa_system_sgpr_workgroup_id_x 1
		.amdhsa_system_sgpr_workgroup_id_y 0
		.amdhsa_system_sgpr_workgroup_id_z 1
		.amdhsa_system_sgpr_workgroup_info 0
		.amdhsa_system_vgpr_workitem_id 0
		.amdhsa_next_free_vgpr 10
		.amdhsa_next_free_sgpr 28
		.amdhsa_reserve_vcc 1
		.amdhsa_reserve_flat_scratch 0
		.amdhsa_float_round_mode_32 0
		.amdhsa_float_round_mode_16_64 0
		.amdhsa_float_denorm_mode_32 3
		.amdhsa_float_denorm_mode_16_64 3
		.amdhsa_dx10_clamp 1
		.amdhsa_ieee_mode 1
		.amdhsa_fp16_overflow 0
		.amdhsa_workgroup_processor_mode 1
		.amdhsa_memory_ordered 1
		.amdhsa_forward_progress 1
		.amdhsa_shared_vgpr_count 0
		.amdhsa_exception_fp_ieee_invalid_op 0
		.amdhsa_exception_fp_denorm_src 0
		.amdhsa_exception_fp_ieee_div_zero 0
		.amdhsa_exception_fp_ieee_overflow 0
		.amdhsa_exception_fp_ieee_underflow 0
		.amdhsa_exception_fp_ieee_inexact 0
		.amdhsa_exception_int_div_zero 0
	.end_amdhsa_kernel
	.section	.text._ZL20rocblas_gemvt_kernelILb1ELi256EDF16_fDF16_EviiT2_lPKT1_lilS3_lilS0_lPT3_lili,"axG",@progbits,_ZL20rocblas_gemvt_kernelILb1ELi256EDF16_fDF16_EviiT2_lPKT1_lilS3_lilS0_lPT3_lili,comdat
.Lfunc_end419:
	.size	_ZL20rocblas_gemvt_kernelILb1ELi256EDF16_fDF16_EviiT2_lPKT1_lilS3_lilS0_lPT3_lili, .Lfunc_end419-_ZL20rocblas_gemvt_kernelILb1ELi256EDF16_fDF16_EviiT2_lPKT1_lilS3_lilS0_lPT3_lili
                                        ; -- End function
	.set _ZL20rocblas_gemvt_kernelILb1ELi256EDF16_fDF16_EviiT2_lPKT1_lilS3_lilS0_lPT3_lili.num_vgpr, 10
	.set _ZL20rocblas_gemvt_kernelILb1ELi256EDF16_fDF16_EviiT2_lPKT1_lilS3_lilS0_lPT3_lili.num_agpr, 0
	.set _ZL20rocblas_gemvt_kernelILb1ELi256EDF16_fDF16_EviiT2_lPKT1_lilS3_lilS0_lPT3_lili.numbered_sgpr, 28
	.set _ZL20rocblas_gemvt_kernelILb1ELi256EDF16_fDF16_EviiT2_lPKT1_lilS3_lilS0_lPT3_lili.num_named_barrier, 0
	.set _ZL20rocblas_gemvt_kernelILb1ELi256EDF16_fDF16_EviiT2_lPKT1_lilS3_lilS0_lPT3_lili.private_seg_size, 0
	.set _ZL20rocblas_gemvt_kernelILb1ELi256EDF16_fDF16_EviiT2_lPKT1_lilS3_lilS0_lPT3_lili.uses_vcc, 1
	.set _ZL20rocblas_gemvt_kernelILb1ELi256EDF16_fDF16_EviiT2_lPKT1_lilS3_lilS0_lPT3_lili.uses_flat_scratch, 0
	.set _ZL20rocblas_gemvt_kernelILb1ELi256EDF16_fDF16_EviiT2_lPKT1_lilS3_lilS0_lPT3_lili.has_dyn_sized_stack, 0
	.set _ZL20rocblas_gemvt_kernelILb1ELi256EDF16_fDF16_EviiT2_lPKT1_lilS3_lilS0_lPT3_lili.has_recursion, 0
	.set _ZL20rocblas_gemvt_kernelILb1ELi256EDF16_fDF16_EviiT2_lPKT1_lilS3_lilS0_lPT3_lili.has_indirect_call, 0
	.section	.AMDGPU.csdata,"",@progbits
; Kernel info:
; codeLenInByte = 1408
; TotalNumSgprs: 30
; NumVgprs: 10
; ScratchSize: 0
; MemoryBound: 0
; FloatMode: 240
; IeeeMode: 1
; LDSByteSize: 1024 bytes/workgroup (compile time only)
; SGPRBlocks: 0
; VGPRBlocks: 1
; NumSGPRsForWavesPerEU: 30
; NumVGPRsForWavesPerEU: 10
; Occupancy: 16
; WaveLimiterHint : 1
; COMPUTE_PGM_RSRC2:SCRATCH_EN: 0
; COMPUTE_PGM_RSRC2:USER_SGPR: 6
; COMPUTE_PGM_RSRC2:TRAP_HANDLER: 0
; COMPUTE_PGM_RSRC2:TGID_X_EN: 1
; COMPUTE_PGM_RSRC2:TGID_Y_EN: 0
; COMPUTE_PGM_RSRC2:TGID_Z_EN: 1
; COMPUTE_PGM_RSRC2:TIDIG_COMP_CNT: 0
	.section	.text._ZL32rocblas_gemvt_warp_reduce_kernelILb1ELi1024EiDF16_PKfDF16_EviiT3_lPKT2_lT1_lS5_lS6_lS2_lPT4_lS6_li,"axG",@progbits,_ZL32rocblas_gemvt_warp_reduce_kernelILb1ELi1024EiDF16_PKfDF16_EviiT3_lPKT2_lT1_lS5_lS6_lS2_lPT4_lS6_li,comdat
	.globl	_ZL32rocblas_gemvt_warp_reduce_kernelILb1ELi1024EiDF16_PKfDF16_EviiT3_lPKT2_lT1_lS5_lS6_lS2_lPT4_lS6_li ; -- Begin function _ZL32rocblas_gemvt_warp_reduce_kernelILb1ELi1024EiDF16_PKfDF16_EviiT3_lPKT2_lT1_lS5_lS6_lS2_lPT4_lS6_li
	.p2align	8
	.type	_ZL32rocblas_gemvt_warp_reduce_kernelILb1ELi1024EiDF16_PKfDF16_EviiT3_lPKT2_lT1_lS5_lS6_lS2_lPT4_lS6_li,@function
_ZL32rocblas_gemvt_warp_reduce_kernelILb1ELi1024EiDF16_PKfDF16_EviiT3_lPKT2_lT1_lS5_lS6_lS2_lPT4_lS6_li: ; @_ZL32rocblas_gemvt_warp_reduce_kernelILb1ELi1024EiDF16_PKfDF16_EviiT3_lPKT2_lT1_lS5_lS6_lS2_lPT4_lS6_li
; %bb.0:
	s_clause 0x1
	s_load_dwordx8 s[8:15], s[4:5], 0x8
	s_load_dwordx8 s[16:23], s[4:5], 0x50
	s_waitcnt lgkmcnt(0)
	s_mul_i32 s1, s11, s7
	s_mul_hi_u32 s2, s10, s7
	s_mul_i32 s0, s10, s7
	s_add_i32 s1, s2, s1
	s_mul_i32 s2, s21, s7
	s_lshl_b64 s[0:1], s[0:1], 2
	s_mul_hi_u32 s3, s20, s7
	s_add_u32 s0, s8, s0
	s_addc_u32 s1, s9, s1
	s_add_i32 s3, s3, s2
	s_mul_i32 s2, s20, s7
	s_mov_b32 s10, 0
	s_lshl_b64 s[2:3], s[2:3], 2
	s_add_u32 s2, s18, s2
	s_addc_u32 s3, s19, s3
	s_load_dword s11, s[0:1], 0x0
	s_load_dword s9, s[2:3], 0x0
	s_waitcnt lgkmcnt(0)
	v_cmp_eq_f32_e64 s0, s11, 0
	v_cmp_eq_f32_e64 s1, s9, 1.0
	s_and_b32 s0, s0, s1
	s_and_b32 vcc_lo, exec_lo, s0
	s_cbranch_vccnz .LBB420_30
; %bb.1:
	s_clause 0x2
	s_load_dwordx2 s[0:1], s[4:5], 0x80
	s_load_dwordx2 s[2:3], s[4:5], 0x70
	s_load_dword s18, s[4:5], 0x78
	v_cmp_neq_f32_e64 s19, s11, 0
	s_waitcnt lgkmcnt(0)
	s_mul_i32 s1, s1, s7
	s_mul_hi_u32 s8, s0, s7
	s_mul_i32 s0, s0, s7
	s_add_i32 s1, s8, s1
	s_lshl_b64 s[0:1], s[0:1], 1
	s_add_u32 s0, s22, s0
	s_addc_u32 s8, s23, s1
	s_lshl_b64 s[2:3], s[2:3], 1
	s_add_u32 s1, s0, s2
	v_cmp_eq_u32_e64 s0, 0, v0
	s_addc_u32 s8, s8, s3
	s_and_b32 vcc_lo, exec_lo, s19
	s_cbranch_vccnz .LBB420_5
; %bb.2:
	s_mov_b32 s19, 0
                                        ; implicit-def: $vgpr1
                                        ; implicit-def: $sgpr2_sgpr3
	s_and_saveexec_b32 s20, s0
	s_cbranch_execz .LBB420_6
; %bb.3:
	v_cmp_eq_f32_e64 s0, s9, 0
	s_mul_i32 s2, s18, s6
	s_ashr_i32 s3, s2, 31
	s_and_b32 vcc_lo, exec_lo, s0
	s_cbranch_vccnz .LBB420_7
; %bb.4:
	s_lshl_b64 s[22:23], s[2:3], 1
	v_mov_b32_e32 v1, 0
	s_add_u32 s22, s1, s22
	s_addc_u32 s23, s8, s23
	global_load_ushort v1, v1, s[22:23]
	s_waitcnt vmcnt(0)
	v_fma_mixlo_f16 v1, s9, v1, 0 op_sel_hi:[0,1,0]
	s_branch .LBB420_8
.LBB420_5:
                                        ; implicit-def: $vgpr1
                                        ; implicit-def: $sgpr2_sgpr3
	s_cbranch_execnz .LBB420_9
	s_branch .LBB420_28
.LBB420_6:
	s_or_b32 exec_lo, exec_lo, s20
	s_and_b32 vcc_lo, exec_lo, s19
	s_cbranch_vccnz .LBB420_9
	s_branch .LBB420_28
.LBB420_7:
	v_mov_b32_e32 v1, 0
.LBB420_8:
	s_mov_b32 s10, exec_lo
	s_or_b32 exec_lo, exec_lo, s20
	s_and_b32 vcc_lo, exec_lo, s19
	s_cbranch_vccz .LBB420_28
.LBB420_9:
	s_clause 0x3
	s_load_dwordx4 s[20:23], s[4:5], 0x30
	s_load_dwordx2 s[24:25], s[4:5], 0x40
	s_load_dword s3, s[4:5], 0x0
	s_load_dword s0, s[4:5], 0x28
	s_mul_i32 s2, s17, s7
	s_mul_hi_u32 s17, s16, s7
	s_mul_i32 s16, s16, s7
	s_add_i32 s17, s17, s2
	s_load_dword s4, s[4:5], 0x48
	s_lshl_b64 s[16:17], s[16:17], 1
	v_mov_b32_e32 v7, 0
	s_waitcnt lgkmcnt(0)
	s_add_u32 s2, s22, s16
	s_addc_u32 s22, s23, s17
	v_cmp_gt_i32_e32 vcc_lo, s3, v0
	s_lshl_b64 s[16:17], s[24:25], 1
	s_mul_i32 s19, s21, s7
	s_mul_hi_u32 s21, s20, s7
	s_add_u32 s5, s2, s16
	v_cndmask_b32_e32 v1, 0, v0, vcc_lo
	s_mul_i32 s20, s20, s7
	s_addc_u32 s7, s22, s17
	s_add_i32 s21, s21, s19
	s_lshl_b64 s[16:17], s[20:21], 1
	s_mul_i32 s20, s0, s6
	s_add_u32 s0, s12, s16
	v_lshlrev_b32_e32 v1, 1, v1
	s_addc_u32 s2, s13, s17
	s_lshl_b64 s[12:13], s[14:15], 1
	s_add_u32 s0, s0, s12
	s_addc_u32 s2, s2, s13
	v_add_co_u32 v1, s0, s0, v1
	s_ashr_i32 s12, s3, 31
	s_ashr_i32 s21, s20, 31
	v_add_co_ci_u32_e64 v2, null, s2, 0, s0
	s_lshr_b32 s0, s12, 22
	s_lshl_b64 s[12:13], s[20:21], 1
	s_add_i32 s0, s3, s0
	v_add_co_u32 v1, vcc_lo, v1, s12
	v_add_co_ci_u32_e64 v2, null, s13, v2, vcc_lo
	s_and_b32 s2, s0, 0xfffffc00
	s_mov_b32 s13, 0
	s_mov_b32 s12, exec_lo
	v_cmpx_gt_i32_e64 s2, v0
	s_cbranch_execz .LBB420_13
; %bb.10:
	v_mul_lo_u32 v3, v0, s4
	v_mov_b32_e32 v6, v2
	v_mov_b32_e32 v7, 0
	;; [unrolled: 1-line block ×4, first 2 shown]
	s_lshl_b32 s14, s4, 10
	.p2align	6
.LBB420_11:                             ; =>This Inner Loop Header: Depth=1
	v_ashrrev_i32_e32 v4, 31, v3
	v_add_nc_u32_e32 v8, 0x400, v8
	v_lshlrev_b64 v[9:10], 1, v[3:4]
	v_cmp_le_i32_e64 s0, s2, v8
	v_add_nc_u32_e32 v3, s14, v3
	s_or_b32 s13, s0, s13
	v_add_co_u32 v9, vcc_lo, s5, v9
	v_add_co_ci_u32_e64 v10, null, s7, v10, vcc_lo
	global_load_ushort v4, v[5:6], off
	global_load_ushort v9, v[9:10], off
	v_add_co_u32 v5, vcc_lo, 0x800, v5
	v_add_co_ci_u32_e64 v6, null, 0, v6, vcc_lo
	s_waitcnt vmcnt(0)
	v_mul_f16_e32 v4, v4, v9
	v_cvt_f32_f16_e32 v4, v4
	v_add_f32_e32 v7, v7, v4
	s_andn2_b32 exec_lo, exec_lo, s13
	s_cbranch_execnz .LBB420_11
; %bb.12:
	s_or_b32 exec_lo, exec_lo, s13
.LBB420_13:
	s_or_b32 exec_lo, exec_lo, s12
	v_or_b32_e32 v3, s2, v0
	s_mov_b32 s0, exec_lo
	v_cmpx_gt_i32_e64 s3, v3
	s_cbranch_execz .LBB420_15
; %bb.14:
	v_mul_lo_u32 v3, s4, v3
	s_ashr_i32 s3, s2, 31
	s_lshl_b64 s[2:3], s[2:3], 1
	v_add_co_u32 v1, vcc_lo, v1, s2
	v_add_co_ci_u32_e64 v2, null, s3, v2, vcc_lo
	v_ashrrev_i32_e32 v4, 31, v3
	v_lshlrev_b64 v[3:4], 1, v[3:4]
	v_add_co_u32 v3, vcc_lo, s5, v3
	v_add_co_ci_u32_e64 v4, null, s7, v4, vcc_lo
	global_load_ushort v1, v[1:2], off
	global_load_ushort v2, v[3:4], off
	s_waitcnt vmcnt(0)
	v_mul_f16_e32 v1, v1, v2
	v_cvt_f32_f16_e32 v1, v1
	v_add_f32_e32 v7, v7, v1
.LBB420_15:
	s_or_b32 exec_lo, exec_lo, s0
	v_and_b32_e32 v8, 31, v0
	v_cmp_gt_u32_e32 vcc_lo, 32, v0
	v_lshlrev_b32_e32 v1, 2, v8
	s_and_saveexec_b32 s0, vcc_lo
; %bb.16:
	v_mov_b32_e32 v2, 0
	ds_write_b32 v1, v2
; %bb.17:
	s_or_b32 exec_lo, exec_lo, s0
	v_mbcnt_lo_u32_b32 v6, -1, 0
	s_mov_b32 s2, exec_lo
	s_waitcnt lgkmcnt(0)
	s_barrier
	buffer_gl0_inv
	v_lshl_or_b32 v2, v6, 2, 64
	v_cmp_gt_u32_e64 s0, 24, v6
	ds_bpermute_b32 v4, v2, v7
	v_cndmask_b32_e64 v3, 0, 8, s0
	v_cmp_gt_u32_e64 s0, 28, v6
	v_add_lshl_u32 v3, v3, v6, 2
	s_waitcnt lgkmcnt(0)
	v_add_f32_e32 v5, v7, v4
	v_cndmask_b32_e64 v4, 0, 4, s0
	v_cmp_gt_u32_e64 s0, 30, v6
	ds_bpermute_b32 v7, v3, v5
	v_add_lshl_u32 v4, v4, v6, 2
	s_waitcnt lgkmcnt(0)
	v_add_f32_e32 v7, v5, v7
	v_cndmask_b32_e64 v5, 0, 2, s0
	v_cmp_ne_u32_e64 s0, 31, v6
	ds_bpermute_b32 v9, v4, v7
	v_add_lshl_u32 v5, v5, v6, 2
	v_add_co_ci_u32_e64 v6, null, 0, v6, s0
	v_lshlrev_b32_e32 v6, 2, v6
	s_waitcnt lgkmcnt(0)
	v_add_f32_e32 v7, v7, v9
	ds_bpermute_b32 v9, v5, v7
	s_waitcnt lgkmcnt(0)
	v_add_f32_e32 v7, v7, v9
	ds_bpermute_b32 v9, v6, v7
	v_cmpx_eq_u32_e32 0, v8
	s_cbranch_execz .LBB420_19
; %bb.18:
	v_lshrrev_b32_e32 v8, 3, v0
	s_waitcnt lgkmcnt(0)
	v_add_f32_e32 v7, v7, v9
	v_and_b32_e32 v8, 0x7c, v8
	ds_write_b32 v8, v7
.LBB420_19:
	s_or_b32 exec_lo, exec_lo, s2
	v_mov_b32_e32 v7, 0
	s_waitcnt lgkmcnt(0)
	s_barrier
	buffer_gl0_inv
	s_and_saveexec_b32 s0, vcc_lo
; %bb.20:
	ds_read_b32 v7, v1
; %bb.21:
	s_or_b32 exec_lo, exec_lo, s0
	s_and_saveexec_b32 s0, vcc_lo
	s_cbranch_execz .LBB420_23
; %bb.22:
	s_waitcnt lgkmcnt(0)
	ds_bpermute_b32 v1, v2, v7
	s_waitcnt lgkmcnt(0)
	v_add_f32_e32 v1, v7, v1
	ds_bpermute_b32 v2, v3, v1
	s_waitcnt lgkmcnt(0)
	v_add_f32_e32 v1, v1, v2
	;; [unrolled: 3-line block ×5, first 2 shown]
.LBB420_23:
	s_or_b32 exec_lo, exec_lo, s0
	s_mov_b32 s0, exec_lo
                                        ; implicit-def: $vgpr1
                                        ; implicit-def: $sgpr2_sgpr3
	v_cmpx_eq_u32_e32 0, v0
	s_cbranch_execz .LBB420_27
; %bb.24:
	v_cmp_eq_f32_e64 s3, s9, 0
	s_waitcnt lgkmcnt(0)
	v_mul_f32_e32 v0, s11, v7
	s_mul_i32 s2, s18, s6
	s_and_b32 vcc_lo, exec_lo, s3
	s_ashr_i32 s3, s2, 31
	s_cbranch_vccnz .LBB420_26
; %bb.25:
	s_lshl_b64 s[4:5], s[2:3], 1
	v_mov_b32_e32 v1, 0
	s_add_u32 s4, s1, s4
	s_addc_u32 s5, s8, s5
	global_load_ushort v1, v1, s[4:5]
	s_waitcnt vmcnt(0)
	v_fma_mix_f32 v0, s9, v1, v0 op_sel_hi:[0,1,0]
.LBB420_26:
	v_cvt_f16_f32_e32 v1, v0
	s_or_b32 s10, s10, exec_lo
.LBB420_27:
	s_or_b32 exec_lo, exec_lo, s0
.LBB420_28:
	s_and_saveexec_b32 s0, s10
	s_cbranch_execz .LBB420_30
; %bb.29:
	s_lshl_b64 s[2:3], s[2:3], 1
	v_mov_b32_e32 v0, 0
	s_add_u32 s0, s1, s2
	s_addc_u32 s1, s8, s3
	global_store_short v0, v1, s[0:1]
.LBB420_30:
	s_endpgm
	.section	.rodata,"a",@progbits
	.p2align	6, 0x0
	.amdhsa_kernel _ZL32rocblas_gemvt_warp_reduce_kernelILb1ELi1024EiDF16_PKfDF16_EviiT3_lPKT2_lT1_lS5_lS6_lS2_lPT4_lS6_li
		.amdhsa_group_segment_fixed_size 128
		.amdhsa_private_segment_fixed_size 0
		.amdhsa_kernarg_size 140
		.amdhsa_user_sgpr_count 6
		.amdhsa_user_sgpr_private_segment_buffer 1
		.amdhsa_user_sgpr_dispatch_ptr 0
		.amdhsa_user_sgpr_queue_ptr 0
		.amdhsa_user_sgpr_kernarg_segment_ptr 1
		.amdhsa_user_sgpr_dispatch_id 0
		.amdhsa_user_sgpr_flat_scratch_init 0
		.amdhsa_user_sgpr_private_segment_size 0
		.amdhsa_wavefront_size32 1
		.amdhsa_uses_dynamic_stack 0
		.amdhsa_system_sgpr_private_segment_wavefront_offset 0
		.amdhsa_system_sgpr_workgroup_id_x 1
		.amdhsa_system_sgpr_workgroup_id_y 0
		.amdhsa_system_sgpr_workgroup_id_z 1
		.amdhsa_system_sgpr_workgroup_info 0
		.amdhsa_system_vgpr_workitem_id 0
		.amdhsa_next_free_vgpr 11
		.amdhsa_next_free_sgpr 26
		.amdhsa_reserve_vcc 1
		.amdhsa_reserve_flat_scratch 0
		.amdhsa_float_round_mode_32 0
		.amdhsa_float_round_mode_16_64 0
		.amdhsa_float_denorm_mode_32 3
		.amdhsa_float_denorm_mode_16_64 3
		.amdhsa_dx10_clamp 1
		.amdhsa_ieee_mode 1
		.amdhsa_fp16_overflow 0
		.amdhsa_workgroup_processor_mode 1
		.amdhsa_memory_ordered 1
		.amdhsa_forward_progress 1
		.amdhsa_shared_vgpr_count 0
		.amdhsa_exception_fp_ieee_invalid_op 0
		.amdhsa_exception_fp_denorm_src 0
		.amdhsa_exception_fp_ieee_div_zero 0
		.amdhsa_exception_fp_ieee_overflow 0
		.amdhsa_exception_fp_ieee_underflow 0
		.amdhsa_exception_fp_ieee_inexact 0
		.amdhsa_exception_int_div_zero 0
	.end_amdhsa_kernel
	.section	.text._ZL32rocblas_gemvt_warp_reduce_kernelILb1ELi1024EiDF16_PKfDF16_EviiT3_lPKT2_lT1_lS5_lS6_lS2_lPT4_lS6_li,"axG",@progbits,_ZL32rocblas_gemvt_warp_reduce_kernelILb1ELi1024EiDF16_PKfDF16_EviiT3_lPKT2_lT1_lS5_lS6_lS2_lPT4_lS6_li,comdat
.Lfunc_end420:
	.size	_ZL32rocblas_gemvt_warp_reduce_kernelILb1ELi1024EiDF16_PKfDF16_EviiT3_lPKT2_lT1_lS5_lS6_lS2_lPT4_lS6_li, .Lfunc_end420-_ZL32rocblas_gemvt_warp_reduce_kernelILb1ELi1024EiDF16_PKfDF16_EviiT3_lPKT2_lT1_lS5_lS6_lS2_lPT4_lS6_li
                                        ; -- End function
	.set _ZL32rocblas_gemvt_warp_reduce_kernelILb1ELi1024EiDF16_PKfDF16_EviiT3_lPKT2_lT1_lS5_lS6_lS2_lPT4_lS6_li.num_vgpr, 11
	.set _ZL32rocblas_gemvt_warp_reduce_kernelILb1ELi1024EiDF16_PKfDF16_EviiT3_lPKT2_lT1_lS5_lS6_lS2_lPT4_lS6_li.num_agpr, 0
	.set _ZL32rocblas_gemvt_warp_reduce_kernelILb1ELi1024EiDF16_PKfDF16_EviiT3_lPKT2_lT1_lS5_lS6_lS2_lPT4_lS6_li.numbered_sgpr, 26
	.set _ZL32rocblas_gemvt_warp_reduce_kernelILb1ELi1024EiDF16_PKfDF16_EviiT3_lPKT2_lT1_lS5_lS6_lS2_lPT4_lS6_li.num_named_barrier, 0
	.set _ZL32rocblas_gemvt_warp_reduce_kernelILb1ELi1024EiDF16_PKfDF16_EviiT3_lPKT2_lT1_lS5_lS6_lS2_lPT4_lS6_li.private_seg_size, 0
	.set _ZL32rocblas_gemvt_warp_reduce_kernelILb1ELi1024EiDF16_PKfDF16_EviiT3_lPKT2_lT1_lS5_lS6_lS2_lPT4_lS6_li.uses_vcc, 1
	.set _ZL32rocblas_gemvt_warp_reduce_kernelILb1ELi1024EiDF16_PKfDF16_EviiT3_lPKT2_lT1_lS5_lS6_lS2_lPT4_lS6_li.uses_flat_scratch, 0
	.set _ZL32rocblas_gemvt_warp_reduce_kernelILb1ELi1024EiDF16_PKfDF16_EviiT3_lPKT2_lT1_lS5_lS6_lS2_lPT4_lS6_li.has_dyn_sized_stack, 0
	.set _ZL32rocblas_gemvt_warp_reduce_kernelILb1ELi1024EiDF16_PKfDF16_EviiT3_lPKT2_lT1_lS5_lS6_lS2_lPT4_lS6_li.has_recursion, 0
	.set _ZL32rocblas_gemvt_warp_reduce_kernelILb1ELi1024EiDF16_PKfDF16_EviiT3_lPKT2_lT1_lS5_lS6_lS2_lPT4_lS6_li.has_indirect_call, 0
	.section	.AMDGPU.csdata,"",@progbits
; Kernel info:
; codeLenInByte = 1408
; TotalNumSgprs: 28
; NumVgprs: 11
; ScratchSize: 0
; MemoryBound: 0
; FloatMode: 240
; IeeeMode: 1
; LDSByteSize: 128 bytes/workgroup (compile time only)
; SGPRBlocks: 0
; VGPRBlocks: 1
; NumSGPRsForWavesPerEU: 28
; NumVGPRsForWavesPerEU: 11
; Occupancy: 16
; WaveLimiterHint : 1
; COMPUTE_PGM_RSRC2:SCRATCH_EN: 0
; COMPUTE_PGM_RSRC2:USER_SGPR: 6
; COMPUTE_PGM_RSRC2:TRAP_HANDLER: 0
; COMPUTE_PGM_RSRC2:TGID_X_EN: 1
; COMPUTE_PGM_RSRC2:TGID_Y_EN: 0
; COMPUTE_PGM_RSRC2:TGID_Z_EN: 1
; COMPUTE_PGM_RSRC2:TIDIG_COMP_CNT: 0
	.section	.text._ZL32rocblas_gemvt_warp_reduce_kernelILb1ELi1024ElDF16_PKfDF16_EviiT3_lPKT2_lT1_lS5_lS6_lS2_lPT4_lS6_li,"axG",@progbits,_ZL32rocblas_gemvt_warp_reduce_kernelILb1ELi1024ElDF16_PKfDF16_EviiT3_lPKT2_lT1_lS5_lS6_lS2_lPT4_lS6_li,comdat
	.globl	_ZL32rocblas_gemvt_warp_reduce_kernelILb1ELi1024ElDF16_PKfDF16_EviiT3_lPKT2_lT1_lS5_lS6_lS2_lPT4_lS6_li ; -- Begin function _ZL32rocblas_gemvt_warp_reduce_kernelILb1ELi1024ElDF16_PKfDF16_EviiT3_lPKT2_lT1_lS5_lS6_lS2_lPT4_lS6_li
	.p2align	8
	.type	_ZL32rocblas_gemvt_warp_reduce_kernelILb1ELi1024ElDF16_PKfDF16_EviiT3_lPKT2_lT1_lS5_lS6_lS2_lPT4_lS6_li,@function
_ZL32rocblas_gemvt_warp_reduce_kernelILb1ELi1024ElDF16_PKfDF16_EviiT3_lPKT2_lT1_lS5_lS6_lS2_lPT4_lS6_li: ; @_ZL32rocblas_gemvt_warp_reduce_kernelILb1ELi1024ElDF16_PKfDF16_EviiT3_lPKT2_lT1_lS5_lS6_lS2_lPT4_lS6_li
; %bb.0:
	s_clause 0x1
	s_load_dwordx16 s[36:51], s[4:5], 0x8
	s_load_dwordx16 s[8:23], s[4:5], 0x48
	s_waitcnt lgkmcnt(0)
	s_mul_i32 s1, s39, s7
	s_mul_hi_u32 s2, s38, s7
	s_mul_i32 s0, s38, s7
	s_add_i32 s1, s2, s1
	s_mul_i32 s2, s15, s7
	s_lshl_b64 s[0:1], s[0:1], 2
	s_mul_hi_u32 s3, s14, s7
	s_add_u32 s0, s36, s0
	s_addc_u32 s1, s37, s1
	s_add_i32 s3, s3, s2
	s_mul_i32 s2, s14, s7
	s_mov_b32 s14, 0
	s_lshl_b64 s[2:3], s[2:3], 2
	s_add_u32 s2, s12, s2
	s_addc_u32 s3, s13, s3
	s_load_dword s15, s[0:1], 0x0
	s_load_dword s13, s[2:3], 0x0
	s_waitcnt lgkmcnt(0)
	v_cmp_eq_f32_e64 s0, s15, 0
	v_cmp_eq_f32_e64 s1, s13, 1.0
	s_and_b32 s0, s0, s1
	s_and_b32 vcc_lo, exec_lo, s0
	s_cbranch_vccnz .LBB421_30
; %bb.1:
	s_mul_i32 s1, s23, s7
	s_mul_hi_u32 s2, s22, s7
	s_mul_i32 s0, s22, s7
	s_add_i32 s1, s2, s1
	v_cmp_neq_f32_e64 s22, s15, 0
	s_lshl_b64 s[0:1], s[0:1], 1
	s_add_u32 s0, s16, s0
	s_addc_u32 s12, s17, s1
	s_lshl_b64 s[2:3], s[18:19], 1
	s_add_u32 s1, s0, s2
	v_cmp_eq_u32_e64 s0, 0, v0
	s_addc_u32 s12, s12, s3
	s_and_b32 vcc_lo, exec_lo, s22
	s_cbranch_vccnz .LBB421_5
; %bb.2:
	s_mov_b32 s16, 0
                                        ; implicit-def: $vgpr1
                                        ; implicit-def: $sgpr2_sgpr3
	s_and_saveexec_b32 s17, s0
	s_cbranch_execz .LBB421_6
; %bb.3:
	s_ashr_i32 s2, s6, 31
	v_cmp_eq_f32_e64 s0, s13, 0
	s_mul_hi_u32 s3, s20, s6
	s_mul_i32 s2, s20, s2
	s_mul_i32 s14, s21, s6
	s_add_i32 s2, s3, s2
	s_and_b32 vcc_lo, exec_lo, s0
	s_add_i32 s3, s2, s14
	s_mul_i32 s2, s20, s6
	s_cbranch_vccnz .LBB421_7
; %bb.4:
	s_lshl_b64 s[18:19], s[2:3], 1
	v_mov_b32_e32 v1, 0
	s_add_u32 s18, s1, s18
	s_addc_u32 s19, s12, s19
	global_load_ushort v1, v1, s[18:19]
	s_waitcnt vmcnt(0)
	v_fma_mixlo_f16 v1, s13, v1, 0 op_sel_hi:[0,1,0]
	s_branch .LBB421_8
.LBB421_5:
                                        ; implicit-def: $vgpr1
                                        ; implicit-def: $sgpr2_sgpr3
	s_cbranch_execnz .LBB421_9
	s_branch .LBB421_28
.LBB421_6:
	s_or_b32 exec_lo, exec_lo, s17
	s_and_b32 vcc_lo, exec_lo, s16
	s_cbranch_vccnz .LBB421_9
	s_branch .LBB421_28
.LBB421_7:
	v_mov_b32_e32 v1, 0
.LBB421_8:
	s_mov_b32 s14, exec_lo
	s_or_b32 exec_lo, exec_lo, s17
	s_and_b32 vcc_lo, exec_lo, s16
	s_cbranch_vccz .LBB421_28
.LBB421_9:
	s_load_dword s5, s[4:5], 0x0
	s_mul_i32 s0, s11, s7
	s_mul_i32 s3, s47, s7
	s_mul_hi_u32 s11, s46, s7
	s_mul_i32 s2, s46, s7
	s_add_i32 s3, s11, s3
	s_mul_hi_u32 s4, s10, s7
	s_lshl_b64 s[16:17], s[2:3], 1
	s_add_i32 s3, s4, s0
	s_add_u32 s0, s40, s16
	s_addc_u32 s2, s41, s17
	s_lshl_b64 s[16:17], s[42:43], 1
	s_mul_hi_u32 s4, s44, s6
	s_add_u32 s0, s0, s16
	s_addc_u32 s2, s2, s17
	s_ashr_i32 s16, s6, 31
	s_mul_i32 s11, s45, s6
	s_mul_i32 s17, s44, s16
	;; [unrolled: 1-line block ×3, first 2 shown]
	s_add_i32 s4, s4, s17
	s_waitcnt lgkmcnt(0)
	v_cmp_gt_i32_e32 vcc_lo, s5, v0
	s_add_i32 s19, s4, s11
	s_ashr_i32 s4, s5, 31
	s_lshl_b64 s[18:19], s[18:19], 1
	s_lshr_b32 s4, s4, 22
	v_cndmask_b32_e32 v1, 0, v0, vcc_lo
	v_mov_b32_e32 v7, 0
	s_add_i32 s4, s5, s4
	s_mov_b32 s17, 0
	s_and_b32 s4, s4, 0xfffffc00
	v_lshlrev_b32_e32 v1, 1, v1
	v_add_co_u32 v1, s0, s0, v1
	v_add_co_ci_u32_e64 v2, null, s2, 0, s0
	s_mul_i32 s2, s10, s7
	v_add_co_u32 v1, vcc_lo, v1, s18
	v_add_co_ci_u32_e64 v2, null, s19, v2, vcc_lo
	s_mov_b32 s7, exec_lo
	v_cmpx_gt_i32_e64 s4, v0
	s_cbranch_execz .LBB421_13
; %bb.10:
	v_mad_u64_u32 v[5:6], null, s8, v0, 0
	s_lshl_b64 s[18:19], s[50:51], 1
	s_lshl_b64 s[10:11], s[2:3], 1
	s_add_u32 s0, s48, s18
	s_addc_u32 s18, s49, s19
	s_add_u32 s0, s0, s10
	s_addc_u32 s10, s18, s11
	v_mov_b32_e32 v3, v6
	v_mov_b32_e32 v7, 0
	;; [unrolled: 1-line block ×3, first 2 shown]
	v_mad_u64_u32 v[3:4], null, s9, v0, v[3:4]
	v_mov_b32_e32 v6, v3
	v_mov_b32_e32 v4, v2
	;; [unrolled: 1-line block ×3, first 2 shown]
	v_lshlrev_b64 v[5:6], 1, v[5:6]
	v_add_co_u32 v5, vcc_lo, s0, v5
	v_add_co_ci_u32_e64 v6, null, s10, v6, vcc_lo
	s_lshl_b64 s[10:11], s[8:9], 11
	.p2align	6
.LBB421_11:                             ; =>This Inner Loop Header: Depth=1
	global_load_ushort v9, v[3:4], off
	global_load_ushort v10, v[5:6], off
	v_add_nc_u32_e32 v8, 0x400, v8
	v_add_co_u32 v3, vcc_lo, 0x800, v3
	v_add_co_ci_u32_e64 v4, null, 0, v4, vcc_lo
	v_add_co_u32 v5, vcc_lo, v5, s10
	v_cmp_le_i32_e64 s0, s4, v8
	v_add_co_ci_u32_e64 v6, null, s11, v6, vcc_lo
	s_or_b32 s17, s0, s17
	s_waitcnt vmcnt(0)
	v_mul_f16_e32 v9, v9, v10
	v_cvt_f32_f16_e32 v9, v9
	v_add_f32_e32 v7, v7, v9
	s_andn2_b32 exec_lo, exec_lo, s17
	s_cbranch_execnz .LBB421_11
; %bb.12:
	s_or_b32 exec_lo, exec_lo, s17
.LBB421_13:
	s_or_b32 exec_lo, exec_lo, s7
	v_or_b32_e32 v3, s4, v0
	s_mov_b32 s0, exec_lo
	v_cmpx_gt_i32_e64 s5, v3
	s_cbranch_execz .LBB421_15
; %bb.14:
	v_ashrrev_i32_e32 v5, 31, v3
	v_mul_lo_u32 v6, s9, v3
	v_mad_u64_u32 v[3:4], null, s8, v3, 0
	s_lshl_b64 s[2:3], s[2:3], 1
	v_mul_lo_u32 v5, s8, v5
	s_add_u32 s5, s48, s2
	s_addc_u32 s7, s49, s3
	s_lshl_b64 s[2:3], s[50:51], 1
	s_add_u32 s8, s5, s2
	s_addc_u32 s7, s7, s3
	s_ashr_i32 s5, s4, 31
	v_add3_u32 v4, v4, v5, v6
	s_lshl_b64 s[2:3], s[4:5], 1
	v_add_co_u32 v1, vcc_lo, v1, s2
	v_lshlrev_b64 v[3:4], 1, v[3:4]
	v_add_co_ci_u32_e64 v2, null, s3, v2, vcc_lo
	v_add_co_u32 v3, vcc_lo, s8, v3
	v_add_co_ci_u32_e64 v4, null, s7, v4, vcc_lo
	global_load_ushort v1, v[1:2], off
	global_load_ushort v2, v[3:4], off
	s_waitcnt vmcnt(0)
	v_mul_f16_e32 v1, v1, v2
	v_cvt_f32_f16_e32 v1, v1
	v_add_f32_e32 v7, v7, v1
.LBB421_15:
	s_or_b32 exec_lo, exec_lo, s0
	v_and_b32_e32 v8, 31, v0
	v_cmp_gt_u32_e32 vcc_lo, 32, v0
	v_lshlrev_b32_e32 v1, 2, v8
	s_and_saveexec_b32 s0, vcc_lo
; %bb.16:
	v_mov_b32_e32 v2, 0
	ds_write_b32 v1, v2
; %bb.17:
	s_or_b32 exec_lo, exec_lo, s0
	v_mbcnt_lo_u32_b32 v6, -1, 0
	s_mov_b32 s2, exec_lo
	s_waitcnt lgkmcnt(0)
	s_barrier
	buffer_gl0_inv
	v_lshl_or_b32 v2, v6, 2, 64
	v_cmp_gt_u32_e64 s0, 24, v6
	ds_bpermute_b32 v4, v2, v7
	v_cndmask_b32_e64 v3, 0, 8, s0
	v_cmp_gt_u32_e64 s0, 28, v6
	v_add_lshl_u32 v3, v3, v6, 2
	s_waitcnt lgkmcnt(0)
	v_add_f32_e32 v5, v7, v4
	v_cndmask_b32_e64 v4, 0, 4, s0
	v_cmp_gt_u32_e64 s0, 30, v6
	ds_bpermute_b32 v7, v3, v5
	v_add_lshl_u32 v4, v4, v6, 2
	s_waitcnt lgkmcnt(0)
	v_add_f32_e32 v7, v5, v7
	v_cndmask_b32_e64 v5, 0, 2, s0
	v_cmp_ne_u32_e64 s0, 31, v6
	ds_bpermute_b32 v9, v4, v7
	v_add_lshl_u32 v5, v5, v6, 2
	v_add_co_ci_u32_e64 v6, null, 0, v6, s0
	v_lshlrev_b32_e32 v6, 2, v6
	s_waitcnt lgkmcnt(0)
	v_add_f32_e32 v7, v7, v9
	ds_bpermute_b32 v9, v5, v7
	s_waitcnt lgkmcnt(0)
	v_add_f32_e32 v7, v7, v9
	ds_bpermute_b32 v9, v6, v7
	v_cmpx_eq_u32_e32 0, v8
	s_cbranch_execz .LBB421_19
; %bb.18:
	v_lshrrev_b32_e32 v8, 3, v0
	s_waitcnt lgkmcnt(0)
	v_add_f32_e32 v7, v7, v9
	v_and_b32_e32 v8, 0x7c, v8
	ds_write_b32 v8, v7
.LBB421_19:
	s_or_b32 exec_lo, exec_lo, s2
	v_mov_b32_e32 v7, 0
	s_waitcnt lgkmcnt(0)
	s_barrier
	buffer_gl0_inv
	s_and_saveexec_b32 s0, vcc_lo
; %bb.20:
	ds_read_b32 v7, v1
; %bb.21:
	s_or_b32 exec_lo, exec_lo, s0
	s_and_saveexec_b32 s0, vcc_lo
	s_cbranch_execz .LBB421_23
; %bb.22:
	s_waitcnt lgkmcnt(0)
	ds_bpermute_b32 v1, v2, v7
	s_waitcnt lgkmcnt(0)
	v_add_f32_e32 v1, v7, v1
	ds_bpermute_b32 v2, v3, v1
	s_waitcnt lgkmcnt(0)
	v_add_f32_e32 v1, v1, v2
	;; [unrolled: 3-line block ×5, first 2 shown]
.LBB421_23:
	s_or_b32 exec_lo, exec_lo, s0
	s_mov_b32 s0, exec_lo
                                        ; implicit-def: $vgpr1
                                        ; implicit-def: $sgpr2_sgpr3
	v_cmpx_eq_u32_e32 0, v0
	s_cbranch_execz .LBB421_27
; %bb.24:
	v_cmp_eq_f32_e64 s4, s13, 0
	s_mul_i32 s2, s20, s16
	s_mul_hi_u32 s3, s20, s6
	s_waitcnt lgkmcnt(0)
	v_mul_f32_e32 v0, s15, v7
	s_add_i32 s2, s3, s2
	s_mul_i32 s3, s21, s6
	s_and_b32 vcc_lo, exec_lo, s4
	s_add_i32 s3, s2, s3
	s_mul_i32 s2, s20, s6
	s_cbranch_vccnz .LBB421_26
; %bb.25:
	s_lshl_b64 s[4:5], s[2:3], 1
	v_mov_b32_e32 v1, 0
	s_add_u32 s4, s1, s4
	s_addc_u32 s5, s12, s5
	global_load_ushort v1, v1, s[4:5]
	s_waitcnt vmcnt(0)
	v_fma_mix_f32 v0, s13, v1, v0 op_sel_hi:[0,1,0]
.LBB421_26:
	v_cvt_f16_f32_e32 v1, v0
	s_or_b32 s14, s14, exec_lo
.LBB421_27:
	s_or_b32 exec_lo, exec_lo, s0
.LBB421_28:
	s_and_saveexec_b32 s0, s14
	s_cbranch_execz .LBB421_30
; %bb.29:
	s_lshl_b64 s[2:3], s[2:3], 1
	v_mov_b32_e32 v0, 0
	s_add_u32 s0, s1, s2
	s_addc_u32 s1, s12, s3
	global_store_short v0, v1, s[0:1]
.LBB421_30:
	s_endpgm
	.section	.rodata,"a",@progbits
	.p2align	6, 0x0
	.amdhsa_kernel _ZL32rocblas_gemvt_warp_reduce_kernelILb1ELi1024ElDF16_PKfDF16_EviiT3_lPKT2_lT1_lS5_lS6_lS2_lPT4_lS6_li
		.amdhsa_group_segment_fixed_size 128
		.amdhsa_private_segment_fixed_size 0
		.amdhsa_kernarg_size 140
		.amdhsa_user_sgpr_count 6
		.amdhsa_user_sgpr_private_segment_buffer 1
		.amdhsa_user_sgpr_dispatch_ptr 0
		.amdhsa_user_sgpr_queue_ptr 0
		.amdhsa_user_sgpr_kernarg_segment_ptr 1
		.amdhsa_user_sgpr_dispatch_id 0
		.amdhsa_user_sgpr_flat_scratch_init 0
		.amdhsa_user_sgpr_private_segment_size 0
		.amdhsa_wavefront_size32 1
		.amdhsa_uses_dynamic_stack 0
		.amdhsa_system_sgpr_private_segment_wavefront_offset 0
		.amdhsa_system_sgpr_workgroup_id_x 1
		.amdhsa_system_sgpr_workgroup_id_y 0
		.amdhsa_system_sgpr_workgroup_id_z 1
		.amdhsa_system_sgpr_workgroup_info 0
		.amdhsa_system_vgpr_workitem_id 0
		.amdhsa_next_free_vgpr 11
		.amdhsa_next_free_sgpr 52
		.amdhsa_reserve_vcc 1
		.amdhsa_reserve_flat_scratch 0
		.amdhsa_float_round_mode_32 0
		.amdhsa_float_round_mode_16_64 0
		.amdhsa_float_denorm_mode_32 3
		.amdhsa_float_denorm_mode_16_64 3
		.amdhsa_dx10_clamp 1
		.amdhsa_ieee_mode 1
		.amdhsa_fp16_overflow 0
		.amdhsa_workgroup_processor_mode 1
		.amdhsa_memory_ordered 1
		.amdhsa_forward_progress 1
		.amdhsa_shared_vgpr_count 0
		.amdhsa_exception_fp_ieee_invalid_op 0
		.amdhsa_exception_fp_denorm_src 0
		.amdhsa_exception_fp_ieee_div_zero 0
		.amdhsa_exception_fp_ieee_overflow 0
		.amdhsa_exception_fp_ieee_underflow 0
		.amdhsa_exception_fp_ieee_inexact 0
		.amdhsa_exception_int_div_zero 0
	.end_amdhsa_kernel
	.section	.text._ZL32rocblas_gemvt_warp_reduce_kernelILb1ELi1024ElDF16_PKfDF16_EviiT3_lPKT2_lT1_lS5_lS6_lS2_lPT4_lS6_li,"axG",@progbits,_ZL32rocblas_gemvt_warp_reduce_kernelILb1ELi1024ElDF16_PKfDF16_EviiT3_lPKT2_lT1_lS5_lS6_lS2_lPT4_lS6_li,comdat
.Lfunc_end421:
	.size	_ZL32rocblas_gemvt_warp_reduce_kernelILb1ELi1024ElDF16_PKfDF16_EviiT3_lPKT2_lT1_lS5_lS6_lS2_lPT4_lS6_li, .Lfunc_end421-_ZL32rocblas_gemvt_warp_reduce_kernelILb1ELi1024ElDF16_PKfDF16_EviiT3_lPKT2_lT1_lS5_lS6_lS2_lPT4_lS6_li
                                        ; -- End function
	.set _ZL32rocblas_gemvt_warp_reduce_kernelILb1ELi1024ElDF16_PKfDF16_EviiT3_lPKT2_lT1_lS5_lS6_lS2_lPT4_lS6_li.num_vgpr, 11
	.set _ZL32rocblas_gemvt_warp_reduce_kernelILb1ELi1024ElDF16_PKfDF16_EviiT3_lPKT2_lT1_lS5_lS6_lS2_lPT4_lS6_li.num_agpr, 0
	.set _ZL32rocblas_gemvt_warp_reduce_kernelILb1ELi1024ElDF16_PKfDF16_EviiT3_lPKT2_lT1_lS5_lS6_lS2_lPT4_lS6_li.numbered_sgpr, 52
	.set _ZL32rocblas_gemvt_warp_reduce_kernelILb1ELi1024ElDF16_PKfDF16_EviiT3_lPKT2_lT1_lS5_lS6_lS2_lPT4_lS6_li.num_named_barrier, 0
	.set _ZL32rocblas_gemvt_warp_reduce_kernelILb1ELi1024ElDF16_PKfDF16_EviiT3_lPKT2_lT1_lS5_lS6_lS2_lPT4_lS6_li.private_seg_size, 0
	.set _ZL32rocblas_gemvt_warp_reduce_kernelILb1ELi1024ElDF16_PKfDF16_EviiT3_lPKT2_lT1_lS5_lS6_lS2_lPT4_lS6_li.uses_vcc, 1
	.set _ZL32rocblas_gemvt_warp_reduce_kernelILb1ELi1024ElDF16_PKfDF16_EviiT3_lPKT2_lT1_lS5_lS6_lS2_lPT4_lS6_li.uses_flat_scratch, 0
	.set _ZL32rocblas_gemvt_warp_reduce_kernelILb1ELi1024ElDF16_PKfDF16_EviiT3_lPKT2_lT1_lS5_lS6_lS2_lPT4_lS6_li.has_dyn_sized_stack, 0
	.set _ZL32rocblas_gemvt_warp_reduce_kernelILb1ELi1024ElDF16_PKfDF16_EviiT3_lPKT2_lT1_lS5_lS6_lS2_lPT4_lS6_li.has_recursion, 0
	.set _ZL32rocblas_gemvt_warp_reduce_kernelILb1ELi1024ElDF16_PKfDF16_EviiT3_lPKT2_lT1_lS5_lS6_lS2_lPT4_lS6_li.has_indirect_call, 0
	.section	.AMDGPU.csdata,"",@progbits
; Kernel info:
; codeLenInByte = 1456
; TotalNumSgprs: 54
; NumVgprs: 11
; ScratchSize: 0
; MemoryBound: 0
; FloatMode: 240
; IeeeMode: 1
; LDSByteSize: 128 bytes/workgroup (compile time only)
; SGPRBlocks: 0
; VGPRBlocks: 1
; NumSGPRsForWavesPerEU: 54
; NumVGPRsForWavesPerEU: 11
; Occupancy: 16
; WaveLimiterHint : 0
; COMPUTE_PGM_RSRC2:SCRATCH_EN: 0
; COMPUTE_PGM_RSRC2:USER_SGPR: 6
; COMPUTE_PGM_RSRC2:TRAP_HANDLER: 0
; COMPUTE_PGM_RSRC2:TGID_X_EN: 1
; COMPUTE_PGM_RSRC2:TGID_Y_EN: 0
; COMPUTE_PGM_RSRC2:TGID_Z_EN: 1
; COMPUTE_PGM_RSRC2:TIDIG_COMP_CNT: 0
	.section	.text._ZL32rocblas_gemvt_warp_reduce_kernelILb1ELi1024EiDF16_fDF16_EviiT3_lPKT2_lT1_lS3_lS4_lS0_lPT4_lS4_li,"axG",@progbits,_ZL32rocblas_gemvt_warp_reduce_kernelILb1ELi1024EiDF16_fDF16_EviiT3_lPKT2_lT1_lS3_lS4_lS0_lPT4_lS4_li,comdat
	.globl	_ZL32rocblas_gemvt_warp_reduce_kernelILb1ELi1024EiDF16_fDF16_EviiT3_lPKT2_lT1_lS3_lS4_lS0_lPT4_lS4_li ; -- Begin function _ZL32rocblas_gemvt_warp_reduce_kernelILb1ELi1024EiDF16_fDF16_EviiT3_lPKT2_lT1_lS3_lS4_lS0_lPT4_lS4_li
	.p2align	8
	.type	_ZL32rocblas_gemvt_warp_reduce_kernelILb1ELi1024EiDF16_fDF16_EviiT3_lPKT2_lT1_lS3_lS4_lS0_lPT4_lS4_li,@function
_ZL32rocblas_gemvt_warp_reduce_kernelILb1ELi1024EiDF16_fDF16_EviiT3_lPKT2_lT1_lS3_lS4_lS0_lPT4_lS4_li: ; @_ZL32rocblas_gemvt_warp_reduce_kernelILb1ELi1024EiDF16_fDF16_EviiT3_lPKT2_lT1_lS3_lS4_lS0_lPT4_lS4_li
; %bb.0:
	s_clause 0x1
	s_load_dword s12, s[4:5], 0x8
	s_load_dword s10, s[4:5], 0x58
	s_mov_b32 s11, 0
	s_waitcnt lgkmcnt(0)
	v_cmp_eq_f32_e64 s0, s12, 0
	v_cmp_eq_f32_e64 s1, s10, 1.0
	s_and_b32 s0, s0, s1
	s_and_b32 vcc_lo, exec_lo, s0
	s_cbranch_vccnz .LBB422_30
; %bb.1:
	s_clause 0x2
	s_load_dwordx2 s[8:9], s[4:5], 0x80
	s_load_dwordx4 s[0:3], s[4:5], 0x68
	s_load_dword s13, s[4:5], 0x78
	s_waitcnt lgkmcnt(0)
	s_mul_i32 s9, s9, s7
	s_mul_hi_u32 s14, s8, s7
	s_mul_i32 s8, s8, s7
	s_add_i32 s9, s14, s9
	v_cmp_neq_f32_e64 s14, s12, 0
	s_lshl_b64 s[8:9], s[8:9], 1
	s_add_u32 s8, s0, s8
	s_addc_u32 s9, s1, s9
	s_lshl_b64 s[0:1], s[2:3], 1
	s_add_u32 s8, s8, s0
	v_cmp_eq_u32_e64 s0, 0, v0
	s_addc_u32 s9, s9, s1
	s_and_b32 vcc_lo, exec_lo, s14
	s_cbranch_vccnz .LBB422_5
; %bb.2:
	s_mov_b32 s1, 0
                                        ; implicit-def: $vgpr1
                                        ; implicit-def: $sgpr2_sgpr3
	s_and_saveexec_b32 s14, s0
	s_cbranch_execz .LBB422_6
; %bb.3:
	v_cmp_eq_f32_e64 s0, s10, 0
	s_mul_i32 s2, s13, s6
	s_ashr_i32 s3, s2, 31
	s_and_b32 vcc_lo, exec_lo, s0
	s_cbranch_vccnz .LBB422_7
; %bb.4:
	s_lshl_b64 s[16:17], s[2:3], 1
	v_mov_b32_e32 v1, 0
	s_add_u32 s16, s8, s16
	s_addc_u32 s17, s9, s17
	global_load_ushort v1, v1, s[16:17]
	s_waitcnt vmcnt(0)
	v_fma_mixlo_f16 v1, s10, v1, 0 op_sel_hi:[0,1,0]
	s_branch .LBB422_8
.LBB422_5:
                                        ; implicit-def: $vgpr1
                                        ; implicit-def: $sgpr2_sgpr3
	s_cbranch_execnz .LBB422_9
	s_branch .LBB422_28
.LBB422_6:
	s_or_b32 exec_lo, exec_lo, s14
	s_and_b32 vcc_lo, exec_lo, s1
	s_cbranch_vccnz .LBB422_9
	s_branch .LBB422_28
.LBB422_7:
	v_mov_b32_e32 v1, 0
.LBB422_8:
	s_mov_b32 s11, exec_lo
	s_or_b32 exec_lo, exec_lo, s14
	s_and_b32 vcc_lo, exec_lo, s1
	s_cbranch_vccz .LBB422_28
.LBB422_9:
	s_clause 0x6
	s_load_dwordx2 s[20:21], s[4:5], 0x50
	s_load_dwordx4 s[16:19], s[4:5], 0x30
	s_load_dwordx2 s[22:23], s[4:5], 0x40
	s_load_dword s14, s[4:5], 0x0
	s_load_dwordx4 s[0:3], s[4:5], 0x18
	s_load_dword s15, s[4:5], 0x28
	s_load_dword s4, s[4:5], 0x48
	v_mov_b32_e32 v7, 0
	s_waitcnt lgkmcnt(0)
	s_mul_i32 s5, s21, s7
	s_mul_hi_u32 s21, s20, s7
	s_mul_i32 s20, s20, s7
	s_add_i32 s21, s21, s5
	v_cmp_gt_i32_e32 vcc_lo, s14, v0
	s_lshl_b64 s[20:21], s[20:21], 1
	s_mul_i32 s17, s17, s7
	s_add_u32 s5, s18, s20
	s_addc_u32 s20, s19, s21
	s_lshl_b64 s[18:19], s[22:23], 1
	s_mul_hi_u32 s24, s16, s7
	s_add_u32 s5, s5, s18
	v_cndmask_b32_e32 v1, 0, v0, vcc_lo
	s_mul_i32 s16, s16, s7
	s_addc_u32 s7, s20, s19
	s_add_i32 s17, s24, s17
	s_mul_i32 s18, s15, s6
	s_lshl_b64 s[16:17], s[16:17], 1
	v_lshlrev_b32_e32 v1, 1, v1
	s_add_u32 s15, s0, s16
	s_addc_u32 s16, s1, s17
	s_lshl_b64 s[0:1], s[2:3], 1
	s_mov_b32 s3, 0
	s_add_u32 s0, s15, s0
	s_addc_u32 s1, s16, s1
	v_add_co_u32 v1, s0, s0, v1
	s_ashr_i32 s19, s18, 31
	v_add_co_ci_u32_e64 v2, null, s1, 0, s0
	s_lshl_b64 s[0:1], s[18:19], 1
	s_ashr_i32 s2, s14, 31
	v_add_co_u32 v1, vcc_lo, v1, s0
	s_lshr_b32 s2, s2, 22
	v_add_co_ci_u32_e64 v2, null, s1, v2, vcc_lo
	s_add_i32 s2, s14, s2
	s_mov_b32 s1, exec_lo
	s_and_b32 s2, s2, 0xfffffc00
	v_cmpx_gt_i32_e64 s2, v0
	s_cbranch_execz .LBB422_13
; %bb.10:
	v_mul_lo_u32 v3, v0, s4
	v_mov_b32_e32 v6, v2
	v_mov_b32_e32 v7, 0
	;; [unrolled: 1-line block ×4, first 2 shown]
	s_lshl_b32 s15, s4, 10
	.p2align	6
.LBB422_11:                             ; =>This Inner Loop Header: Depth=1
	v_ashrrev_i32_e32 v4, 31, v3
	v_add_nc_u32_e32 v8, 0x400, v8
	v_lshlrev_b64 v[9:10], 1, v[3:4]
	v_cmp_le_i32_e64 s0, s2, v8
	v_add_nc_u32_e32 v3, s15, v3
	s_or_b32 s3, s0, s3
	v_add_co_u32 v9, vcc_lo, s5, v9
	v_add_co_ci_u32_e64 v10, null, s7, v10, vcc_lo
	global_load_ushort v4, v[5:6], off
	global_load_ushort v9, v[9:10], off
	v_add_co_u32 v5, vcc_lo, 0x800, v5
	v_add_co_ci_u32_e64 v6, null, 0, v6, vcc_lo
	s_waitcnt vmcnt(0)
	v_mul_f16_e32 v4, v4, v9
	v_cvt_f32_f16_e32 v4, v4
	v_add_f32_e32 v7, v7, v4
	s_andn2_b32 exec_lo, exec_lo, s3
	s_cbranch_execnz .LBB422_11
; %bb.12:
	s_or_b32 exec_lo, exec_lo, s3
.LBB422_13:
	s_or_b32 exec_lo, exec_lo, s1
	v_or_b32_e32 v3, s2, v0
	s_mov_b32 s0, exec_lo
	v_cmpx_gt_i32_e64 s14, v3
	s_cbranch_execz .LBB422_15
; %bb.14:
	v_mul_lo_u32 v3, s4, v3
	s_ashr_i32 s3, s2, 31
	s_lshl_b64 s[2:3], s[2:3], 1
	v_add_co_u32 v1, vcc_lo, v1, s2
	v_add_co_ci_u32_e64 v2, null, s3, v2, vcc_lo
	v_ashrrev_i32_e32 v4, 31, v3
	v_lshlrev_b64 v[3:4], 1, v[3:4]
	v_add_co_u32 v3, vcc_lo, s5, v3
	v_add_co_ci_u32_e64 v4, null, s7, v4, vcc_lo
	global_load_ushort v1, v[1:2], off
	global_load_ushort v2, v[3:4], off
	s_waitcnt vmcnt(0)
	v_mul_f16_e32 v1, v1, v2
	v_cvt_f32_f16_e32 v1, v1
	v_add_f32_e32 v7, v7, v1
.LBB422_15:
	s_or_b32 exec_lo, exec_lo, s0
	v_and_b32_e32 v8, 31, v0
	v_cmp_gt_u32_e32 vcc_lo, 32, v0
	v_lshlrev_b32_e32 v1, 2, v8
	s_and_saveexec_b32 s0, vcc_lo
; %bb.16:
	v_mov_b32_e32 v2, 0
	ds_write_b32 v1, v2
; %bb.17:
	s_or_b32 exec_lo, exec_lo, s0
	v_mbcnt_lo_u32_b32 v6, -1, 0
	s_mov_b32 s1, exec_lo
	s_waitcnt lgkmcnt(0)
	s_barrier
	buffer_gl0_inv
	v_lshl_or_b32 v2, v6, 2, 64
	v_cmp_gt_u32_e64 s0, 24, v6
	ds_bpermute_b32 v4, v2, v7
	v_cndmask_b32_e64 v3, 0, 8, s0
	v_cmp_gt_u32_e64 s0, 28, v6
	v_add_lshl_u32 v3, v3, v6, 2
	s_waitcnt lgkmcnt(0)
	v_add_f32_e32 v5, v7, v4
	v_cndmask_b32_e64 v4, 0, 4, s0
	v_cmp_gt_u32_e64 s0, 30, v6
	ds_bpermute_b32 v7, v3, v5
	v_add_lshl_u32 v4, v4, v6, 2
	s_waitcnt lgkmcnt(0)
	v_add_f32_e32 v7, v5, v7
	v_cndmask_b32_e64 v5, 0, 2, s0
	v_cmp_ne_u32_e64 s0, 31, v6
	ds_bpermute_b32 v9, v4, v7
	v_add_lshl_u32 v5, v5, v6, 2
	v_add_co_ci_u32_e64 v6, null, 0, v6, s0
	v_lshlrev_b32_e32 v6, 2, v6
	s_waitcnt lgkmcnt(0)
	v_add_f32_e32 v7, v7, v9
	ds_bpermute_b32 v9, v5, v7
	s_waitcnt lgkmcnt(0)
	v_add_f32_e32 v7, v7, v9
	ds_bpermute_b32 v9, v6, v7
	v_cmpx_eq_u32_e32 0, v8
	s_cbranch_execz .LBB422_19
; %bb.18:
	v_lshrrev_b32_e32 v8, 3, v0
	s_waitcnt lgkmcnt(0)
	v_add_f32_e32 v7, v7, v9
	v_and_b32_e32 v8, 0x7c, v8
	ds_write_b32 v8, v7
.LBB422_19:
	s_or_b32 exec_lo, exec_lo, s1
	v_mov_b32_e32 v7, 0
	s_waitcnt lgkmcnt(0)
	s_barrier
	buffer_gl0_inv
	s_and_saveexec_b32 s0, vcc_lo
; %bb.20:
	ds_read_b32 v7, v1
; %bb.21:
	s_or_b32 exec_lo, exec_lo, s0
	s_and_saveexec_b32 s0, vcc_lo
	s_cbranch_execz .LBB422_23
; %bb.22:
	s_waitcnt lgkmcnt(0)
	ds_bpermute_b32 v1, v2, v7
	s_waitcnt lgkmcnt(0)
	v_add_f32_e32 v1, v7, v1
	ds_bpermute_b32 v2, v3, v1
	s_waitcnt lgkmcnt(0)
	v_add_f32_e32 v1, v1, v2
	;; [unrolled: 3-line block ×5, first 2 shown]
.LBB422_23:
	s_or_b32 exec_lo, exec_lo, s0
	s_mov_b32 s0, exec_lo
                                        ; implicit-def: $vgpr1
                                        ; implicit-def: $sgpr2_sgpr3
	v_cmpx_eq_u32_e32 0, v0
	s_cbranch_execz .LBB422_27
; %bb.24:
	v_cmp_eq_f32_e64 s1, s10, 0
	s_waitcnt lgkmcnt(0)
	v_mul_f32_e32 v0, s12, v7
	s_mul_i32 s2, s13, s6
	s_ashr_i32 s3, s2, 31
	s_and_b32 vcc_lo, exec_lo, s1
	s_cbranch_vccnz .LBB422_26
; %bb.25:
	s_lshl_b64 s[4:5], s[2:3], 1
	v_mov_b32_e32 v1, 0
	s_add_u32 s4, s8, s4
	s_addc_u32 s5, s9, s5
	global_load_ushort v1, v1, s[4:5]
	s_waitcnt vmcnt(0)
	v_fma_mix_f32 v0, s10, v1, v0 op_sel_hi:[0,1,0]
.LBB422_26:
	v_cvt_f16_f32_e32 v1, v0
	s_or_b32 s11, s11, exec_lo
.LBB422_27:
	s_or_b32 exec_lo, exec_lo, s0
.LBB422_28:
	s_and_saveexec_b32 s0, s11
	s_cbranch_execz .LBB422_30
; %bb.29:
	s_lshl_b64 s[0:1], s[2:3], 1
	v_mov_b32_e32 v0, 0
	s_add_u32 s0, s8, s0
	s_addc_u32 s1, s9, s1
	global_store_short v0, v1, s[0:1]
.LBB422_30:
	s_endpgm
	.section	.rodata,"a",@progbits
	.p2align	6, 0x0
	.amdhsa_kernel _ZL32rocblas_gemvt_warp_reduce_kernelILb1ELi1024EiDF16_fDF16_EviiT3_lPKT2_lT1_lS3_lS4_lS0_lPT4_lS4_li
		.amdhsa_group_segment_fixed_size 128
		.amdhsa_private_segment_fixed_size 0
		.amdhsa_kernarg_size 140
		.amdhsa_user_sgpr_count 6
		.amdhsa_user_sgpr_private_segment_buffer 1
		.amdhsa_user_sgpr_dispatch_ptr 0
		.amdhsa_user_sgpr_queue_ptr 0
		.amdhsa_user_sgpr_kernarg_segment_ptr 1
		.amdhsa_user_sgpr_dispatch_id 0
		.amdhsa_user_sgpr_flat_scratch_init 0
		.amdhsa_user_sgpr_private_segment_size 0
		.amdhsa_wavefront_size32 1
		.amdhsa_uses_dynamic_stack 0
		.amdhsa_system_sgpr_private_segment_wavefront_offset 0
		.amdhsa_system_sgpr_workgroup_id_x 1
		.amdhsa_system_sgpr_workgroup_id_y 0
		.amdhsa_system_sgpr_workgroup_id_z 1
		.amdhsa_system_sgpr_workgroup_info 0
		.amdhsa_system_vgpr_workitem_id 0
		.amdhsa_next_free_vgpr 11
		.amdhsa_next_free_sgpr 25
		.amdhsa_reserve_vcc 1
		.amdhsa_reserve_flat_scratch 0
		.amdhsa_float_round_mode_32 0
		.amdhsa_float_round_mode_16_64 0
		.amdhsa_float_denorm_mode_32 3
		.amdhsa_float_denorm_mode_16_64 3
		.amdhsa_dx10_clamp 1
		.amdhsa_ieee_mode 1
		.amdhsa_fp16_overflow 0
		.amdhsa_workgroup_processor_mode 1
		.amdhsa_memory_ordered 1
		.amdhsa_forward_progress 1
		.amdhsa_shared_vgpr_count 0
		.amdhsa_exception_fp_ieee_invalid_op 0
		.amdhsa_exception_fp_denorm_src 0
		.amdhsa_exception_fp_ieee_div_zero 0
		.amdhsa_exception_fp_ieee_overflow 0
		.amdhsa_exception_fp_ieee_underflow 0
		.amdhsa_exception_fp_ieee_inexact 0
		.amdhsa_exception_int_div_zero 0
	.end_amdhsa_kernel
	.section	.text._ZL32rocblas_gemvt_warp_reduce_kernelILb1ELi1024EiDF16_fDF16_EviiT3_lPKT2_lT1_lS3_lS4_lS0_lPT4_lS4_li,"axG",@progbits,_ZL32rocblas_gemvt_warp_reduce_kernelILb1ELi1024EiDF16_fDF16_EviiT3_lPKT2_lT1_lS3_lS4_lS0_lPT4_lS4_li,comdat
.Lfunc_end422:
	.size	_ZL32rocblas_gemvt_warp_reduce_kernelILb1ELi1024EiDF16_fDF16_EviiT3_lPKT2_lT1_lS3_lS4_lS0_lPT4_lS4_li, .Lfunc_end422-_ZL32rocblas_gemvt_warp_reduce_kernelILb1ELi1024EiDF16_fDF16_EviiT3_lPKT2_lT1_lS3_lS4_lS0_lPT4_lS4_li
                                        ; -- End function
	.set _ZL32rocblas_gemvt_warp_reduce_kernelILb1ELi1024EiDF16_fDF16_EviiT3_lPKT2_lT1_lS3_lS4_lS0_lPT4_lS4_li.num_vgpr, 11
	.set _ZL32rocblas_gemvt_warp_reduce_kernelILb1ELi1024EiDF16_fDF16_EviiT3_lPKT2_lT1_lS3_lS4_lS0_lPT4_lS4_li.num_agpr, 0
	.set _ZL32rocblas_gemvt_warp_reduce_kernelILb1ELi1024EiDF16_fDF16_EviiT3_lPKT2_lT1_lS3_lS4_lS0_lPT4_lS4_li.numbered_sgpr, 25
	.set _ZL32rocblas_gemvt_warp_reduce_kernelILb1ELi1024EiDF16_fDF16_EviiT3_lPKT2_lT1_lS3_lS4_lS0_lPT4_lS4_li.num_named_barrier, 0
	.set _ZL32rocblas_gemvt_warp_reduce_kernelILb1ELi1024EiDF16_fDF16_EviiT3_lPKT2_lT1_lS3_lS4_lS0_lPT4_lS4_li.private_seg_size, 0
	.set _ZL32rocblas_gemvt_warp_reduce_kernelILb1ELi1024EiDF16_fDF16_EviiT3_lPKT2_lT1_lS3_lS4_lS0_lPT4_lS4_li.uses_vcc, 1
	.set _ZL32rocblas_gemvt_warp_reduce_kernelILb1ELi1024EiDF16_fDF16_EviiT3_lPKT2_lT1_lS3_lS4_lS0_lPT4_lS4_li.uses_flat_scratch, 0
	.set _ZL32rocblas_gemvt_warp_reduce_kernelILb1ELi1024EiDF16_fDF16_EviiT3_lPKT2_lT1_lS3_lS4_lS0_lPT4_lS4_li.has_dyn_sized_stack, 0
	.set _ZL32rocblas_gemvt_warp_reduce_kernelILb1ELi1024EiDF16_fDF16_EviiT3_lPKT2_lT1_lS3_lS4_lS0_lPT4_lS4_li.has_recursion, 0
	.set _ZL32rocblas_gemvt_warp_reduce_kernelILb1ELi1024EiDF16_fDF16_EviiT3_lPKT2_lT1_lS3_lS4_lS0_lPT4_lS4_li.has_indirect_call, 0
	.section	.AMDGPU.csdata,"",@progbits
; Kernel info:
; codeLenInByte = 1344
; TotalNumSgprs: 27
; NumVgprs: 11
; ScratchSize: 0
; MemoryBound: 0
; FloatMode: 240
; IeeeMode: 1
; LDSByteSize: 128 bytes/workgroup (compile time only)
; SGPRBlocks: 0
; VGPRBlocks: 1
; NumSGPRsForWavesPerEU: 27
; NumVGPRsForWavesPerEU: 11
; Occupancy: 16
; WaveLimiterHint : 1
; COMPUTE_PGM_RSRC2:SCRATCH_EN: 0
; COMPUTE_PGM_RSRC2:USER_SGPR: 6
; COMPUTE_PGM_RSRC2:TRAP_HANDLER: 0
; COMPUTE_PGM_RSRC2:TGID_X_EN: 1
; COMPUTE_PGM_RSRC2:TGID_Y_EN: 0
; COMPUTE_PGM_RSRC2:TGID_Z_EN: 1
; COMPUTE_PGM_RSRC2:TIDIG_COMP_CNT: 0
	.section	.text._ZL32rocblas_gemvt_warp_reduce_kernelILb1ELi1024ElDF16_fDF16_EviiT3_lPKT2_lT1_lS3_lS4_lS0_lPT4_lS4_li,"axG",@progbits,_ZL32rocblas_gemvt_warp_reduce_kernelILb1ELi1024ElDF16_fDF16_EviiT3_lPKT2_lT1_lS3_lS4_lS0_lPT4_lS4_li,comdat
	.globl	_ZL32rocblas_gemvt_warp_reduce_kernelILb1ELi1024ElDF16_fDF16_EviiT3_lPKT2_lT1_lS3_lS4_lS0_lPT4_lS4_li ; -- Begin function _ZL32rocblas_gemvt_warp_reduce_kernelILb1ELi1024ElDF16_fDF16_EviiT3_lPKT2_lT1_lS3_lS4_lS0_lPT4_lS4_li
	.p2align	8
	.type	_ZL32rocblas_gemvt_warp_reduce_kernelILb1ELi1024ElDF16_fDF16_EviiT3_lPKT2_lT1_lS3_lS4_lS0_lPT4_lS4_li,@function
_ZL32rocblas_gemvt_warp_reduce_kernelILb1ELi1024ElDF16_fDF16_EviiT3_lPKT2_lT1_lS3_lS4_lS0_lPT4_lS4_li: ; @_ZL32rocblas_gemvt_warp_reduce_kernelILb1ELi1024ElDF16_fDF16_EviiT3_lPKT2_lT1_lS3_lS4_lS0_lPT4_lS4_li
; %bb.0:
	s_clause 0x1
	s_load_dword s30, s[4:5], 0x8
	s_load_dword s28, s[4:5], 0x58
	s_mov_b32 s29, 0
	s_waitcnt lgkmcnt(0)
	v_cmp_eq_f32_e64 s0, s30, 0
	v_cmp_eq_f32_e64 s1, s28, 1.0
	s_and_b32 s0, s0, s1
	s_and_b32 vcc_lo, exec_lo, s0
	s_cbranch_vccnz .LBB423_30
; %bb.1:
	s_load_dwordx8 s[20:27], s[4:5], 0x68
	v_cmp_neq_f32_e64 s8, s30, 0
	s_waitcnt lgkmcnt(0)
	s_mul_i32 s1, s27, s7
	s_mul_hi_u32 s2, s26, s7
	s_mul_i32 s0, s26, s7
	s_add_i32 s1, s2, s1
	s_lshl_b64 s[0:1], s[0:1], 1
	s_add_u32 s0, s20, s0
	s_addc_u32 s9, s21, s1
	s_lshl_b64 s[2:3], s[22:23], 1
	s_add_u32 s1, s0, s2
	v_cmp_eq_u32_e64 s0, 0, v0
	s_addc_u32 s26, s9, s3
	s_and_b32 vcc_lo, exec_lo, s8
	s_cbranch_vccnz .LBB423_5
; %bb.2:
	s_mov_b32 s8, 0
                                        ; implicit-def: $vgpr1
                                        ; implicit-def: $sgpr2_sgpr3
	s_and_saveexec_b32 s9, s0
	s_cbranch_execz .LBB423_6
; %bb.3:
	s_ashr_i32 s2, s6, 31
	v_cmp_eq_f32_e64 s0, s28, 0
	s_mul_hi_u32 s3, s24, s6
	s_mul_i32 s2, s24, s2
	s_mul_i32 s10, s25, s6
	s_add_i32 s2, s3, s2
	s_and_b32 vcc_lo, exec_lo, s0
	s_add_i32 s3, s2, s10
	s_mul_i32 s2, s24, s6
	s_cbranch_vccnz .LBB423_7
; %bb.4:
	s_lshl_b64 s[10:11], s[2:3], 1
	v_mov_b32_e32 v1, 0
	s_add_u32 s10, s1, s10
	s_addc_u32 s11, s26, s11
	global_load_ushort v1, v1, s[10:11]
	s_waitcnt vmcnt(0)
	v_fma_mixlo_f16 v1, s28, v1, 0 op_sel_hi:[0,1,0]
	s_branch .LBB423_8
.LBB423_5:
                                        ; implicit-def: $vgpr1
                                        ; implicit-def: $sgpr2_sgpr3
	s_cbranch_execnz .LBB423_9
	s_branch .LBB423_28
.LBB423_6:
	s_or_b32 exec_lo, exec_lo, s9
	s_and_b32 vcc_lo, exec_lo, s8
	s_cbranch_vccnz .LBB423_9
	s_branch .LBB423_28
.LBB423_7:
	v_mov_b32_e32 v1, 0
.LBB423_8:
	s_mov_b32 s29, exec_lo
	s_or_b32 exec_lo, exec_lo, s9
	s_and_b32 vcc_lo, exec_lo, s8
	s_cbranch_vccz .LBB423_28
.LBB423_9:
	s_clause 0x1
	s_load_dwordx16 s[8:23], s[4:5], 0x18
	s_load_dword s5, s[4:5], 0x0
	v_mov_b32_e32 v7, 0
	s_waitcnt lgkmcnt(0)
	s_mul_i32 s3, s15, s7
	v_cmp_gt_i32_e32 vcc_lo, s5, v0
	s_mul_hi_u32 s15, s14, s7
	s_mul_i32 s2, s14, s7
	s_add_i32 s3, s15, s3
	s_mul_i32 s0, s23, s7
	v_cndmask_b32_e32 v1, 0, v0, vcc_lo
	s_mul_hi_u32 s4, s22, s7
	s_lshl_b64 s[34:35], s[2:3], 1
	s_add_i32 s3, s4, s0
	s_add_u32 s0, s8, s34
	v_lshlrev_b32_e32 v1, 1, v1
	s_addc_u32 s2, s9, s35
	s_lshl_b64 s[8:9], s[10:11], 1
	s_mul_hi_u32 s23, s12, s6
	s_add_u32 s0, s0, s8
	s_addc_u32 s2, s2, s9
	s_ashr_i32 s10, s6, 31
	v_add_co_u32 v1, s0, s0, v1
	v_add_co_ci_u32_e64 v2, null, s2, 0, s0
	s_mul_i32 s0, s12, s10
	s_mul_i32 s13, s13, s6
	s_add_i32 s0, s23, s0
	s_mul_i32 s14, s12, s6
	s_add_i32 s15, s0, s13
	s_ashr_i32 s4, s5, 31
	s_lshl_b64 s[8:9], s[14:15], 1
	s_lshr_b32 s2, s4, 22
	v_add_co_u32 v1, vcc_lo, v1, s8
	v_add_co_ci_u32_e64 v2, null, s9, v2, vcc_lo
	s_add_i32 s2, s5, s2
	s_mov_b32 s11, 0
	s_and_b32 s4, s2, 0xfffffc00
	s_mul_i32 s2, s22, s7
	s_mov_b32 s7, exec_lo
	v_cmpx_gt_i32_e64 s4, v0
	s_cbranch_execz .LBB423_13
; %bb.10:
	v_mad_u64_u32 v[5:6], null, s20, v0, 0
	s_lshl_b64 s[12:13], s[18:19], 1
	s_lshl_b64 s[8:9], s[2:3], 1
	s_add_u32 s0, s16, s12
	s_addc_u32 s12, s17, s13
	s_add_u32 s0, s0, s8
	s_addc_u32 s8, s12, s9
	v_mov_b32_e32 v3, v6
	v_mov_b32_e32 v7, 0
	;; [unrolled: 1-line block ×3, first 2 shown]
	v_mad_u64_u32 v[3:4], null, s21, v0, v[3:4]
	v_mov_b32_e32 v6, v3
	v_mov_b32_e32 v4, v2
	;; [unrolled: 1-line block ×3, first 2 shown]
	v_lshlrev_b64 v[5:6], 1, v[5:6]
	v_add_co_u32 v5, vcc_lo, s0, v5
	v_add_co_ci_u32_e64 v6, null, s8, v6, vcc_lo
	s_lshl_b64 s[8:9], s[20:21], 11
	.p2align	6
.LBB423_11:                             ; =>This Inner Loop Header: Depth=1
	global_load_ushort v9, v[3:4], off
	global_load_ushort v10, v[5:6], off
	v_add_nc_u32_e32 v8, 0x400, v8
	v_add_co_u32 v3, vcc_lo, 0x800, v3
	v_add_co_ci_u32_e64 v4, null, 0, v4, vcc_lo
	v_add_co_u32 v5, vcc_lo, v5, s8
	v_cmp_le_i32_e64 s0, s4, v8
	v_add_co_ci_u32_e64 v6, null, s9, v6, vcc_lo
	s_or_b32 s11, s0, s11
	s_waitcnt vmcnt(0)
	v_mul_f16_e32 v9, v9, v10
	v_cvt_f32_f16_e32 v9, v9
	v_add_f32_e32 v7, v7, v9
	s_andn2_b32 exec_lo, exec_lo, s11
	s_cbranch_execnz .LBB423_11
; %bb.12:
	s_or_b32 exec_lo, exec_lo, s11
.LBB423_13:
	s_or_b32 exec_lo, exec_lo, s7
	v_or_b32_e32 v3, s4, v0
	s_mov_b32 s0, exec_lo
	v_cmpx_gt_i32_e64 s5, v3
	s_cbranch_execz .LBB423_15
; %bb.14:
	v_ashrrev_i32_e32 v5, 31, v3
	v_mul_lo_u32 v6, s21, v3
	v_mad_u64_u32 v[3:4], null, s20, v3, 0
	s_lshl_b64 s[2:3], s[2:3], 1
	v_mul_lo_u32 v5, s20, v5
	s_add_u32 s5, s16, s2
	s_addc_u32 s7, s17, s3
	s_lshl_b64 s[2:3], s[18:19], 1
	s_add_u32 s8, s5, s2
	s_addc_u32 s7, s7, s3
	s_ashr_i32 s5, s4, 31
	v_add3_u32 v4, v4, v5, v6
	s_lshl_b64 s[2:3], s[4:5], 1
	v_add_co_u32 v1, vcc_lo, v1, s2
	v_lshlrev_b64 v[3:4], 1, v[3:4]
	v_add_co_ci_u32_e64 v2, null, s3, v2, vcc_lo
	v_add_co_u32 v3, vcc_lo, s8, v3
	v_add_co_ci_u32_e64 v4, null, s7, v4, vcc_lo
	global_load_ushort v1, v[1:2], off
	global_load_ushort v2, v[3:4], off
	s_waitcnt vmcnt(0)
	v_mul_f16_e32 v1, v1, v2
	v_cvt_f32_f16_e32 v1, v1
	v_add_f32_e32 v7, v7, v1
.LBB423_15:
	s_or_b32 exec_lo, exec_lo, s0
	v_and_b32_e32 v8, 31, v0
	v_cmp_gt_u32_e32 vcc_lo, 32, v0
	v_lshlrev_b32_e32 v1, 2, v8
	s_and_saveexec_b32 s0, vcc_lo
; %bb.16:
	v_mov_b32_e32 v2, 0
	ds_write_b32 v1, v2
; %bb.17:
	s_or_b32 exec_lo, exec_lo, s0
	v_mbcnt_lo_u32_b32 v6, -1, 0
	s_mov_b32 s2, exec_lo
	s_waitcnt lgkmcnt(0)
	s_barrier
	buffer_gl0_inv
	v_lshl_or_b32 v2, v6, 2, 64
	v_cmp_gt_u32_e64 s0, 24, v6
	ds_bpermute_b32 v4, v2, v7
	v_cndmask_b32_e64 v3, 0, 8, s0
	v_cmp_gt_u32_e64 s0, 28, v6
	v_add_lshl_u32 v3, v3, v6, 2
	s_waitcnt lgkmcnt(0)
	v_add_f32_e32 v5, v7, v4
	v_cndmask_b32_e64 v4, 0, 4, s0
	v_cmp_gt_u32_e64 s0, 30, v6
	ds_bpermute_b32 v7, v3, v5
	v_add_lshl_u32 v4, v4, v6, 2
	s_waitcnt lgkmcnt(0)
	v_add_f32_e32 v7, v5, v7
	v_cndmask_b32_e64 v5, 0, 2, s0
	v_cmp_ne_u32_e64 s0, 31, v6
	ds_bpermute_b32 v9, v4, v7
	v_add_lshl_u32 v5, v5, v6, 2
	v_add_co_ci_u32_e64 v6, null, 0, v6, s0
	v_lshlrev_b32_e32 v6, 2, v6
	s_waitcnt lgkmcnt(0)
	v_add_f32_e32 v7, v7, v9
	ds_bpermute_b32 v9, v5, v7
	s_waitcnt lgkmcnt(0)
	v_add_f32_e32 v7, v7, v9
	ds_bpermute_b32 v9, v6, v7
	v_cmpx_eq_u32_e32 0, v8
	s_cbranch_execz .LBB423_19
; %bb.18:
	v_lshrrev_b32_e32 v8, 3, v0
	s_waitcnt lgkmcnt(0)
	v_add_f32_e32 v7, v7, v9
	v_and_b32_e32 v8, 0x7c, v8
	ds_write_b32 v8, v7
.LBB423_19:
	s_or_b32 exec_lo, exec_lo, s2
	v_mov_b32_e32 v7, 0
	s_waitcnt lgkmcnt(0)
	s_barrier
	buffer_gl0_inv
	s_and_saveexec_b32 s0, vcc_lo
; %bb.20:
	ds_read_b32 v7, v1
; %bb.21:
	s_or_b32 exec_lo, exec_lo, s0
	s_and_saveexec_b32 s0, vcc_lo
	s_cbranch_execz .LBB423_23
; %bb.22:
	s_waitcnt lgkmcnt(0)
	ds_bpermute_b32 v1, v2, v7
	s_waitcnt lgkmcnt(0)
	v_add_f32_e32 v1, v7, v1
	ds_bpermute_b32 v2, v3, v1
	s_waitcnt lgkmcnt(0)
	v_add_f32_e32 v1, v1, v2
	;; [unrolled: 3-line block ×5, first 2 shown]
.LBB423_23:
	s_or_b32 exec_lo, exec_lo, s0
	s_mov_b32 s0, exec_lo
                                        ; implicit-def: $vgpr1
                                        ; implicit-def: $sgpr2_sgpr3
	v_cmpx_eq_u32_e32 0, v0
	s_cbranch_execz .LBB423_27
; %bb.24:
	v_cmp_eq_f32_e64 s4, s28, 0
	s_mul_i32 s2, s24, s10
	s_mul_hi_u32 s3, s24, s6
	s_waitcnt lgkmcnt(0)
	v_mul_f32_e32 v0, s30, v7
	s_add_i32 s2, s3, s2
	s_mul_i32 s3, s25, s6
	s_and_b32 vcc_lo, exec_lo, s4
	s_add_i32 s3, s2, s3
	s_mul_i32 s2, s24, s6
	s_cbranch_vccnz .LBB423_26
; %bb.25:
	s_lshl_b64 s[4:5], s[2:3], 1
	v_mov_b32_e32 v1, 0
	s_add_u32 s4, s1, s4
	s_addc_u32 s5, s26, s5
	global_load_ushort v1, v1, s[4:5]
	s_waitcnt vmcnt(0)
	v_fma_mix_f32 v0, s28, v1, v0 op_sel_hi:[0,1,0]
.LBB423_26:
	v_cvt_f16_f32_e32 v1, v0
	s_or_b32 s29, s29, exec_lo
.LBB423_27:
	s_or_b32 exec_lo, exec_lo, s0
.LBB423_28:
	s_and_saveexec_b32 s0, s29
	s_cbranch_execz .LBB423_30
; %bb.29:
	s_lshl_b64 s[2:3], s[2:3], 1
	v_mov_b32_e32 v0, 0
	s_add_u32 s0, s1, s2
	s_addc_u32 s1, s26, s3
	global_store_short v0, v1, s[0:1]
.LBB423_30:
	s_endpgm
	.section	.rodata,"a",@progbits
	.p2align	6, 0x0
	.amdhsa_kernel _ZL32rocblas_gemvt_warp_reduce_kernelILb1ELi1024ElDF16_fDF16_EviiT3_lPKT2_lT1_lS3_lS4_lS0_lPT4_lS4_li
		.amdhsa_group_segment_fixed_size 128
		.amdhsa_private_segment_fixed_size 0
		.amdhsa_kernarg_size 140
		.amdhsa_user_sgpr_count 6
		.amdhsa_user_sgpr_private_segment_buffer 1
		.amdhsa_user_sgpr_dispatch_ptr 0
		.amdhsa_user_sgpr_queue_ptr 0
		.amdhsa_user_sgpr_kernarg_segment_ptr 1
		.amdhsa_user_sgpr_dispatch_id 0
		.amdhsa_user_sgpr_flat_scratch_init 0
		.amdhsa_user_sgpr_private_segment_size 0
		.amdhsa_wavefront_size32 1
		.amdhsa_uses_dynamic_stack 0
		.amdhsa_system_sgpr_private_segment_wavefront_offset 0
		.amdhsa_system_sgpr_workgroup_id_x 1
		.amdhsa_system_sgpr_workgroup_id_y 0
		.amdhsa_system_sgpr_workgroup_id_z 1
		.amdhsa_system_sgpr_workgroup_info 0
		.amdhsa_system_vgpr_workitem_id 0
		.amdhsa_next_free_vgpr 11
		.amdhsa_next_free_sgpr 36
		.amdhsa_reserve_vcc 1
		.amdhsa_reserve_flat_scratch 0
		.amdhsa_float_round_mode_32 0
		.amdhsa_float_round_mode_16_64 0
		.amdhsa_float_denorm_mode_32 3
		.amdhsa_float_denorm_mode_16_64 3
		.amdhsa_dx10_clamp 1
		.amdhsa_ieee_mode 1
		.amdhsa_fp16_overflow 0
		.amdhsa_workgroup_processor_mode 1
		.amdhsa_memory_ordered 1
		.amdhsa_forward_progress 1
		.amdhsa_shared_vgpr_count 0
		.amdhsa_exception_fp_ieee_invalid_op 0
		.amdhsa_exception_fp_denorm_src 0
		.amdhsa_exception_fp_ieee_div_zero 0
		.amdhsa_exception_fp_ieee_overflow 0
		.amdhsa_exception_fp_ieee_underflow 0
		.amdhsa_exception_fp_ieee_inexact 0
		.amdhsa_exception_int_div_zero 0
	.end_amdhsa_kernel
	.section	.text._ZL32rocblas_gemvt_warp_reduce_kernelILb1ELi1024ElDF16_fDF16_EviiT3_lPKT2_lT1_lS3_lS4_lS0_lPT4_lS4_li,"axG",@progbits,_ZL32rocblas_gemvt_warp_reduce_kernelILb1ELi1024ElDF16_fDF16_EviiT3_lPKT2_lT1_lS3_lS4_lS0_lPT4_lS4_li,comdat
.Lfunc_end423:
	.size	_ZL32rocblas_gemvt_warp_reduce_kernelILb1ELi1024ElDF16_fDF16_EviiT3_lPKT2_lT1_lS3_lS4_lS0_lPT4_lS4_li, .Lfunc_end423-_ZL32rocblas_gemvt_warp_reduce_kernelILb1ELi1024ElDF16_fDF16_EviiT3_lPKT2_lT1_lS3_lS4_lS0_lPT4_lS4_li
                                        ; -- End function
	.set _ZL32rocblas_gemvt_warp_reduce_kernelILb1ELi1024ElDF16_fDF16_EviiT3_lPKT2_lT1_lS3_lS4_lS0_lPT4_lS4_li.num_vgpr, 11
	.set _ZL32rocblas_gemvt_warp_reduce_kernelILb1ELi1024ElDF16_fDF16_EviiT3_lPKT2_lT1_lS3_lS4_lS0_lPT4_lS4_li.num_agpr, 0
	.set _ZL32rocblas_gemvt_warp_reduce_kernelILb1ELi1024ElDF16_fDF16_EviiT3_lPKT2_lT1_lS3_lS4_lS0_lPT4_lS4_li.numbered_sgpr, 36
	.set _ZL32rocblas_gemvt_warp_reduce_kernelILb1ELi1024ElDF16_fDF16_EviiT3_lPKT2_lT1_lS3_lS4_lS0_lPT4_lS4_li.num_named_barrier, 0
	.set _ZL32rocblas_gemvt_warp_reduce_kernelILb1ELi1024ElDF16_fDF16_EviiT3_lPKT2_lT1_lS3_lS4_lS0_lPT4_lS4_li.private_seg_size, 0
	.set _ZL32rocblas_gemvt_warp_reduce_kernelILb1ELi1024ElDF16_fDF16_EviiT3_lPKT2_lT1_lS3_lS4_lS0_lPT4_lS4_li.uses_vcc, 1
	.set _ZL32rocblas_gemvt_warp_reduce_kernelILb1ELi1024ElDF16_fDF16_EviiT3_lPKT2_lT1_lS3_lS4_lS0_lPT4_lS4_li.uses_flat_scratch, 0
	.set _ZL32rocblas_gemvt_warp_reduce_kernelILb1ELi1024ElDF16_fDF16_EviiT3_lPKT2_lT1_lS3_lS4_lS0_lPT4_lS4_li.has_dyn_sized_stack, 0
	.set _ZL32rocblas_gemvt_warp_reduce_kernelILb1ELi1024ElDF16_fDF16_EviiT3_lPKT2_lT1_lS3_lS4_lS0_lPT4_lS4_li.has_recursion, 0
	.set _ZL32rocblas_gemvt_warp_reduce_kernelILb1ELi1024ElDF16_fDF16_EviiT3_lPKT2_lT1_lS3_lS4_lS0_lPT4_lS4_li.has_indirect_call, 0
	.section	.AMDGPU.csdata,"",@progbits
; Kernel info:
; codeLenInByte = 1392
; TotalNumSgprs: 38
; NumVgprs: 11
; ScratchSize: 0
; MemoryBound: 0
; FloatMode: 240
; IeeeMode: 1
; LDSByteSize: 128 bytes/workgroup (compile time only)
; SGPRBlocks: 0
; VGPRBlocks: 1
; NumSGPRsForWavesPerEU: 38
; NumVGPRsForWavesPerEU: 11
; Occupancy: 16
; WaveLimiterHint : 1
; COMPUTE_PGM_RSRC2:SCRATCH_EN: 0
; COMPUTE_PGM_RSRC2:USER_SGPR: 6
; COMPUTE_PGM_RSRC2:TRAP_HANDLER: 0
; COMPUTE_PGM_RSRC2:TGID_X_EN: 1
; COMPUTE_PGM_RSRC2:TGID_Y_EN: 0
; COMPUTE_PGM_RSRC2:TGID_Z_EN: 1
; COMPUTE_PGM_RSRC2:TIDIG_COMP_CNT: 0
	.section	.text._ZL34rocblas_gemvn_sm_mn_batched_kernelILi32ELi24EPKDF16_PKfKPDF16_EviiT2_lPKT1_lilS9_lilS6_lPT3_lili,"axG",@progbits,_ZL34rocblas_gemvn_sm_mn_batched_kernelILi32ELi24EPKDF16_PKfKPDF16_EviiT2_lPKT1_lilS9_lilS6_lPT3_lili,comdat
	.globl	_ZL34rocblas_gemvn_sm_mn_batched_kernelILi32ELi24EPKDF16_PKfKPDF16_EviiT2_lPKT1_lilS9_lilS6_lPT3_lili ; -- Begin function _ZL34rocblas_gemvn_sm_mn_batched_kernelILi32ELi24EPKDF16_PKfKPDF16_EviiT2_lPKT1_lilS9_lilS6_lPT3_lili
	.p2align	8
	.type	_ZL34rocblas_gemvn_sm_mn_batched_kernelILi32ELi24EPKDF16_PKfKPDF16_EviiT2_lPKT1_lilS9_lilS6_lPT3_lili,@function
_ZL34rocblas_gemvn_sm_mn_batched_kernelILi32ELi24EPKDF16_PKfKPDF16_EviiT2_lPKT1_lilS9_lilS6_lPT3_lili: ; @_ZL34rocblas_gemvn_sm_mn_batched_kernelILi32ELi24EPKDF16_PKfKPDF16_EviiT2_lPKT1_lilS9_lilS6_lPT3_lili
; %bb.0:
	s_endpgm
	.section	.rodata,"a",@progbits
	.p2align	6, 0x0
	.amdhsa_kernel _ZL34rocblas_gemvn_sm_mn_batched_kernelILi32ELi24EPKDF16_PKfKPDF16_EviiT2_lPKT1_lilS9_lilS6_lPT3_lili
		.amdhsa_group_segment_fixed_size 0
		.amdhsa_private_segment_fixed_size 0
		.amdhsa_kernarg_size 140
		.amdhsa_user_sgpr_count 6
		.amdhsa_user_sgpr_private_segment_buffer 1
		.amdhsa_user_sgpr_dispatch_ptr 0
		.amdhsa_user_sgpr_queue_ptr 0
		.amdhsa_user_sgpr_kernarg_segment_ptr 1
		.amdhsa_user_sgpr_dispatch_id 0
		.amdhsa_user_sgpr_flat_scratch_init 0
		.amdhsa_user_sgpr_private_segment_size 0
		.amdhsa_wavefront_size32 1
		.amdhsa_uses_dynamic_stack 0
		.amdhsa_system_sgpr_private_segment_wavefront_offset 0
		.amdhsa_system_sgpr_workgroup_id_x 1
		.amdhsa_system_sgpr_workgroup_id_y 0
		.amdhsa_system_sgpr_workgroup_id_z 0
		.amdhsa_system_sgpr_workgroup_info 0
		.amdhsa_system_vgpr_workitem_id 0
		.amdhsa_next_free_vgpr 1
		.amdhsa_next_free_sgpr 1
		.amdhsa_reserve_vcc 0
		.amdhsa_reserve_flat_scratch 0
		.amdhsa_float_round_mode_32 0
		.amdhsa_float_round_mode_16_64 0
		.amdhsa_float_denorm_mode_32 3
		.amdhsa_float_denorm_mode_16_64 3
		.amdhsa_dx10_clamp 1
		.amdhsa_ieee_mode 1
		.amdhsa_fp16_overflow 0
		.amdhsa_workgroup_processor_mode 1
		.amdhsa_memory_ordered 1
		.amdhsa_forward_progress 1
		.amdhsa_shared_vgpr_count 0
		.amdhsa_exception_fp_ieee_invalid_op 0
		.amdhsa_exception_fp_denorm_src 0
		.amdhsa_exception_fp_ieee_div_zero 0
		.amdhsa_exception_fp_ieee_overflow 0
		.amdhsa_exception_fp_ieee_underflow 0
		.amdhsa_exception_fp_ieee_inexact 0
		.amdhsa_exception_int_div_zero 0
	.end_amdhsa_kernel
	.section	.text._ZL34rocblas_gemvn_sm_mn_batched_kernelILi32ELi24EPKDF16_PKfKPDF16_EviiT2_lPKT1_lilS9_lilS6_lPT3_lili,"axG",@progbits,_ZL34rocblas_gemvn_sm_mn_batched_kernelILi32ELi24EPKDF16_PKfKPDF16_EviiT2_lPKT1_lilS9_lilS6_lPT3_lili,comdat
.Lfunc_end424:
	.size	_ZL34rocblas_gemvn_sm_mn_batched_kernelILi32ELi24EPKDF16_PKfKPDF16_EviiT2_lPKT1_lilS9_lilS6_lPT3_lili, .Lfunc_end424-_ZL34rocblas_gemvn_sm_mn_batched_kernelILi32ELi24EPKDF16_PKfKPDF16_EviiT2_lPKT1_lilS9_lilS6_lPT3_lili
                                        ; -- End function
	.set _ZL34rocblas_gemvn_sm_mn_batched_kernelILi32ELi24EPKDF16_PKfKPDF16_EviiT2_lPKT1_lilS9_lilS6_lPT3_lili.num_vgpr, 0
	.set _ZL34rocblas_gemvn_sm_mn_batched_kernelILi32ELi24EPKDF16_PKfKPDF16_EviiT2_lPKT1_lilS9_lilS6_lPT3_lili.num_agpr, 0
	.set _ZL34rocblas_gemvn_sm_mn_batched_kernelILi32ELi24EPKDF16_PKfKPDF16_EviiT2_lPKT1_lilS9_lilS6_lPT3_lili.numbered_sgpr, 0
	.set _ZL34rocblas_gemvn_sm_mn_batched_kernelILi32ELi24EPKDF16_PKfKPDF16_EviiT2_lPKT1_lilS9_lilS6_lPT3_lili.num_named_barrier, 0
	.set _ZL34rocblas_gemvn_sm_mn_batched_kernelILi32ELi24EPKDF16_PKfKPDF16_EviiT2_lPKT1_lilS9_lilS6_lPT3_lili.private_seg_size, 0
	.set _ZL34rocblas_gemvn_sm_mn_batched_kernelILi32ELi24EPKDF16_PKfKPDF16_EviiT2_lPKT1_lilS9_lilS6_lPT3_lili.uses_vcc, 0
	.set _ZL34rocblas_gemvn_sm_mn_batched_kernelILi32ELi24EPKDF16_PKfKPDF16_EviiT2_lPKT1_lilS9_lilS6_lPT3_lili.uses_flat_scratch, 0
	.set _ZL34rocblas_gemvn_sm_mn_batched_kernelILi32ELi24EPKDF16_PKfKPDF16_EviiT2_lPKT1_lilS9_lilS6_lPT3_lili.has_dyn_sized_stack, 0
	.set _ZL34rocblas_gemvn_sm_mn_batched_kernelILi32ELi24EPKDF16_PKfKPDF16_EviiT2_lPKT1_lilS9_lilS6_lPT3_lili.has_recursion, 0
	.set _ZL34rocblas_gemvn_sm_mn_batched_kernelILi32ELi24EPKDF16_PKfKPDF16_EviiT2_lPKT1_lilS9_lilS6_lPT3_lili.has_indirect_call, 0
	.section	.AMDGPU.csdata,"",@progbits
; Kernel info:
; codeLenInByte = 4
; TotalNumSgprs: 0
; NumVgprs: 0
; ScratchSize: 0
; MemoryBound: 0
; FloatMode: 240
; IeeeMode: 1
; LDSByteSize: 0 bytes/workgroup (compile time only)
; SGPRBlocks: 0
; VGPRBlocks: 0
; NumSGPRsForWavesPerEU: 1
; NumVGPRsForWavesPerEU: 1
; Occupancy: 16
; WaveLimiterHint : 0
; COMPUTE_PGM_RSRC2:SCRATCH_EN: 0
; COMPUTE_PGM_RSRC2:USER_SGPR: 6
; COMPUTE_PGM_RSRC2:TRAP_HANDLER: 0
; COMPUTE_PGM_RSRC2:TGID_X_EN: 1
; COMPUTE_PGM_RSRC2:TGID_Y_EN: 0
; COMPUTE_PGM_RSRC2:TGID_Z_EN: 0
; COMPUTE_PGM_RSRC2:TIDIG_COMP_CNT: 0
	.section	.text._ZL34rocblas_gemvn_sm_mn_batched_kernelILi32ELi24EPKDF16_fKPDF16_EviiT2_lPKT1_lilS7_lilS4_lPT3_lili,"axG",@progbits,_ZL34rocblas_gemvn_sm_mn_batched_kernelILi32ELi24EPKDF16_fKPDF16_EviiT2_lPKT1_lilS7_lilS4_lPT3_lili,comdat
	.globl	_ZL34rocblas_gemvn_sm_mn_batched_kernelILi32ELi24EPKDF16_fKPDF16_EviiT2_lPKT1_lilS7_lilS4_lPT3_lili ; -- Begin function _ZL34rocblas_gemvn_sm_mn_batched_kernelILi32ELi24EPKDF16_fKPDF16_EviiT2_lPKT1_lilS7_lilS4_lPT3_lili
	.p2align	8
	.type	_ZL34rocblas_gemvn_sm_mn_batched_kernelILi32ELi24EPKDF16_fKPDF16_EviiT2_lPKT1_lilS7_lilS4_lPT3_lili,@function
_ZL34rocblas_gemvn_sm_mn_batched_kernelILi32ELi24EPKDF16_fKPDF16_EviiT2_lPKT1_lilS7_lilS4_lPT3_lili: ; @_ZL34rocblas_gemvn_sm_mn_batched_kernelILi32ELi24EPKDF16_fKPDF16_EviiT2_lPKT1_lilS7_lilS4_lPT3_lili
; %bb.0:
	s_endpgm
	.section	.rodata,"a",@progbits
	.p2align	6, 0x0
	.amdhsa_kernel _ZL34rocblas_gemvn_sm_mn_batched_kernelILi32ELi24EPKDF16_fKPDF16_EviiT2_lPKT1_lilS7_lilS4_lPT3_lili
		.amdhsa_group_segment_fixed_size 0
		.amdhsa_private_segment_fixed_size 0
		.amdhsa_kernarg_size 140
		.amdhsa_user_sgpr_count 6
		.amdhsa_user_sgpr_private_segment_buffer 1
		.amdhsa_user_sgpr_dispatch_ptr 0
		.amdhsa_user_sgpr_queue_ptr 0
		.amdhsa_user_sgpr_kernarg_segment_ptr 1
		.amdhsa_user_sgpr_dispatch_id 0
		.amdhsa_user_sgpr_flat_scratch_init 0
		.amdhsa_user_sgpr_private_segment_size 0
		.amdhsa_wavefront_size32 1
		.amdhsa_uses_dynamic_stack 0
		.amdhsa_system_sgpr_private_segment_wavefront_offset 0
		.amdhsa_system_sgpr_workgroup_id_x 1
		.amdhsa_system_sgpr_workgroup_id_y 0
		.amdhsa_system_sgpr_workgroup_id_z 0
		.amdhsa_system_sgpr_workgroup_info 0
		.amdhsa_system_vgpr_workitem_id 0
		.amdhsa_next_free_vgpr 1
		.amdhsa_next_free_sgpr 1
		.amdhsa_reserve_vcc 0
		.amdhsa_reserve_flat_scratch 0
		.amdhsa_float_round_mode_32 0
		.amdhsa_float_round_mode_16_64 0
		.amdhsa_float_denorm_mode_32 3
		.amdhsa_float_denorm_mode_16_64 3
		.amdhsa_dx10_clamp 1
		.amdhsa_ieee_mode 1
		.amdhsa_fp16_overflow 0
		.amdhsa_workgroup_processor_mode 1
		.amdhsa_memory_ordered 1
		.amdhsa_forward_progress 1
		.amdhsa_shared_vgpr_count 0
		.amdhsa_exception_fp_ieee_invalid_op 0
		.amdhsa_exception_fp_denorm_src 0
		.amdhsa_exception_fp_ieee_div_zero 0
		.amdhsa_exception_fp_ieee_overflow 0
		.amdhsa_exception_fp_ieee_underflow 0
		.amdhsa_exception_fp_ieee_inexact 0
		.amdhsa_exception_int_div_zero 0
	.end_amdhsa_kernel
	.section	.text._ZL34rocblas_gemvn_sm_mn_batched_kernelILi32ELi24EPKDF16_fKPDF16_EviiT2_lPKT1_lilS7_lilS4_lPT3_lili,"axG",@progbits,_ZL34rocblas_gemvn_sm_mn_batched_kernelILi32ELi24EPKDF16_fKPDF16_EviiT2_lPKT1_lilS7_lilS4_lPT3_lili,comdat
.Lfunc_end425:
	.size	_ZL34rocblas_gemvn_sm_mn_batched_kernelILi32ELi24EPKDF16_fKPDF16_EviiT2_lPKT1_lilS7_lilS4_lPT3_lili, .Lfunc_end425-_ZL34rocblas_gemvn_sm_mn_batched_kernelILi32ELi24EPKDF16_fKPDF16_EviiT2_lPKT1_lilS7_lilS4_lPT3_lili
                                        ; -- End function
	.set _ZL34rocblas_gemvn_sm_mn_batched_kernelILi32ELi24EPKDF16_fKPDF16_EviiT2_lPKT1_lilS7_lilS4_lPT3_lili.num_vgpr, 0
	.set _ZL34rocblas_gemvn_sm_mn_batched_kernelILi32ELi24EPKDF16_fKPDF16_EviiT2_lPKT1_lilS7_lilS4_lPT3_lili.num_agpr, 0
	.set _ZL34rocblas_gemvn_sm_mn_batched_kernelILi32ELi24EPKDF16_fKPDF16_EviiT2_lPKT1_lilS7_lilS4_lPT3_lili.numbered_sgpr, 0
	.set _ZL34rocblas_gemvn_sm_mn_batched_kernelILi32ELi24EPKDF16_fKPDF16_EviiT2_lPKT1_lilS7_lilS4_lPT3_lili.num_named_barrier, 0
	.set _ZL34rocblas_gemvn_sm_mn_batched_kernelILi32ELi24EPKDF16_fKPDF16_EviiT2_lPKT1_lilS7_lilS4_lPT3_lili.private_seg_size, 0
	.set _ZL34rocblas_gemvn_sm_mn_batched_kernelILi32ELi24EPKDF16_fKPDF16_EviiT2_lPKT1_lilS7_lilS4_lPT3_lili.uses_vcc, 0
	.set _ZL34rocblas_gemvn_sm_mn_batched_kernelILi32ELi24EPKDF16_fKPDF16_EviiT2_lPKT1_lilS7_lilS4_lPT3_lili.uses_flat_scratch, 0
	.set _ZL34rocblas_gemvn_sm_mn_batched_kernelILi32ELi24EPKDF16_fKPDF16_EviiT2_lPKT1_lilS7_lilS4_lPT3_lili.has_dyn_sized_stack, 0
	.set _ZL34rocblas_gemvn_sm_mn_batched_kernelILi32ELi24EPKDF16_fKPDF16_EviiT2_lPKT1_lilS7_lilS4_lPT3_lili.has_recursion, 0
	.set _ZL34rocblas_gemvn_sm_mn_batched_kernelILi32ELi24EPKDF16_fKPDF16_EviiT2_lPKT1_lilS7_lilS4_lPT3_lili.has_indirect_call, 0
	.section	.AMDGPU.csdata,"",@progbits
; Kernel info:
; codeLenInByte = 4
; TotalNumSgprs: 0
; NumVgprs: 0
; ScratchSize: 0
; MemoryBound: 0
; FloatMode: 240
; IeeeMode: 1
; LDSByteSize: 0 bytes/workgroup (compile time only)
; SGPRBlocks: 0
; VGPRBlocks: 0
; NumSGPRsForWavesPerEU: 1
; NumVGPRsForWavesPerEU: 1
; Occupancy: 16
; WaveLimiterHint : 0
; COMPUTE_PGM_RSRC2:SCRATCH_EN: 0
; COMPUTE_PGM_RSRC2:USER_SGPR: 6
; COMPUTE_PGM_RSRC2:TRAP_HANDLER: 0
; COMPUTE_PGM_RSRC2:TGID_X_EN: 1
; COMPUTE_PGM_RSRC2:TGID_Y_EN: 0
; COMPUTE_PGM_RSRC2:TGID_Z_EN: 0
; COMPUTE_PGM_RSRC2:TIDIG_COMP_CNT: 0
	.section	.text._ZL20rocblas_gemvn_kernelILi64ELi4EiPKDF16_PKfKPDF16_EviiT3_lPKT2_lT1_lS9_lSA_lS6_lPT4_lSA_li,"axG",@progbits,_ZL20rocblas_gemvn_kernelILi64ELi4EiPKDF16_PKfKPDF16_EviiT3_lPKT2_lT1_lS9_lSA_lS6_lPT4_lSA_li,comdat
	.globl	_ZL20rocblas_gemvn_kernelILi64ELi4EiPKDF16_PKfKPDF16_EviiT3_lPKT2_lT1_lS9_lSA_lS6_lPT4_lSA_li ; -- Begin function _ZL20rocblas_gemvn_kernelILi64ELi4EiPKDF16_PKfKPDF16_EviiT3_lPKT2_lT1_lS9_lSA_lS6_lPT4_lSA_li
	.p2align	8
	.type	_ZL20rocblas_gemvn_kernelILi64ELi4EiPKDF16_PKfKPDF16_EviiT3_lPKT2_lT1_lS9_lSA_lS6_lPT4_lSA_li,@function
_ZL20rocblas_gemvn_kernelILi64ELi4EiPKDF16_PKfKPDF16_EviiT3_lPKT2_lT1_lS9_lSA_lS6_lPT4_lSA_li: ; @_ZL20rocblas_gemvn_kernelILi64ELi4EiPKDF16_PKfKPDF16_EviiT3_lPKT2_lT1_lS9_lSA_lS6_lPT4_lSA_li
; %bb.0:
	s_load_dwordx2 s[2:3], s[4:5], 0x9c
	s_waitcnt lgkmcnt(0)
	s_lshr_b32 s1, s2, 16
	s_and_b32 s2, s2, 0xffff
	s_and_b32 s3, s3, 0xffff
	s_mul_i32 s1, s1, s2
	s_mul_i32 s1, s1, s3
	s_cmpk_lg_i32 s1, 0x100
	s_cbranch_scc1 .LBB426_54
; %bb.1:
	s_clause 0x1
	s_load_dwordx8 s[16:23], s[4:5], 0x8
	s_load_dwordx8 s[8:15], s[4:5], 0x58
	s_mov_b32 s0, s7
	s_waitcnt lgkmcnt(0)
	s_mul_i32 s1, s19, s7
	s_mul_hi_u32 s3, s18, s7
	s_mul_i32 s2, s18, s7
	s_add_i32 s3, s3, s1
	s_mul_i32 s1, s11, s7
	s_lshl_b64 s[2:3], s[2:3], 2
	s_mul_hi_u32 s7, s10, s7
	s_add_u32 s2, s16, s2
	s_addc_u32 s3, s17, s3
	s_add_i32 s11, s7, s1
	s_mul_i32 s10, s10, s0
	s_lshl_b64 s[10:11], s[10:11], 2
	s_add_u32 s8, s8, s10
	s_addc_u32 s9, s9, s11
	s_load_dword s18, s[2:3], 0x0
	s_load_dword s7, s[8:9], 0x0
	s_waitcnt lgkmcnt(0)
	v_cmp_eq_f32_e64 s2, s18, 0
	v_cmp_eq_f32_e64 s1, s7, 1.0
	s_and_b32 s1, s2, s1
	s_and_b32 vcc_lo, exec_lo, s1
	s_mov_b32 s1, 0
	s_cbranch_vccnz .LBB426_54
; %bb.2:
	v_cmp_neq_f32_e64 s3, s18, 0
	s_mov_b64 s[16:17], 0
	s_and_b32 vcc_lo, exec_lo, s2
	s_mov_b64 s[10:11], 0
	s_cbranch_vccnz .LBB426_4
; %bb.3:
	s_lshl_b64 s[8:9], s[0:1], 3
	s_add_u32 s8, s20, s8
	s_addc_u32 s9, s21, s9
	s_lshl_b64 s[10:11], s[22:23], 1
	s_load_dwordx2 s[8:9], s[8:9], 0x0
	s_waitcnt lgkmcnt(0)
	s_add_u32 s10, s8, s10
	s_addc_u32 s11, s9, s11
.LBB426_4:
	s_andn2_b32 vcc_lo, exec_lo, s3
	s_cbranch_vccnz .LBB426_6
; %bb.5:
	s_load_dwordx4 s[20:23], s[4:5], 0x38
	s_lshl_b64 s[8:9], s[0:1], 3
	s_waitcnt lgkmcnt(0)
	s_add_u32 s8, s20, s8
	s_addc_u32 s9, s21, s9
	s_lshl_b64 s[16:17], s[22:23], 1
	s_load_dwordx2 s[8:9], s[8:9], 0x0
	s_waitcnt lgkmcnt(0)
	s_add_u32 s16, s8, s16
	s_addc_u32 s17, s9, s17
.LBB426_6:
	s_lshl_b64 s[0:1], s[0:1], 3
	v_lshlrev_b32_e32 v14, 6, v1
	s_add_u32 s0, s12, s0
	s_addc_u32 s1, s13, s1
	s_lshl_b64 s[14:15], s[14:15], 1
	s_load_dwordx2 s[12:13], s[0:1], 0x0
	s_clause 0x1
	s_load_dwordx2 s[8:9], s[4:5], 0x0
	s_load_dword s19, s[4:5], 0x78
	v_add_nc_u32_e32 v13, v14, v0
	v_cmp_gt_u32_e64 s0, 0x100, v13
	s_waitcnt lgkmcnt(0)
	s_add_u32 s12, s12, s14
	s_addc_u32 s13, s13, s15
	s_andn2_b32 vcc_lo, exec_lo, s2
	s_cbranch_vccnz .LBB426_13
; %bb.7:
	s_mov_b32 s1, 0
	s_mov_b32 s14, 0
                                        ; implicit-def: $vgpr5
                                        ; implicit-def: $vgpr2_vgpr3
	s_and_saveexec_b32 s2, s0
	s_cbranch_execz .LBB426_14
; %bb.8:
	v_lshl_or_b32 v4, s6, 8, v13
	v_mov_b32_e32 v5, 0
	s_ashr_i32 s15, s8, 31
	s_mov_b32 s14, s8
	s_mov_b32 s3, 0
	s_mov_b32 s0, exec_lo
                                        ; implicit-def: $vgpr2_vgpr3
	v_cmpx_gt_i64_e64 s[14:15], v[4:5]
	s_cbranch_execz .LBB426_12
; %bb.9:
	v_mad_u64_u32 v[2:3], null, s19, v4, 0
	s_ashr_i32 s3, s19, 31
	v_mad_u64_u32 v[3:4], null, s3, v4, v[3:4]
	v_cmp_eq_f32_e64 s3, s7, 0
	s_and_b32 vcc_lo, exec_lo, s3
	s_cbranch_vccnz .LBB426_11
; %bb.10:
	v_lshlrev_b64 v[4:5], 1, v[2:3]
	v_add_co_u32 v4, vcc_lo, s12, v4
	v_add_co_ci_u32_e64 v5, null, s13, v5, vcc_lo
	flat_load_ushort v4, v[4:5]
	s_waitcnt vmcnt(0) lgkmcnt(0)
	v_fma_mixlo_f16 v5, s7, v4, 0 op_sel_hi:[0,1,0]
.LBB426_11:
	s_mov_b32 s3, exec_lo
.LBB426_12:
	s_or_b32 exec_lo, exec_lo, s0
	s_and_b32 s14, s3, exec_lo
	s_or_b32 exec_lo, exec_lo, s2
	s_and_b32 vcc_lo, exec_lo, s1
	s_cbranch_vccnz .LBB426_15
	s_branch .LBB426_52
.LBB426_13:
	s_mov_b32 s14, 0
                                        ; implicit-def: $vgpr5
                                        ; implicit-def: $vgpr2_vgpr3
	s_cbranch_execnz .LBB426_15
	s_branch .LBB426_52
.LBB426_14:
	s_or_b32 exec_lo, exec_lo, s2
	s_and_b32 vcc_lo, exec_lo, s1
	s_cbranch_vccz .LBB426_52
.LBB426_15:
	s_clause 0x1
	s_load_dword s15, s[4:5], 0x28
	s_load_dword s4, s[4:5], 0x48
	s_ashr_i32 s0, s9, 31
	s_lshl_b32 s5, s6, 8
	s_lshr_b32 s0, s0, 28
	v_lshlrev_b32_e32 v20, 2, v1
	v_or_b32_e32 v16, s5, v0
	v_mov_b32_e32 v19, 0
	v_mov_b32_e32 v18, 0
	;; [unrolled: 1-line block ×4, first 2 shown]
	s_add_i32 s0, s9, s0
	s_mov_b32 s20, exec_lo
	s_and_b32 s6, s0, -16
	v_cmpx_gt_i32_e64 s6, v20
	s_cbranch_execz .LBB426_27
; %bb.16:
	v_add_nc_u32_e32 v5, 0xc0, v16
	s_waitcnt lgkmcnt(0)
	v_mul_lo_u32 v3, s15, v20
	v_add_nc_u32_e32 v2, 64, v16
	v_add_nc_u32_e32 v6, 2, v20
	;; [unrolled: 1-line block ×3, first 2 shown]
	v_cmp_gt_i32_e64 s2, s8, v5
	v_mul_lo_u32 v5, v1, s15
	v_add_nc_u32_e32 v7, 3, v20
	v_mul_lo_u32 v8, v1, s4
	v_cmp_gt_i32_e64 s0, s8, v2
	v_add3_u32 v21, v3, s15, v0
	v_mad_u64_u32 v[2:3], null, s15, v6, v[0:1]
	v_cmp_gt_i32_e64 s1, s8, v4
	v_mad_u64_u32 v[3:4], null, s15, v7, v[0:1]
	v_lshl_add_u32 v22, v5, 2, v0
	v_mad_u64_u32 v[4:5], null, s4, v20, s[4:5]
	v_mul_lo_u32 v23, s4, v6
	v_mul_lo_u32 v24, s4, v7
	v_lshlrev_b32_e32 v25, 2, v8
	v_mov_b32_e32 v19, 0
	v_mov_b32_e32 v18, 0
	;; [unrolled: 1-line block ×4, first 2 shown]
	s_lshl_b32 s21, s15, 4
	s_lshl_b32 s23, s4, 4
	s_mov_b32 s22, 0
	s_mov_b32 s24, 0
	v_cmp_gt_i32_e32 vcc_lo, s8, v16
	s_branch .LBB426_21
.LBB426_17:                             ;   in Loop: Header=BB426_21 Depth=1
	s_or_b32 exec_lo, exec_lo, s27
	s_waitcnt vmcnt(3) lgkmcnt(3)
	v_fma_mix_f32 v5, v38, v42, v17 op_sel_hi:[0,1,0]
	s_waitcnt vmcnt(2) lgkmcnt(2)
	v_fma_mix_f32 v5, v39, v43, v5 op_sel_hi:[0,1,0]
	;; [unrolled: 2-line block ×4, first 2 shown]
.LBB426_18:                             ;   in Loop: Header=BB426_21 Depth=1
	s_or_b32 exec_lo, exec_lo, s26
	s_waitcnt vmcnt(3) lgkmcnt(3)
	v_fma_mix_f32 v5, v38, v34, v18 op_sel_hi:[0,1,0]
	s_waitcnt vmcnt(2) lgkmcnt(2)
	v_fma_mix_f32 v5, v39, v35, v5 op_sel_hi:[0,1,0]
	;; [unrolled: 2-line block ×4, first 2 shown]
.LBB426_19:                             ;   in Loop: Header=BB426_21 Depth=1
	s_or_b32 exec_lo, exec_lo, s3
	s_waitcnt vmcnt(3) lgkmcnt(3)
	v_fma_mix_f32 v5, v26, v30, v19 op_sel_hi:[1,1,0]
	s_waitcnt vmcnt(2) lgkmcnt(2)
	v_fma_mix_f32 v5, v27, v31, v5 op_sel_hi:[1,1,0]
	s_waitcnt vmcnt(1) lgkmcnt(1)
	v_fma_mix_f32 v5, v28, v32, v5 op_sel_hi:[1,1,0]
	s_waitcnt vmcnt(0) lgkmcnt(0)
	v_fma_mix_f32 v19, v29, v33, v5 op_sel_hi:[1,1,0]
.LBB426_20:                             ;   in Loop: Header=BB426_21 Depth=1
	s_or_b32 exec_lo, exec_lo, s25
	v_add_nc_u32_e32 v20, 16, v20
	v_add_nc_u32_e32 v21, s21, v21
	;; [unrolled: 1-line block ×5, first 2 shown]
	v_cmp_le_i32_e64 s3, s6, v20
	s_add_i32 s24, s24, s23
	s_or_b32 s22, s3, s22
	s_andn2_b32 exec_lo, exec_lo, s22
	s_cbranch_execz .LBB426_26
.LBB426_21:                             ; =>This Inner Loop Header: Depth=1
	s_and_saveexec_b32 s25, vcc_lo
	s_cbranch_execz .LBB426_20
; %bb.22:                               ;   in Loop: Header=BB426_21 Depth=1
	v_add_nc_u32_e32 v5, s24, v25
	v_add_nc_u32_e32 v7, s24, v4
	v_add_nc_u32_e32 v9, s24, v23
	v_add_nc_u32_e32 v11, s24, v24
	v_add_nc_u32_e32 v26, s5, v22
	v_ashrrev_i32_e32 v6, 31, v5
	v_ashrrev_i32_e32 v8, 31, v7
	;; [unrolled: 1-line block ×5, first 2 shown]
	v_lshlrev_b64 v[5:6], 1, v[5:6]
	v_lshlrev_b64 v[7:8], 1, v[7:8]
	;; [unrolled: 1-line block ×3, first 2 shown]
	v_add_co_u32 v28, s3, s16, v5
	v_add_co_ci_u32_e64 v29, null, s17, v6, s3
	v_add_co_u32 v30, s3, s16, v7
	v_add_nc_u32_e32 v7, s5, v21
	v_add_co_ci_u32_e64 v31, null, s17, v8, s3
	v_lshlrev_b64 v[5:6], 1, v[11:12]
	v_add_co_u32 v32, s3, s16, v9
	v_add_nc_u32_e32 v11, s5, v2
	v_add_co_ci_u32_e64 v33, null, s17, v10, s3
	v_lshlrev_b64 v[9:10], 1, v[26:27]
	v_add_nc_u32_e32 v26, s5, v3
	v_ashrrev_i32_e32 v8, 31, v7
	v_ashrrev_i32_e32 v12, 31, v11
	v_add_co_u32 v34, s3, s16, v5
	v_ashrrev_i32_e32 v27, 31, v26
	v_add_co_ci_u32_e64 v35, null, s17, v6, s3
	v_lshlrev_b64 v[7:8], 1, v[7:8]
	v_add_co_u32 v5, s3, s10, v9
	v_add_co_ci_u32_e64 v6, null, s11, v10, s3
	v_lshlrev_b64 v[9:10], 1, v[11:12]
	v_lshlrev_b64 v[11:12], 1, v[26:27]
	v_add_co_u32 v7, s3, s10, v7
	v_add_co_ci_u32_e64 v8, null, s11, v8, s3
	v_add_co_u32 v9, s3, s10, v9
	v_add_co_ci_u32_e64 v10, null, s11, v10, s3
	;; [unrolled: 2-line block ×3, first 2 shown]
	s_clause 0x3
	flat_load_ushort v26, v[28:29]
	flat_load_ushort v27, v[30:31]
	;; [unrolled: 1-line block ×4, first 2 shown]
	s_clause 0x3
	flat_load_ushort v30, v[5:6]
	flat_load_ushort v31, v[7:8]
	;; [unrolled: 1-line block ×4, first 2 shown]
	s_and_saveexec_b32 s3, s0
	s_cbranch_execz .LBB426_19
; %bb.23:                               ;   in Loop: Header=BB426_21 Depth=1
	s_clause 0x3
	flat_load_ushort v34, v[5:6] offset:128
	flat_load_ushort v35, v[7:8] offset:128
	;; [unrolled: 1-line block ×4, first 2 shown]
	s_waitcnt vmcnt(11) lgkmcnt(11)
	v_cvt_f32_f16_e32 v38, v26
	s_waitcnt vmcnt(10) lgkmcnt(10)
	v_cvt_f32_f16_e32 v39, v27
	;; [unrolled: 2-line block ×4, first 2 shown]
	s_and_saveexec_b32 s26, s1
	s_cbranch_execz .LBB426_18
; %bb.24:                               ;   in Loop: Header=BB426_21 Depth=1
	s_clause 0x3
	flat_load_ushort v42, v[5:6] offset:256
	flat_load_ushort v43, v[7:8] offset:256
	flat_load_ushort v44, v[9:10] offset:256
	flat_load_ushort v45, v[11:12] offset:256
	s_and_saveexec_b32 s27, s2
	s_cbranch_execz .LBB426_17
; %bb.25:                               ;   in Loop: Header=BB426_21 Depth=1
	s_clause 0x3
	flat_load_ushort v5, v[5:6] offset:384
	flat_load_ushort v6, v[7:8] offset:384
	;; [unrolled: 1-line block ×4, first 2 shown]
	s_waitcnt vmcnt(3) lgkmcnt(3)
	v_fma_mix_f32 v5, v38, v5, v15 op_sel_hi:[0,1,0]
	s_waitcnt vmcnt(2) lgkmcnt(2)
	v_fma_mix_f32 v5, v39, v6, v5 op_sel_hi:[0,1,0]
	;; [unrolled: 2-line block ×4, first 2 shown]
	s_branch .LBB426_17
.LBB426_26:
	s_or_b32 exec_lo, exec_lo, s22
.LBB426_27:
	s_or_b32 exec_lo, exec_lo, s20
	s_sub_i32 s0, s9, s6
	s_cmp_lt_i32 s0, 1
	s_cbranch_scc1 .LBB426_45
; %bb.28:
	v_cmp_gt_i32_e32 vcc_lo, s9, v20
	v_mov_b32_e32 v10, 0
	v_or_b32_e32 v2, 1, v20
	v_mov_b32_e32 v11, 0
	v_mov_b32_e32 v12, 0
	;; [unrolled: 1-line block ×3, first 2 shown]
	s_and_saveexec_b32 s1, vcc_lo
	s_cbranch_execz .LBB426_36
; %bb.29:
	s_waitcnt lgkmcnt(0)
	v_mul_lo_u32 v3, v20, s4
	v_mov_b32_e32 v12, 0
	v_mov_b32_e32 v11, 0
	;; [unrolled: 1-line block ×3, first 2 shown]
	s_mov_b32 s2, exec_lo
	v_ashrrev_i32_e32 v4, 31, v3
	v_lshlrev_b64 v[3:4], 1, v[3:4]
	v_add_co_u32 v3, s0, s16, v3
	v_add_co_ci_u32_e64 v4, null, s17, v4, s0
	flat_load_ushort v3, v[3:4]
	v_cmpx_gt_i32_e64 s9, v2
	s_cbranch_execz .LBB426_35
; %bb.30:
	v_mul_lo_u32 v4, v2, s4
	v_mov_b32_e32 v11, 0
	v_mov_b32_e32 v10, 0
	s_mov_b32 s3, exec_lo
	v_ashrrev_i32_e32 v5, 31, v4
	v_lshlrev_b64 v[4:5], 1, v[4:5]
	v_add_co_u32 v4, s0, s16, v4
	v_add_co_ci_u32_e64 v5, null, s17, v5, s0
	flat_load_ushort v4, v[4:5]
	v_or_b32_e32 v5, 2, v20
	v_cmpx_gt_i32_e64 s9, v5
	s_cbranch_execz .LBB426_34
; %bb.31:
	v_mul_lo_u32 v5, v5, s4
	v_mov_b32_e32 v10, 0
	s_mov_b32 s6, exec_lo
	v_ashrrev_i32_e32 v6, 31, v5
	v_lshlrev_b64 v[5:6], 1, v[5:6]
	v_add_co_u32 v5, s0, s16, v5
	v_add_co_ci_u32_e64 v6, null, s17, v6, s0
	flat_load_ushort v5, v[5:6]
	v_or_b32_e32 v6, 3, v20
	v_cmpx_gt_i32_e64 s9, v6
	s_cbranch_execz .LBB426_33
; %bb.32:
	v_mul_lo_u32 v6, v6, s4
	v_ashrrev_i32_e32 v7, 31, v6
	v_lshlrev_b64 v[6:7], 1, v[6:7]
	v_add_co_u32 v6, s0, s16, v6
	v_add_co_ci_u32_e64 v7, null, s17, v7, s0
	flat_load_ushort v6, v[6:7]
	s_waitcnt vmcnt(0) lgkmcnt(0)
	v_cvt_f32_f16_e32 v10, v6
.LBB426_33:
	s_or_b32 exec_lo, exec_lo, s6
	s_waitcnt vmcnt(0) lgkmcnt(0)
	v_cvt_f32_f16_e32 v11, v5
.LBB426_34:
	s_or_b32 exec_lo, exec_lo, s3
	s_waitcnt vmcnt(0) lgkmcnt(0)
	v_cvt_f32_f16_e32 v12, v4
.LBB426_35:
	s_or_b32 exec_lo, exec_lo, s2
	s_waitcnt vmcnt(0) lgkmcnt(0)
	v_cvt_f32_f16_e32 v21, v3
.LBB426_36:
	s_or_b32 exec_lo, exec_lo, s1
	s_mov_b32 s1, exec_lo
	v_cmpx_gt_i32_e64 s8, v16
	s_cbranch_execz .LBB426_44
; %bb.37:
	s_waitcnt lgkmcnt(0)
	v_mul_lo_u32 v3, v20, s15
	v_or_b32_e32 v4, 2, v20
	v_mul_lo_u32 v5, v2, s15
	v_or_b32_e32 v6, 3, v20
	s_mov_b32 s0, exec_lo
	v_mul_lo_u32 v7, v4, s15
	v_mul_lo_u32 v8, v6, s15
	v_cndmask_b32_e32 v3, 0, v3, vcc_lo
	v_cmp_gt_i32_e32 vcc_lo, s9, v2
	v_add_nc_u32_e32 v2, v3, v16
	v_cndmask_b32_e32 v5, 0, v5, vcc_lo
	v_cmp_gt_i32_e32 vcc_lo, s9, v4
	v_ashrrev_i32_e32 v3, 31, v2
	v_add_nc_u32_e32 v4, v5, v16
	v_cndmask_b32_e32 v7, 0, v7, vcc_lo
	v_cmp_gt_i32_e32 vcc_lo, s9, v6
	v_lshlrev_b64 v[2:3], 1, v[2:3]
	v_ashrrev_i32_e32 v5, 31, v4
	v_add_nc_u32_e32 v6, v7, v16
	v_cndmask_b32_e32 v8, 0, v8, vcc_lo
	v_lshlrev_b64 v[4:5], 1, v[4:5]
	v_ashrrev_i32_e32 v7, 31, v6
	v_add_nc_u32_e32 v8, v8, v16
	v_add_co_u32 v2, vcc_lo, s10, v2
	v_add_co_ci_u32_e64 v3, null, s11, v3, vcc_lo
	v_lshlrev_b64 v[6:7], 1, v[6:7]
	v_ashrrev_i32_e32 v9, 31, v8
	v_add_co_u32 v4, vcc_lo, s10, v4
	v_add_co_ci_u32_e64 v5, null, s11, v5, vcc_lo
	flat_load_ushort v22, v[2:3]
	v_add_co_u32 v6, vcc_lo, s10, v6
	v_add_co_ci_u32_e64 v7, null, s11, v7, vcc_lo
	v_lshlrev_b64 v[8:9], 1, v[8:9]
	s_clause 0x1
	flat_load_ushort v23, v[4:5]
	flat_load_ushort v24, v[6:7]
	v_add_co_u32 v8, vcc_lo, s10, v8
	v_add_co_ci_u32_e64 v9, null, s11, v9, vcc_lo
	flat_load_ushort v20, v[8:9]
	s_waitcnt vmcnt(3) lgkmcnt(3)
	v_fma_mix_f32 v19, v21, v22, v19 op_sel_hi:[0,1,0]
	v_add_nc_u32_e32 v22, 64, v16
	s_waitcnt vmcnt(2) lgkmcnt(2)
	v_fma_mix_f32 v19, v12, v23, v19 op_sel_hi:[0,1,0]
	s_waitcnt vmcnt(1) lgkmcnt(1)
	v_fma_mix_f32 v19, v11, v24, v19 op_sel_hi:[0,1,0]
	v_cmpx_gt_i32_e64 s8, v22
	s_cbranch_execz .LBB426_43
; %bb.38:
	s_clause 0x3
	flat_load_ushort v23, v[2:3] offset:128
	flat_load_ushort v24, v[4:5] offset:128
	;; [unrolled: 1-line block ×4, first 2 shown]
	s_mov_b32 s2, exec_lo
	s_waitcnt vmcnt(3) lgkmcnt(3)
	v_fma_mix_f32 v18, v21, v23, v18 op_sel_hi:[0,1,0]
	v_add_nc_u32_e32 v23, 0x80, v16
	s_waitcnt vmcnt(2) lgkmcnt(2)
	v_fma_mix_f32 v18, v12, v24, v18 op_sel_hi:[0,1,0]
	s_waitcnt vmcnt(1) lgkmcnt(1)
	v_fma_mix_f32 v18, v11, v25, v18 op_sel_hi:[0,1,0]
	v_cmpx_gt_i32_e64 s8, v23
	s_cbranch_execz .LBB426_42
; %bb.39:
	s_clause 0x3
	flat_load_ushort v24, v[2:3] offset:256
	flat_load_ushort v25, v[4:5] offset:256
	flat_load_ushort v26, v[6:7] offset:256
	flat_load_ushort v23, v[8:9] offset:256
	s_mov_b32 s3, exec_lo
	s_waitcnt vmcnt(3) lgkmcnt(3)
	v_fma_mix_f32 v17, v21, v24, v17 op_sel_hi:[0,1,0]
	v_add_nc_u32_e32 v24, 0xc0, v16
	s_waitcnt vmcnt(2) lgkmcnt(2)
	v_fma_mix_f32 v17, v12, v25, v17 op_sel_hi:[0,1,0]
	s_waitcnt vmcnt(1) lgkmcnt(1)
	v_fma_mix_f32 v16, v11, v26, v17 op_sel_hi:[0,1,0]
	v_cmpx_gt_i32_e64 s8, v24
	s_cbranch_execz .LBB426_41
; %bb.40:
	s_clause 0x3
	flat_load_ushort v2, v[2:3] offset:384
	flat_load_ushort v3, v[4:5] offset:384
	;; [unrolled: 1-line block ×4, first 2 shown]
	s_waitcnt vmcnt(3) lgkmcnt(3)
	v_fma_mix_f32 v2, v21, v2, v15 op_sel_hi:[0,1,0]
	s_waitcnt vmcnt(2) lgkmcnt(2)
	v_fma_mix_f32 v2, v12, v3, v2 op_sel_hi:[0,1,0]
	;; [unrolled: 2-line block ×4, first 2 shown]
.LBB426_41:
	s_or_b32 exec_lo, exec_lo, s3
	s_waitcnt vmcnt(0) lgkmcnt(0)
	v_fma_mix_f32 v17, v10, v23, v16 op_sel_hi:[0,1,0]
.LBB426_42:
	s_or_b32 exec_lo, exec_lo, s2
	s_waitcnt vmcnt(0) lgkmcnt(0)
	v_fma_mix_f32 v18, v10, v22, v18 op_sel_hi:[0,1,0]
.LBB426_43:
	s_or_b32 exec_lo, exec_lo, s0
	s_waitcnt vmcnt(0) lgkmcnt(0)
	v_fma_mix_f32 v19, v10, v20, v19 op_sel_hi:[0,1,0]
.LBB426_44:
	s_or_b32 exec_lo, exec_lo, s1
.LBB426_45:
	v_lshlrev_b32_e32 v0, 2, v0
	s_mov_b32 s0, exec_lo
                                        ; implicit-def: $vgpr5
                                        ; implicit-def: $vgpr2_vgpr3
	v_lshl_or_b32 v1, v1, 10, v0
	ds_write2st64_b32 v1, v19, v18 offset1:1
	ds_write2st64_b32 v1, v17, v15 offset0:2 offset1:3
	s_waitcnt lgkmcnt(0)
	s_barrier
	buffer_gl0_inv
	v_cmpx_gt_u32_e32 0x100, v13
	s_cbranch_execz .LBB426_51
; %bb.46:
	v_lshl_add_u32 v4, v14, 2, v0
	s_mov_b32 s2, s14
	s_mov_b32 s1, exec_lo
                                        ; implicit-def: $vgpr5
	ds_read2st64_b32 v[0:1], v4 offset1:4
	ds_read2st64_b32 v[2:3], v4 offset0:8 offset1:12
	s_waitcnt lgkmcnt(1)
	v_add_f32_e32 v0, v0, v1
	v_or_b32_e32 v1, s5, v13
	s_waitcnt lgkmcnt(0)
	v_add_f32_e32 v0, v2, v0
	v_add_f32_e32 v0, v3, v0
                                        ; implicit-def: $vgpr2_vgpr3
	ds_write_b32 v4, v0
	v_cmpx_gt_i32_e64 s8, v1
	s_cbranch_execz .LBB426_50
; %bb.47:
	v_mul_lo_u32 v2, s19, v1
	v_cmp_eq_f32_e64 s2, s7, 0
	v_mul_f32_e32 v0, s18, v0
	s_and_b32 vcc_lo, exec_lo, s2
	v_ashrrev_i32_e32 v3, 31, v2
	s_cbranch_vccnz .LBB426_49
; %bb.48:
	v_lshlrev_b64 v[4:5], 1, v[2:3]
	v_add_co_u32 v4, vcc_lo, s12, v4
	v_add_co_ci_u32_e64 v5, null, s13, v5, vcc_lo
	flat_load_ushort v1, v[4:5]
	s_waitcnt vmcnt(0) lgkmcnt(0)
	v_fma_mix_f32 v0, s7, v1, v0 op_sel_hi:[0,1,0]
.LBB426_49:
	v_cvt_f16_f32_e32 v5, v0
	s_or_b32 s2, s14, exec_lo
.LBB426_50:
	s_or_b32 exec_lo, exec_lo, s1
	s_andn2_b32 s1, s14, exec_lo
	s_and_b32 s2, s2, exec_lo
	s_or_b32 s14, s1, s2
.LBB426_51:
	s_or_b32 exec_lo, exec_lo, s0
.LBB426_52:
	s_and_saveexec_b32 s0, s14
	s_cbranch_execz .LBB426_54
; %bb.53:
	v_lshlrev_b64 v[0:1], 1, v[2:3]
	v_add_co_u32 v0, vcc_lo, s12, v0
	v_add_co_ci_u32_e64 v1, null, s13, v1, vcc_lo
	flat_store_short v[0:1], v5
.LBB426_54:
	s_endpgm
	.section	.rodata,"a",@progbits
	.p2align	6, 0x0
	.amdhsa_kernel _ZL20rocblas_gemvn_kernelILi64ELi4EiPKDF16_PKfKPDF16_EviiT3_lPKT2_lT1_lS9_lSA_lS6_lPT4_lSA_li
		.amdhsa_group_segment_fixed_size 4096
		.amdhsa_private_segment_fixed_size 0
		.amdhsa_kernarg_size 400
		.amdhsa_user_sgpr_count 6
		.amdhsa_user_sgpr_private_segment_buffer 1
		.amdhsa_user_sgpr_dispatch_ptr 0
		.amdhsa_user_sgpr_queue_ptr 0
		.amdhsa_user_sgpr_kernarg_segment_ptr 1
		.amdhsa_user_sgpr_dispatch_id 0
		.amdhsa_user_sgpr_flat_scratch_init 0
		.amdhsa_user_sgpr_private_segment_size 0
		.amdhsa_wavefront_size32 1
		.amdhsa_uses_dynamic_stack 0
		.amdhsa_system_sgpr_private_segment_wavefront_offset 0
		.amdhsa_system_sgpr_workgroup_id_x 1
		.amdhsa_system_sgpr_workgroup_id_y 0
		.amdhsa_system_sgpr_workgroup_id_z 1
		.amdhsa_system_sgpr_workgroup_info 0
		.amdhsa_system_vgpr_workitem_id 1
		.amdhsa_next_free_vgpr 46
		.amdhsa_next_free_sgpr 28
		.amdhsa_reserve_vcc 1
		.amdhsa_reserve_flat_scratch 1
		.amdhsa_float_round_mode_32 0
		.amdhsa_float_round_mode_16_64 0
		.amdhsa_float_denorm_mode_32 3
		.amdhsa_float_denorm_mode_16_64 3
		.amdhsa_dx10_clamp 1
		.amdhsa_ieee_mode 1
		.amdhsa_fp16_overflow 0
		.amdhsa_workgroup_processor_mode 1
		.amdhsa_memory_ordered 1
		.amdhsa_forward_progress 1
		.amdhsa_shared_vgpr_count 0
		.amdhsa_exception_fp_ieee_invalid_op 0
		.amdhsa_exception_fp_denorm_src 0
		.amdhsa_exception_fp_ieee_div_zero 0
		.amdhsa_exception_fp_ieee_overflow 0
		.amdhsa_exception_fp_ieee_underflow 0
		.amdhsa_exception_fp_ieee_inexact 0
		.amdhsa_exception_int_div_zero 0
	.end_amdhsa_kernel
	.section	.text._ZL20rocblas_gemvn_kernelILi64ELi4EiPKDF16_PKfKPDF16_EviiT3_lPKT2_lT1_lS9_lSA_lS6_lPT4_lSA_li,"axG",@progbits,_ZL20rocblas_gemvn_kernelILi64ELi4EiPKDF16_PKfKPDF16_EviiT3_lPKT2_lT1_lS9_lSA_lS6_lPT4_lSA_li,comdat
.Lfunc_end426:
	.size	_ZL20rocblas_gemvn_kernelILi64ELi4EiPKDF16_PKfKPDF16_EviiT3_lPKT2_lT1_lS9_lSA_lS6_lPT4_lSA_li, .Lfunc_end426-_ZL20rocblas_gemvn_kernelILi64ELi4EiPKDF16_PKfKPDF16_EviiT3_lPKT2_lT1_lS9_lSA_lS6_lPT4_lSA_li
                                        ; -- End function
	.set _ZL20rocblas_gemvn_kernelILi64ELi4EiPKDF16_PKfKPDF16_EviiT3_lPKT2_lT1_lS9_lSA_lS6_lPT4_lSA_li.num_vgpr, 46
	.set _ZL20rocblas_gemvn_kernelILi64ELi4EiPKDF16_PKfKPDF16_EviiT3_lPKT2_lT1_lS9_lSA_lS6_lPT4_lSA_li.num_agpr, 0
	.set _ZL20rocblas_gemvn_kernelILi64ELi4EiPKDF16_PKfKPDF16_EviiT3_lPKT2_lT1_lS9_lSA_lS6_lPT4_lSA_li.numbered_sgpr, 28
	.set _ZL20rocblas_gemvn_kernelILi64ELi4EiPKDF16_PKfKPDF16_EviiT3_lPKT2_lT1_lS9_lSA_lS6_lPT4_lSA_li.num_named_barrier, 0
	.set _ZL20rocblas_gemvn_kernelILi64ELi4EiPKDF16_PKfKPDF16_EviiT3_lPKT2_lT1_lS9_lSA_lS6_lPT4_lSA_li.private_seg_size, 0
	.set _ZL20rocblas_gemvn_kernelILi64ELi4EiPKDF16_PKfKPDF16_EviiT3_lPKT2_lT1_lS9_lSA_lS6_lPT4_lSA_li.uses_vcc, 1
	.set _ZL20rocblas_gemvn_kernelILi64ELi4EiPKDF16_PKfKPDF16_EviiT3_lPKT2_lT1_lS9_lSA_lS6_lPT4_lSA_li.uses_flat_scratch, 1
	.set _ZL20rocblas_gemvn_kernelILi64ELi4EiPKDF16_PKfKPDF16_EviiT3_lPKT2_lT1_lS9_lSA_lS6_lPT4_lSA_li.has_dyn_sized_stack, 0
	.set _ZL20rocblas_gemvn_kernelILi64ELi4EiPKDF16_PKfKPDF16_EviiT3_lPKT2_lT1_lS9_lSA_lS6_lPT4_lSA_li.has_recursion, 0
	.set _ZL20rocblas_gemvn_kernelILi64ELi4EiPKDF16_PKfKPDF16_EviiT3_lPKT2_lT1_lS9_lSA_lS6_lPT4_lSA_li.has_indirect_call, 0
	.section	.AMDGPU.csdata,"",@progbits
; Kernel info:
; codeLenInByte = 2868
; TotalNumSgprs: 30
; NumVgprs: 46
; ScratchSize: 0
; MemoryBound: 0
; FloatMode: 240
; IeeeMode: 1
; LDSByteSize: 4096 bytes/workgroup (compile time only)
; SGPRBlocks: 0
; VGPRBlocks: 5
; NumSGPRsForWavesPerEU: 30
; NumVGPRsForWavesPerEU: 46
; Occupancy: 16
; WaveLimiterHint : 1
; COMPUTE_PGM_RSRC2:SCRATCH_EN: 0
; COMPUTE_PGM_RSRC2:USER_SGPR: 6
; COMPUTE_PGM_RSRC2:TRAP_HANDLER: 0
; COMPUTE_PGM_RSRC2:TGID_X_EN: 1
; COMPUTE_PGM_RSRC2:TGID_Y_EN: 0
; COMPUTE_PGM_RSRC2:TGID_Z_EN: 1
; COMPUTE_PGM_RSRC2:TIDIG_COMP_CNT: 1
	.section	.text._ZL20rocblas_gemvn_kernelILi64ELi4ElPKDF16_PKfKPDF16_EviiT3_lPKT2_lT1_lS9_lSA_lS6_lPT4_lSA_li,"axG",@progbits,_ZL20rocblas_gemvn_kernelILi64ELi4ElPKDF16_PKfKPDF16_EviiT3_lPKT2_lT1_lS9_lSA_lS6_lPT4_lSA_li,comdat
	.globl	_ZL20rocblas_gemvn_kernelILi64ELi4ElPKDF16_PKfKPDF16_EviiT3_lPKT2_lT1_lS9_lSA_lS6_lPT4_lSA_li ; -- Begin function _ZL20rocblas_gemvn_kernelILi64ELi4ElPKDF16_PKfKPDF16_EviiT3_lPKT2_lT1_lS9_lSA_lS6_lPT4_lSA_li
	.p2align	8
	.type	_ZL20rocblas_gemvn_kernelILi64ELi4ElPKDF16_PKfKPDF16_EviiT3_lPKT2_lT1_lS9_lSA_lS6_lPT4_lSA_li,@function
_ZL20rocblas_gemvn_kernelILi64ELi4ElPKDF16_PKfKPDF16_EviiT3_lPKT2_lT1_lS9_lSA_lS6_lPT4_lSA_li: ; @_ZL20rocblas_gemvn_kernelILi64ELi4ElPKDF16_PKfKPDF16_EviiT3_lPKT2_lT1_lS9_lSA_lS6_lPT4_lSA_li
; %bb.0:
	s_load_dwordx2 s[0:1], s[4:5], 0x9c
	s_waitcnt lgkmcnt(0)
	s_lshr_b32 s2, s0, 16
	s_and_b32 s0, s0, 0xffff
	s_and_b32 s1, s1, 0xffff
	s_mul_i32 s0, s2, s0
	s_mul_i32 s0, s0, s1
	s_cmpk_lg_i32 s0, 0x100
	s_cbranch_scc1 .LBB427_54
; %bb.1:
	s_clause 0x1
	s_load_dwordx8 s[16:23], s[4:5], 0x8
	s_load_dwordx8 s[8:15], s[4:5], 0x58
	s_mov_b32 s26, s7
	s_mov_b32 s27, 0
	s_waitcnt lgkmcnt(0)
	s_mul_i32 s1, s19, s7
	s_mul_hi_u32 s2, s18, s7
	s_mul_i32 s0, s18, s7
	s_add_i32 s1, s2, s1
	s_mul_i32 s2, s11, s7
	s_lshl_b64 s[0:1], s[0:1], 2
	s_mul_hi_u32 s3, s10, s7
	s_add_u32 s0, s16, s0
	s_addc_u32 s1, s17, s1
	s_add_i32 s3, s3, s2
	s_mul_i32 s2, s10, s7
	s_lshl_b64 s[2:3], s[2:3], 2
	s_add_u32 s2, s8, s2
	s_addc_u32 s3, s9, s3
	s_load_dword s29, s[0:1], 0x0
	s_load_dword s28, s[2:3], 0x0
	s_waitcnt lgkmcnt(0)
	v_cmp_eq_f32_e64 s7, s29, 0
	v_cmp_eq_f32_e64 s0, s28, 1.0
	s_and_b32 s0, s7, s0
	s_and_b32 vcc_lo, exec_lo, s0
	s_cbranch_vccnz .LBB427_54
; %bb.2:
	s_clause 0x1
	s_load_dwordx2 s[16:17], s[4:5], 0x28
	s_load_dwordx2 s[8:9], s[4:5], 0x78
	v_cmp_neq_f32_e64 s10, s29, 0
	s_mov_b64 s[24:25], 0
	s_and_b32 vcc_lo, exec_lo, s7
	s_mov_b64 s[18:19], 0
	s_cbranch_vccnz .LBB427_4
; %bb.3:
	s_lshl_b64 s[0:1], s[26:27], 3
	s_add_u32 s0, s20, s0
	s_addc_u32 s1, s21, s1
	s_lshl_b64 s[2:3], s[22:23], 1
	s_load_dwordx2 s[0:1], s[0:1], 0x0
	s_waitcnt lgkmcnt(0)
	s_add_u32 s18, s0, s2
	s_addc_u32 s19, s1, s3
.LBB427_4:
	s_clause 0x1
	s_load_dwordx4 s[0:3], s[4:5], 0x38
	s_load_dwordx2 s[20:21], s[4:5], 0x48
	s_andn2_b32 vcc_lo, exec_lo, s10
	s_cbranch_vccnz .LBB427_6
; %bb.5:
	s_lshl_b64 s[10:11], s[26:27], 3
	s_waitcnt lgkmcnt(0)
	s_add_u32 s0, s0, s10
	s_addc_u32 s1, s1, s11
	s_lshl_b64 s[2:3], s[2:3], 1
	s_load_dwordx2 s[0:1], s[0:1], 0x0
	s_waitcnt lgkmcnt(0)
	s_add_u32 s24, s0, s2
	s_addc_u32 s25, s1, s3
.LBB427_6:
	s_waitcnt lgkmcnt(0)
	s_lshl_b64 s[0:1], s[26:27], 3
	v_lshlrev_b32_e32 v22, 6, v1
	s_add_u32 s0, s12, s0
	s_addc_u32 s1, s13, s1
	s_lshl_b64 s[12:13], s[14:15], 1
	s_load_dwordx2 s[2:3], s[0:1], 0x0
	s_load_dwordx2 s[10:11], s[4:5], 0x0
	v_add_nc_u32_e32 v21, v22, v0
	v_cmp_gt_u32_e64 s0, 0x100, v21
	s_waitcnt lgkmcnt(0)
	s_add_u32 s5, s2, s12
	s_addc_u32 s22, s3, s13
	s_andn2_b32 vcc_lo, exec_lo, s7
	s_cbranch_vccnz .LBB427_13
; %bb.7:
	s_mov_b32 s1, 0
	s_mov_b32 s23, 0
                                        ; implicit-def: $vgpr5
                                        ; implicit-def: $vgpr2_vgpr3
	s_and_saveexec_b32 s2, s0
	s_cbranch_execz .LBB427_14
; %bb.8:
	v_lshl_or_b32 v4, s6, 8, v21
	v_mov_b32_e32 v5, 0
	s_ashr_i32 s13, s10, 31
	s_mov_b32 s12, s10
	s_mov_b32 s3, 0
	s_mov_b32 s0, exec_lo
                                        ; implicit-def: $vgpr2_vgpr3
	v_cmpx_gt_i64_e64 s[12:13], v[4:5]
	s_cbranch_execz .LBB427_12
; %bb.9:
	v_mad_u64_u32 v[2:3], null, s8, v4, 0
	v_cmp_eq_f32_e64 s3, s28, 0
	s_and_b32 vcc_lo, exec_lo, s3
	v_mad_u64_u32 v[3:4], null, s9, v4, v[3:4]
	s_cbranch_vccnz .LBB427_11
; %bb.10:
	v_lshlrev_b64 v[4:5], 1, v[2:3]
	v_add_co_u32 v4, vcc_lo, s5, v4
	v_add_co_ci_u32_e64 v5, null, s22, v5, vcc_lo
	flat_load_ushort v4, v[4:5]
	s_waitcnt vmcnt(0) lgkmcnt(0)
	v_fma_mixlo_f16 v5, s28, v4, 0 op_sel_hi:[0,1,0]
.LBB427_11:
	s_mov_b32 s3, exec_lo
.LBB427_12:
	s_or_b32 exec_lo, exec_lo, s0
	s_and_b32 s23, s3, exec_lo
	s_or_b32 exec_lo, exec_lo, s2
	s_and_b32 vcc_lo, exec_lo, s1
	s_cbranch_vccnz .LBB427_15
	s_branch .LBB427_52
.LBB427_13:
	s_mov_b32 s23, 0
                                        ; implicit-def: $vgpr5
                                        ; implicit-def: $vgpr2_vgpr3
	s_cbranch_execnz .LBB427_15
	s_branch .LBB427_52
.LBB427_14:
	s_or_b32 exec_lo, exec_lo, s2
	s_and_b32 vcc_lo, exec_lo, s1
	s_cbranch_vccz .LBB427_52
.LBB427_15:
	s_ashr_i32 s0, s11, 31
	s_lshl_b32 s26, s6, 8
	s_lshr_b32 s0, s0, 28
	v_lshlrev_b32_e32 v24, 2, v1
	v_mov_b32_e32 v27, 0
	v_or_b32_e32 v2, s26, v0
	v_mov_b32_e32 v26, 0
	v_mov_b32_e32 v25, 0
	;; [unrolled: 1-line block ×3, first 2 shown]
	s_add_i32 s0, s11, s0
	s_mov_b32 s30, exec_lo
	s_and_b32 s27, s0, -16
	v_cmpx_gt_i32_e64 s27, v24
	s_cbranch_execz .LBB427_27
; %bb.16:
	v_lshlrev_b32_e32 v23, 2, v1
	v_add_nc_u32_e32 v4, 64, v2
	v_mad_u64_u32 v[7:8], null, s20, v1, 0
	v_mad_u64_u32 v[9:10], null, s16, v1, 0
	v_or_b32_e32 v27, 3, v23
	v_add_nc_u32_e32 v11, 0x80, v2
	v_add_nc_u32_e32 v12, 0xc0, v2
	v_cmp_gt_i32_e64 s0, s10, v4
	v_or_b32_e32 v32, 2, v23
	v_mad_u64_u32 v[5:6], null, s16, v27, 0
	v_cmp_gt_i32_e64 s1, s10, v11
	v_cmp_gt_i32_e64 s2, s10, v12
	v_mad_u64_u32 v[16:17], null, s16, v32, 0
	v_mad_u64_u32 v[18:19], null, s20, v27, 0
	v_mov_b32_e32 v4, v6
	v_mov_b32_e32 v6, v8
	;; [unrolled: 1-line block ×3, first 2 shown]
	v_ashrrev_i32_e32 v3, 31, v2
	s_lshl_b64 s[6:7], s[16:17], 5
	v_mad_u64_u32 v[11:12], null, s17, v27, v[4:5]
	v_mad_u64_u32 v[12:13], null, s21, v1, v[6:7]
	;; [unrolled: 1-line block ×4, first 2 shown]
	v_mov_b32_e32 v6, v11
	v_lshlrev_b64 v[3:4], 1, v[2:3]
	v_mov_b32_e32 v8, v12
	s_lshl_b64 s[12:13], s[20:21], 5
	v_mov_b32_e32 v10, v13
	v_lshlrev_b64 v[11:12], 1, v[5:6]
	s_mov_b32 s31, 0
	v_lshlrev_b64 v[5:6], 3, v[7:8]
	v_mov_b32_e32 v7, v17
	v_mov_b32_e32 v8, v15
	v_lshlrev_b64 v[9:10], 3, v[9:10]
	v_add_co_u32 v28, s3, s18, v11
	v_add_co_ci_u32_e64 v29, null, s19, v12, s3
	v_mad_u64_u32 v[11:12], null, s16, v23, s[16:17]
	v_mad_u64_u32 v[25:26], null, s17, v32, v[7:8]
	v_mov_b32_e32 v7, v19
	v_mad_u64_u32 v[19:20], null, s21, v23, v[8:9]
	v_add_co_u32 v30, s3, s18, v9
	v_mad_u64_u32 v[7:8], null, s21, v27, v[7:8]
	v_mov_b32_e32 v8, v12
	v_mov_b32_e32 v17, v25
	v_mad_u64_u32 v[25:26], null, s20, v32, 0
	v_mov_b32_e32 v15, v19
	v_mad_u64_u32 v[12:13], null, s17, v23, v[8:9]
	v_lshlrev_b64 v[16:17], 1, v[16:17]
	v_mov_b32_e32 v19, v7
	v_add_co_ci_u32_e64 v31, null, s19, v10, s3
	v_mov_b32_e32 v8, v26
	v_mov_b32_e32 v23, 0
	v_lshlrev_b64 v[11:12], 1, v[11:12]
	s_mov_b64 s[14:15], s[24:25]
	v_cmp_gt_i32_e32 vcc_lo, s10, v2
	v_mad_u64_u32 v[26:27], null, s21, v32, v[8:9]
	v_add_co_u32 v32, s3, s18, v16
	v_add_co_ci_u32_e64 v33, null, s19, v17, s3
	v_add_co_u32 v34, s3, s18, v11
	v_lshlrev_b64 v[7:8], 1, v[14:15]
	v_lshlrev_b64 v[9:10], 1, v[18:19]
	v_add_co_ci_u32_e64 v35, null, s19, v12, s3
	v_lshlrev_b64 v[11:12], 1, v[25:26]
	v_mov_b32_e32 v27, 0
	v_mov_b32_e32 v26, 0
	;; [unrolled: 1-line block ×3, first 2 shown]
	s_branch .LBB427_21
.LBB427_17:                             ;   in Loop: Header=BB427_21 Depth=1
	s_or_b32 exec_lo, exec_lo, s34
	s_waitcnt vmcnt(3) lgkmcnt(3)
	v_fma_mix_f32 v13, v48, v52, v25 op_sel_hi:[0,1,0]
	s_waitcnt vmcnt(2) lgkmcnt(2)
	v_fma_mix_f32 v13, v49, v53, v13 op_sel_hi:[0,1,0]
	;; [unrolled: 2-line block ×4, first 2 shown]
.LBB427_18:                             ;   in Loop: Header=BB427_21 Depth=1
	s_or_b32 exec_lo, exec_lo, s33
	s_waitcnt vmcnt(3) lgkmcnt(3)
	v_fma_mix_f32 v13, v48, v44, v26 op_sel_hi:[0,1,0]
	s_waitcnt vmcnt(2) lgkmcnt(2)
	v_fma_mix_f32 v13, v49, v45, v13 op_sel_hi:[0,1,0]
	;; [unrolled: 2-line block ×4, first 2 shown]
.LBB427_19:                             ;   in Loop: Header=BB427_21 Depth=1
	s_or_b32 exec_lo, exec_lo, s3
	s_waitcnt vmcnt(3) lgkmcnt(3)
	v_fma_mix_f32 v13, v36, v40, v27 op_sel_hi:[1,1,0]
	s_waitcnt vmcnt(2) lgkmcnt(2)
	v_fma_mix_f32 v13, v37, v41, v13 op_sel_hi:[1,1,0]
	;; [unrolled: 2-line block ×4, first 2 shown]
.LBB427_20:                             ;   in Loop: Header=BB427_21 Depth=1
	s_or_b32 exec_lo, exec_lo, s4
	v_add_co_u32 v28, s3, v28, s6
	v_add_nc_u32_e32 v24, 16, v24
	v_add_co_ci_u32_e64 v29, null, s7, v29, s3
	v_add_co_u32 v30, s3, v30, s6
	v_add_co_ci_u32_e64 v31, null, s7, v31, s3
	v_add_co_u32 v32, s3, v32, s6
	v_add_co_ci_u32_e64 v33, null, s7, v33, s3
	v_cmp_le_i32_e64 s3, s27, v24
	v_add_co_u32 v34, s4, v34, s6
	v_add_co_ci_u32_e64 v35, null, s7, v35, s4
	s_add_u32 s14, s14, s12
	s_addc_u32 s15, s15, s13
	s_or_b32 s31, s3, s31
	s_andn2_b32 exec_lo, exec_lo, s31
	s_cbranch_execz .LBB427_26
.LBB427_21:                             ; =>This Inner Loop Header: Depth=1
	s_and_saveexec_b32 s4, vcc_lo
	s_cbranch_execz .LBB427_20
; %bb.22:                               ;   in Loop: Header=BB427_21 Depth=1
	v_add_co_u32 v36, s3, s14, v5
	v_add_co_ci_u32_e64 v37, null, s15, v6, s3
	v_add_co_u32 v38, s3, s14, v7
	v_add_co_ci_u32_e64 v39, null, s15, v8, s3
	;; [unrolled: 2-line block ×8, first 2 shown]
	s_clause 0x3
	flat_load_ushort v36, v[36:37]
	flat_load_ushort v37, v[38:39]
	;; [unrolled: 1-line block ×8, first 2 shown]
	s_and_saveexec_b32 s3, s0
	s_cbranch_execz .LBB427_19
; %bb.23:                               ;   in Loop: Header=BB427_21 Depth=1
	flat_load_ushort v44, v[13:14] offset:128
	flat_load_ushort v45, v[15:16] offset:128
	;; [unrolled: 1-line block ×4, first 2 shown]
	s_waitcnt vmcnt(11) lgkmcnt(11)
	v_cvt_f32_f16_e32 v48, v36
	s_waitcnt vmcnt(10) lgkmcnt(10)
	v_cvt_f32_f16_e32 v49, v37
	;; [unrolled: 2-line block ×4, first 2 shown]
	s_and_saveexec_b32 s33, s1
	s_cbranch_execz .LBB427_18
; %bb.24:                               ;   in Loop: Header=BB427_21 Depth=1
	flat_load_ushort v52, v[13:14] offset:256
	flat_load_ushort v53, v[15:16] offset:256
	;; [unrolled: 1-line block ×4, first 2 shown]
	s_and_saveexec_b32 s34, s2
	s_cbranch_execz .LBB427_17
; %bb.25:                               ;   in Loop: Header=BB427_21 Depth=1
	flat_load_ushort v13, v[13:14] offset:384
	flat_load_ushort v14, v[15:16] offset:384
	;; [unrolled: 1-line block ×4, first 2 shown]
	s_waitcnt vmcnt(3) lgkmcnt(3)
	v_fma_mix_f32 v13, v48, v13, v23 op_sel_hi:[0,1,0]
	s_waitcnt vmcnt(2) lgkmcnt(2)
	v_fma_mix_f32 v13, v49, v14, v13 op_sel_hi:[0,1,0]
	;; [unrolled: 2-line block ×4, first 2 shown]
	s_branch .LBB427_17
.LBB427_26:
	s_or_b32 exec_lo, exec_lo, s31
.LBB427_27:
	s_or_b32 exec_lo, exec_lo, s30
	s_sub_i32 s0, s11, s27
	s_cmp_lt_i32 s0, 1
	s_cbranch_scc1 .LBB427_45
; %bb.28:
	v_cmp_gt_i32_e32 vcc_lo, s11, v24
	v_mov_b32_e32 v11, 0
	v_or_b32_e32 v4, 1, v24
	v_mov_b32_e32 v12, 0
	v_mov_b32_e32 v13, 0
	;; [unrolled: 1-line block ×3, first 2 shown]
	s_and_saveexec_b32 s1, vcc_lo
	s_cbranch_execz .LBB427_36
; %bb.29:
	v_mad_u64_u32 v[5:6], null, s20, v24, 0
	v_mov_b32_e32 v13, 0
	v_mov_b32_e32 v12, 0
	v_mov_b32_e32 v11, 0
	s_mov_b32 s2, exec_lo
	v_mov_b32_e32 v3, v6
	v_mad_u64_u32 v[6:7], null, s21, v24, v[3:4]
	v_lshlrev_b64 v[5:6], 1, v[5:6]
	v_add_co_u32 v5, s0, s24, v5
	v_add_co_ci_u32_e64 v6, null, s25, v6, s0
	flat_load_ushort v3, v[5:6]
	v_cmpx_gt_i32_e64 s11, v4
	s_cbranch_execz .LBB427_35
; %bb.30:
	v_mad_u64_u32 v[5:6], null, s20, v4, 0
	v_mov_b32_e32 v12, 0
	v_mov_b32_e32 v11, 0
	s_mov_b32 s3, exec_lo
	v_mad_u64_u32 v[6:7], null, s21, v4, v[6:7]
	v_lshlrev_b64 v[5:6], 1, v[5:6]
	v_add_co_u32 v5, s0, s24, v5
	v_add_co_ci_u32_e64 v6, null, s25, v6, s0
	flat_load_ushort v5, v[5:6]
	v_or_b32_e32 v6, 2, v24
	v_cmpx_gt_i32_e64 s11, v6
	s_cbranch_execz .LBB427_34
; %bb.31:
	v_mad_u64_u32 v[7:8], null, s20, v6, 0
	v_mov_b32_e32 v11, 0
	s_mov_b32 s4, exec_lo
	v_mad_u64_u32 v[8:9], null, s21, v6, v[8:9]
	v_lshlrev_b64 v[6:7], 1, v[7:8]
	v_add_co_u32 v6, s0, s24, v6
	v_add_co_ci_u32_e64 v7, null, s25, v7, s0
	flat_load_ushort v6, v[6:7]
	v_or_b32_e32 v7, 3, v24
	v_cmpx_gt_i32_e64 s11, v7
	s_cbranch_execz .LBB427_33
; %bb.32:
	v_mad_u64_u32 v[8:9], null, s20, v7, 0
	v_mad_u64_u32 v[9:10], null, s21, v7, v[9:10]
	v_lshlrev_b64 v[7:8], 1, v[8:9]
	v_add_co_u32 v7, s0, s24, v7
	v_add_co_ci_u32_e64 v8, null, s25, v8, s0
	flat_load_ushort v7, v[7:8]
	s_waitcnt vmcnt(0) lgkmcnt(0)
	v_cvt_f32_f16_e32 v11, v7
.LBB427_33:
	s_or_b32 exec_lo, exec_lo, s4
	s_waitcnt vmcnt(0) lgkmcnt(0)
	v_cvt_f32_f16_e32 v12, v6
.LBB427_34:
	s_or_b32 exec_lo, exec_lo, s3
	s_waitcnt vmcnt(0) lgkmcnt(0)
	v_cvt_f32_f16_e32 v13, v5
.LBB427_35:
	s_or_b32 exec_lo, exec_lo, s2
	s_waitcnt vmcnt(0) lgkmcnt(0)
	v_cvt_f32_f16_e32 v14, v3
.LBB427_36:
	s_or_b32 exec_lo, exec_lo, s1
	s_mov_b32 s1, exec_lo
	v_cmpx_gt_i32_e64 s10, v2
	s_cbranch_execz .LBB427_44
; %bb.37:
	v_mad_u64_u32 v[5:6], null, s16, v24, 0
	v_mad_u64_u32 v[7:8], null, s16, v4, 0
	v_ashrrev_i32_e32 v3, 31, v2
	v_or_b32_e32 v20, 2, v24
	v_or_b32_e32 v30, 3, v24
	v_cndmask_b32_e32 v5, 0, v5, vcc_lo
	v_lshlrev_b64 v[9:10], 1, v[2:3]
	v_mad_u64_u32 v[15:16], null, s17, v24, v[6:7]
	v_mov_b32_e32 v3, v8
	v_mad_u64_u32 v[16:17], null, s16, v20, 0
	v_mad_u64_u32 v[18:19], null, s16, v30, 0
	;; [unrolled: 1-line block ×3, first 2 shown]
	v_cndmask_b32_e32 v6, 0, v15, vcc_lo
	v_cmp_gt_i32_e32 vcc_lo, s11, v4
	v_mov_b32_e32 v3, v17
	v_cmp_gt_i32_e64 s0, s11, v20
	v_mov_b32_e32 v8, v19
	v_cndmask_b32_e32 v4, 0, v7, vcc_lo
	v_lshlrev_b64 v[6:7], 1, v[5:6]
	v_cndmask_b32_e32 v5, 0, v28, vcc_lo
	v_cndmask_b32_e64 v15, 0, v16, s0
	v_mad_u64_u32 v[19:20], null, s17, v20, v[3:4]
	v_add_co_u32 v3, vcc_lo, s18, v6
	v_lshlrev_b64 v[5:6], 1, v[4:5]
	v_add_co_ci_u32_e64 v7, null, s19, v7, vcc_lo
	v_add_co_u32 v3, vcc_lo, v3, v9
	v_cndmask_b32_e64 v16, 0, v19, s0
	v_add_co_ci_u32_e64 v4, null, v7, v10, vcc_lo
	v_add_co_u32 v5, vcc_lo, s18, v5
	v_add_co_ci_u32_e64 v6, null, s19, v6, vcc_lo
	v_mad_u64_u32 v[7:8], null, s17, v30, v[8:9]
	v_add_co_u32 v5, vcc_lo, v5, v9
	v_add_co_ci_u32_e64 v6, null, v6, v10, vcc_lo
	v_cmp_gt_i32_e32 vcc_lo, s11, v30
	v_lshlrev_b64 v[15:16], 1, v[15:16]
	s_clause 0x1
	flat_load_ushort v19, v[3:4]
	flat_load_ushort v20, v[5:6]
	s_mov_b32 s0, exec_lo
	v_cndmask_b32_e32 v17, 0, v18, vcc_lo
	v_cndmask_b32_e32 v18, 0, v7, vcc_lo
	v_add_co_u32 v7, vcc_lo, s18, v15
	v_add_co_ci_u32_e64 v8, null, s19, v16, vcc_lo
	v_lshlrev_b64 v[15:16], 1, v[17:18]
	v_add_co_u32 v7, vcc_lo, v7, v9
	v_add_co_ci_u32_e64 v8, null, v8, v10, vcc_lo
	v_add_nc_u32_e32 v18, 64, v2
	v_add_co_u32 v15, vcc_lo, s18, v15
	v_add_co_ci_u32_e64 v16, null, s19, v16, vcc_lo
	flat_load_ushort v17, v[7:8]
	v_add_co_u32 v9, vcc_lo, v15, v9
	v_add_co_ci_u32_e64 v10, null, v16, v10, vcc_lo
	flat_load_ushort v15, v[9:10]
	s_waitcnt vmcnt(3) lgkmcnt(3)
	v_fma_mix_f32 v16, v14, v19, v27 op_sel_hi:[0,1,0]
	s_waitcnt vmcnt(2) lgkmcnt(2)
	v_fma_mix_f32 v16, v13, v20, v16 op_sel_hi:[0,1,0]
	;; [unrolled: 2-line block ×3, first 2 shown]
	v_cmpx_gt_i32_e64 s10, v18
	s_cbranch_execz .LBB427_43
; %bb.38:
	s_clause 0x3
	flat_load_ushort v18, v[3:4] offset:128
	flat_load_ushort v19, v[5:6] offset:128
	;; [unrolled: 1-line block ×4, first 2 shown]
	s_mov_b32 s2, exec_lo
	s_waitcnt vmcnt(3) lgkmcnt(3)
	v_fma_mix_f32 v18, v14, v18, v26 op_sel_hi:[0,1,0]
	s_waitcnt vmcnt(2) lgkmcnt(2)
	v_fma_mix_f32 v18, v13, v19, v18 op_sel_hi:[0,1,0]
	v_add_nc_u32_e32 v19, 0x80, v2
	s_waitcnt vmcnt(1) lgkmcnt(1)
	v_fma_mix_f32 v18, v12, v20, v18 op_sel_hi:[0,1,0]
	v_cmpx_gt_i32_e64 s10, v19
	s_cbranch_execz .LBB427_42
; %bb.39:
	s_clause 0x3
	flat_load_ushort v20, v[3:4] offset:256
	flat_load_ushort v24, v[5:6] offset:256
	;; [unrolled: 1-line block ×4, first 2 shown]
	s_mov_b32 s3, exec_lo
	s_waitcnt vmcnt(3) lgkmcnt(3)
	v_fma_mix_f32 v20, v14, v20, v25 op_sel_hi:[0,1,0]
	s_waitcnt vmcnt(2) lgkmcnt(2)
	v_fma_mix_f32 v20, v13, v24, v20 op_sel_hi:[0,1,0]
	v_add_nc_u32_e32 v24, 0xc0, v2
	s_waitcnt vmcnt(1) lgkmcnt(1)
	v_fma_mix_f32 v2, v12, v26, v20 op_sel_hi:[0,1,0]
	v_cmpx_gt_i32_e64 s10, v24
	s_cbranch_execz .LBB427_41
; %bb.40:
	s_clause 0x3
	flat_load_ushort v3, v[3:4] offset:384
	flat_load_ushort v4, v[5:6] offset:384
	flat_load_ushort v5, v[7:8] offset:384
	flat_load_ushort v6, v[9:10] offset:384
	s_waitcnt vmcnt(3) lgkmcnt(3)
	v_fma_mix_f32 v3, v14, v3, v23 op_sel_hi:[0,1,0]
	s_waitcnt vmcnt(2) lgkmcnt(2)
	v_fma_mix_f32 v3, v13, v4, v3 op_sel_hi:[0,1,0]
	;; [unrolled: 2-line block ×4, first 2 shown]
.LBB427_41:
	s_or_b32 exec_lo, exec_lo, s3
	s_waitcnt vmcnt(0) lgkmcnt(0)
	v_fma_mix_f32 v25, v11, v19, v2 op_sel_hi:[0,1,0]
.LBB427_42:
	s_or_b32 exec_lo, exec_lo, s2
	s_waitcnt vmcnt(0) lgkmcnt(0)
	v_fma_mix_f32 v26, v11, v17, v18 op_sel_hi:[0,1,0]
.LBB427_43:
	s_or_b32 exec_lo, exec_lo, s0
	s_waitcnt vmcnt(0) lgkmcnt(0)
	v_fma_mix_f32 v27, v11, v15, v16 op_sel_hi:[0,1,0]
.LBB427_44:
	s_or_b32 exec_lo, exec_lo, s1
.LBB427_45:
	v_lshlrev_b32_e32 v0, 2, v0
	s_mov_b32 s0, exec_lo
                                        ; implicit-def: $vgpr5
                                        ; implicit-def: $vgpr2_vgpr3
	v_lshl_or_b32 v1, v1, 10, v0
	ds_write2st64_b32 v1, v27, v26 offset1:1
	ds_write2st64_b32 v1, v25, v23 offset0:2 offset1:3
	s_waitcnt lgkmcnt(0)
	s_barrier
	buffer_gl0_inv
	v_cmpx_gt_u32_e32 0x100, v21
	s_cbranch_execz .LBB427_51
; %bb.46:
	v_lshl_add_u32 v4, v22, 2, v0
	s_mov_b32 s2, s23
	s_mov_b32 s1, exec_lo
                                        ; implicit-def: $vgpr5
	ds_read2st64_b32 v[0:1], v4 offset1:4
	ds_read2st64_b32 v[2:3], v4 offset0:8 offset1:12
	s_waitcnt lgkmcnt(1)
	v_add_f32_e32 v0, v0, v1
	v_or_b32_e32 v1, s26, v21
	s_waitcnt lgkmcnt(0)
	v_add_f32_e32 v0, v2, v0
	v_add_f32_e32 v0, v3, v0
                                        ; implicit-def: $vgpr2_vgpr3
	ds_write_b32 v4, v0
	v_cmpx_gt_i32_e64 s10, v1
	s_cbranch_execz .LBB427_50
; %bb.47:
	v_ashrrev_i32_e32 v4, 31, v1
	v_mul_lo_u32 v5, s9, v1
	v_mad_u64_u32 v[2:3], null, s8, v1, 0
	v_cmp_eq_f32_e64 s2, s28, 0
	v_mul_lo_u32 v1, s8, v4
	v_mul_f32_e32 v0, s29, v0
	s_and_b32 vcc_lo, exec_lo, s2
	v_add3_u32 v3, v3, v1, v5
	s_cbranch_vccnz .LBB427_49
; %bb.48:
	v_lshlrev_b64 v[4:5], 1, v[2:3]
	v_add_co_u32 v4, vcc_lo, s5, v4
	v_add_co_ci_u32_e64 v5, null, s22, v5, vcc_lo
	flat_load_ushort v1, v[4:5]
	s_waitcnt vmcnt(0) lgkmcnt(0)
	v_fma_mix_f32 v0, s28, v1, v0 op_sel_hi:[0,1,0]
.LBB427_49:
	v_cvt_f16_f32_e32 v5, v0
	s_or_b32 s2, s23, exec_lo
.LBB427_50:
	s_or_b32 exec_lo, exec_lo, s1
	s_andn2_b32 s1, s23, exec_lo
	s_and_b32 s2, s2, exec_lo
	s_or_b32 s23, s1, s2
.LBB427_51:
	s_or_b32 exec_lo, exec_lo, s0
.LBB427_52:
	s_and_saveexec_b32 s0, s23
	s_cbranch_execz .LBB427_54
; %bb.53:
	v_lshlrev_b64 v[0:1], 1, v[2:3]
	v_add_co_u32 v0, vcc_lo, s5, v0
	v_add_co_ci_u32_e64 v1, null, s22, v1, vcc_lo
	flat_store_short v[0:1], v5
.LBB427_54:
	s_endpgm
	.section	.rodata,"a",@progbits
	.p2align	6, 0x0
	.amdhsa_kernel _ZL20rocblas_gemvn_kernelILi64ELi4ElPKDF16_PKfKPDF16_EviiT3_lPKT2_lT1_lS9_lSA_lS6_lPT4_lSA_li
		.amdhsa_group_segment_fixed_size 4096
		.amdhsa_private_segment_fixed_size 0
		.amdhsa_kernarg_size 400
		.amdhsa_user_sgpr_count 6
		.amdhsa_user_sgpr_private_segment_buffer 1
		.amdhsa_user_sgpr_dispatch_ptr 0
		.amdhsa_user_sgpr_queue_ptr 0
		.amdhsa_user_sgpr_kernarg_segment_ptr 1
		.amdhsa_user_sgpr_dispatch_id 0
		.amdhsa_user_sgpr_flat_scratch_init 0
		.amdhsa_user_sgpr_private_segment_size 0
		.amdhsa_wavefront_size32 1
		.amdhsa_uses_dynamic_stack 0
		.amdhsa_system_sgpr_private_segment_wavefront_offset 0
		.amdhsa_system_sgpr_workgroup_id_x 1
		.amdhsa_system_sgpr_workgroup_id_y 0
		.amdhsa_system_sgpr_workgroup_id_z 1
		.amdhsa_system_sgpr_workgroup_info 0
		.amdhsa_system_vgpr_workitem_id 1
		.amdhsa_next_free_vgpr 56
		.amdhsa_next_free_sgpr 35
		.amdhsa_reserve_vcc 1
		.amdhsa_reserve_flat_scratch 1
		.amdhsa_float_round_mode_32 0
		.amdhsa_float_round_mode_16_64 0
		.amdhsa_float_denorm_mode_32 3
		.amdhsa_float_denorm_mode_16_64 3
		.amdhsa_dx10_clamp 1
		.amdhsa_ieee_mode 1
		.amdhsa_fp16_overflow 0
		.amdhsa_workgroup_processor_mode 1
		.amdhsa_memory_ordered 1
		.amdhsa_forward_progress 1
		.amdhsa_shared_vgpr_count 0
		.amdhsa_exception_fp_ieee_invalid_op 0
		.amdhsa_exception_fp_denorm_src 0
		.amdhsa_exception_fp_ieee_div_zero 0
		.amdhsa_exception_fp_ieee_overflow 0
		.amdhsa_exception_fp_ieee_underflow 0
		.amdhsa_exception_fp_ieee_inexact 0
		.amdhsa_exception_int_div_zero 0
	.end_amdhsa_kernel
	.section	.text._ZL20rocblas_gemvn_kernelILi64ELi4ElPKDF16_PKfKPDF16_EviiT3_lPKT2_lT1_lS9_lSA_lS6_lPT4_lSA_li,"axG",@progbits,_ZL20rocblas_gemvn_kernelILi64ELi4ElPKDF16_PKfKPDF16_EviiT3_lPKT2_lT1_lS9_lSA_lS6_lPT4_lSA_li,comdat
.Lfunc_end427:
	.size	_ZL20rocblas_gemvn_kernelILi64ELi4ElPKDF16_PKfKPDF16_EviiT3_lPKT2_lT1_lS9_lSA_lS6_lPT4_lSA_li, .Lfunc_end427-_ZL20rocblas_gemvn_kernelILi64ELi4ElPKDF16_PKfKPDF16_EviiT3_lPKT2_lT1_lS9_lSA_lS6_lPT4_lSA_li
                                        ; -- End function
	.set _ZL20rocblas_gemvn_kernelILi64ELi4ElPKDF16_PKfKPDF16_EviiT3_lPKT2_lT1_lS9_lSA_lS6_lPT4_lSA_li.num_vgpr, 56
	.set _ZL20rocblas_gemvn_kernelILi64ELi4ElPKDF16_PKfKPDF16_EviiT3_lPKT2_lT1_lS9_lSA_lS6_lPT4_lSA_li.num_agpr, 0
	.set _ZL20rocblas_gemvn_kernelILi64ELi4ElPKDF16_PKfKPDF16_EviiT3_lPKT2_lT1_lS9_lSA_lS6_lPT4_lSA_li.numbered_sgpr, 35
	.set _ZL20rocblas_gemvn_kernelILi64ELi4ElPKDF16_PKfKPDF16_EviiT3_lPKT2_lT1_lS9_lSA_lS6_lPT4_lSA_li.num_named_barrier, 0
	.set _ZL20rocblas_gemvn_kernelILi64ELi4ElPKDF16_PKfKPDF16_EviiT3_lPKT2_lT1_lS9_lSA_lS6_lPT4_lSA_li.private_seg_size, 0
	.set _ZL20rocblas_gemvn_kernelILi64ELi4ElPKDF16_PKfKPDF16_EviiT3_lPKT2_lT1_lS9_lSA_lS6_lPT4_lSA_li.uses_vcc, 1
	.set _ZL20rocblas_gemvn_kernelILi64ELi4ElPKDF16_PKfKPDF16_EviiT3_lPKT2_lT1_lS9_lSA_lS6_lPT4_lSA_li.uses_flat_scratch, 1
	.set _ZL20rocblas_gemvn_kernelILi64ELi4ElPKDF16_PKfKPDF16_EviiT3_lPKT2_lT1_lS9_lSA_lS6_lPT4_lSA_li.has_dyn_sized_stack, 0
	.set _ZL20rocblas_gemvn_kernelILi64ELi4ElPKDF16_PKfKPDF16_EviiT3_lPKT2_lT1_lS9_lSA_lS6_lPT4_lSA_li.has_recursion, 0
	.set _ZL20rocblas_gemvn_kernelILi64ELi4ElPKDF16_PKfKPDF16_EviiT3_lPKT2_lT1_lS9_lSA_lS6_lPT4_lSA_li.has_indirect_call, 0
	.section	.AMDGPU.csdata,"",@progbits
; Kernel info:
; codeLenInByte = 3168
; TotalNumSgprs: 37
; NumVgprs: 56
; ScratchSize: 0
; MemoryBound: 0
; FloatMode: 240
; IeeeMode: 1
; LDSByteSize: 4096 bytes/workgroup (compile time only)
; SGPRBlocks: 0
; VGPRBlocks: 6
; NumSGPRsForWavesPerEU: 37
; NumVGPRsForWavesPerEU: 56
; Occupancy: 16
; WaveLimiterHint : 1
; COMPUTE_PGM_RSRC2:SCRATCH_EN: 0
; COMPUTE_PGM_RSRC2:USER_SGPR: 6
; COMPUTE_PGM_RSRC2:TRAP_HANDLER: 0
; COMPUTE_PGM_RSRC2:TGID_X_EN: 1
; COMPUTE_PGM_RSRC2:TGID_Y_EN: 0
; COMPUTE_PGM_RSRC2:TGID_Z_EN: 1
; COMPUTE_PGM_RSRC2:TIDIG_COMP_CNT: 1
	.section	.text._ZL20rocblas_gemvn_kernelILi64ELi4EiPKDF16_fKPDF16_EviiT3_lPKT2_lT1_lS7_lS8_lS4_lPT4_lS8_li,"axG",@progbits,_ZL20rocblas_gemvn_kernelILi64ELi4EiPKDF16_fKPDF16_EviiT3_lPKT2_lT1_lS7_lS8_lS4_lPT4_lS8_li,comdat
	.globl	_ZL20rocblas_gemvn_kernelILi64ELi4EiPKDF16_fKPDF16_EviiT3_lPKT2_lT1_lS7_lS8_lS4_lPT4_lS8_li ; -- Begin function _ZL20rocblas_gemvn_kernelILi64ELi4EiPKDF16_fKPDF16_EviiT3_lPKT2_lT1_lS7_lS8_lS4_lPT4_lS8_li
	.p2align	8
	.type	_ZL20rocblas_gemvn_kernelILi64ELi4EiPKDF16_fKPDF16_EviiT3_lPKT2_lT1_lS7_lS8_lS4_lPT4_lS8_li,@function
_ZL20rocblas_gemvn_kernelILi64ELi4EiPKDF16_fKPDF16_EviiT3_lPKT2_lT1_lS7_lS8_lS4_lPT4_lS8_li: ; @_ZL20rocblas_gemvn_kernelILi64ELi4EiPKDF16_fKPDF16_EviiT3_lPKT2_lT1_lS7_lS8_lS4_lPT4_lS8_li
; %bb.0:
	s_load_dwordx2 s[0:1], s[4:5], 0x9c
	s_waitcnt lgkmcnt(0)
	s_lshr_b32 s3, s0, 16
	s_and_b32 s0, s0, 0xffff
	s_and_b32 s1, s1, 0xffff
	s_mul_i32 s0, s3, s0
	s_mul_i32 s0, s0, s1
	s_cmpk_lg_i32 s0, 0x100
	s_cbranch_scc1 .LBB428_56
; %bb.1:
	s_mov_b32 s2, s7
	s_clause 0x1
	s_load_dwordx4 s[8:11], s[4:5], 0x0
	s_load_dword s7, s[4:5], 0x58
	s_mov_b32 s3, 0
	s_waitcnt lgkmcnt(0)
	v_cmp_eq_f32_e64 s18, s10, 0
	v_cmp_eq_f32_e64 s0, s7, 1.0
	s_and_b32 s0, s18, s0
	s_and_b32 vcc_lo, exec_lo, s0
	s_cbranch_vccnz .LBB428_56
; %bb.2:
	v_cmp_neq_f32_e64 s11, s10, 0
	s_and_b32 vcc_lo, exec_lo, s11
	s_cbranch_vccnz .LBB428_4
; %bb.3:
	s_mov_b32 s1, 0
	s_mov_b32 s0, s2
	;; [unrolled: 1-line block ×3, first 2 shown]
	s_mov_b64 s[14:15], 0
	s_andn2_b32 vcc_lo, exec_lo, s12
	s_mov_b64 s[12:13], 0
	s_cbranch_vccz .LBB428_5
	s_branch .LBB428_6
.LBB428_4:
	s_mov_b64 s[0:1], s[2:3]
	s_mov_b64 s[14:15], 0
	;; [unrolled: 1-line block ×3, first 2 shown]
.LBB428_5:
	s_load_dwordx4 s[20:23], s[4:5], 0x18
	s_lshl_b64 s[2:3], s[2:3], 3
	s_waitcnt lgkmcnt(0)
	s_add_u32 s2, s20, s2
	s_addc_u32 s3, s21, s3
	s_lshl_b64 s[12:13], s[22:23], 1
	s_load_dwordx2 s[2:3], s[2:3], 0x0
	s_waitcnt lgkmcnt(0)
	s_add_u32 s12, s2, s12
	s_addc_u32 s13, s3, s13
.LBB428_6:
	s_andn2_b32 vcc_lo, exec_lo, s11
	s_cbranch_vccnz .LBB428_8
; %bb.7:
	s_load_dwordx4 s[20:23], s[4:5], 0x38
	s_lshl_b64 s[2:3], s[0:1], 3
	s_waitcnt lgkmcnt(0)
	s_add_u32 s2, s20, s2
	s_addc_u32 s3, s21, s3
	s_lshl_b64 s[14:15], s[22:23], 1
	s_load_dwordx2 s[2:3], s[2:3], 0x0
	s_waitcnt lgkmcnt(0)
	s_add_u32 s14, s2, s14
	s_addc_u32 s15, s3, s15
.LBB428_8:
	s_clause 0x1
	s_load_dwordx4 s[20:23], s[4:5], 0x68
	s_load_dword s17, s[4:5], 0x78
	s_lshl_b64 s[0:1], s[0:1], 3
	v_lshlrev_b32_e32 v14, 6, v1
	v_add_nc_u32_e32 v13, v14, v0
	s_waitcnt lgkmcnt(0)
	s_add_u32 s0, s20, s0
	s_addc_u32 s1, s21, s1
	s_lshl_b64 s[20:21], s[22:23], 1
	s_load_dwordx2 s[2:3], s[0:1], 0x0
	v_cmp_gt_u32_e64 s0, 0x100, v13
	s_waitcnt lgkmcnt(0)
	s_add_u32 s11, s2, s20
	s_addc_u32 s16, s3, s21
	s_andn2_b32 vcc_lo, exec_lo, s18
	s_cbranch_vccnz .LBB428_15
; %bb.9:
	s_mov_b32 s1, 0
	s_mov_b32 s18, 0
                                        ; implicit-def: $vgpr5
                                        ; implicit-def: $vgpr2_vgpr3
	s_and_saveexec_b32 s2, s0
	s_cbranch_execz .LBB428_16
; %bb.10:
	v_lshl_or_b32 v4, s6, 8, v13
	v_mov_b32_e32 v5, 0
	s_ashr_i32 s19, s8, 31
	s_mov_b32 s18, s8
	s_mov_b32 s3, 0
	s_mov_b32 s0, exec_lo
                                        ; implicit-def: $vgpr2_vgpr3
	v_cmpx_gt_i64_e64 s[18:19], v[4:5]
	s_cbranch_execz .LBB428_14
; %bb.11:
	v_mad_u64_u32 v[2:3], null, s17, v4, 0
	s_ashr_i32 s3, s17, 31
	v_mad_u64_u32 v[3:4], null, s3, v4, v[3:4]
	v_cmp_eq_f32_e64 s3, s7, 0
	s_and_b32 vcc_lo, exec_lo, s3
	s_cbranch_vccnz .LBB428_13
; %bb.12:
	v_lshlrev_b64 v[4:5], 1, v[2:3]
	v_add_co_u32 v4, vcc_lo, s11, v4
	v_add_co_ci_u32_e64 v5, null, s16, v5, vcc_lo
	flat_load_ushort v4, v[4:5]
	s_waitcnt vmcnt(0) lgkmcnt(0)
	v_fma_mixlo_f16 v5, s7, v4, 0 op_sel_hi:[0,1,0]
.LBB428_13:
	s_mov_b32 s3, exec_lo
.LBB428_14:
	s_or_b32 exec_lo, exec_lo, s0
	s_and_b32 s18, s3, exec_lo
	s_or_b32 exec_lo, exec_lo, s2
	s_and_b32 vcc_lo, exec_lo, s1
	s_cbranch_vccnz .LBB428_17
	s_branch .LBB428_54
.LBB428_15:
	s_mov_b32 s18, 0
                                        ; implicit-def: $vgpr5
                                        ; implicit-def: $vgpr2_vgpr3
	s_cbranch_execnz .LBB428_17
	s_branch .LBB428_54
.LBB428_16:
	s_or_b32 exec_lo, exec_lo, s2
	s_and_b32 vcc_lo, exec_lo, s1
	s_cbranch_vccz .LBB428_54
.LBB428_17:
	s_clause 0x1
	s_load_dword s19, s[4:5], 0x28
	s_load_dword s4, s[4:5], 0x48
	s_ashr_i32 s0, s9, 31
	s_lshl_b32 s5, s6, 8
	s_lshr_b32 s0, s0, 28
	v_lshlrev_b32_e32 v20, 2, v1
	v_or_b32_e32 v16, s5, v0
	v_mov_b32_e32 v19, 0
	v_mov_b32_e32 v18, 0
	;; [unrolled: 1-line block ×4, first 2 shown]
	s_add_i32 s0, s9, s0
	s_mov_b32 s20, exec_lo
	s_and_b32 s6, s0, -16
	v_cmpx_gt_i32_e64 s6, v20
	s_cbranch_execz .LBB428_29
; %bb.18:
	v_add_nc_u32_e32 v5, 0xc0, v16
	s_waitcnt lgkmcnt(0)
	v_mul_lo_u32 v3, s19, v20
	v_add_nc_u32_e32 v2, 64, v16
	v_add_nc_u32_e32 v6, 2, v20
	;; [unrolled: 1-line block ×3, first 2 shown]
	v_cmp_gt_i32_e64 s2, s8, v5
	v_mul_lo_u32 v5, v1, s19
	v_add_nc_u32_e32 v7, 3, v20
	v_mul_lo_u32 v8, v1, s4
	v_cmp_gt_i32_e64 s0, s8, v2
	v_add3_u32 v21, v3, s19, v0
	v_mad_u64_u32 v[2:3], null, s19, v6, v[0:1]
	v_cmp_gt_i32_e64 s1, s8, v4
	v_mad_u64_u32 v[3:4], null, s19, v7, v[0:1]
	v_lshl_add_u32 v22, v5, 2, v0
	v_mad_u64_u32 v[4:5], null, s4, v20, s[4:5]
	v_mul_lo_u32 v23, s4, v6
	v_mul_lo_u32 v24, s4, v7
	v_lshlrev_b32_e32 v25, 2, v8
	v_mov_b32_e32 v19, 0
	v_mov_b32_e32 v18, 0
	;; [unrolled: 1-line block ×4, first 2 shown]
	s_lshl_b32 s21, s19, 4
	s_lshl_b32 s23, s4, 4
	s_mov_b32 s22, 0
	s_mov_b32 s24, 0
	v_cmp_gt_i32_e32 vcc_lo, s8, v16
	s_branch .LBB428_23
.LBB428_19:                             ;   in Loop: Header=BB428_23 Depth=1
	s_or_b32 exec_lo, exec_lo, s27
	s_waitcnt vmcnt(3) lgkmcnt(3)
	v_fma_mix_f32 v5, v38, v42, v17 op_sel_hi:[0,1,0]
	s_waitcnt vmcnt(2) lgkmcnt(2)
	v_fma_mix_f32 v5, v39, v43, v5 op_sel_hi:[0,1,0]
	;; [unrolled: 2-line block ×4, first 2 shown]
.LBB428_20:                             ;   in Loop: Header=BB428_23 Depth=1
	s_or_b32 exec_lo, exec_lo, s26
	s_waitcnt vmcnt(3) lgkmcnt(3)
	v_fma_mix_f32 v5, v38, v34, v18 op_sel_hi:[0,1,0]
	s_waitcnt vmcnt(2) lgkmcnt(2)
	v_fma_mix_f32 v5, v39, v35, v5 op_sel_hi:[0,1,0]
	s_waitcnt vmcnt(1) lgkmcnt(1)
	v_fma_mix_f32 v5, v40, v36, v5 op_sel_hi:[0,1,0]
	s_waitcnt vmcnt(0) lgkmcnt(0)
	v_fma_mix_f32 v18, v41, v37, v5 op_sel_hi:[0,1,0]
.LBB428_21:                             ;   in Loop: Header=BB428_23 Depth=1
	s_or_b32 exec_lo, exec_lo, s3
	s_waitcnt vmcnt(3) lgkmcnt(3)
	v_fma_mix_f32 v5, v26, v30, v19 op_sel_hi:[1,1,0]
	s_waitcnt vmcnt(2) lgkmcnt(2)
	v_fma_mix_f32 v5, v27, v31, v5 op_sel_hi:[1,1,0]
	s_waitcnt vmcnt(1) lgkmcnt(1)
	v_fma_mix_f32 v5, v28, v32, v5 op_sel_hi:[1,1,0]
	s_waitcnt vmcnt(0) lgkmcnt(0)
	v_fma_mix_f32 v19, v29, v33, v5 op_sel_hi:[1,1,0]
.LBB428_22:                             ;   in Loop: Header=BB428_23 Depth=1
	s_or_b32 exec_lo, exec_lo, s25
	v_add_nc_u32_e32 v20, 16, v20
	v_add_nc_u32_e32 v21, s21, v21
	;; [unrolled: 1-line block ×5, first 2 shown]
	v_cmp_le_i32_e64 s3, s6, v20
	s_add_i32 s24, s24, s23
	s_or_b32 s22, s3, s22
	s_andn2_b32 exec_lo, exec_lo, s22
	s_cbranch_execz .LBB428_28
.LBB428_23:                             ; =>This Inner Loop Header: Depth=1
	s_and_saveexec_b32 s25, vcc_lo
	s_cbranch_execz .LBB428_22
; %bb.24:                               ;   in Loop: Header=BB428_23 Depth=1
	v_add_nc_u32_e32 v5, s24, v25
	v_add_nc_u32_e32 v7, s24, v4
	;; [unrolled: 1-line block ×5, first 2 shown]
	v_ashrrev_i32_e32 v6, 31, v5
	v_ashrrev_i32_e32 v8, 31, v7
	;; [unrolled: 1-line block ×5, first 2 shown]
	v_lshlrev_b64 v[5:6], 1, v[5:6]
	v_lshlrev_b64 v[7:8], 1, v[7:8]
	;; [unrolled: 1-line block ×3, first 2 shown]
	v_add_co_u32 v28, s3, s14, v5
	v_add_co_ci_u32_e64 v29, null, s15, v6, s3
	v_add_co_u32 v30, s3, s14, v7
	v_add_nc_u32_e32 v7, s5, v21
	v_add_co_ci_u32_e64 v31, null, s15, v8, s3
	v_lshlrev_b64 v[5:6], 1, v[11:12]
	v_add_co_u32 v32, s3, s14, v9
	v_add_nc_u32_e32 v11, s5, v2
	v_add_co_ci_u32_e64 v33, null, s15, v10, s3
	v_lshlrev_b64 v[9:10], 1, v[26:27]
	v_add_nc_u32_e32 v26, s5, v3
	v_ashrrev_i32_e32 v8, 31, v7
	v_ashrrev_i32_e32 v12, 31, v11
	v_add_co_u32 v34, s3, s14, v5
	v_ashrrev_i32_e32 v27, 31, v26
	v_add_co_ci_u32_e64 v35, null, s15, v6, s3
	v_lshlrev_b64 v[7:8], 1, v[7:8]
	v_add_co_u32 v5, s3, s12, v9
	v_add_co_ci_u32_e64 v6, null, s13, v10, s3
	v_lshlrev_b64 v[9:10], 1, v[11:12]
	v_lshlrev_b64 v[11:12], 1, v[26:27]
	v_add_co_u32 v7, s3, s12, v7
	v_add_co_ci_u32_e64 v8, null, s13, v8, s3
	v_add_co_u32 v9, s3, s12, v9
	v_add_co_ci_u32_e64 v10, null, s13, v10, s3
	;; [unrolled: 2-line block ×3, first 2 shown]
	s_clause 0x3
	flat_load_ushort v26, v[28:29]
	flat_load_ushort v27, v[30:31]
	flat_load_ushort v28, v[32:33]
	flat_load_ushort v29, v[34:35]
	s_clause 0x3
	flat_load_ushort v30, v[5:6]
	flat_load_ushort v31, v[7:8]
	;; [unrolled: 1-line block ×4, first 2 shown]
	s_and_saveexec_b32 s3, s0
	s_cbranch_execz .LBB428_21
; %bb.25:                               ;   in Loop: Header=BB428_23 Depth=1
	s_clause 0x3
	flat_load_ushort v34, v[5:6] offset:128
	flat_load_ushort v35, v[7:8] offset:128
	;; [unrolled: 1-line block ×4, first 2 shown]
	s_waitcnt vmcnt(11) lgkmcnt(11)
	v_cvt_f32_f16_e32 v38, v26
	s_waitcnt vmcnt(10) lgkmcnt(10)
	v_cvt_f32_f16_e32 v39, v27
	;; [unrolled: 2-line block ×4, first 2 shown]
	s_and_saveexec_b32 s26, s1
	s_cbranch_execz .LBB428_20
; %bb.26:                               ;   in Loop: Header=BB428_23 Depth=1
	s_clause 0x3
	flat_load_ushort v42, v[5:6] offset:256
	flat_load_ushort v43, v[7:8] offset:256
	;; [unrolled: 1-line block ×4, first 2 shown]
	s_and_saveexec_b32 s27, s2
	s_cbranch_execz .LBB428_19
; %bb.27:                               ;   in Loop: Header=BB428_23 Depth=1
	s_clause 0x3
	flat_load_ushort v5, v[5:6] offset:384
	flat_load_ushort v6, v[7:8] offset:384
	;; [unrolled: 1-line block ×4, first 2 shown]
	s_waitcnt vmcnt(3) lgkmcnt(3)
	v_fma_mix_f32 v5, v38, v5, v15 op_sel_hi:[0,1,0]
	s_waitcnt vmcnt(2) lgkmcnt(2)
	v_fma_mix_f32 v5, v39, v6, v5 op_sel_hi:[0,1,0]
	s_waitcnt vmcnt(1) lgkmcnt(1)
	v_fma_mix_f32 v5, v40, v7, v5 op_sel_hi:[0,1,0]
	s_waitcnt vmcnt(0) lgkmcnt(0)
	v_fma_mix_f32 v15, v41, v8, v5 op_sel_hi:[0,1,0]
	s_branch .LBB428_19
.LBB428_28:
	s_or_b32 exec_lo, exec_lo, s22
.LBB428_29:
	s_or_b32 exec_lo, exec_lo, s20
	s_sub_i32 s0, s9, s6
	s_cmp_lt_i32 s0, 1
	s_cbranch_scc1 .LBB428_47
; %bb.30:
	v_cmp_gt_i32_e32 vcc_lo, s9, v20
	v_mov_b32_e32 v10, 0
	v_or_b32_e32 v2, 1, v20
	v_mov_b32_e32 v11, 0
	v_mov_b32_e32 v12, 0
	;; [unrolled: 1-line block ×3, first 2 shown]
	s_and_saveexec_b32 s1, vcc_lo
	s_cbranch_execz .LBB428_38
; %bb.31:
	s_waitcnt lgkmcnt(0)
	v_mul_lo_u32 v3, v20, s4
	v_mov_b32_e32 v12, 0
	v_mov_b32_e32 v11, 0
	;; [unrolled: 1-line block ×3, first 2 shown]
	s_mov_b32 s2, exec_lo
	v_ashrrev_i32_e32 v4, 31, v3
	v_lshlrev_b64 v[3:4], 1, v[3:4]
	v_add_co_u32 v3, s0, s14, v3
	v_add_co_ci_u32_e64 v4, null, s15, v4, s0
	flat_load_ushort v3, v[3:4]
	v_cmpx_gt_i32_e64 s9, v2
	s_cbranch_execz .LBB428_37
; %bb.32:
	v_mul_lo_u32 v4, v2, s4
	v_mov_b32_e32 v11, 0
	v_mov_b32_e32 v10, 0
	s_mov_b32 s3, exec_lo
	v_ashrrev_i32_e32 v5, 31, v4
	v_lshlrev_b64 v[4:5], 1, v[4:5]
	v_add_co_u32 v4, s0, s14, v4
	v_add_co_ci_u32_e64 v5, null, s15, v5, s0
	flat_load_ushort v4, v[4:5]
	v_or_b32_e32 v5, 2, v20
	v_cmpx_gt_i32_e64 s9, v5
	s_cbranch_execz .LBB428_36
; %bb.33:
	v_mul_lo_u32 v5, v5, s4
	v_mov_b32_e32 v10, 0
	s_mov_b32 s6, exec_lo
	v_ashrrev_i32_e32 v6, 31, v5
	v_lshlrev_b64 v[5:6], 1, v[5:6]
	v_add_co_u32 v5, s0, s14, v5
	v_add_co_ci_u32_e64 v6, null, s15, v6, s0
	flat_load_ushort v5, v[5:6]
	v_or_b32_e32 v6, 3, v20
	v_cmpx_gt_i32_e64 s9, v6
	s_cbranch_execz .LBB428_35
; %bb.34:
	v_mul_lo_u32 v6, v6, s4
	v_ashrrev_i32_e32 v7, 31, v6
	v_lshlrev_b64 v[6:7], 1, v[6:7]
	v_add_co_u32 v6, s0, s14, v6
	v_add_co_ci_u32_e64 v7, null, s15, v7, s0
	flat_load_ushort v6, v[6:7]
	s_waitcnt vmcnt(0) lgkmcnt(0)
	v_cvt_f32_f16_e32 v10, v6
.LBB428_35:
	s_or_b32 exec_lo, exec_lo, s6
	s_waitcnt vmcnt(0) lgkmcnt(0)
	v_cvt_f32_f16_e32 v11, v5
.LBB428_36:
	s_or_b32 exec_lo, exec_lo, s3
	s_waitcnt vmcnt(0) lgkmcnt(0)
	v_cvt_f32_f16_e32 v12, v4
.LBB428_37:
	s_or_b32 exec_lo, exec_lo, s2
	s_waitcnt vmcnt(0) lgkmcnt(0)
	v_cvt_f32_f16_e32 v21, v3
.LBB428_38:
	s_or_b32 exec_lo, exec_lo, s1
	s_mov_b32 s1, exec_lo
	v_cmpx_gt_i32_e64 s8, v16
	s_cbranch_execz .LBB428_46
; %bb.39:
	s_waitcnt lgkmcnt(0)
	v_mul_lo_u32 v3, v20, s19
	v_or_b32_e32 v4, 2, v20
	v_mul_lo_u32 v5, v2, s19
	v_or_b32_e32 v6, 3, v20
	s_mov_b32 s0, exec_lo
	v_mul_lo_u32 v7, v4, s19
	v_mul_lo_u32 v8, v6, s19
	v_cndmask_b32_e32 v3, 0, v3, vcc_lo
	v_cmp_gt_i32_e32 vcc_lo, s9, v2
	v_add_nc_u32_e32 v2, v3, v16
	v_cndmask_b32_e32 v5, 0, v5, vcc_lo
	v_cmp_gt_i32_e32 vcc_lo, s9, v4
	v_ashrrev_i32_e32 v3, 31, v2
	v_add_nc_u32_e32 v4, v5, v16
	v_cndmask_b32_e32 v7, 0, v7, vcc_lo
	v_cmp_gt_i32_e32 vcc_lo, s9, v6
	v_lshlrev_b64 v[2:3], 1, v[2:3]
	v_ashrrev_i32_e32 v5, 31, v4
	v_add_nc_u32_e32 v6, v7, v16
	v_cndmask_b32_e32 v8, 0, v8, vcc_lo
	v_lshlrev_b64 v[4:5], 1, v[4:5]
	v_ashrrev_i32_e32 v7, 31, v6
	v_add_nc_u32_e32 v8, v8, v16
	v_add_co_u32 v2, vcc_lo, s12, v2
	v_add_co_ci_u32_e64 v3, null, s13, v3, vcc_lo
	v_lshlrev_b64 v[6:7], 1, v[6:7]
	v_ashrrev_i32_e32 v9, 31, v8
	v_add_co_u32 v4, vcc_lo, s12, v4
	v_add_co_ci_u32_e64 v5, null, s13, v5, vcc_lo
	flat_load_ushort v22, v[2:3]
	v_add_co_u32 v6, vcc_lo, s12, v6
	v_add_co_ci_u32_e64 v7, null, s13, v7, vcc_lo
	v_lshlrev_b64 v[8:9], 1, v[8:9]
	s_clause 0x1
	flat_load_ushort v23, v[4:5]
	flat_load_ushort v24, v[6:7]
	v_add_co_u32 v8, vcc_lo, s12, v8
	v_add_co_ci_u32_e64 v9, null, s13, v9, vcc_lo
	flat_load_ushort v20, v[8:9]
	s_waitcnt vmcnt(3) lgkmcnt(3)
	v_fma_mix_f32 v19, v21, v22, v19 op_sel_hi:[0,1,0]
	v_add_nc_u32_e32 v22, 64, v16
	s_waitcnt vmcnt(2) lgkmcnt(2)
	v_fma_mix_f32 v19, v12, v23, v19 op_sel_hi:[0,1,0]
	s_waitcnt vmcnt(1) lgkmcnt(1)
	v_fma_mix_f32 v19, v11, v24, v19 op_sel_hi:[0,1,0]
	v_cmpx_gt_i32_e64 s8, v22
	s_cbranch_execz .LBB428_45
; %bb.40:
	s_clause 0x3
	flat_load_ushort v23, v[2:3] offset:128
	flat_load_ushort v24, v[4:5] offset:128
	;; [unrolled: 1-line block ×4, first 2 shown]
	s_mov_b32 s2, exec_lo
	s_waitcnt vmcnt(3) lgkmcnt(3)
	v_fma_mix_f32 v18, v21, v23, v18 op_sel_hi:[0,1,0]
	v_add_nc_u32_e32 v23, 0x80, v16
	s_waitcnt vmcnt(2) lgkmcnt(2)
	v_fma_mix_f32 v18, v12, v24, v18 op_sel_hi:[0,1,0]
	s_waitcnt vmcnt(1) lgkmcnt(1)
	v_fma_mix_f32 v18, v11, v25, v18 op_sel_hi:[0,1,0]
	v_cmpx_gt_i32_e64 s8, v23
	s_cbranch_execz .LBB428_44
; %bb.41:
	s_clause 0x3
	flat_load_ushort v24, v[2:3] offset:256
	flat_load_ushort v25, v[4:5] offset:256
	;; [unrolled: 1-line block ×4, first 2 shown]
	s_mov_b32 s3, exec_lo
	s_waitcnt vmcnt(3) lgkmcnt(3)
	v_fma_mix_f32 v17, v21, v24, v17 op_sel_hi:[0,1,0]
	v_add_nc_u32_e32 v24, 0xc0, v16
	s_waitcnt vmcnt(2) lgkmcnt(2)
	v_fma_mix_f32 v17, v12, v25, v17 op_sel_hi:[0,1,0]
	s_waitcnt vmcnt(1) lgkmcnt(1)
	v_fma_mix_f32 v16, v11, v26, v17 op_sel_hi:[0,1,0]
	v_cmpx_gt_i32_e64 s8, v24
	s_cbranch_execz .LBB428_43
; %bb.42:
	s_clause 0x3
	flat_load_ushort v2, v[2:3] offset:384
	flat_load_ushort v3, v[4:5] offset:384
	;; [unrolled: 1-line block ×4, first 2 shown]
	s_waitcnt vmcnt(3) lgkmcnt(3)
	v_fma_mix_f32 v2, v21, v2, v15 op_sel_hi:[0,1,0]
	s_waitcnt vmcnt(2) lgkmcnt(2)
	v_fma_mix_f32 v2, v12, v3, v2 op_sel_hi:[0,1,0]
	;; [unrolled: 2-line block ×4, first 2 shown]
.LBB428_43:
	s_or_b32 exec_lo, exec_lo, s3
	s_waitcnt vmcnt(0) lgkmcnt(0)
	v_fma_mix_f32 v17, v10, v23, v16 op_sel_hi:[0,1,0]
.LBB428_44:
	s_or_b32 exec_lo, exec_lo, s2
	s_waitcnt vmcnt(0) lgkmcnt(0)
	v_fma_mix_f32 v18, v10, v22, v18 op_sel_hi:[0,1,0]
.LBB428_45:
	s_or_b32 exec_lo, exec_lo, s0
	s_waitcnt vmcnt(0) lgkmcnt(0)
	v_fma_mix_f32 v19, v10, v20, v19 op_sel_hi:[0,1,0]
.LBB428_46:
	s_or_b32 exec_lo, exec_lo, s1
.LBB428_47:
	v_lshlrev_b32_e32 v0, 2, v0
	s_mov_b32 s0, exec_lo
                                        ; implicit-def: $vgpr5
                                        ; implicit-def: $vgpr2_vgpr3
	v_lshl_or_b32 v1, v1, 10, v0
	ds_write2st64_b32 v1, v19, v18 offset1:1
	ds_write2st64_b32 v1, v17, v15 offset0:2 offset1:3
	s_waitcnt lgkmcnt(0)
	s_barrier
	buffer_gl0_inv
	v_cmpx_gt_u32_e32 0x100, v13
	s_cbranch_execz .LBB428_53
; %bb.48:
	v_lshl_add_u32 v4, v14, 2, v0
	s_mov_b32 s2, s18
	s_mov_b32 s1, exec_lo
                                        ; implicit-def: $vgpr5
	ds_read2st64_b32 v[0:1], v4 offset1:4
	ds_read2st64_b32 v[2:3], v4 offset0:8 offset1:12
	s_waitcnt lgkmcnt(1)
	v_add_f32_e32 v0, v0, v1
	v_or_b32_e32 v1, s5, v13
	s_waitcnt lgkmcnt(0)
	v_add_f32_e32 v0, v2, v0
	v_add_f32_e32 v0, v3, v0
                                        ; implicit-def: $vgpr2_vgpr3
	ds_write_b32 v4, v0
	v_cmpx_gt_i32_e64 s8, v1
	s_cbranch_execz .LBB428_52
; %bb.49:
	v_mul_lo_u32 v2, s17, v1
	v_cmp_eq_f32_e64 s2, s7, 0
	v_mul_f32_e32 v0, s10, v0
	s_and_b32 vcc_lo, exec_lo, s2
	v_ashrrev_i32_e32 v3, 31, v2
	s_cbranch_vccnz .LBB428_51
; %bb.50:
	v_lshlrev_b64 v[4:5], 1, v[2:3]
	v_add_co_u32 v4, vcc_lo, s11, v4
	v_add_co_ci_u32_e64 v5, null, s16, v5, vcc_lo
	flat_load_ushort v1, v[4:5]
	s_waitcnt vmcnt(0) lgkmcnt(0)
	v_fma_mix_f32 v0, s7, v1, v0 op_sel_hi:[0,1,0]
.LBB428_51:
	v_cvt_f16_f32_e32 v5, v0
	s_or_b32 s2, s18, exec_lo
.LBB428_52:
	s_or_b32 exec_lo, exec_lo, s1
	s_andn2_b32 s1, s18, exec_lo
	s_and_b32 s2, s2, exec_lo
	s_or_b32 s18, s1, s2
.LBB428_53:
	s_or_b32 exec_lo, exec_lo, s0
.LBB428_54:
	s_and_saveexec_b32 s0, s18
	s_cbranch_execz .LBB428_56
; %bb.55:
	v_lshlrev_b64 v[0:1], 1, v[2:3]
	v_add_co_u32 v0, vcc_lo, s11, v0
	v_add_co_ci_u32_e64 v1, null, s16, v1, vcc_lo
	flat_store_short v[0:1], v5
.LBB428_56:
	s_endpgm
	.section	.rodata,"a",@progbits
	.p2align	6, 0x0
	.amdhsa_kernel _ZL20rocblas_gemvn_kernelILi64ELi4EiPKDF16_fKPDF16_EviiT3_lPKT2_lT1_lS7_lS8_lS4_lPT4_lS8_li
		.amdhsa_group_segment_fixed_size 4096
		.amdhsa_private_segment_fixed_size 0
		.amdhsa_kernarg_size 400
		.amdhsa_user_sgpr_count 6
		.amdhsa_user_sgpr_private_segment_buffer 1
		.amdhsa_user_sgpr_dispatch_ptr 0
		.amdhsa_user_sgpr_queue_ptr 0
		.amdhsa_user_sgpr_kernarg_segment_ptr 1
		.amdhsa_user_sgpr_dispatch_id 0
		.amdhsa_user_sgpr_flat_scratch_init 0
		.amdhsa_user_sgpr_private_segment_size 0
		.amdhsa_wavefront_size32 1
		.amdhsa_uses_dynamic_stack 0
		.amdhsa_system_sgpr_private_segment_wavefront_offset 0
		.amdhsa_system_sgpr_workgroup_id_x 1
		.amdhsa_system_sgpr_workgroup_id_y 0
		.amdhsa_system_sgpr_workgroup_id_z 1
		.amdhsa_system_sgpr_workgroup_info 0
		.amdhsa_system_vgpr_workitem_id 1
		.amdhsa_next_free_vgpr 46
		.amdhsa_next_free_sgpr 28
		.amdhsa_reserve_vcc 1
		.amdhsa_reserve_flat_scratch 1
		.amdhsa_float_round_mode_32 0
		.amdhsa_float_round_mode_16_64 0
		.amdhsa_float_denorm_mode_32 3
		.amdhsa_float_denorm_mode_16_64 3
		.amdhsa_dx10_clamp 1
		.amdhsa_ieee_mode 1
		.amdhsa_fp16_overflow 0
		.amdhsa_workgroup_processor_mode 1
		.amdhsa_memory_ordered 1
		.amdhsa_forward_progress 1
		.amdhsa_shared_vgpr_count 0
		.amdhsa_exception_fp_ieee_invalid_op 0
		.amdhsa_exception_fp_denorm_src 0
		.amdhsa_exception_fp_ieee_div_zero 0
		.amdhsa_exception_fp_ieee_overflow 0
		.amdhsa_exception_fp_ieee_underflow 0
		.amdhsa_exception_fp_ieee_inexact 0
		.amdhsa_exception_int_div_zero 0
	.end_amdhsa_kernel
	.section	.text._ZL20rocblas_gemvn_kernelILi64ELi4EiPKDF16_fKPDF16_EviiT3_lPKT2_lT1_lS7_lS8_lS4_lPT4_lS8_li,"axG",@progbits,_ZL20rocblas_gemvn_kernelILi64ELi4EiPKDF16_fKPDF16_EviiT3_lPKT2_lT1_lS7_lS8_lS4_lPT4_lS8_li,comdat
.Lfunc_end428:
	.size	_ZL20rocblas_gemvn_kernelILi64ELi4EiPKDF16_fKPDF16_EviiT3_lPKT2_lT1_lS7_lS8_lS4_lPT4_lS8_li, .Lfunc_end428-_ZL20rocblas_gemvn_kernelILi64ELi4EiPKDF16_fKPDF16_EviiT3_lPKT2_lT1_lS7_lS8_lS4_lPT4_lS8_li
                                        ; -- End function
	.set _ZL20rocblas_gemvn_kernelILi64ELi4EiPKDF16_fKPDF16_EviiT3_lPKT2_lT1_lS7_lS8_lS4_lPT4_lS8_li.num_vgpr, 46
	.set _ZL20rocblas_gemvn_kernelILi64ELi4EiPKDF16_fKPDF16_EviiT3_lPKT2_lT1_lS7_lS8_lS4_lPT4_lS8_li.num_agpr, 0
	.set _ZL20rocblas_gemvn_kernelILi64ELi4EiPKDF16_fKPDF16_EviiT3_lPKT2_lT1_lS7_lS8_lS4_lPT4_lS8_li.numbered_sgpr, 28
	.set _ZL20rocblas_gemvn_kernelILi64ELi4EiPKDF16_fKPDF16_EviiT3_lPKT2_lT1_lS7_lS8_lS4_lPT4_lS8_li.num_named_barrier, 0
	.set _ZL20rocblas_gemvn_kernelILi64ELi4EiPKDF16_fKPDF16_EviiT3_lPKT2_lT1_lS7_lS8_lS4_lPT4_lS8_li.private_seg_size, 0
	.set _ZL20rocblas_gemvn_kernelILi64ELi4EiPKDF16_fKPDF16_EviiT3_lPKT2_lT1_lS7_lS8_lS4_lPT4_lS8_li.uses_vcc, 1
	.set _ZL20rocblas_gemvn_kernelILi64ELi4EiPKDF16_fKPDF16_EviiT3_lPKT2_lT1_lS7_lS8_lS4_lPT4_lS8_li.uses_flat_scratch, 1
	.set _ZL20rocblas_gemvn_kernelILi64ELi4EiPKDF16_fKPDF16_EviiT3_lPKT2_lT1_lS7_lS8_lS4_lPT4_lS8_li.has_dyn_sized_stack, 0
	.set _ZL20rocblas_gemvn_kernelILi64ELi4EiPKDF16_fKPDF16_EviiT3_lPKT2_lT1_lS7_lS8_lS4_lPT4_lS8_li.has_recursion, 0
	.set _ZL20rocblas_gemvn_kernelILi64ELi4EiPKDF16_fKPDF16_EviiT3_lPKT2_lT1_lS7_lS8_lS4_lPT4_lS8_li.has_indirect_call, 0
	.section	.AMDGPU.csdata,"",@progbits
; Kernel info:
; codeLenInByte = 2844
; TotalNumSgprs: 30
; NumVgprs: 46
; ScratchSize: 0
; MemoryBound: 0
; FloatMode: 240
; IeeeMode: 1
; LDSByteSize: 4096 bytes/workgroup (compile time only)
; SGPRBlocks: 0
; VGPRBlocks: 5
; NumSGPRsForWavesPerEU: 30
; NumVGPRsForWavesPerEU: 46
; Occupancy: 16
; WaveLimiterHint : 1
; COMPUTE_PGM_RSRC2:SCRATCH_EN: 0
; COMPUTE_PGM_RSRC2:USER_SGPR: 6
; COMPUTE_PGM_RSRC2:TRAP_HANDLER: 0
; COMPUTE_PGM_RSRC2:TGID_X_EN: 1
; COMPUTE_PGM_RSRC2:TGID_Y_EN: 0
; COMPUTE_PGM_RSRC2:TGID_Z_EN: 1
; COMPUTE_PGM_RSRC2:TIDIG_COMP_CNT: 1
	.section	.text._ZL20rocblas_gemvn_kernelILi64ELi4ElPKDF16_fKPDF16_EviiT3_lPKT2_lT1_lS7_lS8_lS4_lPT4_lS8_li,"axG",@progbits,_ZL20rocblas_gemvn_kernelILi64ELi4ElPKDF16_fKPDF16_EviiT3_lPKT2_lT1_lS7_lS8_lS4_lPT4_lS8_li,comdat
	.globl	_ZL20rocblas_gemvn_kernelILi64ELi4ElPKDF16_fKPDF16_EviiT3_lPKT2_lT1_lS7_lS8_lS4_lPT4_lS8_li ; -- Begin function _ZL20rocblas_gemvn_kernelILi64ELi4ElPKDF16_fKPDF16_EviiT3_lPKT2_lT1_lS7_lS8_lS4_lPT4_lS8_li
	.p2align	8
	.type	_ZL20rocblas_gemvn_kernelILi64ELi4ElPKDF16_fKPDF16_EviiT3_lPKT2_lT1_lS7_lS8_lS4_lPT4_lS8_li,@function
_ZL20rocblas_gemvn_kernelILi64ELi4ElPKDF16_fKPDF16_EviiT3_lPKT2_lT1_lS7_lS8_lS4_lPT4_lS8_li: ; @_ZL20rocblas_gemvn_kernelILi64ELi4ElPKDF16_fKPDF16_EviiT3_lPKT2_lT1_lS7_lS8_lS4_lPT4_lS8_li
; %bb.0:
	s_load_dwordx2 s[0:1], s[4:5], 0x9c
	s_waitcnt lgkmcnt(0)
	s_lshr_b32 s2, s0, 16
	s_and_b32 s0, s0, 0xffff
	s_and_b32 s1, s1, 0xffff
	s_mul_i32 s0, s2, s0
	s_mul_i32 s0, s0, s1
	s_cmpk_lg_i32 s0, 0x100
	s_cbranch_scc1 .LBB429_56
; %bb.1:
	s_load_dwordx4 s[8:11], s[4:5], 0x0
	s_waitcnt lgkmcnt(0)
	s_load_dword s11, s[4:5], 0x58
	s_mov_b32 s20, s7
	s_mov_b32 s21, 0
	v_cmp_eq_f32_e64 s7, s10, 0
	s_waitcnt lgkmcnt(0)
	v_cmp_eq_f32_e64 s0, s11, 1.0
	s_and_b32 s0, s7, s0
	s_and_b32 vcc_lo, exec_lo, s0
	s_cbranch_vccnz .LBB429_56
; %bb.2:
	s_clause 0x1
	s_load_dwordx4 s[0:3], s[4:5], 0x18
	s_load_dwordx2 s[14:15], s[4:5], 0x28
	v_cmp_neq_f32_e64 s22, s10, 0
	s_and_b32 vcc_lo, exec_lo, s22
	s_cbranch_vccnz .LBB429_4
; %bb.3:
	s_mov_b32 s13, 0
	s_mov_b32 s12, s20
	;; [unrolled: 1-line block ×3, first 2 shown]
	s_mov_b64 s[18:19], 0
	s_andn2_b32 vcc_lo, exec_lo, s16
	s_mov_b64 s[16:17], 0
	s_cbranch_vccz .LBB429_5
	s_branch .LBB429_6
.LBB429_4:
	s_mov_b64 s[12:13], s[20:21]
	s_mov_b64 s[18:19], 0
	;; [unrolled: 1-line block ×3, first 2 shown]
.LBB429_5:
	s_lshl_b64 s[16:17], s[20:21], 3
	s_waitcnt lgkmcnt(0)
	s_add_u32 s0, s0, s16
	s_addc_u32 s1, s1, s17
	s_lshl_b64 s[2:3], s[2:3], 1
	s_load_dwordx2 s[0:1], s[0:1], 0x0
	s_waitcnt lgkmcnt(0)
	s_add_u32 s16, s0, s2
	s_addc_u32 s17, s1, s3
.LBB429_6:
	s_waitcnt lgkmcnt(0)
	s_clause 0x1
	s_load_dwordx4 s[0:3], s[4:5], 0x38
	s_load_dwordx2 s[20:21], s[4:5], 0x48
	s_andn2_b32 vcc_lo, exec_lo, s22
	s_cbranch_vccnz .LBB429_8
; %bb.7:
	s_lshl_b64 s[18:19], s[12:13], 3
	s_waitcnt lgkmcnt(0)
	s_add_u32 s0, s0, s18
	s_addc_u32 s1, s1, s19
	s_lshl_b64 s[2:3], s[2:3], 1
	s_load_dwordx2 s[0:1], s[0:1], 0x0
	s_waitcnt lgkmcnt(0)
	s_add_u32 s18, s0, s2
	s_addc_u32 s19, s1, s3
.LBB429_8:
	s_waitcnt lgkmcnt(0)
	s_load_dwordx4 s[0:3], s[4:5], 0x68
	s_lshl_b64 s[22:23], s[12:13], 3
	s_load_dwordx2 s[12:13], s[4:5], 0x78
	v_lshlrev_b32_e32 v22, 6, v1
	v_add_nc_u32_e32 v21, v22, v0
	s_waitcnt lgkmcnt(0)
	s_add_u32 s0, s0, s22
	s_addc_u32 s1, s1, s23
	s_lshl_b64 s[2:3], s[2:3], 1
	s_load_dwordx2 s[22:23], s[0:1], 0x0
	v_cmp_gt_u32_e64 s0, 0x100, v21
	s_waitcnt lgkmcnt(0)
	s_add_u32 s5, s22, s2
	s_addc_u32 s26, s23, s3
	s_andn2_b32 vcc_lo, exec_lo, s7
	s_cbranch_vccnz .LBB429_15
; %bb.9:
	s_mov_b32 s1, 0
	s_mov_b32 s27, 0
                                        ; implicit-def: $vgpr5
                                        ; implicit-def: $vgpr2_vgpr3
	s_and_saveexec_b32 s2, s0
	s_cbranch_execz .LBB429_16
; %bb.10:
	v_lshl_or_b32 v4, s6, 8, v21
	v_mov_b32_e32 v5, 0
	s_ashr_i32 s23, s8, 31
	s_mov_b32 s22, s8
	s_mov_b32 s3, 0
	s_mov_b32 s0, exec_lo
                                        ; implicit-def: $vgpr2_vgpr3
	v_cmpx_gt_i64_e64 s[22:23], v[4:5]
	s_cbranch_execz .LBB429_14
; %bb.11:
	v_mad_u64_u32 v[2:3], null, s12, v4, 0
	v_cmp_eq_f32_e64 s3, s11, 0
	s_and_b32 vcc_lo, exec_lo, s3
	v_mad_u64_u32 v[3:4], null, s13, v4, v[3:4]
	s_cbranch_vccnz .LBB429_13
; %bb.12:
	v_lshlrev_b64 v[4:5], 1, v[2:3]
	v_add_co_u32 v4, vcc_lo, s5, v4
	v_add_co_ci_u32_e64 v5, null, s26, v5, vcc_lo
	flat_load_ushort v4, v[4:5]
	s_waitcnt vmcnt(0) lgkmcnt(0)
	v_fma_mixlo_f16 v5, s11, v4, 0 op_sel_hi:[0,1,0]
.LBB429_13:
	s_mov_b32 s3, exec_lo
.LBB429_14:
	s_or_b32 exec_lo, exec_lo, s0
	s_and_b32 s27, s3, exec_lo
	s_or_b32 exec_lo, exec_lo, s2
	s_and_b32 vcc_lo, exec_lo, s1
	s_cbranch_vccnz .LBB429_17
	s_branch .LBB429_54
.LBB429_15:
	s_mov_b32 s27, 0
                                        ; implicit-def: $vgpr5
                                        ; implicit-def: $vgpr2_vgpr3
	s_cbranch_execnz .LBB429_17
	s_branch .LBB429_54
.LBB429_16:
	s_or_b32 exec_lo, exec_lo, s2
	s_and_b32 vcc_lo, exec_lo, s1
	s_cbranch_vccz .LBB429_54
.LBB429_17:
	s_ashr_i32 s0, s9, 31
	s_lshl_b32 s28, s6, 8
	s_lshr_b32 s0, s0, 28
	v_lshlrev_b32_e32 v24, 2, v1
	v_mov_b32_e32 v27, 0
	v_or_b32_e32 v2, s28, v0
	v_mov_b32_e32 v26, 0
	v_mov_b32_e32 v25, 0
	;; [unrolled: 1-line block ×3, first 2 shown]
	s_add_i32 s0, s9, s0
	s_mov_b32 s30, exec_lo
	s_and_b32 s29, s0, -16
	v_cmpx_gt_i32_e64 s29, v24
	s_cbranch_execz .LBB429_29
; %bb.18:
	v_lshlrev_b32_e32 v23, 2, v1
	v_add_nc_u32_e32 v4, 64, v2
	v_mad_u64_u32 v[7:8], null, s20, v1, 0
	v_mad_u64_u32 v[9:10], null, s14, v1, 0
	v_or_b32_e32 v27, 3, v23
	v_add_nc_u32_e32 v11, 0x80, v2
	v_add_nc_u32_e32 v12, 0xc0, v2
	v_cmp_gt_i32_e64 s0, s8, v4
	v_or_b32_e32 v32, 2, v23
	v_mad_u64_u32 v[5:6], null, s14, v27, 0
	v_cmp_gt_i32_e64 s1, s8, v11
	v_cmp_gt_i32_e64 s2, s8, v12
	v_mad_u64_u32 v[16:17], null, s14, v32, 0
	v_mad_u64_u32 v[18:19], null, s20, v27, 0
	v_mov_b32_e32 v4, v6
	v_mov_b32_e32 v6, v8
	;; [unrolled: 1-line block ×3, first 2 shown]
	v_ashrrev_i32_e32 v3, 31, v2
	s_lshl_b64 s[6:7], s[14:15], 5
	v_mad_u64_u32 v[11:12], null, s15, v27, v[4:5]
	v_mad_u64_u32 v[12:13], null, s21, v1, v[6:7]
	;; [unrolled: 1-line block ×4, first 2 shown]
	v_mov_b32_e32 v6, v11
	v_lshlrev_b64 v[3:4], 1, v[2:3]
	v_mov_b32_e32 v8, v12
	s_lshl_b64 s[22:23], s[20:21], 5
	v_mov_b32_e32 v10, v13
	v_lshlrev_b64 v[11:12], 1, v[5:6]
	s_mov_b32 s31, 0
	v_lshlrev_b64 v[5:6], 3, v[7:8]
	v_mov_b32_e32 v7, v17
	v_mov_b32_e32 v8, v15
	v_lshlrev_b64 v[9:10], 3, v[9:10]
	v_add_co_u32 v28, s3, s16, v11
	v_add_co_ci_u32_e64 v29, null, s17, v12, s3
	v_mad_u64_u32 v[11:12], null, s14, v23, s[14:15]
	v_mad_u64_u32 v[25:26], null, s15, v32, v[7:8]
	v_mov_b32_e32 v7, v19
	v_mad_u64_u32 v[19:20], null, s21, v23, v[8:9]
	v_add_co_u32 v30, s3, s16, v9
	v_mad_u64_u32 v[7:8], null, s21, v27, v[7:8]
	v_mov_b32_e32 v8, v12
	v_mov_b32_e32 v17, v25
	v_mad_u64_u32 v[25:26], null, s20, v32, 0
	v_mov_b32_e32 v15, v19
	v_mad_u64_u32 v[12:13], null, s15, v23, v[8:9]
	v_lshlrev_b64 v[16:17], 1, v[16:17]
	v_mov_b32_e32 v19, v7
	v_add_co_ci_u32_e64 v31, null, s17, v10, s3
	v_mov_b32_e32 v8, v26
	v_mov_b32_e32 v23, 0
	v_lshlrev_b64 v[11:12], 1, v[11:12]
	s_mov_b64 s[24:25], s[18:19]
	v_cmp_gt_i32_e32 vcc_lo, s8, v2
	v_mad_u64_u32 v[26:27], null, s21, v32, v[8:9]
	v_add_co_u32 v32, s3, s16, v16
	v_add_co_ci_u32_e64 v33, null, s17, v17, s3
	v_add_co_u32 v34, s3, s16, v11
	v_lshlrev_b64 v[7:8], 1, v[14:15]
	v_lshlrev_b64 v[9:10], 1, v[18:19]
	v_add_co_ci_u32_e64 v35, null, s17, v12, s3
	v_lshlrev_b64 v[11:12], 1, v[25:26]
	v_mov_b32_e32 v27, 0
	v_mov_b32_e32 v26, 0
	;; [unrolled: 1-line block ×3, first 2 shown]
	s_branch .LBB429_23
.LBB429_19:                             ;   in Loop: Header=BB429_23 Depth=1
	s_or_b32 exec_lo, exec_lo, s34
	s_waitcnt vmcnt(3) lgkmcnt(3)
	v_fma_mix_f32 v13, v48, v52, v25 op_sel_hi:[0,1,0]
	s_waitcnt vmcnt(2) lgkmcnt(2)
	v_fma_mix_f32 v13, v49, v53, v13 op_sel_hi:[0,1,0]
	;; [unrolled: 2-line block ×4, first 2 shown]
.LBB429_20:                             ;   in Loop: Header=BB429_23 Depth=1
	s_or_b32 exec_lo, exec_lo, s33
	s_waitcnt vmcnt(3) lgkmcnt(3)
	v_fma_mix_f32 v13, v48, v44, v26 op_sel_hi:[0,1,0]
	s_waitcnt vmcnt(2) lgkmcnt(2)
	v_fma_mix_f32 v13, v49, v45, v13 op_sel_hi:[0,1,0]
	;; [unrolled: 2-line block ×4, first 2 shown]
.LBB429_21:                             ;   in Loop: Header=BB429_23 Depth=1
	s_or_b32 exec_lo, exec_lo, s3
	s_waitcnt vmcnt(3) lgkmcnt(3)
	v_fma_mix_f32 v13, v36, v40, v27 op_sel_hi:[1,1,0]
	s_waitcnt vmcnt(2) lgkmcnt(2)
	v_fma_mix_f32 v13, v37, v41, v13 op_sel_hi:[1,1,0]
	;; [unrolled: 2-line block ×4, first 2 shown]
.LBB429_22:                             ;   in Loop: Header=BB429_23 Depth=1
	s_or_b32 exec_lo, exec_lo, s4
	v_add_co_u32 v28, s3, v28, s6
	v_add_nc_u32_e32 v24, 16, v24
	v_add_co_ci_u32_e64 v29, null, s7, v29, s3
	v_add_co_u32 v30, s3, v30, s6
	v_add_co_ci_u32_e64 v31, null, s7, v31, s3
	v_add_co_u32 v32, s3, v32, s6
	v_add_co_ci_u32_e64 v33, null, s7, v33, s3
	v_cmp_le_i32_e64 s3, s29, v24
	v_add_co_u32 v34, s4, v34, s6
	v_add_co_ci_u32_e64 v35, null, s7, v35, s4
	s_add_u32 s24, s24, s22
	s_addc_u32 s25, s25, s23
	s_or_b32 s31, s3, s31
	s_andn2_b32 exec_lo, exec_lo, s31
	s_cbranch_execz .LBB429_28
.LBB429_23:                             ; =>This Inner Loop Header: Depth=1
	s_and_saveexec_b32 s4, vcc_lo
	s_cbranch_execz .LBB429_22
; %bb.24:                               ;   in Loop: Header=BB429_23 Depth=1
	v_add_co_u32 v36, s3, s24, v5
	v_add_co_ci_u32_e64 v37, null, s25, v6, s3
	v_add_co_u32 v38, s3, s24, v7
	v_add_co_ci_u32_e64 v39, null, s25, v8, s3
	;; [unrolled: 2-line block ×8, first 2 shown]
	s_clause 0x3
	flat_load_ushort v36, v[36:37]
	flat_load_ushort v37, v[38:39]
	;; [unrolled: 1-line block ×8, first 2 shown]
	s_and_saveexec_b32 s3, s0
	s_cbranch_execz .LBB429_21
; %bb.25:                               ;   in Loop: Header=BB429_23 Depth=1
	flat_load_ushort v44, v[13:14] offset:128
	flat_load_ushort v45, v[15:16] offset:128
	flat_load_ushort v46, v[17:18] offset:128
	flat_load_ushort v47, v[19:20] offset:128
	s_waitcnt vmcnt(11) lgkmcnt(11)
	v_cvt_f32_f16_e32 v48, v36
	s_waitcnt vmcnt(10) lgkmcnt(10)
	v_cvt_f32_f16_e32 v49, v37
	s_waitcnt vmcnt(9) lgkmcnt(9)
	v_cvt_f32_f16_e32 v50, v38
	s_waitcnt vmcnt(8) lgkmcnt(8)
	v_cvt_f32_f16_e32 v51, v39
	s_and_saveexec_b32 s33, s1
	s_cbranch_execz .LBB429_20
; %bb.26:                               ;   in Loop: Header=BB429_23 Depth=1
	flat_load_ushort v52, v[13:14] offset:256
	flat_load_ushort v53, v[15:16] offset:256
	;; [unrolled: 1-line block ×4, first 2 shown]
	s_and_saveexec_b32 s34, s2
	s_cbranch_execz .LBB429_19
; %bb.27:                               ;   in Loop: Header=BB429_23 Depth=1
	flat_load_ushort v13, v[13:14] offset:384
	flat_load_ushort v14, v[15:16] offset:384
	;; [unrolled: 1-line block ×4, first 2 shown]
	s_waitcnt vmcnt(3) lgkmcnt(3)
	v_fma_mix_f32 v13, v48, v13, v23 op_sel_hi:[0,1,0]
	s_waitcnt vmcnt(2) lgkmcnt(2)
	v_fma_mix_f32 v13, v49, v14, v13 op_sel_hi:[0,1,0]
	;; [unrolled: 2-line block ×4, first 2 shown]
	s_branch .LBB429_19
.LBB429_28:
	s_or_b32 exec_lo, exec_lo, s31
.LBB429_29:
	s_or_b32 exec_lo, exec_lo, s30
	s_sub_i32 s0, s9, s29
	s_cmp_lt_i32 s0, 1
	s_cbranch_scc1 .LBB429_47
; %bb.30:
	v_cmp_gt_i32_e32 vcc_lo, s9, v24
	v_mov_b32_e32 v11, 0
	v_or_b32_e32 v4, 1, v24
	v_mov_b32_e32 v12, 0
	v_mov_b32_e32 v13, 0
	;; [unrolled: 1-line block ×3, first 2 shown]
	s_and_saveexec_b32 s1, vcc_lo
	s_cbranch_execz .LBB429_38
; %bb.31:
	v_mad_u64_u32 v[5:6], null, s20, v24, 0
	v_mov_b32_e32 v13, 0
	v_mov_b32_e32 v12, 0
	;; [unrolled: 1-line block ×3, first 2 shown]
	s_mov_b32 s2, exec_lo
	v_mov_b32_e32 v3, v6
	v_mad_u64_u32 v[6:7], null, s21, v24, v[3:4]
	v_lshlrev_b64 v[5:6], 1, v[5:6]
	v_add_co_u32 v5, s0, s18, v5
	v_add_co_ci_u32_e64 v6, null, s19, v6, s0
	flat_load_ushort v3, v[5:6]
	v_cmpx_gt_i32_e64 s9, v4
	s_cbranch_execz .LBB429_37
; %bb.32:
	v_mad_u64_u32 v[5:6], null, s20, v4, 0
	v_mov_b32_e32 v12, 0
	v_mov_b32_e32 v11, 0
	s_mov_b32 s3, exec_lo
	v_mad_u64_u32 v[6:7], null, s21, v4, v[6:7]
	v_lshlrev_b64 v[5:6], 1, v[5:6]
	v_add_co_u32 v5, s0, s18, v5
	v_add_co_ci_u32_e64 v6, null, s19, v6, s0
	flat_load_ushort v5, v[5:6]
	v_or_b32_e32 v6, 2, v24
	v_cmpx_gt_i32_e64 s9, v6
	s_cbranch_execz .LBB429_36
; %bb.33:
	v_mad_u64_u32 v[7:8], null, s20, v6, 0
	v_mov_b32_e32 v11, 0
	s_mov_b32 s4, exec_lo
	v_mad_u64_u32 v[8:9], null, s21, v6, v[8:9]
	v_lshlrev_b64 v[6:7], 1, v[7:8]
	v_add_co_u32 v6, s0, s18, v6
	v_add_co_ci_u32_e64 v7, null, s19, v7, s0
	flat_load_ushort v6, v[6:7]
	v_or_b32_e32 v7, 3, v24
	v_cmpx_gt_i32_e64 s9, v7
	s_cbranch_execz .LBB429_35
; %bb.34:
	v_mad_u64_u32 v[8:9], null, s20, v7, 0
	v_mad_u64_u32 v[9:10], null, s21, v7, v[9:10]
	v_lshlrev_b64 v[7:8], 1, v[8:9]
	v_add_co_u32 v7, s0, s18, v7
	v_add_co_ci_u32_e64 v8, null, s19, v8, s0
	flat_load_ushort v7, v[7:8]
	s_waitcnt vmcnt(0) lgkmcnt(0)
	v_cvt_f32_f16_e32 v11, v7
.LBB429_35:
	s_or_b32 exec_lo, exec_lo, s4
	s_waitcnt vmcnt(0) lgkmcnt(0)
	v_cvt_f32_f16_e32 v12, v6
.LBB429_36:
	s_or_b32 exec_lo, exec_lo, s3
	s_waitcnt vmcnt(0) lgkmcnt(0)
	v_cvt_f32_f16_e32 v13, v5
.LBB429_37:
	s_or_b32 exec_lo, exec_lo, s2
	s_waitcnt vmcnt(0) lgkmcnt(0)
	v_cvt_f32_f16_e32 v14, v3
.LBB429_38:
	s_or_b32 exec_lo, exec_lo, s1
	s_mov_b32 s1, exec_lo
	v_cmpx_gt_i32_e64 s8, v2
	s_cbranch_execz .LBB429_46
; %bb.39:
	v_mad_u64_u32 v[5:6], null, s14, v24, 0
	v_mad_u64_u32 v[7:8], null, s14, v4, 0
	v_ashrrev_i32_e32 v3, 31, v2
	v_or_b32_e32 v20, 2, v24
	v_or_b32_e32 v30, 3, v24
	v_cndmask_b32_e32 v5, 0, v5, vcc_lo
	v_lshlrev_b64 v[9:10], 1, v[2:3]
	v_mad_u64_u32 v[15:16], null, s15, v24, v[6:7]
	v_mov_b32_e32 v3, v8
	v_mad_u64_u32 v[16:17], null, s14, v20, 0
	v_mad_u64_u32 v[18:19], null, s14, v30, 0
	;; [unrolled: 1-line block ×3, first 2 shown]
	v_cndmask_b32_e32 v6, 0, v15, vcc_lo
	v_cmp_gt_i32_e32 vcc_lo, s9, v4
	v_mov_b32_e32 v3, v17
	v_cmp_gt_i32_e64 s0, s9, v20
	v_mov_b32_e32 v8, v19
	v_cndmask_b32_e32 v4, 0, v7, vcc_lo
	v_lshlrev_b64 v[6:7], 1, v[5:6]
	v_cndmask_b32_e32 v5, 0, v28, vcc_lo
	v_cndmask_b32_e64 v15, 0, v16, s0
	v_mad_u64_u32 v[19:20], null, s15, v20, v[3:4]
	v_add_co_u32 v3, vcc_lo, s16, v6
	v_lshlrev_b64 v[5:6], 1, v[4:5]
	v_add_co_ci_u32_e64 v7, null, s17, v7, vcc_lo
	v_add_co_u32 v3, vcc_lo, v3, v9
	v_cndmask_b32_e64 v16, 0, v19, s0
	v_add_co_ci_u32_e64 v4, null, v7, v10, vcc_lo
	v_add_co_u32 v5, vcc_lo, s16, v5
	v_add_co_ci_u32_e64 v6, null, s17, v6, vcc_lo
	v_mad_u64_u32 v[7:8], null, s15, v30, v[8:9]
	v_add_co_u32 v5, vcc_lo, v5, v9
	v_add_co_ci_u32_e64 v6, null, v6, v10, vcc_lo
	v_cmp_gt_i32_e32 vcc_lo, s9, v30
	v_lshlrev_b64 v[15:16], 1, v[15:16]
	s_clause 0x1
	flat_load_ushort v19, v[3:4]
	flat_load_ushort v20, v[5:6]
	s_mov_b32 s0, exec_lo
	v_cndmask_b32_e32 v17, 0, v18, vcc_lo
	v_cndmask_b32_e32 v18, 0, v7, vcc_lo
	v_add_co_u32 v7, vcc_lo, s16, v15
	v_add_co_ci_u32_e64 v8, null, s17, v16, vcc_lo
	v_lshlrev_b64 v[15:16], 1, v[17:18]
	v_add_co_u32 v7, vcc_lo, v7, v9
	v_add_co_ci_u32_e64 v8, null, v8, v10, vcc_lo
	v_add_nc_u32_e32 v18, 64, v2
	v_add_co_u32 v15, vcc_lo, s16, v15
	v_add_co_ci_u32_e64 v16, null, s17, v16, vcc_lo
	flat_load_ushort v17, v[7:8]
	v_add_co_u32 v9, vcc_lo, v15, v9
	v_add_co_ci_u32_e64 v10, null, v16, v10, vcc_lo
	flat_load_ushort v15, v[9:10]
	s_waitcnt vmcnt(3) lgkmcnt(3)
	v_fma_mix_f32 v16, v14, v19, v27 op_sel_hi:[0,1,0]
	s_waitcnt vmcnt(2) lgkmcnt(2)
	v_fma_mix_f32 v16, v13, v20, v16 op_sel_hi:[0,1,0]
	;; [unrolled: 2-line block ×3, first 2 shown]
	v_cmpx_gt_i32_e64 s8, v18
	s_cbranch_execz .LBB429_45
; %bb.40:
	s_clause 0x3
	flat_load_ushort v18, v[3:4] offset:128
	flat_load_ushort v19, v[5:6] offset:128
	;; [unrolled: 1-line block ×4, first 2 shown]
	s_mov_b32 s2, exec_lo
	s_waitcnt vmcnt(3) lgkmcnt(3)
	v_fma_mix_f32 v18, v14, v18, v26 op_sel_hi:[0,1,0]
	s_waitcnt vmcnt(2) lgkmcnt(2)
	v_fma_mix_f32 v18, v13, v19, v18 op_sel_hi:[0,1,0]
	v_add_nc_u32_e32 v19, 0x80, v2
	s_waitcnt vmcnt(1) lgkmcnt(1)
	v_fma_mix_f32 v18, v12, v20, v18 op_sel_hi:[0,1,0]
	v_cmpx_gt_i32_e64 s8, v19
	s_cbranch_execz .LBB429_44
; %bb.41:
	s_clause 0x3
	flat_load_ushort v20, v[3:4] offset:256
	flat_load_ushort v24, v[5:6] offset:256
	;; [unrolled: 1-line block ×4, first 2 shown]
	s_mov_b32 s3, exec_lo
	s_waitcnt vmcnt(3) lgkmcnt(3)
	v_fma_mix_f32 v20, v14, v20, v25 op_sel_hi:[0,1,0]
	s_waitcnt vmcnt(2) lgkmcnt(2)
	v_fma_mix_f32 v20, v13, v24, v20 op_sel_hi:[0,1,0]
	v_add_nc_u32_e32 v24, 0xc0, v2
	s_waitcnt vmcnt(1) lgkmcnt(1)
	v_fma_mix_f32 v2, v12, v26, v20 op_sel_hi:[0,1,0]
	v_cmpx_gt_i32_e64 s8, v24
	s_cbranch_execz .LBB429_43
; %bb.42:
	s_clause 0x3
	flat_load_ushort v3, v[3:4] offset:384
	flat_load_ushort v4, v[5:6] offset:384
	;; [unrolled: 1-line block ×4, first 2 shown]
	s_waitcnt vmcnt(3) lgkmcnt(3)
	v_fma_mix_f32 v3, v14, v3, v23 op_sel_hi:[0,1,0]
	s_waitcnt vmcnt(2) lgkmcnt(2)
	v_fma_mix_f32 v3, v13, v4, v3 op_sel_hi:[0,1,0]
	s_waitcnt vmcnt(1) lgkmcnt(1)
	v_fma_mix_f32 v3, v12, v5, v3 op_sel_hi:[0,1,0]
	s_waitcnt vmcnt(0) lgkmcnt(0)
	v_fma_mix_f32 v23, v11, v6, v3 op_sel_hi:[0,1,0]
.LBB429_43:
	s_or_b32 exec_lo, exec_lo, s3
	s_waitcnt vmcnt(0) lgkmcnt(0)
	v_fma_mix_f32 v25, v11, v19, v2 op_sel_hi:[0,1,0]
.LBB429_44:
	s_or_b32 exec_lo, exec_lo, s2
	s_waitcnt vmcnt(0) lgkmcnt(0)
	v_fma_mix_f32 v26, v11, v17, v18 op_sel_hi:[0,1,0]
.LBB429_45:
	s_or_b32 exec_lo, exec_lo, s0
	s_waitcnt vmcnt(0) lgkmcnt(0)
	v_fma_mix_f32 v27, v11, v15, v16 op_sel_hi:[0,1,0]
.LBB429_46:
	s_or_b32 exec_lo, exec_lo, s1
.LBB429_47:
	v_lshlrev_b32_e32 v0, 2, v0
	s_mov_b32 s0, exec_lo
                                        ; implicit-def: $vgpr5
                                        ; implicit-def: $vgpr2_vgpr3
	v_lshl_or_b32 v1, v1, 10, v0
	ds_write2st64_b32 v1, v27, v26 offset1:1
	ds_write2st64_b32 v1, v25, v23 offset0:2 offset1:3
	s_waitcnt lgkmcnt(0)
	s_barrier
	buffer_gl0_inv
	v_cmpx_gt_u32_e32 0x100, v21
	s_cbranch_execz .LBB429_53
; %bb.48:
	v_lshl_add_u32 v4, v22, 2, v0
	s_mov_b32 s2, s27
	s_mov_b32 s1, exec_lo
                                        ; implicit-def: $vgpr5
	ds_read2st64_b32 v[0:1], v4 offset1:4
	ds_read2st64_b32 v[2:3], v4 offset0:8 offset1:12
	s_waitcnt lgkmcnt(1)
	v_add_f32_e32 v0, v0, v1
	v_or_b32_e32 v1, s28, v21
	s_waitcnt lgkmcnt(0)
	v_add_f32_e32 v0, v2, v0
	v_add_f32_e32 v0, v3, v0
                                        ; implicit-def: $vgpr2_vgpr3
	ds_write_b32 v4, v0
	v_cmpx_gt_i32_e64 s8, v1
	s_cbranch_execz .LBB429_52
; %bb.49:
	v_ashrrev_i32_e32 v4, 31, v1
	v_mul_lo_u32 v5, s13, v1
	v_mad_u64_u32 v[2:3], null, s12, v1, 0
	v_cmp_eq_f32_e64 s2, s11, 0
	v_mul_lo_u32 v1, s12, v4
	v_mul_f32_e32 v0, s10, v0
	s_and_b32 vcc_lo, exec_lo, s2
	v_add3_u32 v3, v3, v1, v5
	s_cbranch_vccnz .LBB429_51
; %bb.50:
	v_lshlrev_b64 v[4:5], 1, v[2:3]
	v_add_co_u32 v4, vcc_lo, s5, v4
	v_add_co_ci_u32_e64 v5, null, s26, v5, vcc_lo
	flat_load_ushort v1, v[4:5]
	s_waitcnt vmcnt(0) lgkmcnt(0)
	v_fma_mix_f32 v0, s11, v1, v0 op_sel_hi:[0,1,0]
.LBB429_51:
	v_cvt_f16_f32_e32 v5, v0
	s_or_b32 s2, s27, exec_lo
.LBB429_52:
	s_or_b32 exec_lo, exec_lo, s1
	s_andn2_b32 s1, s27, exec_lo
	s_and_b32 s2, s2, exec_lo
	s_or_b32 s27, s1, s2
.LBB429_53:
	s_or_b32 exec_lo, exec_lo, s0
.LBB429_54:
	s_and_saveexec_b32 s0, s27
	s_cbranch_execz .LBB429_56
; %bb.55:
	v_lshlrev_b64 v[0:1], 1, v[2:3]
	v_add_co_u32 v0, vcc_lo, s5, v0
	v_add_co_ci_u32_e64 v1, null, s26, v1, vcc_lo
	flat_store_short v[0:1], v5
.LBB429_56:
	s_endpgm
	.section	.rodata,"a",@progbits
	.p2align	6, 0x0
	.amdhsa_kernel _ZL20rocblas_gemvn_kernelILi64ELi4ElPKDF16_fKPDF16_EviiT3_lPKT2_lT1_lS7_lS8_lS4_lPT4_lS8_li
		.amdhsa_group_segment_fixed_size 4096
		.amdhsa_private_segment_fixed_size 0
		.amdhsa_kernarg_size 400
		.amdhsa_user_sgpr_count 6
		.amdhsa_user_sgpr_private_segment_buffer 1
		.amdhsa_user_sgpr_dispatch_ptr 0
		.amdhsa_user_sgpr_queue_ptr 0
		.amdhsa_user_sgpr_kernarg_segment_ptr 1
		.amdhsa_user_sgpr_dispatch_id 0
		.amdhsa_user_sgpr_flat_scratch_init 0
		.amdhsa_user_sgpr_private_segment_size 0
		.amdhsa_wavefront_size32 1
		.amdhsa_uses_dynamic_stack 0
		.amdhsa_system_sgpr_private_segment_wavefront_offset 0
		.amdhsa_system_sgpr_workgroup_id_x 1
		.amdhsa_system_sgpr_workgroup_id_y 0
		.amdhsa_system_sgpr_workgroup_id_z 1
		.amdhsa_system_sgpr_workgroup_info 0
		.amdhsa_system_vgpr_workitem_id 1
		.amdhsa_next_free_vgpr 56
		.amdhsa_next_free_sgpr 35
		.amdhsa_reserve_vcc 1
		.amdhsa_reserve_flat_scratch 1
		.amdhsa_float_round_mode_32 0
		.amdhsa_float_round_mode_16_64 0
		.amdhsa_float_denorm_mode_32 3
		.amdhsa_float_denorm_mode_16_64 3
		.amdhsa_dx10_clamp 1
		.amdhsa_ieee_mode 1
		.amdhsa_fp16_overflow 0
		.amdhsa_workgroup_processor_mode 1
		.amdhsa_memory_ordered 1
		.amdhsa_forward_progress 1
		.amdhsa_shared_vgpr_count 0
		.amdhsa_exception_fp_ieee_invalid_op 0
		.amdhsa_exception_fp_denorm_src 0
		.amdhsa_exception_fp_ieee_div_zero 0
		.amdhsa_exception_fp_ieee_overflow 0
		.amdhsa_exception_fp_ieee_underflow 0
		.amdhsa_exception_fp_ieee_inexact 0
		.amdhsa_exception_int_div_zero 0
	.end_amdhsa_kernel
	.section	.text._ZL20rocblas_gemvn_kernelILi64ELi4ElPKDF16_fKPDF16_EviiT3_lPKT2_lT1_lS7_lS8_lS4_lPT4_lS8_li,"axG",@progbits,_ZL20rocblas_gemvn_kernelILi64ELi4ElPKDF16_fKPDF16_EviiT3_lPKT2_lT1_lS7_lS8_lS4_lPT4_lS8_li,comdat
.Lfunc_end429:
	.size	_ZL20rocblas_gemvn_kernelILi64ELi4ElPKDF16_fKPDF16_EviiT3_lPKT2_lT1_lS7_lS8_lS4_lPT4_lS8_li, .Lfunc_end429-_ZL20rocblas_gemvn_kernelILi64ELi4ElPKDF16_fKPDF16_EviiT3_lPKT2_lT1_lS7_lS8_lS4_lPT4_lS8_li
                                        ; -- End function
	.set _ZL20rocblas_gemvn_kernelILi64ELi4ElPKDF16_fKPDF16_EviiT3_lPKT2_lT1_lS7_lS8_lS4_lPT4_lS8_li.num_vgpr, 56
	.set _ZL20rocblas_gemvn_kernelILi64ELi4ElPKDF16_fKPDF16_EviiT3_lPKT2_lT1_lS7_lS8_lS4_lPT4_lS8_li.num_agpr, 0
	.set _ZL20rocblas_gemvn_kernelILi64ELi4ElPKDF16_fKPDF16_EviiT3_lPKT2_lT1_lS7_lS8_lS4_lPT4_lS8_li.numbered_sgpr, 35
	.set _ZL20rocblas_gemvn_kernelILi64ELi4ElPKDF16_fKPDF16_EviiT3_lPKT2_lT1_lS7_lS8_lS4_lPT4_lS8_li.num_named_barrier, 0
	.set _ZL20rocblas_gemvn_kernelILi64ELi4ElPKDF16_fKPDF16_EviiT3_lPKT2_lT1_lS7_lS8_lS4_lPT4_lS8_li.private_seg_size, 0
	.set _ZL20rocblas_gemvn_kernelILi64ELi4ElPKDF16_fKPDF16_EviiT3_lPKT2_lT1_lS7_lS8_lS4_lPT4_lS8_li.uses_vcc, 1
	.set _ZL20rocblas_gemvn_kernelILi64ELi4ElPKDF16_fKPDF16_EviiT3_lPKT2_lT1_lS7_lS8_lS4_lPT4_lS8_li.uses_flat_scratch, 1
	.set _ZL20rocblas_gemvn_kernelILi64ELi4ElPKDF16_fKPDF16_EviiT3_lPKT2_lT1_lS7_lS8_lS4_lPT4_lS8_li.has_dyn_sized_stack, 0
	.set _ZL20rocblas_gemvn_kernelILi64ELi4ElPKDF16_fKPDF16_EviiT3_lPKT2_lT1_lS7_lS8_lS4_lPT4_lS8_li.has_recursion, 0
	.set _ZL20rocblas_gemvn_kernelILi64ELi4ElPKDF16_fKPDF16_EviiT3_lPKT2_lT1_lS7_lS8_lS4_lPT4_lS8_li.has_indirect_call, 0
	.section	.AMDGPU.csdata,"",@progbits
; Kernel info:
; codeLenInByte = 3148
; TotalNumSgprs: 37
; NumVgprs: 56
; ScratchSize: 0
; MemoryBound: 0
; FloatMode: 240
; IeeeMode: 1
; LDSByteSize: 4096 bytes/workgroup (compile time only)
; SGPRBlocks: 0
; VGPRBlocks: 6
; NumSGPRsForWavesPerEU: 37
; NumVGPRsForWavesPerEU: 56
; Occupancy: 16
; WaveLimiterHint : 1
; COMPUTE_PGM_RSRC2:SCRATCH_EN: 0
; COMPUTE_PGM_RSRC2:USER_SGPR: 6
; COMPUTE_PGM_RSRC2:TRAP_HANDLER: 0
; COMPUTE_PGM_RSRC2:TGID_X_EN: 1
; COMPUTE_PGM_RSRC2:TGID_Y_EN: 0
; COMPUTE_PGM_RSRC2:TGID_Z_EN: 1
; COMPUTE_PGM_RSRC2:TIDIG_COMP_CNT: 1
	.section	.text._ZL20rocblas_gemvn_kernelILi32ELi16EiPKDF16_PKfKPDF16_EviiT3_lPKT2_lT1_lS9_lSA_lS6_lPT4_lSA_li,"axG",@progbits,_ZL20rocblas_gemvn_kernelILi32ELi16EiPKDF16_PKfKPDF16_EviiT3_lPKT2_lT1_lS9_lSA_lS6_lPT4_lSA_li,comdat
	.globl	_ZL20rocblas_gemvn_kernelILi32ELi16EiPKDF16_PKfKPDF16_EviiT3_lPKT2_lT1_lS9_lSA_lS6_lPT4_lSA_li ; -- Begin function _ZL20rocblas_gemvn_kernelILi32ELi16EiPKDF16_PKfKPDF16_EviiT3_lPKT2_lT1_lS9_lSA_lS6_lPT4_lSA_li
	.p2align	8
	.type	_ZL20rocblas_gemvn_kernelILi32ELi16EiPKDF16_PKfKPDF16_EviiT3_lPKT2_lT1_lS9_lSA_lS6_lPT4_lSA_li,@function
_ZL20rocblas_gemvn_kernelILi32ELi16EiPKDF16_PKfKPDF16_EviiT3_lPKT2_lT1_lS9_lSA_lS6_lPT4_lSA_li: ; @_ZL20rocblas_gemvn_kernelILi32ELi16EiPKDF16_PKfKPDF16_EviiT3_lPKT2_lT1_lS9_lSA_lS6_lPT4_lSA_li
; %bb.0:
	s_load_dwordx2 s[2:3], s[4:5], 0x9c
	s_waitcnt lgkmcnt(0)
	s_lshr_b32 s1, s2, 16
	s_and_b32 s2, s2, 0xffff
	s_and_b32 s3, s3, 0xffff
	s_mul_i32 s1, s1, s2
	s_mul_i32 s1, s1, s3
	s_cmpk_lg_i32 s1, 0x200
	s_cbranch_scc1 .LBB430_54
; %bb.1:
	s_clause 0x1
	s_load_dwordx8 s[16:23], s[4:5], 0x8
	s_load_dwordx8 s[8:15], s[4:5], 0x58
	s_mov_b32 s0, s7
	s_waitcnt lgkmcnt(0)
	s_mul_i32 s1, s19, s7
	s_mul_hi_u32 s3, s18, s7
	s_mul_i32 s2, s18, s7
	s_add_i32 s3, s3, s1
	s_mul_i32 s1, s11, s7
	s_lshl_b64 s[2:3], s[2:3], 2
	s_mul_hi_u32 s7, s10, s7
	s_add_u32 s2, s16, s2
	s_addc_u32 s3, s17, s3
	s_add_i32 s11, s7, s1
	s_mul_i32 s10, s10, s0
	s_lshl_b64 s[10:11], s[10:11], 2
	s_add_u32 s8, s8, s10
	s_addc_u32 s9, s9, s11
	s_load_dword s18, s[2:3], 0x0
	s_load_dword s7, s[8:9], 0x0
	s_waitcnt lgkmcnt(0)
	v_cmp_eq_f32_e64 s2, s18, 0
	v_cmp_eq_f32_e64 s1, s7, 1.0
	s_and_b32 s1, s2, s1
	s_and_b32 vcc_lo, exec_lo, s1
	s_mov_b32 s1, 0
	s_cbranch_vccnz .LBB430_54
; %bb.2:
	v_cmp_neq_f32_e64 s3, s18, 0
	s_mov_b64 s[16:17], 0
	s_and_b32 vcc_lo, exec_lo, s2
	s_mov_b64 s[10:11], 0
	s_cbranch_vccnz .LBB430_4
; %bb.3:
	s_lshl_b64 s[8:9], s[0:1], 3
	s_add_u32 s8, s20, s8
	s_addc_u32 s9, s21, s9
	s_lshl_b64 s[10:11], s[22:23], 1
	s_load_dwordx2 s[8:9], s[8:9], 0x0
	s_waitcnt lgkmcnt(0)
	s_add_u32 s10, s8, s10
	s_addc_u32 s11, s9, s11
.LBB430_4:
	s_andn2_b32 vcc_lo, exec_lo, s3
	s_cbranch_vccnz .LBB430_6
; %bb.5:
	s_load_dwordx4 s[20:23], s[4:5], 0x38
	s_lshl_b64 s[8:9], s[0:1], 3
	s_waitcnt lgkmcnt(0)
	s_add_u32 s8, s20, s8
	s_addc_u32 s9, s21, s9
	s_lshl_b64 s[16:17], s[22:23], 1
	s_load_dwordx2 s[8:9], s[8:9], 0x0
	s_waitcnt lgkmcnt(0)
	s_add_u32 s16, s8, s16
	s_addc_u32 s17, s9, s17
.LBB430_6:
	s_lshl_b64 s[0:1], s[0:1], 3
	v_lshlrev_b32_e32 v14, 5, v1
	s_add_u32 s0, s12, s0
	s_addc_u32 s1, s13, s1
	s_lshl_b64 s[14:15], s[14:15], 1
	s_load_dwordx2 s[12:13], s[0:1], 0x0
	s_clause 0x1
	s_load_dwordx2 s[8:9], s[4:5], 0x0
	s_load_dword s19, s[4:5], 0x78
	v_add_nc_u32_e32 v13, v14, v0
	v_cmp_gt_u32_e64 s0, 0x80, v13
	s_waitcnt lgkmcnt(0)
	s_add_u32 s12, s12, s14
	s_addc_u32 s13, s13, s15
	s_andn2_b32 vcc_lo, exec_lo, s2
	s_cbranch_vccnz .LBB430_13
; %bb.7:
	s_mov_b32 s1, 0
	s_mov_b32 s14, 0
                                        ; implicit-def: $vgpr5
                                        ; implicit-def: $vgpr2_vgpr3
	s_and_saveexec_b32 s2, s0
	s_cbranch_execz .LBB430_14
; %bb.8:
	v_lshl_or_b32 v4, s6, 7, v13
	v_mov_b32_e32 v5, 0
	s_ashr_i32 s15, s8, 31
	s_mov_b32 s14, s8
	s_mov_b32 s3, 0
	s_mov_b32 s0, exec_lo
                                        ; implicit-def: $vgpr2_vgpr3
	v_cmpx_gt_i64_e64 s[14:15], v[4:5]
	s_cbranch_execz .LBB430_12
; %bb.9:
	v_mad_u64_u32 v[2:3], null, s19, v4, 0
	s_ashr_i32 s3, s19, 31
	v_mad_u64_u32 v[3:4], null, s3, v4, v[3:4]
	v_cmp_eq_f32_e64 s3, s7, 0
	s_and_b32 vcc_lo, exec_lo, s3
	s_cbranch_vccnz .LBB430_11
; %bb.10:
	v_lshlrev_b64 v[4:5], 1, v[2:3]
	v_add_co_u32 v4, vcc_lo, s12, v4
	v_add_co_ci_u32_e64 v5, null, s13, v5, vcc_lo
	flat_load_ushort v4, v[4:5]
	s_waitcnt vmcnt(0) lgkmcnt(0)
	v_fma_mixlo_f16 v5, s7, v4, 0 op_sel_hi:[0,1,0]
.LBB430_11:
	s_mov_b32 s3, exec_lo
.LBB430_12:
	s_or_b32 exec_lo, exec_lo, s0
	s_and_b32 s14, s3, exec_lo
	s_or_b32 exec_lo, exec_lo, s2
	s_and_b32 vcc_lo, exec_lo, s1
	s_cbranch_vccnz .LBB430_15
	s_branch .LBB430_52
.LBB430_13:
	s_mov_b32 s14, 0
                                        ; implicit-def: $vgpr5
                                        ; implicit-def: $vgpr2_vgpr3
	s_cbranch_execnz .LBB430_15
	s_branch .LBB430_52
.LBB430_14:
	s_or_b32 exec_lo, exec_lo, s2
	s_and_b32 vcc_lo, exec_lo, s1
	s_cbranch_vccz .LBB430_52
.LBB430_15:
	s_clause 0x1
	s_load_dword s15, s[4:5], 0x28
	s_load_dword s4, s[4:5], 0x48
	s_ashr_i32 s0, s9, 31
	s_lshl_b32 s5, s6, 7
	s_lshr_b32 s0, s0, 26
	v_lshlrev_b32_e32 v20, 2, v1
	v_add_nc_u32_e32 v16, s5, v0
	v_mov_b32_e32 v19, 0
	v_mov_b32_e32 v18, 0
	;; [unrolled: 1-line block ×4, first 2 shown]
	s_add_i32 s0, s9, s0
	s_mov_b32 s20, exec_lo
	s_and_b32 s6, s0, 0xffffffc0
	v_cmpx_gt_i32_e64 s6, v20
	s_cbranch_execz .LBB430_27
; %bb.16:
	v_add_nc_u32_e32 v5, 0x60, v16
	s_waitcnt lgkmcnt(0)
	v_mul_lo_u32 v3, s15, v20
	v_add_nc_u32_e32 v2, 32, v16
	v_add_nc_u32_e32 v6, 2, v20
	;; [unrolled: 1-line block ×3, first 2 shown]
	v_cmp_gt_i32_e64 s2, s8, v5
	v_mul_lo_u32 v5, v1, s15
	v_add_nc_u32_e32 v7, 3, v20
	v_mul_lo_u32 v8, v1, s4
	v_cmp_gt_i32_e64 s0, s8, v2
	v_add3_u32 v21, v3, s15, v0
	v_mad_u64_u32 v[2:3], null, s15, v6, v[0:1]
	v_cmp_gt_i32_e64 s1, s8, v4
	v_mad_u64_u32 v[3:4], null, s15, v7, v[0:1]
	v_lshl_add_u32 v22, v5, 2, v0
	v_mad_u64_u32 v[4:5], null, s4, v20, s[4:5]
	v_mul_lo_u32 v23, s4, v6
	v_mul_lo_u32 v24, s4, v7
	v_lshlrev_b32_e32 v25, 2, v8
	v_mov_b32_e32 v19, 0
	v_mov_b32_e32 v18, 0
	;; [unrolled: 1-line block ×4, first 2 shown]
	s_lshl_b32 s21, s15, 6
	s_lshl_b32 s23, s4, 6
	s_mov_b32 s22, 0
	s_mov_b32 s24, 0
	v_cmp_gt_i32_e32 vcc_lo, s8, v16
	s_branch .LBB430_21
.LBB430_17:                             ;   in Loop: Header=BB430_21 Depth=1
	s_or_b32 exec_lo, exec_lo, s27
	s_waitcnt vmcnt(3) lgkmcnt(3)
	v_fma_mix_f32 v5, v38, v42, v17 op_sel_hi:[0,1,0]
	s_waitcnt vmcnt(2) lgkmcnt(2)
	v_fma_mix_f32 v5, v39, v43, v5 op_sel_hi:[0,1,0]
	;; [unrolled: 2-line block ×4, first 2 shown]
.LBB430_18:                             ;   in Loop: Header=BB430_21 Depth=1
	s_or_b32 exec_lo, exec_lo, s26
	s_waitcnt vmcnt(3) lgkmcnt(3)
	v_fma_mix_f32 v5, v38, v34, v18 op_sel_hi:[0,1,0]
	s_waitcnt vmcnt(2) lgkmcnt(2)
	v_fma_mix_f32 v5, v39, v35, v5 op_sel_hi:[0,1,0]
	;; [unrolled: 2-line block ×4, first 2 shown]
.LBB430_19:                             ;   in Loop: Header=BB430_21 Depth=1
	s_or_b32 exec_lo, exec_lo, s3
	s_waitcnt vmcnt(3) lgkmcnt(3)
	v_fma_mix_f32 v5, v26, v30, v19 op_sel_hi:[1,1,0]
	s_waitcnt vmcnt(2) lgkmcnt(2)
	v_fma_mix_f32 v5, v27, v31, v5 op_sel_hi:[1,1,0]
	;; [unrolled: 2-line block ×4, first 2 shown]
.LBB430_20:                             ;   in Loop: Header=BB430_21 Depth=1
	s_or_b32 exec_lo, exec_lo, s25
	v_add_nc_u32_e32 v20, 64, v20
	v_add_nc_u32_e32 v21, s21, v21
	;; [unrolled: 1-line block ×5, first 2 shown]
	v_cmp_le_i32_e64 s3, s6, v20
	s_add_i32 s24, s24, s23
	s_or_b32 s22, s3, s22
	s_andn2_b32 exec_lo, exec_lo, s22
	s_cbranch_execz .LBB430_26
.LBB430_21:                             ; =>This Inner Loop Header: Depth=1
	s_and_saveexec_b32 s25, vcc_lo
	s_cbranch_execz .LBB430_20
; %bb.22:                               ;   in Loop: Header=BB430_21 Depth=1
	v_add_nc_u32_e32 v5, s24, v25
	v_add_nc_u32_e32 v7, s24, v4
	;; [unrolled: 1-line block ×5, first 2 shown]
	v_ashrrev_i32_e32 v6, 31, v5
	v_ashrrev_i32_e32 v8, 31, v7
	;; [unrolled: 1-line block ×5, first 2 shown]
	v_lshlrev_b64 v[5:6], 1, v[5:6]
	v_lshlrev_b64 v[7:8], 1, v[7:8]
	;; [unrolled: 1-line block ×3, first 2 shown]
	v_add_co_u32 v28, s3, s16, v5
	v_add_co_ci_u32_e64 v29, null, s17, v6, s3
	v_add_co_u32 v30, s3, s16, v7
	v_add_nc_u32_e32 v7, s5, v21
	v_add_co_ci_u32_e64 v31, null, s17, v8, s3
	v_lshlrev_b64 v[5:6], 1, v[11:12]
	v_add_co_u32 v32, s3, s16, v9
	v_add_nc_u32_e32 v11, s5, v2
	v_add_co_ci_u32_e64 v33, null, s17, v10, s3
	v_lshlrev_b64 v[9:10], 1, v[26:27]
	v_add_nc_u32_e32 v26, s5, v3
	v_ashrrev_i32_e32 v8, 31, v7
	v_ashrrev_i32_e32 v12, 31, v11
	v_add_co_u32 v34, s3, s16, v5
	v_ashrrev_i32_e32 v27, 31, v26
	v_add_co_ci_u32_e64 v35, null, s17, v6, s3
	v_lshlrev_b64 v[7:8], 1, v[7:8]
	v_add_co_u32 v5, s3, s10, v9
	v_add_co_ci_u32_e64 v6, null, s11, v10, s3
	v_lshlrev_b64 v[9:10], 1, v[11:12]
	v_lshlrev_b64 v[11:12], 1, v[26:27]
	v_add_co_u32 v7, s3, s10, v7
	v_add_co_ci_u32_e64 v8, null, s11, v8, s3
	v_add_co_u32 v9, s3, s10, v9
	v_add_co_ci_u32_e64 v10, null, s11, v10, s3
	;; [unrolled: 2-line block ×3, first 2 shown]
	s_clause 0x3
	flat_load_ushort v26, v[28:29]
	flat_load_ushort v27, v[30:31]
	;; [unrolled: 1-line block ×4, first 2 shown]
	s_clause 0x3
	flat_load_ushort v30, v[5:6]
	flat_load_ushort v31, v[7:8]
	;; [unrolled: 1-line block ×4, first 2 shown]
	s_and_saveexec_b32 s3, s0
	s_cbranch_execz .LBB430_19
; %bb.23:                               ;   in Loop: Header=BB430_21 Depth=1
	s_clause 0x3
	flat_load_ushort v34, v[5:6] offset:64
	flat_load_ushort v35, v[7:8] offset:64
	;; [unrolled: 1-line block ×4, first 2 shown]
	s_waitcnt vmcnt(11) lgkmcnt(11)
	v_cvt_f32_f16_e32 v38, v26
	s_waitcnt vmcnt(10) lgkmcnt(10)
	v_cvt_f32_f16_e32 v39, v27
	;; [unrolled: 2-line block ×4, first 2 shown]
	s_and_saveexec_b32 s26, s1
	s_cbranch_execz .LBB430_18
; %bb.24:                               ;   in Loop: Header=BB430_21 Depth=1
	s_clause 0x3
	flat_load_ushort v42, v[5:6] offset:128
	flat_load_ushort v43, v[7:8] offset:128
	;; [unrolled: 1-line block ×4, first 2 shown]
	s_and_saveexec_b32 s27, s2
	s_cbranch_execz .LBB430_17
; %bb.25:                               ;   in Loop: Header=BB430_21 Depth=1
	s_clause 0x3
	flat_load_ushort v5, v[5:6] offset:192
	flat_load_ushort v6, v[7:8] offset:192
	;; [unrolled: 1-line block ×4, first 2 shown]
	s_waitcnt vmcnt(3) lgkmcnt(3)
	v_fma_mix_f32 v5, v38, v5, v15 op_sel_hi:[0,1,0]
	s_waitcnt vmcnt(2) lgkmcnt(2)
	v_fma_mix_f32 v5, v39, v6, v5 op_sel_hi:[0,1,0]
	;; [unrolled: 2-line block ×4, first 2 shown]
	s_branch .LBB430_17
.LBB430_26:
	s_or_b32 exec_lo, exec_lo, s22
.LBB430_27:
	s_or_b32 exec_lo, exec_lo, s20
	s_sub_i32 s0, s9, s6
	s_cmp_lt_i32 s0, 1
	s_cbranch_scc1 .LBB430_45
; %bb.28:
	v_cmp_gt_i32_e32 vcc_lo, s9, v20
	v_mov_b32_e32 v10, 0
	v_or_b32_e32 v2, 1, v20
	v_mov_b32_e32 v11, 0
	v_mov_b32_e32 v12, 0
	;; [unrolled: 1-line block ×3, first 2 shown]
	s_and_saveexec_b32 s1, vcc_lo
	s_cbranch_execz .LBB430_36
; %bb.29:
	s_waitcnt lgkmcnt(0)
	v_mul_lo_u32 v3, v20, s4
	v_mov_b32_e32 v12, 0
	v_mov_b32_e32 v11, 0
	;; [unrolled: 1-line block ×3, first 2 shown]
	s_mov_b32 s2, exec_lo
	v_ashrrev_i32_e32 v4, 31, v3
	v_lshlrev_b64 v[3:4], 1, v[3:4]
	v_add_co_u32 v3, s0, s16, v3
	v_add_co_ci_u32_e64 v4, null, s17, v4, s0
	flat_load_ushort v3, v[3:4]
	v_cmpx_gt_i32_e64 s9, v2
	s_cbranch_execz .LBB430_35
; %bb.30:
	v_mul_lo_u32 v4, v2, s4
	v_mov_b32_e32 v11, 0
	v_mov_b32_e32 v10, 0
	s_mov_b32 s3, exec_lo
	v_ashrrev_i32_e32 v5, 31, v4
	v_lshlrev_b64 v[4:5], 1, v[4:5]
	v_add_co_u32 v4, s0, s16, v4
	v_add_co_ci_u32_e64 v5, null, s17, v5, s0
	flat_load_ushort v4, v[4:5]
	v_or_b32_e32 v5, 2, v20
	v_cmpx_gt_i32_e64 s9, v5
	s_cbranch_execz .LBB430_34
; %bb.31:
	v_mul_lo_u32 v5, v5, s4
	v_mov_b32_e32 v10, 0
	s_mov_b32 s6, exec_lo
	v_ashrrev_i32_e32 v6, 31, v5
	v_lshlrev_b64 v[5:6], 1, v[5:6]
	v_add_co_u32 v5, s0, s16, v5
	v_add_co_ci_u32_e64 v6, null, s17, v6, s0
	flat_load_ushort v5, v[5:6]
	v_or_b32_e32 v6, 3, v20
	v_cmpx_gt_i32_e64 s9, v6
	s_cbranch_execz .LBB430_33
; %bb.32:
	v_mul_lo_u32 v6, v6, s4
	v_ashrrev_i32_e32 v7, 31, v6
	v_lshlrev_b64 v[6:7], 1, v[6:7]
	v_add_co_u32 v6, s0, s16, v6
	v_add_co_ci_u32_e64 v7, null, s17, v7, s0
	flat_load_ushort v6, v[6:7]
	s_waitcnt vmcnt(0) lgkmcnt(0)
	v_cvt_f32_f16_e32 v10, v6
.LBB430_33:
	s_or_b32 exec_lo, exec_lo, s6
	s_waitcnt vmcnt(0) lgkmcnt(0)
	v_cvt_f32_f16_e32 v11, v5
.LBB430_34:
	s_or_b32 exec_lo, exec_lo, s3
	s_waitcnt vmcnt(0) lgkmcnt(0)
	v_cvt_f32_f16_e32 v12, v4
.LBB430_35:
	s_or_b32 exec_lo, exec_lo, s2
	s_waitcnt vmcnt(0) lgkmcnt(0)
	v_cvt_f32_f16_e32 v21, v3
.LBB430_36:
	s_or_b32 exec_lo, exec_lo, s1
	s_mov_b32 s1, exec_lo
	v_cmpx_gt_i32_e64 s8, v16
	s_cbranch_execz .LBB430_44
; %bb.37:
	s_waitcnt lgkmcnt(0)
	v_mul_lo_u32 v3, v20, s15
	v_or_b32_e32 v4, 2, v20
	v_mul_lo_u32 v5, v2, s15
	v_or_b32_e32 v6, 3, v20
	s_mov_b32 s0, exec_lo
	v_mul_lo_u32 v7, v4, s15
	v_mul_lo_u32 v8, v6, s15
	v_cndmask_b32_e32 v3, 0, v3, vcc_lo
	v_cmp_gt_i32_e32 vcc_lo, s9, v2
	v_add_nc_u32_e32 v2, v3, v16
	v_cndmask_b32_e32 v5, 0, v5, vcc_lo
	v_cmp_gt_i32_e32 vcc_lo, s9, v4
	v_ashrrev_i32_e32 v3, 31, v2
	v_add_nc_u32_e32 v4, v5, v16
	v_cndmask_b32_e32 v7, 0, v7, vcc_lo
	v_cmp_gt_i32_e32 vcc_lo, s9, v6
	v_lshlrev_b64 v[2:3], 1, v[2:3]
	v_ashrrev_i32_e32 v5, 31, v4
	v_add_nc_u32_e32 v6, v7, v16
	v_cndmask_b32_e32 v8, 0, v8, vcc_lo
	v_lshlrev_b64 v[4:5], 1, v[4:5]
	v_ashrrev_i32_e32 v7, 31, v6
	v_add_nc_u32_e32 v8, v8, v16
	v_add_co_u32 v2, vcc_lo, s10, v2
	v_add_co_ci_u32_e64 v3, null, s11, v3, vcc_lo
	v_lshlrev_b64 v[6:7], 1, v[6:7]
	v_ashrrev_i32_e32 v9, 31, v8
	v_add_co_u32 v4, vcc_lo, s10, v4
	v_add_co_ci_u32_e64 v5, null, s11, v5, vcc_lo
	flat_load_ushort v22, v[2:3]
	v_add_co_u32 v6, vcc_lo, s10, v6
	v_add_co_ci_u32_e64 v7, null, s11, v7, vcc_lo
	v_lshlrev_b64 v[8:9], 1, v[8:9]
	s_clause 0x1
	flat_load_ushort v23, v[4:5]
	flat_load_ushort v24, v[6:7]
	v_add_co_u32 v8, vcc_lo, s10, v8
	v_add_co_ci_u32_e64 v9, null, s11, v9, vcc_lo
	flat_load_ushort v20, v[8:9]
	s_waitcnt vmcnt(3) lgkmcnt(3)
	v_fma_mix_f32 v19, v21, v22, v19 op_sel_hi:[0,1,0]
	v_add_nc_u32_e32 v22, 32, v16
	s_waitcnt vmcnt(2) lgkmcnt(2)
	v_fma_mix_f32 v19, v12, v23, v19 op_sel_hi:[0,1,0]
	s_waitcnt vmcnt(1) lgkmcnt(1)
	v_fma_mix_f32 v19, v11, v24, v19 op_sel_hi:[0,1,0]
	v_cmpx_gt_i32_e64 s8, v22
	s_cbranch_execz .LBB430_43
; %bb.38:
	s_clause 0x3
	flat_load_ushort v23, v[2:3] offset:64
	flat_load_ushort v24, v[4:5] offset:64
	;; [unrolled: 1-line block ×4, first 2 shown]
	s_mov_b32 s2, exec_lo
	s_waitcnt vmcnt(3) lgkmcnt(3)
	v_fma_mix_f32 v18, v21, v23, v18 op_sel_hi:[0,1,0]
	v_add_nc_u32_e32 v23, 64, v16
	s_waitcnt vmcnt(2) lgkmcnt(2)
	v_fma_mix_f32 v18, v12, v24, v18 op_sel_hi:[0,1,0]
	s_waitcnt vmcnt(1) lgkmcnt(1)
	v_fma_mix_f32 v18, v11, v25, v18 op_sel_hi:[0,1,0]
	v_cmpx_gt_i32_e64 s8, v23
	s_cbranch_execz .LBB430_42
; %bb.39:
	s_clause 0x3
	flat_load_ushort v24, v[2:3] offset:128
	flat_load_ushort v25, v[4:5] offset:128
	;; [unrolled: 1-line block ×4, first 2 shown]
	s_mov_b32 s3, exec_lo
	s_waitcnt vmcnt(3) lgkmcnt(3)
	v_fma_mix_f32 v17, v21, v24, v17 op_sel_hi:[0,1,0]
	v_add_nc_u32_e32 v24, 0x60, v16
	s_waitcnt vmcnt(2) lgkmcnt(2)
	v_fma_mix_f32 v17, v12, v25, v17 op_sel_hi:[0,1,0]
	s_waitcnt vmcnt(1) lgkmcnt(1)
	v_fma_mix_f32 v16, v11, v26, v17 op_sel_hi:[0,1,0]
	v_cmpx_gt_i32_e64 s8, v24
	s_cbranch_execz .LBB430_41
; %bb.40:
	s_clause 0x3
	flat_load_ushort v2, v[2:3] offset:192
	flat_load_ushort v3, v[4:5] offset:192
	;; [unrolled: 1-line block ×4, first 2 shown]
	s_waitcnt vmcnt(3) lgkmcnt(3)
	v_fma_mix_f32 v2, v21, v2, v15 op_sel_hi:[0,1,0]
	s_waitcnt vmcnt(2) lgkmcnt(2)
	v_fma_mix_f32 v2, v12, v3, v2 op_sel_hi:[0,1,0]
	s_waitcnt vmcnt(1) lgkmcnt(1)
	v_fma_mix_f32 v2, v11, v4, v2 op_sel_hi:[0,1,0]
	s_waitcnt vmcnt(0) lgkmcnt(0)
	v_fma_mix_f32 v15, v10, v5, v2 op_sel_hi:[0,1,0]
.LBB430_41:
	s_or_b32 exec_lo, exec_lo, s3
	s_waitcnt vmcnt(0) lgkmcnt(0)
	v_fma_mix_f32 v17, v10, v23, v16 op_sel_hi:[0,1,0]
.LBB430_42:
	s_or_b32 exec_lo, exec_lo, s2
	s_waitcnt vmcnt(0) lgkmcnt(0)
	v_fma_mix_f32 v18, v10, v22, v18 op_sel_hi:[0,1,0]
.LBB430_43:
	s_or_b32 exec_lo, exec_lo, s0
	s_waitcnt vmcnt(0) lgkmcnt(0)
	v_fma_mix_f32 v19, v10, v20, v19 op_sel_hi:[0,1,0]
.LBB430_44:
	s_or_b32 exec_lo, exec_lo, s1
.LBB430_45:
	v_lshlrev_b32_e32 v0, 2, v0
	s_mov_b32 s0, exec_lo
                                        ; implicit-def: $vgpr5
                                        ; implicit-def: $vgpr2_vgpr3
	v_lshl_add_u32 v1, v1, 9, v0
	ds_write2_b32 v1, v19, v18 offset1:32
	ds_write2_b32 v1, v17, v15 offset0:64 offset1:96
	s_waitcnt lgkmcnt(0)
	s_barrier
	buffer_gl0_inv
	v_cmpx_gt_u32_e32 0x80, v13
	s_cbranch_execz .LBB430_51
; %bb.46:
	v_lshl_add_u32 v6, v14, 2, v0
	s_mov_b32 s2, s14
	s_mov_b32 s1, exec_lo
	ds_read2st64_b32 v[0:1], v6 offset1:2
	ds_read2st64_b32 v[2:3], v6 offset0:4 offset1:6
	ds_read2st64_b32 v[4:5], v6 offset0:8 offset1:10
	s_waitcnt lgkmcnt(2)
	v_add_f32_e32 v7, v0, v1
	ds_read2st64_b32 v[0:1], v6 offset0:12 offset1:14
	s_waitcnt lgkmcnt(2)
	v_add_f32_e32 v2, v2, v7
	v_add_f32_e32 v7, v3, v2
	ds_read2st64_b32 v[2:3], v6 offset0:16 offset1:18
	s_waitcnt lgkmcnt(2)
	v_add_f32_e32 v4, v4, v7
	;; [unrolled: 4-line block ×3, first 2 shown]
	v_add_f32_e32 v0, v1, v0
	s_waitcnt lgkmcnt(1)
	v_add_f32_e32 v2, v2, v0
	ds_read2st64_b32 v[0:1], v6 offset0:24 offset1:26
	v_add_f32_e32 v2, v3, v2
	s_waitcnt lgkmcnt(1)
	v_add_f32_e32 v4, v4, v2
	ds_read2st64_b32 v[2:3], v6 offset0:28 offset1:30
	v_add_f32_e32 v4, v5, v4
                                        ; implicit-def: $vgpr5
	s_waitcnt lgkmcnt(1)
	v_add_f32_e32 v0, v0, v4
	v_add_f32_e32 v0, v1, v0
	v_or_b32_e32 v1, s5, v13
	s_waitcnt lgkmcnt(0)
	v_add_f32_e32 v0, v2, v0
	v_add_f32_e32 v0, v3, v0
                                        ; implicit-def: $vgpr2_vgpr3
	ds_write_b32 v6, v0
	v_cmpx_gt_i32_e64 s8, v1
	s_cbranch_execz .LBB430_50
; %bb.47:
	v_mul_lo_u32 v2, s19, v1
	v_cmp_eq_f32_e64 s2, s7, 0
	v_mul_f32_e32 v0, s18, v0
	s_and_b32 vcc_lo, exec_lo, s2
	v_ashrrev_i32_e32 v3, 31, v2
	s_cbranch_vccnz .LBB430_49
; %bb.48:
	v_lshlrev_b64 v[4:5], 1, v[2:3]
	v_add_co_u32 v4, vcc_lo, s12, v4
	v_add_co_ci_u32_e64 v5, null, s13, v5, vcc_lo
	flat_load_ushort v1, v[4:5]
	s_waitcnt vmcnt(0) lgkmcnt(0)
	v_fma_mix_f32 v0, s7, v1, v0 op_sel_hi:[0,1,0]
.LBB430_49:
	v_cvt_f16_f32_e32 v5, v0
	s_or_b32 s2, s14, exec_lo
.LBB430_50:
	s_or_b32 exec_lo, exec_lo, s1
	s_andn2_b32 s1, s14, exec_lo
	s_and_b32 s2, s2, exec_lo
	s_or_b32 s14, s1, s2
.LBB430_51:
	s_or_b32 exec_lo, exec_lo, s0
.LBB430_52:
	s_and_saveexec_b32 s0, s14
	s_cbranch_execz .LBB430_54
; %bb.53:
	v_lshlrev_b64 v[0:1], 1, v[2:3]
	v_add_co_u32 v0, vcc_lo, s12, v0
	v_add_co_ci_u32_e64 v1, null, s13, v1, vcc_lo
	flat_store_short v[0:1], v5
.LBB430_54:
	s_endpgm
	.section	.rodata,"a",@progbits
	.p2align	6, 0x0
	.amdhsa_kernel _ZL20rocblas_gemvn_kernelILi32ELi16EiPKDF16_PKfKPDF16_EviiT3_lPKT2_lT1_lS9_lSA_lS6_lPT4_lSA_li
		.amdhsa_group_segment_fixed_size 8192
		.amdhsa_private_segment_fixed_size 0
		.amdhsa_kernarg_size 400
		.amdhsa_user_sgpr_count 6
		.amdhsa_user_sgpr_private_segment_buffer 1
		.amdhsa_user_sgpr_dispatch_ptr 0
		.amdhsa_user_sgpr_queue_ptr 0
		.amdhsa_user_sgpr_kernarg_segment_ptr 1
		.amdhsa_user_sgpr_dispatch_id 0
		.amdhsa_user_sgpr_flat_scratch_init 0
		.amdhsa_user_sgpr_private_segment_size 0
		.amdhsa_wavefront_size32 1
		.amdhsa_uses_dynamic_stack 0
		.amdhsa_system_sgpr_private_segment_wavefront_offset 0
		.amdhsa_system_sgpr_workgroup_id_x 1
		.amdhsa_system_sgpr_workgroup_id_y 0
		.amdhsa_system_sgpr_workgroup_id_z 1
		.amdhsa_system_sgpr_workgroup_info 0
		.amdhsa_system_vgpr_workitem_id 1
		.amdhsa_next_free_vgpr 46
		.amdhsa_next_free_sgpr 28
		.amdhsa_reserve_vcc 1
		.amdhsa_reserve_flat_scratch 1
		.amdhsa_float_round_mode_32 0
		.amdhsa_float_round_mode_16_64 0
		.amdhsa_float_denorm_mode_32 3
		.amdhsa_float_denorm_mode_16_64 3
		.amdhsa_dx10_clamp 1
		.amdhsa_ieee_mode 1
		.amdhsa_fp16_overflow 0
		.amdhsa_workgroup_processor_mode 1
		.amdhsa_memory_ordered 1
		.amdhsa_forward_progress 1
		.amdhsa_shared_vgpr_count 0
		.amdhsa_exception_fp_ieee_invalid_op 0
		.amdhsa_exception_fp_denorm_src 0
		.amdhsa_exception_fp_ieee_div_zero 0
		.amdhsa_exception_fp_ieee_overflow 0
		.amdhsa_exception_fp_ieee_underflow 0
		.amdhsa_exception_fp_ieee_inexact 0
		.amdhsa_exception_int_div_zero 0
	.end_amdhsa_kernel
	.section	.text._ZL20rocblas_gemvn_kernelILi32ELi16EiPKDF16_PKfKPDF16_EviiT3_lPKT2_lT1_lS9_lSA_lS6_lPT4_lSA_li,"axG",@progbits,_ZL20rocblas_gemvn_kernelILi32ELi16EiPKDF16_PKfKPDF16_EviiT3_lPKT2_lT1_lS9_lSA_lS6_lPT4_lSA_li,comdat
.Lfunc_end430:
	.size	_ZL20rocblas_gemvn_kernelILi32ELi16EiPKDF16_PKfKPDF16_EviiT3_lPKT2_lT1_lS9_lSA_lS6_lPT4_lSA_li, .Lfunc_end430-_ZL20rocblas_gemvn_kernelILi32ELi16EiPKDF16_PKfKPDF16_EviiT3_lPKT2_lT1_lS9_lSA_lS6_lPT4_lSA_li
                                        ; -- End function
	.set _ZL20rocblas_gemvn_kernelILi32ELi16EiPKDF16_PKfKPDF16_EviiT3_lPKT2_lT1_lS9_lSA_lS6_lPT4_lSA_li.num_vgpr, 46
	.set _ZL20rocblas_gemvn_kernelILi32ELi16EiPKDF16_PKfKPDF16_EviiT3_lPKT2_lT1_lS9_lSA_lS6_lPT4_lSA_li.num_agpr, 0
	.set _ZL20rocblas_gemvn_kernelILi32ELi16EiPKDF16_PKfKPDF16_EviiT3_lPKT2_lT1_lS9_lSA_lS6_lPT4_lSA_li.numbered_sgpr, 28
	.set _ZL20rocblas_gemvn_kernelILi32ELi16EiPKDF16_PKfKPDF16_EviiT3_lPKT2_lT1_lS9_lSA_lS6_lPT4_lSA_li.num_named_barrier, 0
	.set _ZL20rocblas_gemvn_kernelILi32ELi16EiPKDF16_PKfKPDF16_EviiT3_lPKT2_lT1_lS9_lSA_lS6_lPT4_lSA_li.private_seg_size, 0
	.set _ZL20rocblas_gemvn_kernelILi32ELi16EiPKDF16_PKfKPDF16_EviiT3_lPKT2_lT1_lS9_lSA_lS6_lPT4_lSA_li.uses_vcc, 1
	.set _ZL20rocblas_gemvn_kernelILi32ELi16EiPKDF16_PKfKPDF16_EviiT3_lPKT2_lT1_lS9_lSA_lS6_lPT4_lSA_li.uses_flat_scratch, 1
	.set _ZL20rocblas_gemvn_kernelILi32ELi16EiPKDF16_PKfKPDF16_EviiT3_lPKT2_lT1_lS9_lSA_lS6_lPT4_lSA_li.has_dyn_sized_stack, 0
	.set _ZL20rocblas_gemvn_kernelILi32ELi16EiPKDF16_PKfKPDF16_EviiT3_lPKT2_lT1_lS9_lSA_lS6_lPT4_lSA_li.has_recursion, 0
	.set _ZL20rocblas_gemvn_kernelILi32ELi16EiPKDF16_PKfKPDF16_EviiT3_lPKT2_lT1_lS9_lSA_lS6_lPT4_lSA_li.has_indirect_call, 0
	.section	.AMDGPU.csdata,"",@progbits
; Kernel info:
; codeLenInByte = 2984
; TotalNumSgprs: 30
; NumVgprs: 46
; ScratchSize: 0
; MemoryBound: 0
; FloatMode: 240
; IeeeMode: 1
; LDSByteSize: 8192 bytes/workgroup (compile time only)
; SGPRBlocks: 0
; VGPRBlocks: 5
; NumSGPRsForWavesPerEU: 30
; NumVGPRsForWavesPerEU: 46
; Occupancy: 16
; WaveLimiterHint : 1
; COMPUTE_PGM_RSRC2:SCRATCH_EN: 0
; COMPUTE_PGM_RSRC2:USER_SGPR: 6
; COMPUTE_PGM_RSRC2:TRAP_HANDLER: 0
; COMPUTE_PGM_RSRC2:TGID_X_EN: 1
; COMPUTE_PGM_RSRC2:TGID_Y_EN: 0
; COMPUTE_PGM_RSRC2:TGID_Z_EN: 1
; COMPUTE_PGM_RSRC2:TIDIG_COMP_CNT: 1
	.section	.text._ZL20rocblas_gemvn_kernelILi32ELi16ElPKDF16_PKfKPDF16_EviiT3_lPKT2_lT1_lS9_lSA_lS6_lPT4_lSA_li,"axG",@progbits,_ZL20rocblas_gemvn_kernelILi32ELi16ElPKDF16_PKfKPDF16_EviiT3_lPKT2_lT1_lS9_lSA_lS6_lPT4_lSA_li,comdat
	.globl	_ZL20rocblas_gemvn_kernelILi32ELi16ElPKDF16_PKfKPDF16_EviiT3_lPKT2_lT1_lS9_lSA_lS6_lPT4_lSA_li ; -- Begin function _ZL20rocblas_gemvn_kernelILi32ELi16ElPKDF16_PKfKPDF16_EviiT3_lPKT2_lT1_lS9_lSA_lS6_lPT4_lSA_li
	.p2align	8
	.type	_ZL20rocblas_gemvn_kernelILi32ELi16ElPKDF16_PKfKPDF16_EviiT3_lPKT2_lT1_lS9_lSA_lS6_lPT4_lSA_li,@function
_ZL20rocblas_gemvn_kernelILi32ELi16ElPKDF16_PKfKPDF16_EviiT3_lPKT2_lT1_lS9_lSA_lS6_lPT4_lSA_li: ; @_ZL20rocblas_gemvn_kernelILi32ELi16ElPKDF16_PKfKPDF16_EviiT3_lPKT2_lT1_lS9_lSA_lS6_lPT4_lSA_li
; %bb.0:
	s_load_dwordx2 s[0:1], s[4:5], 0x9c
	s_waitcnt lgkmcnt(0)
	s_lshr_b32 s2, s0, 16
	s_and_b32 s0, s0, 0xffff
	s_and_b32 s1, s1, 0xffff
	s_mul_i32 s0, s2, s0
	s_mul_i32 s0, s0, s1
	s_cmpk_lg_i32 s0, 0x200
	s_cbranch_scc1 .LBB431_54
; %bb.1:
	s_clause 0x1
	s_load_dwordx8 s[16:23], s[4:5], 0x8
	s_load_dwordx8 s[8:15], s[4:5], 0x58
	s_mov_b32 s26, s7
	s_mov_b32 s27, 0
	s_waitcnt lgkmcnt(0)
	s_mul_i32 s1, s19, s7
	s_mul_hi_u32 s2, s18, s7
	s_mul_i32 s0, s18, s7
	s_add_i32 s1, s2, s1
	s_mul_i32 s2, s11, s7
	s_lshl_b64 s[0:1], s[0:1], 2
	s_mul_hi_u32 s3, s10, s7
	s_add_u32 s0, s16, s0
	s_addc_u32 s1, s17, s1
	s_add_i32 s3, s3, s2
	s_mul_i32 s2, s10, s7
	s_lshl_b64 s[2:3], s[2:3], 2
	s_add_u32 s2, s8, s2
	s_addc_u32 s3, s9, s3
	s_load_dword s29, s[0:1], 0x0
	s_load_dword s28, s[2:3], 0x0
	s_waitcnt lgkmcnt(0)
	v_cmp_eq_f32_e64 s7, s29, 0
	v_cmp_eq_f32_e64 s0, s28, 1.0
	s_and_b32 s0, s7, s0
	s_and_b32 vcc_lo, exec_lo, s0
	s_cbranch_vccnz .LBB431_54
; %bb.2:
	s_clause 0x1
	s_load_dwordx2 s[16:17], s[4:5], 0x28
	s_load_dwordx2 s[8:9], s[4:5], 0x78
	v_cmp_neq_f32_e64 s10, s29, 0
	s_mov_b64 s[24:25], 0
	s_and_b32 vcc_lo, exec_lo, s7
	s_mov_b64 s[18:19], 0
	s_cbranch_vccnz .LBB431_4
; %bb.3:
	s_lshl_b64 s[0:1], s[26:27], 3
	s_add_u32 s0, s20, s0
	s_addc_u32 s1, s21, s1
	s_lshl_b64 s[2:3], s[22:23], 1
	s_load_dwordx2 s[0:1], s[0:1], 0x0
	s_waitcnt lgkmcnt(0)
	s_add_u32 s18, s0, s2
	s_addc_u32 s19, s1, s3
.LBB431_4:
	s_clause 0x1
	s_load_dwordx4 s[0:3], s[4:5], 0x38
	s_load_dwordx2 s[20:21], s[4:5], 0x48
	s_andn2_b32 vcc_lo, exec_lo, s10
	s_cbranch_vccnz .LBB431_6
; %bb.5:
	s_lshl_b64 s[10:11], s[26:27], 3
	s_waitcnt lgkmcnt(0)
	s_add_u32 s0, s0, s10
	s_addc_u32 s1, s1, s11
	s_lshl_b64 s[2:3], s[2:3], 1
	s_load_dwordx2 s[0:1], s[0:1], 0x0
	s_waitcnt lgkmcnt(0)
	s_add_u32 s24, s0, s2
	s_addc_u32 s25, s1, s3
.LBB431_6:
	s_waitcnt lgkmcnt(0)
	s_lshl_b64 s[0:1], s[26:27], 3
	v_lshlrev_b32_e32 v22, 5, v1
	s_add_u32 s0, s12, s0
	s_addc_u32 s1, s13, s1
	s_lshl_b64 s[12:13], s[14:15], 1
	s_load_dwordx2 s[2:3], s[0:1], 0x0
	s_load_dwordx2 s[10:11], s[4:5], 0x0
	v_add_nc_u32_e32 v21, v22, v0
	v_cmp_gt_u32_e64 s0, 0x80, v21
	s_waitcnt lgkmcnt(0)
	s_add_u32 s5, s2, s12
	s_addc_u32 s22, s3, s13
	s_andn2_b32 vcc_lo, exec_lo, s7
	s_cbranch_vccnz .LBB431_13
; %bb.7:
	s_mov_b32 s1, 0
	s_mov_b32 s23, 0
                                        ; implicit-def: $vgpr5
                                        ; implicit-def: $vgpr2_vgpr3
	s_and_saveexec_b32 s2, s0
	s_cbranch_execz .LBB431_14
; %bb.8:
	v_lshl_or_b32 v4, s6, 7, v21
	v_mov_b32_e32 v5, 0
	s_ashr_i32 s13, s10, 31
	s_mov_b32 s12, s10
	s_mov_b32 s3, 0
	s_mov_b32 s0, exec_lo
                                        ; implicit-def: $vgpr2_vgpr3
	v_cmpx_gt_i64_e64 s[12:13], v[4:5]
	s_cbranch_execz .LBB431_12
; %bb.9:
	v_mad_u64_u32 v[2:3], null, s8, v4, 0
	v_cmp_eq_f32_e64 s3, s28, 0
	s_and_b32 vcc_lo, exec_lo, s3
	v_mad_u64_u32 v[3:4], null, s9, v4, v[3:4]
	s_cbranch_vccnz .LBB431_11
; %bb.10:
	v_lshlrev_b64 v[4:5], 1, v[2:3]
	v_add_co_u32 v4, vcc_lo, s5, v4
	v_add_co_ci_u32_e64 v5, null, s22, v5, vcc_lo
	flat_load_ushort v4, v[4:5]
	s_waitcnt vmcnt(0) lgkmcnt(0)
	v_fma_mixlo_f16 v5, s28, v4, 0 op_sel_hi:[0,1,0]
.LBB431_11:
	s_mov_b32 s3, exec_lo
.LBB431_12:
	s_or_b32 exec_lo, exec_lo, s0
	s_and_b32 s23, s3, exec_lo
	s_or_b32 exec_lo, exec_lo, s2
	s_and_b32 vcc_lo, exec_lo, s1
	s_cbranch_vccnz .LBB431_15
	s_branch .LBB431_52
.LBB431_13:
	s_mov_b32 s23, 0
                                        ; implicit-def: $vgpr5
                                        ; implicit-def: $vgpr2_vgpr3
	s_cbranch_execnz .LBB431_15
	s_branch .LBB431_52
.LBB431_14:
	s_or_b32 exec_lo, exec_lo, s2
	s_and_b32 vcc_lo, exec_lo, s1
	s_cbranch_vccz .LBB431_52
.LBB431_15:
	s_ashr_i32 s0, s11, 31
	s_lshl_b32 s26, s6, 7
	s_lshr_b32 s0, s0, 26
	v_lshlrev_b32_e32 v24, 2, v1
	v_mov_b32_e32 v27, 0
	v_add_nc_u32_e32 v2, s26, v0
	v_mov_b32_e32 v26, 0
	v_mov_b32_e32 v25, 0
	;; [unrolled: 1-line block ×3, first 2 shown]
	s_add_i32 s27, s11, s0
	s_mov_b32 s30, exec_lo
	s_andn2_b32 s27, s27, 63
	v_cmpx_gt_i32_e64 s27, v24
	s_cbranch_execz .LBB431_27
; %bb.16:
	v_lshlrev_b32_e32 v23, 2, v1
	v_add_nc_u32_e32 v4, 32, v2
	v_mad_u64_u32 v[7:8], null, s20, v1, 0
	v_mad_u64_u32 v[9:10], null, s16, v1, 0
	v_or_b32_e32 v27, 3, v23
	v_add_nc_u32_e32 v11, 64, v2
	v_add_nc_u32_e32 v12, 0x60, v2
	v_cmp_gt_i32_e64 s0, s10, v4
	v_or_b32_e32 v32, 2, v23
	v_mad_u64_u32 v[5:6], null, s16, v27, 0
	v_cmp_gt_i32_e64 s1, s10, v11
	v_cmp_gt_i32_e64 s2, s10, v12
	v_mad_u64_u32 v[16:17], null, s16, v32, 0
	v_mad_u64_u32 v[18:19], null, s20, v27, 0
	v_mov_b32_e32 v4, v6
	v_mov_b32_e32 v6, v8
	;; [unrolled: 1-line block ×3, first 2 shown]
	v_ashrrev_i32_e32 v3, 31, v2
	s_lshl_b64 s[6:7], s[16:17], 7
	v_mad_u64_u32 v[11:12], null, s17, v27, v[4:5]
	v_mad_u64_u32 v[12:13], null, s21, v1, v[6:7]
	v_mad_u64_u32 v[13:14], null, s17, v1, v[8:9]
	v_mad_u64_u32 v[14:15], null, s20, v23, s[20:21]
	v_mov_b32_e32 v6, v11
	v_lshlrev_b64 v[3:4], 1, v[2:3]
	v_mov_b32_e32 v8, v12
	s_lshl_b64 s[12:13], s[20:21], 7
	v_mov_b32_e32 v10, v13
	v_lshlrev_b64 v[11:12], 1, v[5:6]
	s_mov_b32 s31, 0
	v_lshlrev_b64 v[5:6], 3, v[7:8]
	v_mov_b32_e32 v7, v17
	v_mov_b32_e32 v8, v15
	v_lshlrev_b64 v[9:10], 3, v[9:10]
	v_add_co_u32 v28, s3, s18, v11
	v_add_co_ci_u32_e64 v29, null, s19, v12, s3
	v_mad_u64_u32 v[11:12], null, s16, v23, s[16:17]
	v_mad_u64_u32 v[25:26], null, s17, v32, v[7:8]
	v_mov_b32_e32 v7, v19
	v_mad_u64_u32 v[19:20], null, s21, v23, v[8:9]
	v_add_co_u32 v30, s3, s18, v9
	v_mad_u64_u32 v[7:8], null, s21, v27, v[7:8]
	v_mov_b32_e32 v8, v12
	v_mov_b32_e32 v17, v25
	v_mad_u64_u32 v[25:26], null, s20, v32, 0
	v_mov_b32_e32 v15, v19
	v_mad_u64_u32 v[12:13], null, s17, v23, v[8:9]
	v_lshlrev_b64 v[16:17], 1, v[16:17]
	v_mov_b32_e32 v19, v7
	v_add_co_ci_u32_e64 v31, null, s19, v10, s3
	v_mov_b32_e32 v8, v26
	v_mov_b32_e32 v23, 0
	v_lshlrev_b64 v[11:12], 1, v[11:12]
	s_mov_b64 s[14:15], s[24:25]
	v_cmp_gt_i32_e32 vcc_lo, s10, v2
	v_mad_u64_u32 v[26:27], null, s21, v32, v[8:9]
	v_add_co_u32 v32, s3, s18, v16
	v_add_co_ci_u32_e64 v33, null, s19, v17, s3
	v_add_co_u32 v34, s3, s18, v11
	v_lshlrev_b64 v[7:8], 1, v[14:15]
	v_lshlrev_b64 v[9:10], 1, v[18:19]
	v_add_co_ci_u32_e64 v35, null, s19, v12, s3
	v_lshlrev_b64 v[11:12], 1, v[25:26]
	v_mov_b32_e32 v27, 0
	v_mov_b32_e32 v26, 0
	;; [unrolled: 1-line block ×3, first 2 shown]
	s_branch .LBB431_21
.LBB431_17:                             ;   in Loop: Header=BB431_21 Depth=1
	s_or_b32 exec_lo, exec_lo, s34
	s_waitcnt vmcnt(3) lgkmcnt(3)
	v_fma_mix_f32 v13, v48, v52, v25 op_sel_hi:[0,1,0]
	s_waitcnt vmcnt(2) lgkmcnt(2)
	v_fma_mix_f32 v13, v49, v53, v13 op_sel_hi:[0,1,0]
	;; [unrolled: 2-line block ×4, first 2 shown]
.LBB431_18:                             ;   in Loop: Header=BB431_21 Depth=1
	s_or_b32 exec_lo, exec_lo, s33
	s_waitcnt vmcnt(3) lgkmcnt(3)
	v_fma_mix_f32 v13, v48, v44, v26 op_sel_hi:[0,1,0]
	s_waitcnt vmcnt(2) lgkmcnt(2)
	v_fma_mix_f32 v13, v49, v45, v13 op_sel_hi:[0,1,0]
	;; [unrolled: 2-line block ×4, first 2 shown]
.LBB431_19:                             ;   in Loop: Header=BB431_21 Depth=1
	s_or_b32 exec_lo, exec_lo, s3
	s_waitcnt vmcnt(3) lgkmcnt(3)
	v_fma_mix_f32 v13, v36, v40, v27 op_sel_hi:[1,1,0]
	s_waitcnt vmcnt(2) lgkmcnt(2)
	v_fma_mix_f32 v13, v37, v41, v13 op_sel_hi:[1,1,0]
	s_waitcnt vmcnt(1) lgkmcnt(1)
	v_fma_mix_f32 v13, v38, v42, v13 op_sel_hi:[1,1,0]
	s_waitcnt vmcnt(0) lgkmcnt(0)
	v_fma_mix_f32 v27, v39, v43, v13 op_sel_hi:[1,1,0]
.LBB431_20:                             ;   in Loop: Header=BB431_21 Depth=1
	s_or_b32 exec_lo, exec_lo, s4
	v_add_co_u32 v28, s3, v28, s6
	v_add_nc_u32_e32 v24, 64, v24
	v_add_co_ci_u32_e64 v29, null, s7, v29, s3
	v_add_co_u32 v30, s3, v30, s6
	v_add_co_ci_u32_e64 v31, null, s7, v31, s3
	v_add_co_u32 v32, s3, v32, s6
	v_add_co_ci_u32_e64 v33, null, s7, v33, s3
	v_cmp_le_i32_e64 s3, s27, v24
	v_add_co_u32 v34, s4, v34, s6
	v_add_co_ci_u32_e64 v35, null, s7, v35, s4
	s_add_u32 s14, s14, s12
	s_addc_u32 s15, s15, s13
	s_or_b32 s31, s3, s31
	s_andn2_b32 exec_lo, exec_lo, s31
	s_cbranch_execz .LBB431_26
.LBB431_21:                             ; =>This Inner Loop Header: Depth=1
	s_and_saveexec_b32 s4, vcc_lo
	s_cbranch_execz .LBB431_20
; %bb.22:                               ;   in Loop: Header=BB431_21 Depth=1
	v_add_co_u32 v36, s3, s14, v5
	v_add_co_ci_u32_e64 v37, null, s15, v6, s3
	v_add_co_u32 v38, s3, s14, v7
	v_add_co_ci_u32_e64 v39, null, s15, v8, s3
	;; [unrolled: 2-line block ×8, first 2 shown]
	s_clause 0x3
	flat_load_ushort v36, v[36:37]
	flat_load_ushort v37, v[38:39]
	;; [unrolled: 1-line block ×8, first 2 shown]
	s_and_saveexec_b32 s3, s0
	s_cbranch_execz .LBB431_19
; %bb.23:                               ;   in Loop: Header=BB431_21 Depth=1
	flat_load_ushort v44, v[13:14] offset:64
	flat_load_ushort v45, v[15:16] offset:64
	;; [unrolled: 1-line block ×4, first 2 shown]
	s_waitcnt vmcnt(11) lgkmcnt(11)
	v_cvt_f32_f16_e32 v48, v36
	s_waitcnt vmcnt(10) lgkmcnt(10)
	v_cvt_f32_f16_e32 v49, v37
	;; [unrolled: 2-line block ×4, first 2 shown]
	s_and_saveexec_b32 s33, s1
	s_cbranch_execz .LBB431_18
; %bb.24:                               ;   in Loop: Header=BB431_21 Depth=1
	flat_load_ushort v52, v[13:14] offset:128
	flat_load_ushort v53, v[15:16] offset:128
	;; [unrolled: 1-line block ×4, first 2 shown]
	s_and_saveexec_b32 s34, s2
	s_cbranch_execz .LBB431_17
; %bb.25:                               ;   in Loop: Header=BB431_21 Depth=1
	flat_load_ushort v13, v[13:14] offset:192
	flat_load_ushort v14, v[15:16] offset:192
	;; [unrolled: 1-line block ×4, first 2 shown]
	s_waitcnt vmcnt(3) lgkmcnt(3)
	v_fma_mix_f32 v13, v48, v13, v23 op_sel_hi:[0,1,0]
	s_waitcnt vmcnt(2) lgkmcnt(2)
	v_fma_mix_f32 v13, v49, v14, v13 op_sel_hi:[0,1,0]
	;; [unrolled: 2-line block ×4, first 2 shown]
	s_branch .LBB431_17
.LBB431_26:
	s_or_b32 exec_lo, exec_lo, s31
.LBB431_27:
	s_or_b32 exec_lo, exec_lo, s30
	s_sub_i32 s0, s11, s27
	s_cmp_lt_i32 s0, 1
	s_cbranch_scc1 .LBB431_45
; %bb.28:
	v_cmp_gt_i32_e32 vcc_lo, s11, v24
	v_mov_b32_e32 v11, 0
	v_or_b32_e32 v4, 1, v24
	v_mov_b32_e32 v12, 0
	v_mov_b32_e32 v13, 0
	;; [unrolled: 1-line block ×3, first 2 shown]
	s_and_saveexec_b32 s1, vcc_lo
	s_cbranch_execz .LBB431_36
; %bb.29:
	v_mad_u64_u32 v[5:6], null, s20, v24, 0
	v_mov_b32_e32 v13, 0
	v_mov_b32_e32 v12, 0
	;; [unrolled: 1-line block ×3, first 2 shown]
	s_mov_b32 s2, exec_lo
	v_mov_b32_e32 v3, v6
	v_mad_u64_u32 v[6:7], null, s21, v24, v[3:4]
	v_lshlrev_b64 v[5:6], 1, v[5:6]
	v_add_co_u32 v5, s0, s24, v5
	v_add_co_ci_u32_e64 v6, null, s25, v6, s0
	flat_load_ushort v3, v[5:6]
	v_cmpx_gt_i32_e64 s11, v4
	s_cbranch_execz .LBB431_35
; %bb.30:
	v_mad_u64_u32 v[5:6], null, s20, v4, 0
	v_mov_b32_e32 v12, 0
	v_mov_b32_e32 v11, 0
	s_mov_b32 s3, exec_lo
	v_mad_u64_u32 v[6:7], null, s21, v4, v[6:7]
	v_lshlrev_b64 v[5:6], 1, v[5:6]
	v_add_co_u32 v5, s0, s24, v5
	v_add_co_ci_u32_e64 v6, null, s25, v6, s0
	flat_load_ushort v5, v[5:6]
	v_or_b32_e32 v6, 2, v24
	v_cmpx_gt_i32_e64 s11, v6
	s_cbranch_execz .LBB431_34
; %bb.31:
	v_mad_u64_u32 v[7:8], null, s20, v6, 0
	v_mov_b32_e32 v11, 0
	s_mov_b32 s4, exec_lo
	v_mad_u64_u32 v[8:9], null, s21, v6, v[8:9]
	v_lshlrev_b64 v[6:7], 1, v[7:8]
	v_add_co_u32 v6, s0, s24, v6
	v_add_co_ci_u32_e64 v7, null, s25, v7, s0
	flat_load_ushort v6, v[6:7]
	v_or_b32_e32 v7, 3, v24
	v_cmpx_gt_i32_e64 s11, v7
	s_cbranch_execz .LBB431_33
; %bb.32:
	v_mad_u64_u32 v[8:9], null, s20, v7, 0
	v_mad_u64_u32 v[9:10], null, s21, v7, v[9:10]
	v_lshlrev_b64 v[7:8], 1, v[8:9]
	v_add_co_u32 v7, s0, s24, v7
	v_add_co_ci_u32_e64 v8, null, s25, v8, s0
	flat_load_ushort v7, v[7:8]
	s_waitcnt vmcnt(0) lgkmcnt(0)
	v_cvt_f32_f16_e32 v11, v7
.LBB431_33:
	s_or_b32 exec_lo, exec_lo, s4
	s_waitcnt vmcnt(0) lgkmcnt(0)
	v_cvt_f32_f16_e32 v12, v6
.LBB431_34:
	s_or_b32 exec_lo, exec_lo, s3
	s_waitcnt vmcnt(0) lgkmcnt(0)
	v_cvt_f32_f16_e32 v13, v5
.LBB431_35:
	s_or_b32 exec_lo, exec_lo, s2
	s_waitcnt vmcnt(0) lgkmcnt(0)
	v_cvt_f32_f16_e32 v14, v3
.LBB431_36:
	s_or_b32 exec_lo, exec_lo, s1
	s_mov_b32 s1, exec_lo
	v_cmpx_gt_i32_e64 s10, v2
	s_cbranch_execz .LBB431_44
; %bb.37:
	v_mad_u64_u32 v[5:6], null, s16, v24, 0
	v_mad_u64_u32 v[7:8], null, s16, v4, 0
	v_ashrrev_i32_e32 v3, 31, v2
	v_or_b32_e32 v20, 2, v24
	v_or_b32_e32 v30, 3, v24
	v_cndmask_b32_e32 v5, 0, v5, vcc_lo
	v_lshlrev_b64 v[9:10], 1, v[2:3]
	v_mad_u64_u32 v[15:16], null, s17, v24, v[6:7]
	v_mov_b32_e32 v3, v8
	v_mad_u64_u32 v[16:17], null, s16, v20, 0
	v_mad_u64_u32 v[18:19], null, s16, v30, 0
	;; [unrolled: 1-line block ×3, first 2 shown]
	v_cndmask_b32_e32 v6, 0, v15, vcc_lo
	v_cmp_gt_i32_e32 vcc_lo, s11, v4
	v_mov_b32_e32 v3, v17
	v_cmp_gt_i32_e64 s0, s11, v20
	v_mov_b32_e32 v8, v19
	v_cndmask_b32_e32 v4, 0, v7, vcc_lo
	v_lshlrev_b64 v[6:7], 1, v[5:6]
	v_cndmask_b32_e32 v5, 0, v28, vcc_lo
	v_cndmask_b32_e64 v15, 0, v16, s0
	v_mad_u64_u32 v[19:20], null, s17, v20, v[3:4]
	v_add_co_u32 v3, vcc_lo, s18, v6
	v_lshlrev_b64 v[5:6], 1, v[4:5]
	v_add_co_ci_u32_e64 v7, null, s19, v7, vcc_lo
	v_add_co_u32 v3, vcc_lo, v3, v9
	v_cndmask_b32_e64 v16, 0, v19, s0
	v_add_co_ci_u32_e64 v4, null, v7, v10, vcc_lo
	v_add_co_u32 v5, vcc_lo, s18, v5
	v_add_co_ci_u32_e64 v6, null, s19, v6, vcc_lo
	v_mad_u64_u32 v[7:8], null, s17, v30, v[8:9]
	v_add_co_u32 v5, vcc_lo, v5, v9
	v_add_co_ci_u32_e64 v6, null, v6, v10, vcc_lo
	v_cmp_gt_i32_e32 vcc_lo, s11, v30
	v_lshlrev_b64 v[15:16], 1, v[15:16]
	s_clause 0x1
	flat_load_ushort v19, v[3:4]
	flat_load_ushort v20, v[5:6]
	s_mov_b32 s0, exec_lo
	v_cndmask_b32_e32 v17, 0, v18, vcc_lo
	v_cndmask_b32_e32 v18, 0, v7, vcc_lo
	v_add_co_u32 v7, vcc_lo, s18, v15
	v_add_co_ci_u32_e64 v8, null, s19, v16, vcc_lo
	v_lshlrev_b64 v[15:16], 1, v[17:18]
	v_add_co_u32 v7, vcc_lo, v7, v9
	v_add_co_ci_u32_e64 v8, null, v8, v10, vcc_lo
	v_add_nc_u32_e32 v18, 32, v2
	v_add_co_u32 v15, vcc_lo, s18, v15
	v_add_co_ci_u32_e64 v16, null, s19, v16, vcc_lo
	flat_load_ushort v17, v[7:8]
	v_add_co_u32 v9, vcc_lo, v15, v9
	v_add_co_ci_u32_e64 v10, null, v16, v10, vcc_lo
	flat_load_ushort v15, v[9:10]
	s_waitcnt vmcnt(3) lgkmcnt(3)
	v_fma_mix_f32 v16, v14, v19, v27 op_sel_hi:[0,1,0]
	s_waitcnt vmcnt(2) lgkmcnt(2)
	v_fma_mix_f32 v16, v13, v20, v16 op_sel_hi:[0,1,0]
	;; [unrolled: 2-line block ×3, first 2 shown]
	v_cmpx_gt_i32_e64 s10, v18
	s_cbranch_execz .LBB431_43
; %bb.38:
	s_clause 0x3
	flat_load_ushort v18, v[3:4] offset:64
	flat_load_ushort v19, v[5:6] offset:64
	;; [unrolled: 1-line block ×4, first 2 shown]
	s_mov_b32 s2, exec_lo
	s_waitcnt vmcnt(3) lgkmcnt(3)
	v_fma_mix_f32 v18, v14, v18, v26 op_sel_hi:[0,1,0]
	s_waitcnt vmcnt(2) lgkmcnt(2)
	v_fma_mix_f32 v18, v13, v19, v18 op_sel_hi:[0,1,0]
	v_add_nc_u32_e32 v19, 64, v2
	s_waitcnt vmcnt(1) lgkmcnt(1)
	v_fma_mix_f32 v18, v12, v20, v18 op_sel_hi:[0,1,0]
	v_cmpx_gt_i32_e64 s10, v19
	s_cbranch_execz .LBB431_42
; %bb.39:
	s_clause 0x3
	flat_load_ushort v20, v[3:4] offset:128
	flat_load_ushort v24, v[5:6] offset:128
	;; [unrolled: 1-line block ×4, first 2 shown]
	s_mov_b32 s3, exec_lo
	s_waitcnt vmcnt(3) lgkmcnt(3)
	v_fma_mix_f32 v20, v14, v20, v25 op_sel_hi:[0,1,0]
	s_waitcnt vmcnt(2) lgkmcnt(2)
	v_fma_mix_f32 v20, v13, v24, v20 op_sel_hi:[0,1,0]
	v_add_nc_u32_e32 v24, 0x60, v2
	s_waitcnt vmcnt(1) lgkmcnt(1)
	v_fma_mix_f32 v2, v12, v26, v20 op_sel_hi:[0,1,0]
	v_cmpx_gt_i32_e64 s10, v24
	s_cbranch_execz .LBB431_41
; %bb.40:
	s_clause 0x3
	flat_load_ushort v3, v[3:4] offset:192
	flat_load_ushort v4, v[5:6] offset:192
	;; [unrolled: 1-line block ×4, first 2 shown]
	s_waitcnt vmcnt(3) lgkmcnt(3)
	v_fma_mix_f32 v3, v14, v3, v23 op_sel_hi:[0,1,0]
	s_waitcnt vmcnt(2) lgkmcnt(2)
	v_fma_mix_f32 v3, v13, v4, v3 op_sel_hi:[0,1,0]
	s_waitcnt vmcnt(1) lgkmcnt(1)
	v_fma_mix_f32 v3, v12, v5, v3 op_sel_hi:[0,1,0]
	s_waitcnt vmcnt(0) lgkmcnt(0)
	v_fma_mix_f32 v23, v11, v6, v3 op_sel_hi:[0,1,0]
.LBB431_41:
	s_or_b32 exec_lo, exec_lo, s3
	s_waitcnt vmcnt(0) lgkmcnt(0)
	v_fma_mix_f32 v25, v11, v19, v2 op_sel_hi:[0,1,0]
.LBB431_42:
	s_or_b32 exec_lo, exec_lo, s2
	s_waitcnt vmcnt(0) lgkmcnt(0)
	v_fma_mix_f32 v26, v11, v17, v18 op_sel_hi:[0,1,0]
.LBB431_43:
	s_or_b32 exec_lo, exec_lo, s0
	s_waitcnt vmcnt(0) lgkmcnt(0)
	v_fma_mix_f32 v27, v11, v15, v16 op_sel_hi:[0,1,0]
.LBB431_44:
	s_or_b32 exec_lo, exec_lo, s1
.LBB431_45:
	v_lshlrev_b32_e32 v0, 2, v0
	s_mov_b32 s0, exec_lo
                                        ; implicit-def: $vgpr5
                                        ; implicit-def: $vgpr2_vgpr3
	v_lshl_add_u32 v1, v1, 9, v0
	ds_write2_b32 v1, v27, v26 offset1:32
	ds_write2_b32 v1, v25, v23 offset0:64 offset1:96
	s_waitcnt lgkmcnt(0)
	s_barrier
	buffer_gl0_inv
	v_cmpx_gt_u32_e32 0x80, v21
	s_cbranch_execz .LBB431_51
; %bb.46:
	v_lshl_add_u32 v6, v22, 2, v0
	s_mov_b32 s2, s23
	s_mov_b32 s1, exec_lo
	ds_read2st64_b32 v[0:1], v6 offset1:2
	ds_read2st64_b32 v[2:3], v6 offset0:4 offset1:6
	ds_read2st64_b32 v[4:5], v6 offset0:8 offset1:10
	s_waitcnt lgkmcnt(2)
	v_add_f32_e32 v7, v0, v1
	ds_read2st64_b32 v[0:1], v6 offset0:12 offset1:14
	s_waitcnt lgkmcnt(2)
	v_add_f32_e32 v2, v2, v7
	v_add_f32_e32 v7, v3, v2
	ds_read2st64_b32 v[2:3], v6 offset0:16 offset1:18
	s_waitcnt lgkmcnt(2)
	v_add_f32_e32 v4, v4, v7
	;; [unrolled: 4-line block ×3, first 2 shown]
	v_add_f32_e32 v0, v1, v0
	s_waitcnt lgkmcnt(1)
	v_add_f32_e32 v2, v2, v0
	ds_read2st64_b32 v[0:1], v6 offset0:24 offset1:26
	v_add_f32_e32 v2, v3, v2
	s_waitcnt lgkmcnt(1)
	v_add_f32_e32 v4, v4, v2
	ds_read2st64_b32 v[2:3], v6 offset0:28 offset1:30
	v_add_f32_e32 v4, v5, v4
                                        ; implicit-def: $vgpr5
	s_waitcnt lgkmcnt(1)
	v_add_f32_e32 v0, v0, v4
	v_add_f32_e32 v0, v1, v0
	v_or_b32_e32 v1, s26, v21
	s_waitcnt lgkmcnt(0)
	v_add_f32_e32 v0, v2, v0
	v_add_f32_e32 v0, v3, v0
                                        ; implicit-def: $vgpr2_vgpr3
	ds_write_b32 v6, v0
	v_cmpx_gt_i32_e64 s10, v1
	s_cbranch_execz .LBB431_50
; %bb.47:
	v_ashrrev_i32_e32 v4, 31, v1
	v_mul_lo_u32 v5, s9, v1
	v_mad_u64_u32 v[2:3], null, s8, v1, 0
	v_cmp_eq_f32_e64 s2, s28, 0
	v_mul_lo_u32 v1, s8, v4
	v_mul_f32_e32 v0, s29, v0
	s_and_b32 vcc_lo, exec_lo, s2
	v_add3_u32 v3, v3, v1, v5
	s_cbranch_vccnz .LBB431_49
; %bb.48:
	v_lshlrev_b64 v[4:5], 1, v[2:3]
	v_add_co_u32 v4, vcc_lo, s5, v4
	v_add_co_ci_u32_e64 v5, null, s22, v5, vcc_lo
	flat_load_ushort v1, v[4:5]
	s_waitcnt vmcnt(0) lgkmcnt(0)
	v_fma_mix_f32 v0, s28, v1, v0 op_sel_hi:[0,1,0]
.LBB431_49:
	v_cvt_f16_f32_e32 v5, v0
	s_or_b32 s2, s23, exec_lo
.LBB431_50:
	s_or_b32 exec_lo, exec_lo, s1
	s_andn2_b32 s1, s23, exec_lo
	s_and_b32 s2, s2, exec_lo
	s_or_b32 s23, s1, s2
.LBB431_51:
	s_or_b32 exec_lo, exec_lo, s0
.LBB431_52:
	s_and_saveexec_b32 s0, s23
	s_cbranch_execz .LBB431_54
; %bb.53:
	v_lshlrev_b64 v[0:1], 1, v[2:3]
	v_add_co_u32 v0, vcc_lo, s5, v0
	v_add_co_ci_u32_e64 v1, null, s22, v1, vcc_lo
	flat_store_short v[0:1], v5
.LBB431_54:
	s_endpgm
	.section	.rodata,"a",@progbits
	.p2align	6, 0x0
	.amdhsa_kernel _ZL20rocblas_gemvn_kernelILi32ELi16ElPKDF16_PKfKPDF16_EviiT3_lPKT2_lT1_lS9_lSA_lS6_lPT4_lSA_li
		.amdhsa_group_segment_fixed_size 8192
		.amdhsa_private_segment_fixed_size 0
		.amdhsa_kernarg_size 400
		.amdhsa_user_sgpr_count 6
		.amdhsa_user_sgpr_private_segment_buffer 1
		.amdhsa_user_sgpr_dispatch_ptr 0
		.amdhsa_user_sgpr_queue_ptr 0
		.amdhsa_user_sgpr_kernarg_segment_ptr 1
		.amdhsa_user_sgpr_dispatch_id 0
		.amdhsa_user_sgpr_flat_scratch_init 0
		.amdhsa_user_sgpr_private_segment_size 0
		.amdhsa_wavefront_size32 1
		.amdhsa_uses_dynamic_stack 0
		.amdhsa_system_sgpr_private_segment_wavefront_offset 0
		.amdhsa_system_sgpr_workgroup_id_x 1
		.amdhsa_system_sgpr_workgroup_id_y 0
		.amdhsa_system_sgpr_workgroup_id_z 1
		.amdhsa_system_sgpr_workgroup_info 0
		.amdhsa_system_vgpr_workitem_id 1
		.amdhsa_next_free_vgpr 56
		.amdhsa_next_free_sgpr 35
		.amdhsa_reserve_vcc 1
		.amdhsa_reserve_flat_scratch 1
		.amdhsa_float_round_mode_32 0
		.amdhsa_float_round_mode_16_64 0
		.amdhsa_float_denorm_mode_32 3
		.amdhsa_float_denorm_mode_16_64 3
		.amdhsa_dx10_clamp 1
		.amdhsa_ieee_mode 1
		.amdhsa_fp16_overflow 0
		.amdhsa_workgroup_processor_mode 1
		.amdhsa_memory_ordered 1
		.amdhsa_forward_progress 1
		.amdhsa_shared_vgpr_count 0
		.amdhsa_exception_fp_ieee_invalid_op 0
		.amdhsa_exception_fp_denorm_src 0
		.amdhsa_exception_fp_ieee_div_zero 0
		.amdhsa_exception_fp_ieee_overflow 0
		.amdhsa_exception_fp_ieee_underflow 0
		.amdhsa_exception_fp_ieee_inexact 0
		.amdhsa_exception_int_div_zero 0
	.end_amdhsa_kernel
	.section	.text._ZL20rocblas_gemvn_kernelILi32ELi16ElPKDF16_PKfKPDF16_EviiT3_lPKT2_lT1_lS9_lSA_lS6_lPT4_lSA_li,"axG",@progbits,_ZL20rocblas_gemvn_kernelILi32ELi16ElPKDF16_PKfKPDF16_EviiT3_lPKT2_lT1_lS9_lSA_lS6_lPT4_lSA_li,comdat
.Lfunc_end431:
	.size	_ZL20rocblas_gemvn_kernelILi32ELi16ElPKDF16_PKfKPDF16_EviiT3_lPKT2_lT1_lS9_lSA_lS6_lPT4_lSA_li, .Lfunc_end431-_ZL20rocblas_gemvn_kernelILi32ELi16ElPKDF16_PKfKPDF16_EviiT3_lPKT2_lT1_lS9_lSA_lS6_lPT4_lSA_li
                                        ; -- End function
	.set _ZL20rocblas_gemvn_kernelILi32ELi16ElPKDF16_PKfKPDF16_EviiT3_lPKT2_lT1_lS9_lSA_lS6_lPT4_lSA_li.num_vgpr, 56
	.set _ZL20rocblas_gemvn_kernelILi32ELi16ElPKDF16_PKfKPDF16_EviiT3_lPKT2_lT1_lS9_lSA_lS6_lPT4_lSA_li.num_agpr, 0
	.set _ZL20rocblas_gemvn_kernelILi32ELi16ElPKDF16_PKfKPDF16_EviiT3_lPKT2_lT1_lS9_lSA_lS6_lPT4_lSA_li.numbered_sgpr, 35
	.set _ZL20rocblas_gemvn_kernelILi32ELi16ElPKDF16_PKfKPDF16_EviiT3_lPKT2_lT1_lS9_lSA_lS6_lPT4_lSA_li.num_named_barrier, 0
	.set _ZL20rocblas_gemvn_kernelILi32ELi16ElPKDF16_PKfKPDF16_EviiT3_lPKT2_lT1_lS9_lSA_lS6_lPT4_lSA_li.private_seg_size, 0
	.set _ZL20rocblas_gemvn_kernelILi32ELi16ElPKDF16_PKfKPDF16_EviiT3_lPKT2_lT1_lS9_lSA_lS6_lPT4_lSA_li.uses_vcc, 1
	.set _ZL20rocblas_gemvn_kernelILi32ELi16ElPKDF16_PKfKPDF16_EviiT3_lPKT2_lT1_lS9_lSA_lS6_lPT4_lSA_li.uses_flat_scratch, 1
	.set _ZL20rocblas_gemvn_kernelILi32ELi16ElPKDF16_PKfKPDF16_EviiT3_lPKT2_lT1_lS9_lSA_lS6_lPT4_lSA_li.has_dyn_sized_stack, 0
	.set _ZL20rocblas_gemvn_kernelILi32ELi16ElPKDF16_PKfKPDF16_EviiT3_lPKT2_lT1_lS9_lSA_lS6_lPT4_lSA_li.has_recursion, 0
	.set _ZL20rocblas_gemvn_kernelILi32ELi16ElPKDF16_PKfKPDF16_EviiT3_lPKT2_lT1_lS9_lSA_lS6_lPT4_lSA_li.has_indirect_call, 0
	.section	.AMDGPU.csdata,"",@progbits
; Kernel info:
; codeLenInByte = 3280
; TotalNumSgprs: 37
; NumVgprs: 56
; ScratchSize: 0
; MemoryBound: 0
; FloatMode: 240
; IeeeMode: 1
; LDSByteSize: 8192 bytes/workgroup (compile time only)
; SGPRBlocks: 0
; VGPRBlocks: 6
; NumSGPRsForWavesPerEU: 37
; NumVGPRsForWavesPerEU: 56
; Occupancy: 16
; WaveLimiterHint : 1
; COMPUTE_PGM_RSRC2:SCRATCH_EN: 0
; COMPUTE_PGM_RSRC2:USER_SGPR: 6
; COMPUTE_PGM_RSRC2:TRAP_HANDLER: 0
; COMPUTE_PGM_RSRC2:TGID_X_EN: 1
; COMPUTE_PGM_RSRC2:TGID_Y_EN: 0
; COMPUTE_PGM_RSRC2:TGID_Z_EN: 1
; COMPUTE_PGM_RSRC2:TIDIG_COMP_CNT: 1
	.section	.text._ZL20rocblas_gemvn_kernelILi32ELi16EiPKDF16_fKPDF16_EviiT3_lPKT2_lT1_lS7_lS8_lS4_lPT4_lS8_li,"axG",@progbits,_ZL20rocblas_gemvn_kernelILi32ELi16EiPKDF16_fKPDF16_EviiT3_lPKT2_lT1_lS7_lS8_lS4_lPT4_lS8_li,comdat
	.globl	_ZL20rocblas_gemvn_kernelILi32ELi16EiPKDF16_fKPDF16_EviiT3_lPKT2_lT1_lS7_lS8_lS4_lPT4_lS8_li ; -- Begin function _ZL20rocblas_gemvn_kernelILi32ELi16EiPKDF16_fKPDF16_EviiT3_lPKT2_lT1_lS7_lS8_lS4_lPT4_lS8_li
	.p2align	8
	.type	_ZL20rocblas_gemvn_kernelILi32ELi16EiPKDF16_fKPDF16_EviiT3_lPKT2_lT1_lS7_lS8_lS4_lPT4_lS8_li,@function
_ZL20rocblas_gemvn_kernelILi32ELi16EiPKDF16_fKPDF16_EviiT3_lPKT2_lT1_lS7_lS8_lS4_lPT4_lS8_li: ; @_ZL20rocblas_gemvn_kernelILi32ELi16EiPKDF16_fKPDF16_EviiT3_lPKT2_lT1_lS7_lS8_lS4_lPT4_lS8_li
; %bb.0:
	s_load_dwordx2 s[0:1], s[4:5], 0x9c
	s_waitcnt lgkmcnt(0)
	s_lshr_b32 s3, s0, 16
	s_and_b32 s0, s0, 0xffff
	s_and_b32 s1, s1, 0xffff
	s_mul_i32 s0, s3, s0
	s_mul_i32 s0, s0, s1
	s_cmpk_lg_i32 s0, 0x200
	s_cbranch_scc1 .LBB432_56
; %bb.1:
	s_mov_b32 s2, s7
	s_clause 0x1
	s_load_dwordx4 s[8:11], s[4:5], 0x0
	s_load_dword s7, s[4:5], 0x58
	s_mov_b32 s3, 0
	s_waitcnt lgkmcnt(0)
	v_cmp_eq_f32_e64 s18, s10, 0
	v_cmp_eq_f32_e64 s0, s7, 1.0
	s_and_b32 s0, s18, s0
	s_and_b32 vcc_lo, exec_lo, s0
	s_cbranch_vccnz .LBB432_56
; %bb.2:
	v_cmp_neq_f32_e64 s11, s10, 0
	s_and_b32 vcc_lo, exec_lo, s11
	s_cbranch_vccnz .LBB432_4
; %bb.3:
	s_mov_b32 s1, 0
	s_mov_b32 s0, s2
	s_mov_b32 s12, s1
	s_mov_b64 s[14:15], 0
	s_andn2_b32 vcc_lo, exec_lo, s12
	s_mov_b64 s[12:13], 0
	s_cbranch_vccz .LBB432_5
	s_branch .LBB432_6
.LBB432_4:
	s_mov_b64 s[0:1], s[2:3]
	s_mov_b64 s[14:15], 0
	;; [unrolled: 1-line block ×3, first 2 shown]
.LBB432_5:
	s_load_dwordx4 s[20:23], s[4:5], 0x18
	s_lshl_b64 s[2:3], s[2:3], 3
	s_waitcnt lgkmcnt(0)
	s_add_u32 s2, s20, s2
	s_addc_u32 s3, s21, s3
	s_lshl_b64 s[12:13], s[22:23], 1
	s_load_dwordx2 s[2:3], s[2:3], 0x0
	s_waitcnt lgkmcnt(0)
	s_add_u32 s12, s2, s12
	s_addc_u32 s13, s3, s13
.LBB432_6:
	s_andn2_b32 vcc_lo, exec_lo, s11
	s_cbranch_vccnz .LBB432_8
; %bb.7:
	s_load_dwordx4 s[20:23], s[4:5], 0x38
	s_lshl_b64 s[2:3], s[0:1], 3
	s_waitcnt lgkmcnt(0)
	s_add_u32 s2, s20, s2
	s_addc_u32 s3, s21, s3
	s_lshl_b64 s[14:15], s[22:23], 1
	s_load_dwordx2 s[2:3], s[2:3], 0x0
	s_waitcnt lgkmcnt(0)
	s_add_u32 s14, s2, s14
	s_addc_u32 s15, s3, s15
.LBB432_8:
	s_clause 0x1
	s_load_dwordx4 s[20:23], s[4:5], 0x68
	s_load_dword s17, s[4:5], 0x78
	s_lshl_b64 s[0:1], s[0:1], 3
	v_lshlrev_b32_e32 v14, 5, v1
	v_add_nc_u32_e32 v13, v14, v0
	s_waitcnt lgkmcnt(0)
	s_add_u32 s0, s20, s0
	s_addc_u32 s1, s21, s1
	s_lshl_b64 s[20:21], s[22:23], 1
	s_load_dwordx2 s[2:3], s[0:1], 0x0
	v_cmp_gt_u32_e64 s0, 0x80, v13
	s_waitcnt lgkmcnt(0)
	s_add_u32 s11, s2, s20
	s_addc_u32 s16, s3, s21
	s_andn2_b32 vcc_lo, exec_lo, s18
	s_cbranch_vccnz .LBB432_15
; %bb.9:
	s_mov_b32 s1, 0
	s_mov_b32 s18, 0
                                        ; implicit-def: $vgpr5
                                        ; implicit-def: $vgpr2_vgpr3
	s_and_saveexec_b32 s2, s0
	s_cbranch_execz .LBB432_16
; %bb.10:
	v_lshl_or_b32 v4, s6, 7, v13
	v_mov_b32_e32 v5, 0
	s_ashr_i32 s19, s8, 31
	s_mov_b32 s18, s8
	s_mov_b32 s3, 0
	s_mov_b32 s0, exec_lo
                                        ; implicit-def: $vgpr2_vgpr3
	v_cmpx_gt_i64_e64 s[18:19], v[4:5]
	s_cbranch_execz .LBB432_14
; %bb.11:
	v_mad_u64_u32 v[2:3], null, s17, v4, 0
	s_ashr_i32 s3, s17, 31
	v_mad_u64_u32 v[3:4], null, s3, v4, v[3:4]
	v_cmp_eq_f32_e64 s3, s7, 0
	s_and_b32 vcc_lo, exec_lo, s3
	s_cbranch_vccnz .LBB432_13
; %bb.12:
	v_lshlrev_b64 v[4:5], 1, v[2:3]
	v_add_co_u32 v4, vcc_lo, s11, v4
	v_add_co_ci_u32_e64 v5, null, s16, v5, vcc_lo
	flat_load_ushort v4, v[4:5]
	s_waitcnt vmcnt(0) lgkmcnt(0)
	v_fma_mixlo_f16 v5, s7, v4, 0 op_sel_hi:[0,1,0]
.LBB432_13:
	s_mov_b32 s3, exec_lo
.LBB432_14:
	s_or_b32 exec_lo, exec_lo, s0
	s_and_b32 s18, s3, exec_lo
	s_or_b32 exec_lo, exec_lo, s2
	s_and_b32 vcc_lo, exec_lo, s1
	s_cbranch_vccnz .LBB432_17
	s_branch .LBB432_54
.LBB432_15:
	s_mov_b32 s18, 0
                                        ; implicit-def: $vgpr5
                                        ; implicit-def: $vgpr2_vgpr3
	s_cbranch_execnz .LBB432_17
	s_branch .LBB432_54
.LBB432_16:
	s_or_b32 exec_lo, exec_lo, s2
	s_and_b32 vcc_lo, exec_lo, s1
	s_cbranch_vccz .LBB432_54
.LBB432_17:
	s_clause 0x1
	s_load_dword s19, s[4:5], 0x28
	s_load_dword s4, s[4:5], 0x48
	s_ashr_i32 s0, s9, 31
	s_lshl_b32 s5, s6, 7
	s_lshr_b32 s0, s0, 26
	v_lshlrev_b32_e32 v20, 2, v1
	v_add_nc_u32_e32 v16, s5, v0
	v_mov_b32_e32 v19, 0
	v_mov_b32_e32 v18, 0
	v_mov_b32_e32 v17, 0
	v_mov_b32_e32 v15, 0
	s_add_i32 s0, s9, s0
	s_mov_b32 s20, exec_lo
	s_and_b32 s6, s0, 0xffffffc0
	v_cmpx_gt_i32_e64 s6, v20
	s_cbranch_execz .LBB432_29
; %bb.18:
	v_add_nc_u32_e32 v5, 0x60, v16
	s_waitcnt lgkmcnt(0)
	v_mul_lo_u32 v3, s19, v20
	v_add_nc_u32_e32 v2, 32, v16
	v_add_nc_u32_e32 v6, 2, v20
	;; [unrolled: 1-line block ×3, first 2 shown]
	v_cmp_gt_i32_e64 s2, s8, v5
	v_mul_lo_u32 v5, v1, s19
	v_add_nc_u32_e32 v7, 3, v20
	v_mul_lo_u32 v8, v1, s4
	v_cmp_gt_i32_e64 s0, s8, v2
	v_add3_u32 v21, v3, s19, v0
	v_mad_u64_u32 v[2:3], null, s19, v6, v[0:1]
	v_cmp_gt_i32_e64 s1, s8, v4
	v_mad_u64_u32 v[3:4], null, s19, v7, v[0:1]
	v_lshl_add_u32 v22, v5, 2, v0
	v_mad_u64_u32 v[4:5], null, s4, v20, s[4:5]
	v_mul_lo_u32 v23, s4, v6
	v_mul_lo_u32 v24, s4, v7
	v_lshlrev_b32_e32 v25, 2, v8
	v_mov_b32_e32 v19, 0
	v_mov_b32_e32 v18, 0
	;; [unrolled: 1-line block ×4, first 2 shown]
	s_lshl_b32 s21, s19, 6
	s_lshl_b32 s23, s4, 6
	s_mov_b32 s22, 0
	s_mov_b32 s24, 0
	v_cmp_gt_i32_e32 vcc_lo, s8, v16
	s_branch .LBB432_23
.LBB432_19:                             ;   in Loop: Header=BB432_23 Depth=1
	s_or_b32 exec_lo, exec_lo, s27
	s_waitcnt vmcnt(3) lgkmcnt(3)
	v_fma_mix_f32 v5, v38, v42, v17 op_sel_hi:[0,1,0]
	s_waitcnt vmcnt(2) lgkmcnt(2)
	v_fma_mix_f32 v5, v39, v43, v5 op_sel_hi:[0,1,0]
	;; [unrolled: 2-line block ×4, first 2 shown]
.LBB432_20:                             ;   in Loop: Header=BB432_23 Depth=1
	s_or_b32 exec_lo, exec_lo, s26
	s_waitcnt vmcnt(3) lgkmcnt(3)
	v_fma_mix_f32 v5, v38, v34, v18 op_sel_hi:[0,1,0]
	s_waitcnt vmcnt(2) lgkmcnt(2)
	v_fma_mix_f32 v5, v39, v35, v5 op_sel_hi:[0,1,0]
	;; [unrolled: 2-line block ×4, first 2 shown]
.LBB432_21:                             ;   in Loop: Header=BB432_23 Depth=1
	s_or_b32 exec_lo, exec_lo, s3
	s_waitcnt vmcnt(3) lgkmcnt(3)
	v_fma_mix_f32 v5, v26, v30, v19 op_sel_hi:[1,1,0]
	s_waitcnt vmcnt(2) lgkmcnt(2)
	v_fma_mix_f32 v5, v27, v31, v5 op_sel_hi:[1,1,0]
	;; [unrolled: 2-line block ×4, first 2 shown]
.LBB432_22:                             ;   in Loop: Header=BB432_23 Depth=1
	s_or_b32 exec_lo, exec_lo, s25
	v_add_nc_u32_e32 v20, 64, v20
	v_add_nc_u32_e32 v21, s21, v21
	;; [unrolled: 1-line block ×5, first 2 shown]
	v_cmp_le_i32_e64 s3, s6, v20
	s_add_i32 s24, s24, s23
	s_or_b32 s22, s3, s22
	s_andn2_b32 exec_lo, exec_lo, s22
	s_cbranch_execz .LBB432_28
.LBB432_23:                             ; =>This Inner Loop Header: Depth=1
	s_and_saveexec_b32 s25, vcc_lo
	s_cbranch_execz .LBB432_22
; %bb.24:                               ;   in Loop: Header=BB432_23 Depth=1
	v_add_nc_u32_e32 v5, s24, v25
	v_add_nc_u32_e32 v7, s24, v4
	;; [unrolled: 1-line block ×5, first 2 shown]
	v_ashrrev_i32_e32 v6, 31, v5
	v_ashrrev_i32_e32 v8, 31, v7
	v_ashrrev_i32_e32 v10, 31, v9
	v_ashrrev_i32_e32 v12, 31, v11
	v_ashrrev_i32_e32 v27, 31, v26
	v_lshlrev_b64 v[5:6], 1, v[5:6]
	v_lshlrev_b64 v[7:8], 1, v[7:8]
	;; [unrolled: 1-line block ×3, first 2 shown]
	v_add_co_u32 v28, s3, s14, v5
	v_add_co_ci_u32_e64 v29, null, s15, v6, s3
	v_add_co_u32 v30, s3, s14, v7
	v_add_nc_u32_e32 v7, s5, v21
	v_add_co_ci_u32_e64 v31, null, s15, v8, s3
	v_lshlrev_b64 v[5:6], 1, v[11:12]
	v_add_co_u32 v32, s3, s14, v9
	v_add_nc_u32_e32 v11, s5, v2
	v_add_co_ci_u32_e64 v33, null, s15, v10, s3
	v_lshlrev_b64 v[9:10], 1, v[26:27]
	v_add_nc_u32_e32 v26, s5, v3
	v_ashrrev_i32_e32 v8, 31, v7
	v_ashrrev_i32_e32 v12, 31, v11
	v_add_co_u32 v34, s3, s14, v5
	v_ashrrev_i32_e32 v27, 31, v26
	v_add_co_ci_u32_e64 v35, null, s15, v6, s3
	v_lshlrev_b64 v[7:8], 1, v[7:8]
	v_add_co_u32 v5, s3, s12, v9
	v_add_co_ci_u32_e64 v6, null, s13, v10, s3
	v_lshlrev_b64 v[9:10], 1, v[11:12]
	v_lshlrev_b64 v[11:12], 1, v[26:27]
	v_add_co_u32 v7, s3, s12, v7
	v_add_co_ci_u32_e64 v8, null, s13, v8, s3
	v_add_co_u32 v9, s3, s12, v9
	v_add_co_ci_u32_e64 v10, null, s13, v10, s3
	;; [unrolled: 2-line block ×3, first 2 shown]
	s_clause 0x3
	flat_load_ushort v26, v[28:29]
	flat_load_ushort v27, v[30:31]
	;; [unrolled: 1-line block ×4, first 2 shown]
	s_clause 0x3
	flat_load_ushort v30, v[5:6]
	flat_load_ushort v31, v[7:8]
	;; [unrolled: 1-line block ×4, first 2 shown]
	s_and_saveexec_b32 s3, s0
	s_cbranch_execz .LBB432_21
; %bb.25:                               ;   in Loop: Header=BB432_23 Depth=1
	s_clause 0x3
	flat_load_ushort v34, v[5:6] offset:64
	flat_load_ushort v35, v[7:8] offset:64
	;; [unrolled: 1-line block ×4, first 2 shown]
	s_waitcnt vmcnt(11) lgkmcnt(11)
	v_cvt_f32_f16_e32 v38, v26
	s_waitcnt vmcnt(10) lgkmcnt(10)
	v_cvt_f32_f16_e32 v39, v27
	s_waitcnt vmcnt(9) lgkmcnt(9)
	v_cvt_f32_f16_e32 v40, v28
	s_waitcnt vmcnt(8) lgkmcnt(8)
	v_cvt_f32_f16_e32 v41, v29
	s_and_saveexec_b32 s26, s1
	s_cbranch_execz .LBB432_20
; %bb.26:                               ;   in Loop: Header=BB432_23 Depth=1
	s_clause 0x3
	flat_load_ushort v42, v[5:6] offset:128
	flat_load_ushort v43, v[7:8] offset:128
	;; [unrolled: 1-line block ×4, first 2 shown]
	s_and_saveexec_b32 s27, s2
	s_cbranch_execz .LBB432_19
; %bb.27:                               ;   in Loop: Header=BB432_23 Depth=1
	s_clause 0x3
	flat_load_ushort v5, v[5:6] offset:192
	flat_load_ushort v6, v[7:8] offset:192
	;; [unrolled: 1-line block ×4, first 2 shown]
	s_waitcnt vmcnt(3) lgkmcnt(3)
	v_fma_mix_f32 v5, v38, v5, v15 op_sel_hi:[0,1,0]
	s_waitcnt vmcnt(2) lgkmcnt(2)
	v_fma_mix_f32 v5, v39, v6, v5 op_sel_hi:[0,1,0]
	;; [unrolled: 2-line block ×4, first 2 shown]
	s_branch .LBB432_19
.LBB432_28:
	s_or_b32 exec_lo, exec_lo, s22
.LBB432_29:
	s_or_b32 exec_lo, exec_lo, s20
	s_sub_i32 s0, s9, s6
	s_cmp_lt_i32 s0, 1
	s_cbranch_scc1 .LBB432_47
; %bb.30:
	v_cmp_gt_i32_e32 vcc_lo, s9, v20
	v_mov_b32_e32 v10, 0
	v_or_b32_e32 v2, 1, v20
	v_mov_b32_e32 v11, 0
	v_mov_b32_e32 v12, 0
	;; [unrolled: 1-line block ×3, first 2 shown]
	s_and_saveexec_b32 s1, vcc_lo
	s_cbranch_execz .LBB432_38
; %bb.31:
	s_waitcnt lgkmcnt(0)
	v_mul_lo_u32 v3, v20, s4
	v_mov_b32_e32 v12, 0
	v_mov_b32_e32 v11, 0
	;; [unrolled: 1-line block ×3, first 2 shown]
	s_mov_b32 s2, exec_lo
	v_ashrrev_i32_e32 v4, 31, v3
	v_lshlrev_b64 v[3:4], 1, v[3:4]
	v_add_co_u32 v3, s0, s14, v3
	v_add_co_ci_u32_e64 v4, null, s15, v4, s0
	flat_load_ushort v3, v[3:4]
	v_cmpx_gt_i32_e64 s9, v2
	s_cbranch_execz .LBB432_37
; %bb.32:
	v_mul_lo_u32 v4, v2, s4
	v_mov_b32_e32 v11, 0
	v_mov_b32_e32 v10, 0
	s_mov_b32 s3, exec_lo
	v_ashrrev_i32_e32 v5, 31, v4
	v_lshlrev_b64 v[4:5], 1, v[4:5]
	v_add_co_u32 v4, s0, s14, v4
	v_add_co_ci_u32_e64 v5, null, s15, v5, s0
	flat_load_ushort v4, v[4:5]
	v_or_b32_e32 v5, 2, v20
	v_cmpx_gt_i32_e64 s9, v5
	s_cbranch_execz .LBB432_36
; %bb.33:
	v_mul_lo_u32 v5, v5, s4
	v_mov_b32_e32 v10, 0
	s_mov_b32 s6, exec_lo
	v_ashrrev_i32_e32 v6, 31, v5
	v_lshlrev_b64 v[5:6], 1, v[5:6]
	v_add_co_u32 v5, s0, s14, v5
	v_add_co_ci_u32_e64 v6, null, s15, v6, s0
	flat_load_ushort v5, v[5:6]
	v_or_b32_e32 v6, 3, v20
	v_cmpx_gt_i32_e64 s9, v6
	s_cbranch_execz .LBB432_35
; %bb.34:
	v_mul_lo_u32 v6, v6, s4
	v_ashrrev_i32_e32 v7, 31, v6
	v_lshlrev_b64 v[6:7], 1, v[6:7]
	v_add_co_u32 v6, s0, s14, v6
	v_add_co_ci_u32_e64 v7, null, s15, v7, s0
	flat_load_ushort v6, v[6:7]
	s_waitcnt vmcnt(0) lgkmcnt(0)
	v_cvt_f32_f16_e32 v10, v6
.LBB432_35:
	s_or_b32 exec_lo, exec_lo, s6
	s_waitcnt vmcnt(0) lgkmcnt(0)
	v_cvt_f32_f16_e32 v11, v5
.LBB432_36:
	s_or_b32 exec_lo, exec_lo, s3
	s_waitcnt vmcnt(0) lgkmcnt(0)
	v_cvt_f32_f16_e32 v12, v4
.LBB432_37:
	s_or_b32 exec_lo, exec_lo, s2
	s_waitcnt vmcnt(0) lgkmcnt(0)
	v_cvt_f32_f16_e32 v21, v3
.LBB432_38:
	s_or_b32 exec_lo, exec_lo, s1
	s_mov_b32 s1, exec_lo
	v_cmpx_gt_i32_e64 s8, v16
	s_cbranch_execz .LBB432_46
; %bb.39:
	s_waitcnt lgkmcnt(0)
	v_mul_lo_u32 v3, v20, s19
	v_or_b32_e32 v4, 2, v20
	v_mul_lo_u32 v5, v2, s19
	v_or_b32_e32 v6, 3, v20
	s_mov_b32 s0, exec_lo
	v_mul_lo_u32 v7, v4, s19
	v_mul_lo_u32 v8, v6, s19
	v_cndmask_b32_e32 v3, 0, v3, vcc_lo
	v_cmp_gt_i32_e32 vcc_lo, s9, v2
	v_add_nc_u32_e32 v2, v3, v16
	v_cndmask_b32_e32 v5, 0, v5, vcc_lo
	v_cmp_gt_i32_e32 vcc_lo, s9, v4
	v_ashrrev_i32_e32 v3, 31, v2
	v_add_nc_u32_e32 v4, v5, v16
	v_cndmask_b32_e32 v7, 0, v7, vcc_lo
	v_cmp_gt_i32_e32 vcc_lo, s9, v6
	v_lshlrev_b64 v[2:3], 1, v[2:3]
	v_ashrrev_i32_e32 v5, 31, v4
	v_add_nc_u32_e32 v6, v7, v16
	v_cndmask_b32_e32 v8, 0, v8, vcc_lo
	v_lshlrev_b64 v[4:5], 1, v[4:5]
	v_ashrrev_i32_e32 v7, 31, v6
	v_add_nc_u32_e32 v8, v8, v16
	v_add_co_u32 v2, vcc_lo, s12, v2
	v_add_co_ci_u32_e64 v3, null, s13, v3, vcc_lo
	v_lshlrev_b64 v[6:7], 1, v[6:7]
	v_ashrrev_i32_e32 v9, 31, v8
	v_add_co_u32 v4, vcc_lo, s12, v4
	v_add_co_ci_u32_e64 v5, null, s13, v5, vcc_lo
	flat_load_ushort v22, v[2:3]
	v_add_co_u32 v6, vcc_lo, s12, v6
	v_add_co_ci_u32_e64 v7, null, s13, v7, vcc_lo
	v_lshlrev_b64 v[8:9], 1, v[8:9]
	s_clause 0x1
	flat_load_ushort v23, v[4:5]
	flat_load_ushort v24, v[6:7]
	v_add_co_u32 v8, vcc_lo, s12, v8
	v_add_co_ci_u32_e64 v9, null, s13, v9, vcc_lo
	flat_load_ushort v20, v[8:9]
	s_waitcnt vmcnt(3) lgkmcnt(3)
	v_fma_mix_f32 v19, v21, v22, v19 op_sel_hi:[0,1,0]
	v_add_nc_u32_e32 v22, 32, v16
	s_waitcnt vmcnt(2) lgkmcnt(2)
	v_fma_mix_f32 v19, v12, v23, v19 op_sel_hi:[0,1,0]
	s_waitcnt vmcnt(1) lgkmcnt(1)
	v_fma_mix_f32 v19, v11, v24, v19 op_sel_hi:[0,1,0]
	v_cmpx_gt_i32_e64 s8, v22
	s_cbranch_execz .LBB432_45
; %bb.40:
	s_clause 0x3
	flat_load_ushort v23, v[2:3] offset:64
	flat_load_ushort v24, v[4:5] offset:64
	flat_load_ushort v25, v[6:7] offset:64
	flat_load_ushort v22, v[8:9] offset:64
	s_mov_b32 s2, exec_lo
	s_waitcnt vmcnt(3) lgkmcnt(3)
	v_fma_mix_f32 v18, v21, v23, v18 op_sel_hi:[0,1,0]
	v_add_nc_u32_e32 v23, 64, v16
	s_waitcnt vmcnt(2) lgkmcnt(2)
	v_fma_mix_f32 v18, v12, v24, v18 op_sel_hi:[0,1,0]
	s_waitcnt vmcnt(1) lgkmcnt(1)
	v_fma_mix_f32 v18, v11, v25, v18 op_sel_hi:[0,1,0]
	v_cmpx_gt_i32_e64 s8, v23
	s_cbranch_execz .LBB432_44
; %bb.41:
	s_clause 0x3
	flat_load_ushort v24, v[2:3] offset:128
	flat_load_ushort v25, v[4:5] offset:128
	flat_load_ushort v26, v[6:7] offset:128
	flat_load_ushort v23, v[8:9] offset:128
	s_mov_b32 s3, exec_lo
	s_waitcnt vmcnt(3) lgkmcnt(3)
	v_fma_mix_f32 v17, v21, v24, v17 op_sel_hi:[0,1,0]
	v_add_nc_u32_e32 v24, 0x60, v16
	s_waitcnt vmcnt(2) lgkmcnt(2)
	v_fma_mix_f32 v17, v12, v25, v17 op_sel_hi:[0,1,0]
	s_waitcnt vmcnt(1) lgkmcnt(1)
	v_fma_mix_f32 v16, v11, v26, v17 op_sel_hi:[0,1,0]
	v_cmpx_gt_i32_e64 s8, v24
	s_cbranch_execz .LBB432_43
; %bb.42:
	s_clause 0x3
	flat_load_ushort v2, v[2:3] offset:192
	flat_load_ushort v3, v[4:5] offset:192
	;; [unrolled: 1-line block ×4, first 2 shown]
	s_waitcnt vmcnt(3) lgkmcnt(3)
	v_fma_mix_f32 v2, v21, v2, v15 op_sel_hi:[0,1,0]
	s_waitcnt vmcnt(2) lgkmcnt(2)
	v_fma_mix_f32 v2, v12, v3, v2 op_sel_hi:[0,1,0]
	;; [unrolled: 2-line block ×4, first 2 shown]
.LBB432_43:
	s_or_b32 exec_lo, exec_lo, s3
	s_waitcnt vmcnt(0) lgkmcnt(0)
	v_fma_mix_f32 v17, v10, v23, v16 op_sel_hi:[0,1,0]
.LBB432_44:
	s_or_b32 exec_lo, exec_lo, s2
	s_waitcnt vmcnt(0) lgkmcnt(0)
	v_fma_mix_f32 v18, v10, v22, v18 op_sel_hi:[0,1,0]
.LBB432_45:
	s_or_b32 exec_lo, exec_lo, s0
	s_waitcnt vmcnt(0) lgkmcnt(0)
	v_fma_mix_f32 v19, v10, v20, v19 op_sel_hi:[0,1,0]
.LBB432_46:
	s_or_b32 exec_lo, exec_lo, s1
.LBB432_47:
	v_lshlrev_b32_e32 v0, 2, v0
	s_mov_b32 s0, exec_lo
                                        ; implicit-def: $vgpr5
                                        ; implicit-def: $vgpr2_vgpr3
	v_lshl_add_u32 v1, v1, 9, v0
	ds_write2_b32 v1, v19, v18 offset1:32
	ds_write2_b32 v1, v17, v15 offset0:64 offset1:96
	s_waitcnt lgkmcnt(0)
	s_barrier
	buffer_gl0_inv
	v_cmpx_gt_u32_e32 0x80, v13
	s_cbranch_execz .LBB432_53
; %bb.48:
	v_lshl_add_u32 v6, v14, 2, v0
	s_mov_b32 s2, s18
	s_mov_b32 s1, exec_lo
	ds_read2st64_b32 v[0:1], v6 offset1:2
	ds_read2st64_b32 v[2:3], v6 offset0:4 offset1:6
	ds_read2st64_b32 v[4:5], v6 offset0:8 offset1:10
	s_waitcnt lgkmcnt(2)
	v_add_f32_e32 v7, v0, v1
	ds_read2st64_b32 v[0:1], v6 offset0:12 offset1:14
	s_waitcnt lgkmcnt(2)
	v_add_f32_e32 v2, v2, v7
	v_add_f32_e32 v7, v3, v2
	ds_read2st64_b32 v[2:3], v6 offset0:16 offset1:18
	s_waitcnt lgkmcnt(2)
	v_add_f32_e32 v4, v4, v7
	;; [unrolled: 4-line block ×3, first 2 shown]
	v_add_f32_e32 v0, v1, v0
	s_waitcnt lgkmcnt(1)
	v_add_f32_e32 v2, v2, v0
	ds_read2st64_b32 v[0:1], v6 offset0:24 offset1:26
	v_add_f32_e32 v2, v3, v2
	s_waitcnt lgkmcnt(1)
	v_add_f32_e32 v4, v4, v2
	ds_read2st64_b32 v[2:3], v6 offset0:28 offset1:30
	v_add_f32_e32 v4, v5, v4
                                        ; implicit-def: $vgpr5
	s_waitcnt lgkmcnt(1)
	v_add_f32_e32 v0, v0, v4
	v_add_f32_e32 v0, v1, v0
	v_or_b32_e32 v1, s5, v13
	s_waitcnt lgkmcnt(0)
	v_add_f32_e32 v0, v2, v0
	v_add_f32_e32 v0, v3, v0
                                        ; implicit-def: $vgpr2_vgpr3
	ds_write_b32 v6, v0
	v_cmpx_gt_i32_e64 s8, v1
	s_cbranch_execz .LBB432_52
; %bb.49:
	v_mul_lo_u32 v2, s17, v1
	v_cmp_eq_f32_e64 s2, s7, 0
	v_mul_f32_e32 v0, s10, v0
	s_and_b32 vcc_lo, exec_lo, s2
	v_ashrrev_i32_e32 v3, 31, v2
	s_cbranch_vccnz .LBB432_51
; %bb.50:
	v_lshlrev_b64 v[4:5], 1, v[2:3]
	v_add_co_u32 v4, vcc_lo, s11, v4
	v_add_co_ci_u32_e64 v5, null, s16, v5, vcc_lo
	flat_load_ushort v1, v[4:5]
	s_waitcnt vmcnt(0) lgkmcnt(0)
	v_fma_mix_f32 v0, s7, v1, v0 op_sel_hi:[0,1,0]
.LBB432_51:
	v_cvt_f16_f32_e32 v5, v0
	s_or_b32 s2, s18, exec_lo
.LBB432_52:
	s_or_b32 exec_lo, exec_lo, s1
	s_andn2_b32 s1, s18, exec_lo
	s_and_b32 s2, s2, exec_lo
	s_or_b32 s18, s1, s2
.LBB432_53:
	s_or_b32 exec_lo, exec_lo, s0
.LBB432_54:
	s_and_saveexec_b32 s0, s18
	s_cbranch_execz .LBB432_56
; %bb.55:
	v_lshlrev_b64 v[0:1], 1, v[2:3]
	v_add_co_u32 v0, vcc_lo, s11, v0
	v_add_co_ci_u32_e64 v1, null, s16, v1, vcc_lo
	flat_store_short v[0:1], v5
.LBB432_56:
	s_endpgm
	.section	.rodata,"a",@progbits
	.p2align	6, 0x0
	.amdhsa_kernel _ZL20rocblas_gemvn_kernelILi32ELi16EiPKDF16_fKPDF16_EviiT3_lPKT2_lT1_lS7_lS8_lS4_lPT4_lS8_li
		.amdhsa_group_segment_fixed_size 8192
		.amdhsa_private_segment_fixed_size 0
		.amdhsa_kernarg_size 400
		.amdhsa_user_sgpr_count 6
		.amdhsa_user_sgpr_private_segment_buffer 1
		.amdhsa_user_sgpr_dispatch_ptr 0
		.amdhsa_user_sgpr_queue_ptr 0
		.amdhsa_user_sgpr_kernarg_segment_ptr 1
		.amdhsa_user_sgpr_dispatch_id 0
		.amdhsa_user_sgpr_flat_scratch_init 0
		.amdhsa_user_sgpr_private_segment_size 0
		.amdhsa_wavefront_size32 1
		.amdhsa_uses_dynamic_stack 0
		.amdhsa_system_sgpr_private_segment_wavefront_offset 0
		.amdhsa_system_sgpr_workgroup_id_x 1
		.amdhsa_system_sgpr_workgroup_id_y 0
		.amdhsa_system_sgpr_workgroup_id_z 1
		.amdhsa_system_sgpr_workgroup_info 0
		.amdhsa_system_vgpr_workitem_id 1
		.amdhsa_next_free_vgpr 46
		.amdhsa_next_free_sgpr 28
		.amdhsa_reserve_vcc 1
		.amdhsa_reserve_flat_scratch 1
		.amdhsa_float_round_mode_32 0
		.amdhsa_float_round_mode_16_64 0
		.amdhsa_float_denorm_mode_32 3
		.amdhsa_float_denorm_mode_16_64 3
		.amdhsa_dx10_clamp 1
		.amdhsa_ieee_mode 1
		.amdhsa_fp16_overflow 0
		.amdhsa_workgroup_processor_mode 1
		.amdhsa_memory_ordered 1
		.amdhsa_forward_progress 1
		.amdhsa_shared_vgpr_count 0
		.amdhsa_exception_fp_ieee_invalid_op 0
		.amdhsa_exception_fp_denorm_src 0
		.amdhsa_exception_fp_ieee_div_zero 0
		.amdhsa_exception_fp_ieee_overflow 0
		.amdhsa_exception_fp_ieee_underflow 0
		.amdhsa_exception_fp_ieee_inexact 0
		.amdhsa_exception_int_div_zero 0
	.end_amdhsa_kernel
	.section	.text._ZL20rocblas_gemvn_kernelILi32ELi16EiPKDF16_fKPDF16_EviiT3_lPKT2_lT1_lS7_lS8_lS4_lPT4_lS8_li,"axG",@progbits,_ZL20rocblas_gemvn_kernelILi32ELi16EiPKDF16_fKPDF16_EviiT3_lPKT2_lT1_lS7_lS8_lS4_lPT4_lS8_li,comdat
.Lfunc_end432:
	.size	_ZL20rocblas_gemvn_kernelILi32ELi16EiPKDF16_fKPDF16_EviiT3_lPKT2_lT1_lS7_lS8_lS4_lPT4_lS8_li, .Lfunc_end432-_ZL20rocblas_gemvn_kernelILi32ELi16EiPKDF16_fKPDF16_EviiT3_lPKT2_lT1_lS7_lS8_lS4_lPT4_lS8_li
                                        ; -- End function
	.set _ZL20rocblas_gemvn_kernelILi32ELi16EiPKDF16_fKPDF16_EviiT3_lPKT2_lT1_lS7_lS8_lS4_lPT4_lS8_li.num_vgpr, 46
	.set _ZL20rocblas_gemvn_kernelILi32ELi16EiPKDF16_fKPDF16_EviiT3_lPKT2_lT1_lS7_lS8_lS4_lPT4_lS8_li.num_agpr, 0
	.set _ZL20rocblas_gemvn_kernelILi32ELi16EiPKDF16_fKPDF16_EviiT3_lPKT2_lT1_lS7_lS8_lS4_lPT4_lS8_li.numbered_sgpr, 28
	.set _ZL20rocblas_gemvn_kernelILi32ELi16EiPKDF16_fKPDF16_EviiT3_lPKT2_lT1_lS7_lS8_lS4_lPT4_lS8_li.num_named_barrier, 0
	.set _ZL20rocblas_gemvn_kernelILi32ELi16EiPKDF16_fKPDF16_EviiT3_lPKT2_lT1_lS7_lS8_lS4_lPT4_lS8_li.private_seg_size, 0
	.set _ZL20rocblas_gemvn_kernelILi32ELi16EiPKDF16_fKPDF16_EviiT3_lPKT2_lT1_lS7_lS8_lS4_lPT4_lS8_li.uses_vcc, 1
	.set _ZL20rocblas_gemvn_kernelILi32ELi16EiPKDF16_fKPDF16_EviiT3_lPKT2_lT1_lS7_lS8_lS4_lPT4_lS8_li.uses_flat_scratch, 1
	.set _ZL20rocblas_gemvn_kernelILi32ELi16EiPKDF16_fKPDF16_EviiT3_lPKT2_lT1_lS7_lS8_lS4_lPT4_lS8_li.has_dyn_sized_stack, 0
	.set _ZL20rocblas_gemvn_kernelILi32ELi16EiPKDF16_fKPDF16_EviiT3_lPKT2_lT1_lS7_lS8_lS4_lPT4_lS8_li.has_recursion, 0
	.set _ZL20rocblas_gemvn_kernelILi32ELi16EiPKDF16_fKPDF16_EviiT3_lPKT2_lT1_lS7_lS8_lS4_lPT4_lS8_li.has_indirect_call, 0
	.section	.AMDGPU.csdata,"",@progbits
; Kernel info:
; codeLenInByte = 2960
; TotalNumSgprs: 30
; NumVgprs: 46
; ScratchSize: 0
; MemoryBound: 0
; FloatMode: 240
; IeeeMode: 1
; LDSByteSize: 8192 bytes/workgroup (compile time only)
; SGPRBlocks: 0
; VGPRBlocks: 5
; NumSGPRsForWavesPerEU: 30
; NumVGPRsForWavesPerEU: 46
; Occupancy: 16
; WaveLimiterHint : 1
; COMPUTE_PGM_RSRC2:SCRATCH_EN: 0
; COMPUTE_PGM_RSRC2:USER_SGPR: 6
; COMPUTE_PGM_RSRC2:TRAP_HANDLER: 0
; COMPUTE_PGM_RSRC2:TGID_X_EN: 1
; COMPUTE_PGM_RSRC2:TGID_Y_EN: 0
; COMPUTE_PGM_RSRC2:TGID_Z_EN: 1
; COMPUTE_PGM_RSRC2:TIDIG_COMP_CNT: 1
	.section	.text._ZL20rocblas_gemvn_kernelILi32ELi16ElPKDF16_fKPDF16_EviiT3_lPKT2_lT1_lS7_lS8_lS4_lPT4_lS8_li,"axG",@progbits,_ZL20rocblas_gemvn_kernelILi32ELi16ElPKDF16_fKPDF16_EviiT3_lPKT2_lT1_lS7_lS8_lS4_lPT4_lS8_li,comdat
	.globl	_ZL20rocblas_gemvn_kernelILi32ELi16ElPKDF16_fKPDF16_EviiT3_lPKT2_lT1_lS7_lS8_lS4_lPT4_lS8_li ; -- Begin function _ZL20rocblas_gemvn_kernelILi32ELi16ElPKDF16_fKPDF16_EviiT3_lPKT2_lT1_lS7_lS8_lS4_lPT4_lS8_li
	.p2align	8
	.type	_ZL20rocblas_gemvn_kernelILi32ELi16ElPKDF16_fKPDF16_EviiT3_lPKT2_lT1_lS7_lS8_lS4_lPT4_lS8_li,@function
_ZL20rocblas_gemvn_kernelILi32ELi16ElPKDF16_fKPDF16_EviiT3_lPKT2_lT1_lS7_lS8_lS4_lPT4_lS8_li: ; @_ZL20rocblas_gemvn_kernelILi32ELi16ElPKDF16_fKPDF16_EviiT3_lPKT2_lT1_lS7_lS8_lS4_lPT4_lS8_li
; %bb.0:
	s_load_dwordx2 s[0:1], s[4:5], 0x9c
	s_waitcnt lgkmcnt(0)
	s_lshr_b32 s2, s0, 16
	s_and_b32 s0, s0, 0xffff
	s_and_b32 s1, s1, 0xffff
	s_mul_i32 s0, s2, s0
	s_mul_i32 s0, s0, s1
	s_cmpk_lg_i32 s0, 0x200
	s_cbranch_scc1 .LBB433_56
; %bb.1:
	s_load_dwordx4 s[8:11], s[4:5], 0x0
	s_waitcnt lgkmcnt(0)
	s_load_dword s11, s[4:5], 0x58
	s_mov_b32 s20, s7
	s_mov_b32 s21, 0
	v_cmp_eq_f32_e64 s7, s10, 0
	s_waitcnt lgkmcnt(0)
	v_cmp_eq_f32_e64 s0, s11, 1.0
	s_and_b32 s0, s7, s0
	s_and_b32 vcc_lo, exec_lo, s0
	s_cbranch_vccnz .LBB433_56
; %bb.2:
	s_clause 0x1
	s_load_dwordx4 s[0:3], s[4:5], 0x18
	s_load_dwordx2 s[14:15], s[4:5], 0x28
	v_cmp_neq_f32_e64 s22, s10, 0
	s_and_b32 vcc_lo, exec_lo, s22
	s_cbranch_vccnz .LBB433_4
; %bb.3:
	s_mov_b32 s13, 0
	s_mov_b32 s12, s20
	;; [unrolled: 1-line block ×3, first 2 shown]
	s_mov_b64 s[18:19], 0
	s_andn2_b32 vcc_lo, exec_lo, s16
	s_mov_b64 s[16:17], 0
	s_cbranch_vccz .LBB433_5
	s_branch .LBB433_6
.LBB433_4:
	s_mov_b64 s[12:13], s[20:21]
	s_mov_b64 s[18:19], 0
	;; [unrolled: 1-line block ×3, first 2 shown]
.LBB433_5:
	s_lshl_b64 s[16:17], s[20:21], 3
	s_waitcnt lgkmcnt(0)
	s_add_u32 s0, s0, s16
	s_addc_u32 s1, s1, s17
	s_lshl_b64 s[2:3], s[2:3], 1
	s_load_dwordx2 s[0:1], s[0:1], 0x0
	s_waitcnt lgkmcnt(0)
	s_add_u32 s16, s0, s2
	s_addc_u32 s17, s1, s3
.LBB433_6:
	s_waitcnt lgkmcnt(0)
	s_clause 0x1
	s_load_dwordx4 s[0:3], s[4:5], 0x38
	s_load_dwordx2 s[20:21], s[4:5], 0x48
	s_andn2_b32 vcc_lo, exec_lo, s22
	s_cbranch_vccnz .LBB433_8
; %bb.7:
	s_lshl_b64 s[18:19], s[12:13], 3
	s_waitcnt lgkmcnt(0)
	s_add_u32 s0, s0, s18
	s_addc_u32 s1, s1, s19
	s_lshl_b64 s[2:3], s[2:3], 1
	s_load_dwordx2 s[0:1], s[0:1], 0x0
	s_waitcnt lgkmcnt(0)
	s_add_u32 s18, s0, s2
	s_addc_u32 s19, s1, s3
.LBB433_8:
	s_waitcnt lgkmcnt(0)
	s_load_dwordx4 s[0:3], s[4:5], 0x68
	s_lshl_b64 s[22:23], s[12:13], 3
	s_load_dwordx2 s[12:13], s[4:5], 0x78
	v_lshlrev_b32_e32 v22, 5, v1
	v_add_nc_u32_e32 v21, v22, v0
	s_waitcnt lgkmcnt(0)
	s_add_u32 s0, s0, s22
	s_addc_u32 s1, s1, s23
	s_lshl_b64 s[2:3], s[2:3], 1
	s_load_dwordx2 s[22:23], s[0:1], 0x0
	v_cmp_gt_u32_e64 s0, 0x80, v21
	s_waitcnt lgkmcnt(0)
	s_add_u32 s5, s22, s2
	s_addc_u32 s26, s23, s3
	s_andn2_b32 vcc_lo, exec_lo, s7
	s_cbranch_vccnz .LBB433_15
; %bb.9:
	s_mov_b32 s1, 0
	s_mov_b32 s27, 0
                                        ; implicit-def: $vgpr5
                                        ; implicit-def: $vgpr2_vgpr3
	s_and_saveexec_b32 s2, s0
	s_cbranch_execz .LBB433_16
; %bb.10:
	v_lshl_or_b32 v4, s6, 7, v21
	v_mov_b32_e32 v5, 0
	s_ashr_i32 s23, s8, 31
	s_mov_b32 s22, s8
	s_mov_b32 s3, 0
	s_mov_b32 s0, exec_lo
                                        ; implicit-def: $vgpr2_vgpr3
	v_cmpx_gt_i64_e64 s[22:23], v[4:5]
	s_cbranch_execz .LBB433_14
; %bb.11:
	v_mad_u64_u32 v[2:3], null, s12, v4, 0
	v_cmp_eq_f32_e64 s3, s11, 0
	s_and_b32 vcc_lo, exec_lo, s3
	v_mad_u64_u32 v[3:4], null, s13, v4, v[3:4]
	s_cbranch_vccnz .LBB433_13
; %bb.12:
	v_lshlrev_b64 v[4:5], 1, v[2:3]
	v_add_co_u32 v4, vcc_lo, s5, v4
	v_add_co_ci_u32_e64 v5, null, s26, v5, vcc_lo
	flat_load_ushort v4, v[4:5]
	s_waitcnt vmcnt(0) lgkmcnt(0)
	v_fma_mixlo_f16 v5, s11, v4, 0 op_sel_hi:[0,1,0]
.LBB433_13:
	s_mov_b32 s3, exec_lo
.LBB433_14:
	s_or_b32 exec_lo, exec_lo, s0
	s_and_b32 s27, s3, exec_lo
	s_or_b32 exec_lo, exec_lo, s2
	s_and_b32 vcc_lo, exec_lo, s1
	s_cbranch_vccnz .LBB433_17
	s_branch .LBB433_54
.LBB433_15:
	s_mov_b32 s27, 0
                                        ; implicit-def: $vgpr5
                                        ; implicit-def: $vgpr2_vgpr3
	s_cbranch_execnz .LBB433_17
	s_branch .LBB433_54
.LBB433_16:
	s_or_b32 exec_lo, exec_lo, s2
	s_and_b32 vcc_lo, exec_lo, s1
	s_cbranch_vccz .LBB433_54
.LBB433_17:
	s_ashr_i32 s0, s9, 31
	s_lshl_b32 s28, s6, 7
	s_lshr_b32 s0, s0, 26
	v_lshlrev_b32_e32 v24, 2, v1
	v_mov_b32_e32 v27, 0
	v_add_nc_u32_e32 v2, s28, v0
	v_mov_b32_e32 v26, 0
	v_mov_b32_e32 v25, 0
	;; [unrolled: 1-line block ×3, first 2 shown]
	s_add_i32 s29, s9, s0
	s_mov_b32 s30, exec_lo
	s_andn2_b32 s29, s29, 63
	v_cmpx_gt_i32_e64 s29, v24
	s_cbranch_execz .LBB433_29
; %bb.18:
	v_lshlrev_b32_e32 v23, 2, v1
	v_add_nc_u32_e32 v4, 32, v2
	v_mad_u64_u32 v[7:8], null, s20, v1, 0
	v_mad_u64_u32 v[9:10], null, s14, v1, 0
	v_or_b32_e32 v27, 3, v23
	v_add_nc_u32_e32 v11, 64, v2
	v_add_nc_u32_e32 v12, 0x60, v2
	v_cmp_gt_i32_e64 s0, s8, v4
	v_or_b32_e32 v32, 2, v23
	v_mad_u64_u32 v[5:6], null, s14, v27, 0
	v_cmp_gt_i32_e64 s1, s8, v11
	v_cmp_gt_i32_e64 s2, s8, v12
	v_mad_u64_u32 v[16:17], null, s14, v32, 0
	v_mad_u64_u32 v[18:19], null, s20, v27, 0
	v_mov_b32_e32 v4, v6
	v_mov_b32_e32 v6, v8
	;; [unrolled: 1-line block ×3, first 2 shown]
	v_ashrrev_i32_e32 v3, 31, v2
	s_lshl_b64 s[6:7], s[14:15], 7
	v_mad_u64_u32 v[11:12], null, s15, v27, v[4:5]
	v_mad_u64_u32 v[12:13], null, s21, v1, v[6:7]
	;; [unrolled: 1-line block ×4, first 2 shown]
	v_mov_b32_e32 v6, v11
	v_lshlrev_b64 v[3:4], 1, v[2:3]
	v_mov_b32_e32 v8, v12
	s_lshl_b64 s[22:23], s[20:21], 7
	v_mov_b32_e32 v10, v13
	v_lshlrev_b64 v[11:12], 1, v[5:6]
	s_mov_b32 s31, 0
	v_lshlrev_b64 v[5:6], 3, v[7:8]
	v_mov_b32_e32 v7, v17
	v_mov_b32_e32 v8, v15
	v_lshlrev_b64 v[9:10], 3, v[9:10]
	v_add_co_u32 v28, s3, s16, v11
	v_add_co_ci_u32_e64 v29, null, s17, v12, s3
	v_mad_u64_u32 v[11:12], null, s14, v23, s[14:15]
	v_mad_u64_u32 v[25:26], null, s15, v32, v[7:8]
	v_mov_b32_e32 v7, v19
	v_mad_u64_u32 v[19:20], null, s21, v23, v[8:9]
	v_add_co_u32 v30, s3, s16, v9
	v_mad_u64_u32 v[7:8], null, s21, v27, v[7:8]
	v_mov_b32_e32 v8, v12
	v_mov_b32_e32 v17, v25
	v_mad_u64_u32 v[25:26], null, s20, v32, 0
	v_mov_b32_e32 v15, v19
	v_mad_u64_u32 v[12:13], null, s15, v23, v[8:9]
	v_lshlrev_b64 v[16:17], 1, v[16:17]
	v_mov_b32_e32 v19, v7
	v_add_co_ci_u32_e64 v31, null, s17, v10, s3
	v_mov_b32_e32 v8, v26
	v_mov_b32_e32 v23, 0
	v_lshlrev_b64 v[11:12], 1, v[11:12]
	s_mov_b64 s[24:25], s[18:19]
	v_cmp_gt_i32_e32 vcc_lo, s8, v2
	v_mad_u64_u32 v[26:27], null, s21, v32, v[8:9]
	v_add_co_u32 v32, s3, s16, v16
	v_add_co_ci_u32_e64 v33, null, s17, v17, s3
	v_add_co_u32 v34, s3, s16, v11
	v_lshlrev_b64 v[7:8], 1, v[14:15]
	v_lshlrev_b64 v[9:10], 1, v[18:19]
	v_add_co_ci_u32_e64 v35, null, s17, v12, s3
	v_lshlrev_b64 v[11:12], 1, v[25:26]
	v_mov_b32_e32 v27, 0
	v_mov_b32_e32 v26, 0
	;; [unrolled: 1-line block ×3, first 2 shown]
	s_branch .LBB433_23
.LBB433_19:                             ;   in Loop: Header=BB433_23 Depth=1
	s_or_b32 exec_lo, exec_lo, s34
	s_waitcnt vmcnt(3) lgkmcnt(3)
	v_fma_mix_f32 v13, v48, v52, v25 op_sel_hi:[0,1,0]
	s_waitcnt vmcnt(2) lgkmcnt(2)
	v_fma_mix_f32 v13, v49, v53, v13 op_sel_hi:[0,1,0]
	;; [unrolled: 2-line block ×4, first 2 shown]
.LBB433_20:                             ;   in Loop: Header=BB433_23 Depth=1
	s_or_b32 exec_lo, exec_lo, s33
	s_waitcnt vmcnt(3) lgkmcnt(3)
	v_fma_mix_f32 v13, v48, v44, v26 op_sel_hi:[0,1,0]
	s_waitcnt vmcnt(2) lgkmcnt(2)
	v_fma_mix_f32 v13, v49, v45, v13 op_sel_hi:[0,1,0]
	;; [unrolled: 2-line block ×4, first 2 shown]
.LBB433_21:                             ;   in Loop: Header=BB433_23 Depth=1
	s_or_b32 exec_lo, exec_lo, s3
	s_waitcnt vmcnt(3) lgkmcnt(3)
	v_fma_mix_f32 v13, v36, v40, v27 op_sel_hi:[1,1,0]
	s_waitcnt vmcnt(2) lgkmcnt(2)
	v_fma_mix_f32 v13, v37, v41, v13 op_sel_hi:[1,1,0]
	;; [unrolled: 2-line block ×4, first 2 shown]
.LBB433_22:                             ;   in Loop: Header=BB433_23 Depth=1
	s_or_b32 exec_lo, exec_lo, s4
	v_add_co_u32 v28, s3, v28, s6
	v_add_nc_u32_e32 v24, 64, v24
	v_add_co_ci_u32_e64 v29, null, s7, v29, s3
	v_add_co_u32 v30, s3, v30, s6
	v_add_co_ci_u32_e64 v31, null, s7, v31, s3
	v_add_co_u32 v32, s3, v32, s6
	v_add_co_ci_u32_e64 v33, null, s7, v33, s3
	v_cmp_le_i32_e64 s3, s29, v24
	v_add_co_u32 v34, s4, v34, s6
	v_add_co_ci_u32_e64 v35, null, s7, v35, s4
	s_add_u32 s24, s24, s22
	s_addc_u32 s25, s25, s23
	s_or_b32 s31, s3, s31
	s_andn2_b32 exec_lo, exec_lo, s31
	s_cbranch_execz .LBB433_28
.LBB433_23:                             ; =>This Inner Loop Header: Depth=1
	s_and_saveexec_b32 s4, vcc_lo
	s_cbranch_execz .LBB433_22
; %bb.24:                               ;   in Loop: Header=BB433_23 Depth=1
	v_add_co_u32 v36, s3, s24, v5
	v_add_co_ci_u32_e64 v37, null, s25, v6, s3
	v_add_co_u32 v38, s3, s24, v7
	v_add_co_ci_u32_e64 v39, null, s25, v8, s3
	;; [unrolled: 2-line block ×8, first 2 shown]
	s_clause 0x3
	flat_load_ushort v36, v[36:37]
	flat_load_ushort v37, v[38:39]
	;; [unrolled: 1-line block ×8, first 2 shown]
	s_and_saveexec_b32 s3, s0
	s_cbranch_execz .LBB433_21
; %bb.25:                               ;   in Loop: Header=BB433_23 Depth=1
	flat_load_ushort v44, v[13:14] offset:64
	flat_load_ushort v45, v[15:16] offset:64
	;; [unrolled: 1-line block ×4, first 2 shown]
	s_waitcnt vmcnt(11) lgkmcnt(11)
	v_cvt_f32_f16_e32 v48, v36
	s_waitcnt vmcnt(10) lgkmcnt(10)
	v_cvt_f32_f16_e32 v49, v37
	;; [unrolled: 2-line block ×4, first 2 shown]
	s_and_saveexec_b32 s33, s1
	s_cbranch_execz .LBB433_20
; %bb.26:                               ;   in Loop: Header=BB433_23 Depth=1
	flat_load_ushort v52, v[13:14] offset:128
	flat_load_ushort v53, v[15:16] offset:128
	;; [unrolled: 1-line block ×4, first 2 shown]
	s_and_saveexec_b32 s34, s2
	s_cbranch_execz .LBB433_19
; %bb.27:                               ;   in Loop: Header=BB433_23 Depth=1
	flat_load_ushort v13, v[13:14] offset:192
	flat_load_ushort v14, v[15:16] offset:192
	;; [unrolled: 1-line block ×4, first 2 shown]
	s_waitcnt vmcnt(3) lgkmcnt(3)
	v_fma_mix_f32 v13, v48, v13, v23 op_sel_hi:[0,1,0]
	s_waitcnt vmcnt(2) lgkmcnt(2)
	v_fma_mix_f32 v13, v49, v14, v13 op_sel_hi:[0,1,0]
	;; [unrolled: 2-line block ×4, first 2 shown]
	s_branch .LBB433_19
.LBB433_28:
	s_or_b32 exec_lo, exec_lo, s31
.LBB433_29:
	s_or_b32 exec_lo, exec_lo, s30
	s_sub_i32 s0, s9, s29
	s_cmp_lt_i32 s0, 1
	s_cbranch_scc1 .LBB433_47
; %bb.30:
	v_cmp_gt_i32_e32 vcc_lo, s9, v24
	v_mov_b32_e32 v11, 0
	v_or_b32_e32 v4, 1, v24
	v_mov_b32_e32 v12, 0
	v_mov_b32_e32 v13, 0
	;; [unrolled: 1-line block ×3, first 2 shown]
	s_and_saveexec_b32 s1, vcc_lo
	s_cbranch_execz .LBB433_38
; %bb.31:
	v_mad_u64_u32 v[5:6], null, s20, v24, 0
	v_mov_b32_e32 v13, 0
	v_mov_b32_e32 v12, 0
	;; [unrolled: 1-line block ×3, first 2 shown]
	s_mov_b32 s2, exec_lo
	v_mov_b32_e32 v3, v6
	v_mad_u64_u32 v[6:7], null, s21, v24, v[3:4]
	v_lshlrev_b64 v[5:6], 1, v[5:6]
	v_add_co_u32 v5, s0, s18, v5
	v_add_co_ci_u32_e64 v6, null, s19, v6, s0
	flat_load_ushort v3, v[5:6]
	v_cmpx_gt_i32_e64 s9, v4
	s_cbranch_execz .LBB433_37
; %bb.32:
	v_mad_u64_u32 v[5:6], null, s20, v4, 0
	v_mov_b32_e32 v12, 0
	v_mov_b32_e32 v11, 0
	s_mov_b32 s3, exec_lo
	v_mad_u64_u32 v[6:7], null, s21, v4, v[6:7]
	v_lshlrev_b64 v[5:6], 1, v[5:6]
	v_add_co_u32 v5, s0, s18, v5
	v_add_co_ci_u32_e64 v6, null, s19, v6, s0
	flat_load_ushort v5, v[5:6]
	v_or_b32_e32 v6, 2, v24
	v_cmpx_gt_i32_e64 s9, v6
	s_cbranch_execz .LBB433_36
; %bb.33:
	v_mad_u64_u32 v[7:8], null, s20, v6, 0
	v_mov_b32_e32 v11, 0
	s_mov_b32 s4, exec_lo
	v_mad_u64_u32 v[8:9], null, s21, v6, v[8:9]
	v_lshlrev_b64 v[6:7], 1, v[7:8]
	v_add_co_u32 v6, s0, s18, v6
	v_add_co_ci_u32_e64 v7, null, s19, v7, s0
	flat_load_ushort v6, v[6:7]
	v_or_b32_e32 v7, 3, v24
	v_cmpx_gt_i32_e64 s9, v7
	s_cbranch_execz .LBB433_35
; %bb.34:
	v_mad_u64_u32 v[8:9], null, s20, v7, 0
	v_mad_u64_u32 v[9:10], null, s21, v7, v[9:10]
	v_lshlrev_b64 v[7:8], 1, v[8:9]
	v_add_co_u32 v7, s0, s18, v7
	v_add_co_ci_u32_e64 v8, null, s19, v8, s0
	flat_load_ushort v7, v[7:8]
	s_waitcnt vmcnt(0) lgkmcnt(0)
	v_cvt_f32_f16_e32 v11, v7
.LBB433_35:
	s_or_b32 exec_lo, exec_lo, s4
	s_waitcnt vmcnt(0) lgkmcnt(0)
	v_cvt_f32_f16_e32 v12, v6
.LBB433_36:
	s_or_b32 exec_lo, exec_lo, s3
	s_waitcnt vmcnt(0) lgkmcnt(0)
	v_cvt_f32_f16_e32 v13, v5
.LBB433_37:
	s_or_b32 exec_lo, exec_lo, s2
	s_waitcnt vmcnt(0) lgkmcnt(0)
	v_cvt_f32_f16_e32 v14, v3
.LBB433_38:
	s_or_b32 exec_lo, exec_lo, s1
	s_mov_b32 s1, exec_lo
	v_cmpx_gt_i32_e64 s8, v2
	s_cbranch_execz .LBB433_46
; %bb.39:
	v_mad_u64_u32 v[5:6], null, s14, v24, 0
	v_mad_u64_u32 v[7:8], null, s14, v4, 0
	v_ashrrev_i32_e32 v3, 31, v2
	v_or_b32_e32 v20, 2, v24
	v_or_b32_e32 v30, 3, v24
	v_cndmask_b32_e32 v5, 0, v5, vcc_lo
	v_lshlrev_b64 v[9:10], 1, v[2:3]
	v_mad_u64_u32 v[15:16], null, s15, v24, v[6:7]
	v_mov_b32_e32 v3, v8
	v_mad_u64_u32 v[16:17], null, s14, v20, 0
	v_mad_u64_u32 v[18:19], null, s14, v30, 0
	;; [unrolled: 1-line block ×3, first 2 shown]
	v_cndmask_b32_e32 v6, 0, v15, vcc_lo
	v_cmp_gt_i32_e32 vcc_lo, s9, v4
	v_mov_b32_e32 v3, v17
	v_cmp_gt_i32_e64 s0, s9, v20
	v_mov_b32_e32 v8, v19
	v_cndmask_b32_e32 v4, 0, v7, vcc_lo
	v_lshlrev_b64 v[6:7], 1, v[5:6]
	v_cndmask_b32_e32 v5, 0, v28, vcc_lo
	v_cndmask_b32_e64 v15, 0, v16, s0
	v_mad_u64_u32 v[19:20], null, s15, v20, v[3:4]
	v_add_co_u32 v3, vcc_lo, s16, v6
	v_lshlrev_b64 v[5:6], 1, v[4:5]
	v_add_co_ci_u32_e64 v7, null, s17, v7, vcc_lo
	v_add_co_u32 v3, vcc_lo, v3, v9
	v_cndmask_b32_e64 v16, 0, v19, s0
	v_add_co_ci_u32_e64 v4, null, v7, v10, vcc_lo
	v_add_co_u32 v5, vcc_lo, s16, v5
	v_add_co_ci_u32_e64 v6, null, s17, v6, vcc_lo
	v_mad_u64_u32 v[7:8], null, s15, v30, v[8:9]
	v_add_co_u32 v5, vcc_lo, v5, v9
	v_add_co_ci_u32_e64 v6, null, v6, v10, vcc_lo
	v_cmp_gt_i32_e32 vcc_lo, s9, v30
	v_lshlrev_b64 v[15:16], 1, v[15:16]
	s_clause 0x1
	flat_load_ushort v19, v[3:4]
	flat_load_ushort v20, v[5:6]
	s_mov_b32 s0, exec_lo
	v_cndmask_b32_e32 v17, 0, v18, vcc_lo
	v_cndmask_b32_e32 v18, 0, v7, vcc_lo
	v_add_co_u32 v7, vcc_lo, s16, v15
	v_add_co_ci_u32_e64 v8, null, s17, v16, vcc_lo
	v_lshlrev_b64 v[15:16], 1, v[17:18]
	v_add_co_u32 v7, vcc_lo, v7, v9
	v_add_co_ci_u32_e64 v8, null, v8, v10, vcc_lo
	v_add_nc_u32_e32 v18, 32, v2
	v_add_co_u32 v15, vcc_lo, s16, v15
	v_add_co_ci_u32_e64 v16, null, s17, v16, vcc_lo
	flat_load_ushort v17, v[7:8]
	v_add_co_u32 v9, vcc_lo, v15, v9
	v_add_co_ci_u32_e64 v10, null, v16, v10, vcc_lo
	flat_load_ushort v15, v[9:10]
	s_waitcnt vmcnt(3) lgkmcnt(3)
	v_fma_mix_f32 v16, v14, v19, v27 op_sel_hi:[0,1,0]
	s_waitcnt vmcnt(2) lgkmcnt(2)
	v_fma_mix_f32 v16, v13, v20, v16 op_sel_hi:[0,1,0]
	;; [unrolled: 2-line block ×3, first 2 shown]
	v_cmpx_gt_i32_e64 s8, v18
	s_cbranch_execz .LBB433_45
; %bb.40:
	s_clause 0x3
	flat_load_ushort v18, v[3:4] offset:64
	flat_load_ushort v19, v[5:6] offset:64
	;; [unrolled: 1-line block ×4, first 2 shown]
	s_mov_b32 s2, exec_lo
	s_waitcnt vmcnt(3) lgkmcnt(3)
	v_fma_mix_f32 v18, v14, v18, v26 op_sel_hi:[0,1,0]
	s_waitcnt vmcnt(2) lgkmcnt(2)
	v_fma_mix_f32 v18, v13, v19, v18 op_sel_hi:[0,1,0]
	v_add_nc_u32_e32 v19, 64, v2
	s_waitcnt vmcnt(1) lgkmcnt(1)
	v_fma_mix_f32 v18, v12, v20, v18 op_sel_hi:[0,1,0]
	v_cmpx_gt_i32_e64 s8, v19
	s_cbranch_execz .LBB433_44
; %bb.41:
	s_clause 0x3
	flat_load_ushort v20, v[3:4] offset:128
	flat_load_ushort v24, v[5:6] offset:128
	flat_load_ushort v26, v[7:8] offset:128
	flat_load_ushort v19, v[9:10] offset:128
	s_mov_b32 s3, exec_lo
	s_waitcnt vmcnt(3) lgkmcnt(3)
	v_fma_mix_f32 v20, v14, v20, v25 op_sel_hi:[0,1,0]
	s_waitcnt vmcnt(2) lgkmcnt(2)
	v_fma_mix_f32 v20, v13, v24, v20 op_sel_hi:[0,1,0]
	v_add_nc_u32_e32 v24, 0x60, v2
	s_waitcnt vmcnt(1) lgkmcnt(1)
	v_fma_mix_f32 v2, v12, v26, v20 op_sel_hi:[0,1,0]
	v_cmpx_gt_i32_e64 s8, v24
	s_cbranch_execz .LBB433_43
; %bb.42:
	s_clause 0x3
	flat_load_ushort v3, v[3:4] offset:192
	flat_load_ushort v4, v[5:6] offset:192
	;; [unrolled: 1-line block ×4, first 2 shown]
	s_waitcnt vmcnt(3) lgkmcnt(3)
	v_fma_mix_f32 v3, v14, v3, v23 op_sel_hi:[0,1,0]
	s_waitcnt vmcnt(2) lgkmcnt(2)
	v_fma_mix_f32 v3, v13, v4, v3 op_sel_hi:[0,1,0]
	;; [unrolled: 2-line block ×4, first 2 shown]
.LBB433_43:
	s_or_b32 exec_lo, exec_lo, s3
	s_waitcnt vmcnt(0) lgkmcnt(0)
	v_fma_mix_f32 v25, v11, v19, v2 op_sel_hi:[0,1,0]
.LBB433_44:
	s_or_b32 exec_lo, exec_lo, s2
	s_waitcnt vmcnt(0) lgkmcnt(0)
	v_fma_mix_f32 v26, v11, v17, v18 op_sel_hi:[0,1,0]
.LBB433_45:
	s_or_b32 exec_lo, exec_lo, s0
	s_waitcnt vmcnt(0) lgkmcnt(0)
	v_fma_mix_f32 v27, v11, v15, v16 op_sel_hi:[0,1,0]
.LBB433_46:
	s_or_b32 exec_lo, exec_lo, s1
.LBB433_47:
	v_lshlrev_b32_e32 v0, 2, v0
	s_mov_b32 s0, exec_lo
                                        ; implicit-def: $vgpr5
                                        ; implicit-def: $vgpr2_vgpr3
	v_lshl_add_u32 v1, v1, 9, v0
	ds_write2_b32 v1, v27, v26 offset1:32
	ds_write2_b32 v1, v25, v23 offset0:64 offset1:96
	s_waitcnt lgkmcnt(0)
	s_barrier
	buffer_gl0_inv
	v_cmpx_gt_u32_e32 0x80, v21
	s_cbranch_execz .LBB433_53
; %bb.48:
	v_lshl_add_u32 v6, v22, 2, v0
	s_mov_b32 s2, s27
	s_mov_b32 s1, exec_lo
	ds_read2st64_b32 v[0:1], v6 offset1:2
	ds_read2st64_b32 v[2:3], v6 offset0:4 offset1:6
	ds_read2st64_b32 v[4:5], v6 offset0:8 offset1:10
	s_waitcnt lgkmcnt(2)
	v_add_f32_e32 v7, v0, v1
	ds_read2st64_b32 v[0:1], v6 offset0:12 offset1:14
	s_waitcnt lgkmcnt(2)
	v_add_f32_e32 v2, v2, v7
	v_add_f32_e32 v7, v3, v2
	ds_read2st64_b32 v[2:3], v6 offset0:16 offset1:18
	s_waitcnt lgkmcnt(2)
	v_add_f32_e32 v4, v4, v7
	;; [unrolled: 4-line block ×3, first 2 shown]
	v_add_f32_e32 v0, v1, v0
	s_waitcnt lgkmcnt(1)
	v_add_f32_e32 v2, v2, v0
	ds_read2st64_b32 v[0:1], v6 offset0:24 offset1:26
	v_add_f32_e32 v2, v3, v2
	s_waitcnt lgkmcnt(1)
	v_add_f32_e32 v4, v4, v2
	ds_read2st64_b32 v[2:3], v6 offset0:28 offset1:30
	v_add_f32_e32 v4, v5, v4
                                        ; implicit-def: $vgpr5
	s_waitcnt lgkmcnt(1)
	v_add_f32_e32 v0, v0, v4
	v_add_f32_e32 v0, v1, v0
	v_or_b32_e32 v1, s28, v21
	s_waitcnt lgkmcnt(0)
	v_add_f32_e32 v0, v2, v0
	v_add_f32_e32 v0, v3, v0
                                        ; implicit-def: $vgpr2_vgpr3
	ds_write_b32 v6, v0
	v_cmpx_gt_i32_e64 s8, v1
	s_cbranch_execz .LBB433_52
; %bb.49:
	v_ashrrev_i32_e32 v4, 31, v1
	v_mul_lo_u32 v5, s13, v1
	v_mad_u64_u32 v[2:3], null, s12, v1, 0
	v_cmp_eq_f32_e64 s2, s11, 0
	v_mul_lo_u32 v1, s12, v4
	v_mul_f32_e32 v0, s10, v0
	s_and_b32 vcc_lo, exec_lo, s2
	v_add3_u32 v3, v3, v1, v5
	s_cbranch_vccnz .LBB433_51
; %bb.50:
	v_lshlrev_b64 v[4:5], 1, v[2:3]
	v_add_co_u32 v4, vcc_lo, s5, v4
	v_add_co_ci_u32_e64 v5, null, s26, v5, vcc_lo
	flat_load_ushort v1, v[4:5]
	s_waitcnt vmcnt(0) lgkmcnt(0)
	v_fma_mix_f32 v0, s11, v1, v0 op_sel_hi:[0,1,0]
.LBB433_51:
	v_cvt_f16_f32_e32 v5, v0
	s_or_b32 s2, s27, exec_lo
.LBB433_52:
	s_or_b32 exec_lo, exec_lo, s1
	s_andn2_b32 s1, s27, exec_lo
	s_and_b32 s2, s2, exec_lo
	s_or_b32 s27, s1, s2
.LBB433_53:
	s_or_b32 exec_lo, exec_lo, s0
.LBB433_54:
	s_and_saveexec_b32 s0, s27
	s_cbranch_execz .LBB433_56
; %bb.55:
	v_lshlrev_b64 v[0:1], 1, v[2:3]
	v_add_co_u32 v0, vcc_lo, s5, v0
	v_add_co_ci_u32_e64 v1, null, s26, v1, vcc_lo
	flat_store_short v[0:1], v5
.LBB433_56:
	s_endpgm
	.section	.rodata,"a",@progbits
	.p2align	6, 0x0
	.amdhsa_kernel _ZL20rocblas_gemvn_kernelILi32ELi16ElPKDF16_fKPDF16_EviiT3_lPKT2_lT1_lS7_lS8_lS4_lPT4_lS8_li
		.amdhsa_group_segment_fixed_size 8192
		.amdhsa_private_segment_fixed_size 0
		.amdhsa_kernarg_size 400
		.amdhsa_user_sgpr_count 6
		.amdhsa_user_sgpr_private_segment_buffer 1
		.amdhsa_user_sgpr_dispatch_ptr 0
		.amdhsa_user_sgpr_queue_ptr 0
		.amdhsa_user_sgpr_kernarg_segment_ptr 1
		.amdhsa_user_sgpr_dispatch_id 0
		.amdhsa_user_sgpr_flat_scratch_init 0
		.amdhsa_user_sgpr_private_segment_size 0
		.amdhsa_wavefront_size32 1
		.amdhsa_uses_dynamic_stack 0
		.amdhsa_system_sgpr_private_segment_wavefront_offset 0
		.amdhsa_system_sgpr_workgroup_id_x 1
		.amdhsa_system_sgpr_workgroup_id_y 0
		.amdhsa_system_sgpr_workgroup_id_z 1
		.amdhsa_system_sgpr_workgroup_info 0
		.amdhsa_system_vgpr_workitem_id 1
		.amdhsa_next_free_vgpr 56
		.amdhsa_next_free_sgpr 35
		.amdhsa_reserve_vcc 1
		.amdhsa_reserve_flat_scratch 1
		.amdhsa_float_round_mode_32 0
		.amdhsa_float_round_mode_16_64 0
		.amdhsa_float_denorm_mode_32 3
		.amdhsa_float_denorm_mode_16_64 3
		.amdhsa_dx10_clamp 1
		.amdhsa_ieee_mode 1
		.amdhsa_fp16_overflow 0
		.amdhsa_workgroup_processor_mode 1
		.amdhsa_memory_ordered 1
		.amdhsa_forward_progress 1
		.amdhsa_shared_vgpr_count 0
		.amdhsa_exception_fp_ieee_invalid_op 0
		.amdhsa_exception_fp_denorm_src 0
		.amdhsa_exception_fp_ieee_div_zero 0
		.amdhsa_exception_fp_ieee_overflow 0
		.amdhsa_exception_fp_ieee_underflow 0
		.amdhsa_exception_fp_ieee_inexact 0
		.amdhsa_exception_int_div_zero 0
	.end_amdhsa_kernel
	.section	.text._ZL20rocblas_gemvn_kernelILi32ELi16ElPKDF16_fKPDF16_EviiT3_lPKT2_lT1_lS7_lS8_lS4_lPT4_lS8_li,"axG",@progbits,_ZL20rocblas_gemvn_kernelILi32ELi16ElPKDF16_fKPDF16_EviiT3_lPKT2_lT1_lS7_lS8_lS4_lPT4_lS8_li,comdat
.Lfunc_end433:
	.size	_ZL20rocblas_gemvn_kernelILi32ELi16ElPKDF16_fKPDF16_EviiT3_lPKT2_lT1_lS7_lS8_lS4_lPT4_lS8_li, .Lfunc_end433-_ZL20rocblas_gemvn_kernelILi32ELi16ElPKDF16_fKPDF16_EviiT3_lPKT2_lT1_lS7_lS8_lS4_lPT4_lS8_li
                                        ; -- End function
	.set _ZL20rocblas_gemvn_kernelILi32ELi16ElPKDF16_fKPDF16_EviiT3_lPKT2_lT1_lS7_lS8_lS4_lPT4_lS8_li.num_vgpr, 56
	.set _ZL20rocblas_gemvn_kernelILi32ELi16ElPKDF16_fKPDF16_EviiT3_lPKT2_lT1_lS7_lS8_lS4_lPT4_lS8_li.num_agpr, 0
	.set _ZL20rocblas_gemvn_kernelILi32ELi16ElPKDF16_fKPDF16_EviiT3_lPKT2_lT1_lS7_lS8_lS4_lPT4_lS8_li.numbered_sgpr, 35
	.set _ZL20rocblas_gemvn_kernelILi32ELi16ElPKDF16_fKPDF16_EviiT3_lPKT2_lT1_lS7_lS8_lS4_lPT4_lS8_li.num_named_barrier, 0
	.set _ZL20rocblas_gemvn_kernelILi32ELi16ElPKDF16_fKPDF16_EviiT3_lPKT2_lT1_lS7_lS8_lS4_lPT4_lS8_li.private_seg_size, 0
	.set _ZL20rocblas_gemvn_kernelILi32ELi16ElPKDF16_fKPDF16_EviiT3_lPKT2_lT1_lS7_lS8_lS4_lPT4_lS8_li.uses_vcc, 1
	.set _ZL20rocblas_gemvn_kernelILi32ELi16ElPKDF16_fKPDF16_EviiT3_lPKT2_lT1_lS7_lS8_lS4_lPT4_lS8_li.uses_flat_scratch, 1
	.set _ZL20rocblas_gemvn_kernelILi32ELi16ElPKDF16_fKPDF16_EviiT3_lPKT2_lT1_lS7_lS8_lS4_lPT4_lS8_li.has_dyn_sized_stack, 0
	.set _ZL20rocblas_gemvn_kernelILi32ELi16ElPKDF16_fKPDF16_EviiT3_lPKT2_lT1_lS7_lS8_lS4_lPT4_lS8_li.has_recursion, 0
	.set _ZL20rocblas_gemvn_kernelILi32ELi16ElPKDF16_fKPDF16_EviiT3_lPKT2_lT1_lS7_lS8_lS4_lPT4_lS8_li.has_indirect_call, 0
	.section	.AMDGPU.csdata,"",@progbits
; Kernel info:
; codeLenInByte = 3260
; TotalNumSgprs: 37
; NumVgprs: 56
; ScratchSize: 0
; MemoryBound: 0
; FloatMode: 240
; IeeeMode: 1
; LDSByteSize: 8192 bytes/workgroup (compile time only)
; SGPRBlocks: 0
; VGPRBlocks: 6
; NumSGPRsForWavesPerEU: 37
; NumVGPRsForWavesPerEU: 56
; Occupancy: 16
; WaveLimiterHint : 1
; COMPUTE_PGM_RSRC2:SCRATCH_EN: 0
; COMPUTE_PGM_RSRC2:USER_SGPR: 6
; COMPUTE_PGM_RSRC2:TRAP_HANDLER: 0
; COMPUTE_PGM_RSRC2:TGID_X_EN: 1
; COMPUTE_PGM_RSRC2:TGID_Y_EN: 0
; COMPUTE_PGM_RSRC2:TGID_Z_EN: 1
; COMPUTE_PGM_RSRC2:TIDIG_COMP_CNT: 1
	.section	.text._ZL20rocblas_gemvn_kernelILi64ELi16EiPKDF16_PKfKPDF16_EviiT3_lPKT2_lT1_lS9_lSA_lS6_lPT4_lSA_li,"axG",@progbits,_ZL20rocblas_gemvn_kernelILi64ELi16EiPKDF16_PKfKPDF16_EviiT3_lPKT2_lT1_lS9_lSA_lS6_lPT4_lSA_li,comdat
	.globl	_ZL20rocblas_gemvn_kernelILi64ELi16EiPKDF16_PKfKPDF16_EviiT3_lPKT2_lT1_lS9_lSA_lS6_lPT4_lSA_li ; -- Begin function _ZL20rocblas_gemvn_kernelILi64ELi16EiPKDF16_PKfKPDF16_EviiT3_lPKT2_lT1_lS9_lSA_lS6_lPT4_lSA_li
	.p2align	8
	.type	_ZL20rocblas_gemvn_kernelILi64ELi16EiPKDF16_PKfKPDF16_EviiT3_lPKT2_lT1_lS9_lSA_lS6_lPT4_lSA_li,@function
_ZL20rocblas_gemvn_kernelILi64ELi16EiPKDF16_PKfKPDF16_EviiT3_lPKT2_lT1_lS9_lSA_lS6_lPT4_lSA_li: ; @_ZL20rocblas_gemvn_kernelILi64ELi16EiPKDF16_PKfKPDF16_EviiT3_lPKT2_lT1_lS9_lSA_lS6_lPT4_lSA_li
; %bb.0:
	s_load_dwordx2 s[2:3], s[4:5], 0x9c
	s_waitcnt lgkmcnt(0)
	s_lshr_b32 s1, s2, 16
	s_and_b32 s2, s2, 0xffff
	s_and_b32 s3, s3, 0xffff
	s_mul_i32 s1, s1, s2
	s_mul_i32 s1, s1, s3
	s_cmpk_lg_i32 s1, 0x400
	s_cbranch_scc1 .LBB434_54
; %bb.1:
	s_clause 0x1
	s_load_dwordx8 s[16:23], s[4:5], 0x8
	s_load_dwordx8 s[8:15], s[4:5], 0x58
	s_mov_b32 s0, s7
	s_waitcnt lgkmcnt(0)
	s_mul_i32 s1, s19, s7
	s_mul_hi_u32 s3, s18, s7
	s_mul_i32 s2, s18, s7
	s_add_i32 s3, s3, s1
	s_mul_i32 s1, s11, s7
	s_lshl_b64 s[2:3], s[2:3], 2
	s_mul_hi_u32 s7, s10, s7
	s_add_u32 s2, s16, s2
	s_addc_u32 s3, s17, s3
	s_add_i32 s11, s7, s1
	s_mul_i32 s10, s10, s0
	s_lshl_b64 s[10:11], s[10:11], 2
	s_add_u32 s8, s8, s10
	s_addc_u32 s9, s9, s11
	s_load_dword s18, s[2:3], 0x0
	s_load_dword s7, s[8:9], 0x0
	s_waitcnt lgkmcnt(0)
	v_cmp_eq_f32_e64 s2, s18, 0
	v_cmp_eq_f32_e64 s1, s7, 1.0
	s_and_b32 s1, s2, s1
	s_and_b32 vcc_lo, exec_lo, s1
	s_mov_b32 s1, 0
	s_cbranch_vccnz .LBB434_54
; %bb.2:
	v_cmp_neq_f32_e64 s3, s18, 0
	s_mov_b64 s[16:17], 0
	s_and_b32 vcc_lo, exec_lo, s2
	s_mov_b64 s[10:11], 0
	s_cbranch_vccnz .LBB434_4
; %bb.3:
	s_lshl_b64 s[8:9], s[0:1], 3
	s_add_u32 s8, s20, s8
	s_addc_u32 s9, s21, s9
	s_lshl_b64 s[10:11], s[22:23], 1
	s_load_dwordx2 s[8:9], s[8:9], 0x0
	s_waitcnt lgkmcnt(0)
	s_add_u32 s10, s8, s10
	s_addc_u32 s11, s9, s11
.LBB434_4:
	s_andn2_b32 vcc_lo, exec_lo, s3
	s_cbranch_vccnz .LBB434_6
; %bb.5:
	s_load_dwordx4 s[20:23], s[4:5], 0x38
	s_lshl_b64 s[8:9], s[0:1], 3
	s_waitcnt lgkmcnt(0)
	s_add_u32 s8, s20, s8
	s_addc_u32 s9, s21, s9
	s_lshl_b64 s[16:17], s[22:23], 1
	s_load_dwordx2 s[8:9], s[8:9], 0x0
	s_waitcnt lgkmcnt(0)
	s_add_u32 s16, s8, s16
	s_addc_u32 s17, s9, s17
.LBB434_6:
	s_lshl_b64 s[0:1], s[0:1], 3
	v_lshlrev_b32_e32 v14, 6, v1
	s_add_u32 s0, s12, s0
	s_addc_u32 s1, s13, s1
	s_lshl_b64 s[14:15], s[14:15], 1
	s_load_dwordx2 s[12:13], s[0:1], 0x0
	s_clause 0x1
	s_load_dwordx2 s[8:9], s[4:5], 0x0
	s_load_dword s19, s[4:5], 0x78
	v_add_nc_u32_e32 v13, v14, v0
	v_cmp_gt_u32_e64 s0, 0x100, v13
	s_waitcnt lgkmcnt(0)
	s_add_u32 s12, s12, s14
	s_addc_u32 s13, s13, s15
	s_andn2_b32 vcc_lo, exec_lo, s2
	s_cbranch_vccnz .LBB434_13
; %bb.7:
	s_mov_b32 s1, 0
	s_mov_b32 s14, 0
                                        ; implicit-def: $vgpr5
                                        ; implicit-def: $vgpr2_vgpr3
	s_and_saveexec_b32 s2, s0
	s_cbranch_execz .LBB434_14
; %bb.8:
	v_lshl_or_b32 v4, s6, 8, v13
	v_mov_b32_e32 v5, 0
	s_ashr_i32 s15, s8, 31
	s_mov_b32 s14, s8
	s_mov_b32 s3, 0
	s_mov_b32 s0, exec_lo
                                        ; implicit-def: $vgpr2_vgpr3
	v_cmpx_gt_i64_e64 s[14:15], v[4:5]
	s_cbranch_execz .LBB434_12
; %bb.9:
	v_mad_u64_u32 v[2:3], null, s19, v4, 0
	s_ashr_i32 s3, s19, 31
	v_mad_u64_u32 v[3:4], null, s3, v4, v[3:4]
	v_cmp_eq_f32_e64 s3, s7, 0
	s_and_b32 vcc_lo, exec_lo, s3
	s_cbranch_vccnz .LBB434_11
; %bb.10:
	v_lshlrev_b64 v[4:5], 1, v[2:3]
	v_add_co_u32 v4, vcc_lo, s12, v4
	v_add_co_ci_u32_e64 v5, null, s13, v5, vcc_lo
	flat_load_ushort v4, v[4:5]
	s_waitcnt vmcnt(0) lgkmcnt(0)
	v_fma_mixlo_f16 v5, s7, v4, 0 op_sel_hi:[0,1,0]
.LBB434_11:
	s_mov_b32 s3, exec_lo
.LBB434_12:
	s_or_b32 exec_lo, exec_lo, s0
	s_and_b32 s14, s3, exec_lo
	s_or_b32 exec_lo, exec_lo, s2
	s_and_b32 vcc_lo, exec_lo, s1
	s_cbranch_vccnz .LBB434_15
	s_branch .LBB434_52
.LBB434_13:
	s_mov_b32 s14, 0
                                        ; implicit-def: $vgpr5
                                        ; implicit-def: $vgpr2_vgpr3
	s_cbranch_execnz .LBB434_15
	s_branch .LBB434_52
.LBB434_14:
	s_or_b32 exec_lo, exec_lo, s2
	s_and_b32 vcc_lo, exec_lo, s1
	s_cbranch_vccz .LBB434_52
.LBB434_15:
	s_clause 0x1
	s_load_dword s15, s[4:5], 0x28
	s_load_dword s4, s[4:5], 0x48
	s_ashr_i32 s0, s9, 31
	s_lshl_b32 s5, s6, 8
	s_lshr_b32 s0, s0, 26
	v_lshlrev_b32_e32 v20, 2, v1
	v_add_nc_u32_e32 v16, s5, v0
	v_mov_b32_e32 v19, 0
	v_mov_b32_e32 v18, 0
	;; [unrolled: 1-line block ×4, first 2 shown]
	s_add_i32 s0, s9, s0
	s_mov_b32 s20, exec_lo
	s_and_b32 s6, s0, 0xffffffc0
	v_cmpx_gt_i32_e64 s6, v20
	s_cbranch_execz .LBB434_27
; %bb.16:
	v_add_nc_u32_e32 v5, 0xc0, v16
	s_waitcnt lgkmcnt(0)
	v_mul_lo_u32 v3, s15, v20
	v_add_nc_u32_e32 v2, 64, v16
	v_add_nc_u32_e32 v6, 2, v20
	v_add_nc_u32_e32 v4, 0x80, v16
	v_cmp_gt_i32_e64 s2, s8, v5
	v_mul_lo_u32 v5, v1, s15
	v_add_nc_u32_e32 v7, 3, v20
	v_mul_lo_u32 v8, v1, s4
	v_cmp_gt_i32_e64 s0, s8, v2
	v_add3_u32 v21, v3, s15, v0
	v_mad_u64_u32 v[2:3], null, s15, v6, v[0:1]
	v_cmp_gt_i32_e64 s1, s8, v4
	v_mad_u64_u32 v[3:4], null, s15, v7, v[0:1]
	v_lshl_add_u32 v22, v5, 2, v0
	v_mad_u64_u32 v[4:5], null, s4, v20, s[4:5]
	v_mul_lo_u32 v23, s4, v6
	v_mul_lo_u32 v24, s4, v7
	v_lshlrev_b32_e32 v25, 2, v8
	v_mov_b32_e32 v19, 0
	v_mov_b32_e32 v18, 0
	;; [unrolled: 1-line block ×4, first 2 shown]
	s_lshl_b32 s21, s15, 6
	s_lshl_b32 s23, s4, 6
	s_mov_b32 s22, 0
	s_mov_b32 s24, 0
	v_cmp_gt_i32_e32 vcc_lo, s8, v16
	s_branch .LBB434_21
.LBB434_17:                             ;   in Loop: Header=BB434_21 Depth=1
	s_or_b32 exec_lo, exec_lo, s27
	s_waitcnt vmcnt(3) lgkmcnt(3)
	v_fma_mix_f32 v5, v38, v42, v17 op_sel_hi:[0,1,0]
	s_waitcnt vmcnt(2) lgkmcnt(2)
	v_fma_mix_f32 v5, v39, v43, v5 op_sel_hi:[0,1,0]
	;; [unrolled: 2-line block ×4, first 2 shown]
.LBB434_18:                             ;   in Loop: Header=BB434_21 Depth=1
	s_or_b32 exec_lo, exec_lo, s26
	s_waitcnt vmcnt(3) lgkmcnt(3)
	v_fma_mix_f32 v5, v38, v34, v18 op_sel_hi:[0,1,0]
	s_waitcnt vmcnt(2) lgkmcnt(2)
	v_fma_mix_f32 v5, v39, v35, v5 op_sel_hi:[0,1,0]
	;; [unrolled: 2-line block ×4, first 2 shown]
.LBB434_19:                             ;   in Loop: Header=BB434_21 Depth=1
	s_or_b32 exec_lo, exec_lo, s3
	s_waitcnt vmcnt(3) lgkmcnt(3)
	v_fma_mix_f32 v5, v26, v30, v19 op_sel_hi:[1,1,0]
	s_waitcnt vmcnt(2) lgkmcnt(2)
	v_fma_mix_f32 v5, v27, v31, v5 op_sel_hi:[1,1,0]
	s_waitcnt vmcnt(1) lgkmcnt(1)
	v_fma_mix_f32 v5, v28, v32, v5 op_sel_hi:[1,1,0]
	s_waitcnt vmcnt(0) lgkmcnt(0)
	v_fma_mix_f32 v19, v29, v33, v5 op_sel_hi:[1,1,0]
.LBB434_20:                             ;   in Loop: Header=BB434_21 Depth=1
	s_or_b32 exec_lo, exec_lo, s25
	v_add_nc_u32_e32 v20, 64, v20
	v_add_nc_u32_e32 v21, s21, v21
	;; [unrolled: 1-line block ×5, first 2 shown]
	v_cmp_le_i32_e64 s3, s6, v20
	s_add_i32 s24, s24, s23
	s_or_b32 s22, s3, s22
	s_andn2_b32 exec_lo, exec_lo, s22
	s_cbranch_execz .LBB434_26
.LBB434_21:                             ; =>This Inner Loop Header: Depth=1
	s_and_saveexec_b32 s25, vcc_lo
	s_cbranch_execz .LBB434_20
; %bb.22:                               ;   in Loop: Header=BB434_21 Depth=1
	v_add_nc_u32_e32 v5, s24, v25
	v_add_nc_u32_e32 v7, s24, v4
	;; [unrolled: 1-line block ×5, first 2 shown]
	v_ashrrev_i32_e32 v6, 31, v5
	v_ashrrev_i32_e32 v8, 31, v7
	;; [unrolled: 1-line block ×5, first 2 shown]
	v_lshlrev_b64 v[5:6], 1, v[5:6]
	v_lshlrev_b64 v[7:8], 1, v[7:8]
	;; [unrolled: 1-line block ×3, first 2 shown]
	v_add_co_u32 v28, s3, s16, v5
	v_add_co_ci_u32_e64 v29, null, s17, v6, s3
	v_add_co_u32 v30, s3, s16, v7
	v_add_nc_u32_e32 v7, s5, v21
	v_add_co_ci_u32_e64 v31, null, s17, v8, s3
	v_lshlrev_b64 v[5:6], 1, v[11:12]
	v_add_co_u32 v32, s3, s16, v9
	v_add_nc_u32_e32 v11, s5, v2
	v_add_co_ci_u32_e64 v33, null, s17, v10, s3
	v_lshlrev_b64 v[9:10], 1, v[26:27]
	v_add_nc_u32_e32 v26, s5, v3
	v_ashrrev_i32_e32 v8, 31, v7
	v_ashrrev_i32_e32 v12, 31, v11
	v_add_co_u32 v34, s3, s16, v5
	v_ashrrev_i32_e32 v27, 31, v26
	v_add_co_ci_u32_e64 v35, null, s17, v6, s3
	v_lshlrev_b64 v[7:8], 1, v[7:8]
	v_add_co_u32 v5, s3, s10, v9
	v_add_co_ci_u32_e64 v6, null, s11, v10, s3
	v_lshlrev_b64 v[9:10], 1, v[11:12]
	v_lshlrev_b64 v[11:12], 1, v[26:27]
	v_add_co_u32 v7, s3, s10, v7
	v_add_co_ci_u32_e64 v8, null, s11, v8, s3
	v_add_co_u32 v9, s3, s10, v9
	v_add_co_ci_u32_e64 v10, null, s11, v10, s3
	;; [unrolled: 2-line block ×3, first 2 shown]
	s_clause 0x3
	flat_load_ushort v26, v[28:29]
	flat_load_ushort v27, v[30:31]
	;; [unrolled: 1-line block ×4, first 2 shown]
	s_clause 0x3
	flat_load_ushort v30, v[5:6]
	flat_load_ushort v31, v[7:8]
	;; [unrolled: 1-line block ×4, first 2 shown]
	s_and_saveexec_b32 s3, s0
	s_cbranch_execz .LBB434_19
; %bb.23:                               ;   in Loop: Header=BB434_21 Depth=1
	s_clause 0x3
	flat_load_ushort v34, v[5:6] offset:128
	flat_load_ushort v35, v[7:8] offset:128
	flat_load_ushort v36, v[9:10] offset:128
	flat_load_ushort v37, v[11:12] offset:128
	s_waitcnt vmcnt(11) lgkmcnt(11)
	v_cvt_f32_f16_e32 v38, v26
	s_waitcnt vmcnt(10) lgkmcnt(10)
	v_cvt_f32_f16_e32 v39, v27
	;; [unrolled: 2-line block ×4, first 2 shown]
	s_and_saveexec_b32 s26, s1
	s_cbranch_execz .LBB434_18
; %bb.24:                               ;   in Loop: Header=BB434_21 Depth=1
	s_clause 0x3
	flat_load_ushort v42, v[5:6] offset:256
	flat_load_ushort v43, v[7:8] offset:256
	;; [unrolled: 1-line block ×4, first 2 shown]
	s_and_saveexec_b32 s27, s2
	s_cbranch_execz .LBB434_17
; %bb.25:                               ;   in Loop: Header=BB434_21 Depth=1
	s_clause 0x3
	flat_load_ushort v5, v[5:6] offset:384
	flat_load_ushort v6, v[7:8] offset:384
	flat_load_ushort v7, v[9:10] offset:384
	flat_load_ushort v8, v[11:12] offset:384
	s_waitcnt vmcnt(3) lgkmcnt(3)
	v_fma_mix_f32 v5, v38, v5, v15 op_sel_hi:[0,1,0]
	s_waitcnt vmcnt(2) lgkmcnt(2)
	v_fma_mix_f32 v5, v39, v6, v5 op_sel_hi:[0,1,0]
	;; [unrolled: 2-line block ×4, first 2 shown]
	s_branch .LBB434_17
.LBB434_26:
	s_or_b32 exec_lo, exec_lo, s22
.LBB434_27:
	s_or_b32 exec_lo, exec_lo, s20
	s_sub_i32 s0, s9, s6
	s_cmp_lt_i32 s0, 1
	s_cbranch_scc1 .LBB434_45
; %bb.28:
	v_cmp_gt_i32_e32 vcc_lo, s9, v20
	v_mov_b32_e32 v10, 0
	v_or_b32_e32 v2, 1, v20
	v_mov_b32_e32 v11, 0
	v_mov_b32_e32 v12, 0
	;; [unrolled: 1-line block ×3, first 2 shown]
	s_and_saveexec_b32 s1, vcc_lo
	s_cbranch_execz .LBB434_36
; %bb.29:
	s_waitcnt lgkmcnt(0)
	v_mul_lo_u32 v3, v20, s4
	v_mov_b32_e32 v12, 0
	v_mov_b32_e32 v11, 0
	v_mov_b32_e32 v10, 0
	s_mov_b32 s2, exec_lo
	v_ashrrev_i32_e32 v4, 31, v3
	v_lshlrev_b64 v[3:4], 1, v[3:4]
	v_add_co_u32 v3, s0, s16, v3
	v_add_co_ci_u32_e64 v4, null, s17, v4, s0
	flat_load_ushort v3, v[3:4]
	v_cmpx_gt_i32_e64 s9, v2
	s_cbranch_execz .LBB434_35
; %bb.30:
	v_mul_lo_u32 v4, v2, s4
	v_mov_b32_e32 v11, 0
	v_mov_b32_e32 v10, 0
	s_mov_b32 s3, exec_lo
	v_ashrrev_i32_e32 v5, 31, v4
	v_lshlrev_b64 v[4:5], 1, v[4:5]
	v_add_co_u32 v4, s0, s16, v4
	v_add_co_ci_u32_e64 v5, null, s17, v5, s0
	flat_load_ushort v4, v[4:5]
	v_or_b32_e32 v5, 2, v20
	v_cmpx_gt_i32_e64 s9, v5
	s_cbranch_execz .LBB434_34
; %bb.31:
	v_mul_lo_u32 v5, v5, s4
	v_mov_b32_e32 v10, 0
	s_mov_b32 s6, exec_lo
	v_ashrrev_i32_e32 v6, 31, v5
	v_lshlrev_b64 v[5:6], 1, v[5:6]
	v_add_co_u32 v5, s0, s16, v5
	v_add_co_ci_u32_e64 v6, null, s17, v6, s0
	flat_load_ushort v5, v[5:6]
	v_or_b32_e32 v6, 3, v20
	v_cmpx_gt_i32_e64 s9, v6
	s_cbranch_execz .LBB434_33
; %bb.32:
	v_mul_lo_u32 v6, v6, s4
	v_ashrrev_i32_e32 v7, 31, v6
	v_lshlrev_b64 v[6:7], 1, v[6:7]
	v_add_co_u32 v6, s0, s16, v6
	v_add_co_ci_u32_e64 v7, null, s17, v7, s0
	flat_load_ushort v6, v[6:7]
	s_waitcnt vmcnt(0) lgkmcnt(0)
	v_cvt_f32_f16_e32 v10, v6
.LBB434_33:
	s_or_b32 exec_lo, exec_lo, s6
	s_waitcnt vmcnt(0) lgkmcnt(0)
	v_cvt_f32_f16_e32 v11, v5
.LBB434_34:
	s_or_b32 exec_lo, exec_lo, s3
	s_waitcnt vmcnt(0) lgkmcnt(0)
	v_cvt_f32_f16_e32 v12, v4
.LBB434_35:
	s_or_b32 exec_lo, exec_lo, s2
	s_waitcnt vmcnt(0) lgkmcnt(0)
	v_cvt_f32_f16_e32 v21, v3
.LBB434_36:
	s_or_b32 exec_lo, exec_lo, s1
	s_mov_b32 s1, exec_lo
	v_cmpx_gt_i32_e64 s8, v16
	s_cbranch_execz .LBB434_44
; %bb.37:
	s_waitcnt lgkmcnt(0)
	v_mul_lo_u32 v3, v20, s15
	v_or_b32_e32 v4, 2, v20
	v_mul_lo_u32 v5, v2, s15
	v_or_b32_e32 v6, 3, v20
	s_mov_b32 s0, exec_lo
	v_mul_lo_u32 v7, v4, s15
	v_mul_lo_u32 v8, v6, s15
	v_cndmask_b32_e32 v3, 0, v3, vcc_lo
	v_cmp_gt_i32_e32 vcc_lo, s9, v2
	v_add_nc_u32_e32 v2, v3, v16
	v_cndmask_b32_e32 v5, 0, v5, vcc_lo
	v_cmp_gt_i32_e32 vcc_lo, s9, v4
	v_ashrrev_i32_e32 v3, 31, v2
	v_add_nc_u32_e32 v4, v5, v16
	v_cndmask_b32_e32 v7, 0, v7, vcc_lo
	v_cmp_gt_i32_e32 vcc_lo, s9, v6
	v_lshlrev_b64 v[2:3], 1, v[2:3]
	v_ashrrev_i32_e32 v5, 31, v4
	v_add_nc_u32_e32 v6, v7, v16
	v_cndmask_b32_e32 v8, 0, v8, vcc_lo
	v_lshlrev_b64 v[4:5], 1, v[4:5]
	v_ashrrev_i32_e32 v7, 31, v6
	v_add_nc_u32_e32 v8, v8, v16
	v_add_co_u32 v2, vcc_lo, s10, v2
	v_add_co_ci_u32_e64 v3, null, s11, v3, vcc_lo
	v_lshlrev_b64 v[6:7], 1, v[6:7]
	v_ashrrev_i32_e32 v9, 31, v8
	v_add_co_u32 v4, vcc_lo, s10, v4
	v_add_co_ci_u32_e64 v5, null, s11, v5, vcc_lo
	flat_load_ushort v22, v[2:3]
	v_add_co_u32 v6, vcc_lo, s10, v6
	v_add_co_ci_u32_e64 v7, null, s11, v7, vcc_lo
	v_lshlrev_b64 v[8:9], 1, v[8:9]
	s_clause 0x1
	flat_load_ushort v23, v[4:5]
	flat_load_ushort v24, v[6:7]
	v_add_co_u32 v8, vcc_lo, s10, v8
	v_add_co_ci_u32_e64 v9, null, s11, v9, vcc_lo
	flat_load_ushort v20, v[8:9]
	s_waitcnt vmcnt(3) lgkmcnt(3)
	v_fma_mix_f32 v19, v21, v22, v19 op_sel_hi:[0,1,0]
	v_add_nc_u32_e32 v22, 64, v16
	s_waitcnt vmcnt(2) lgkmcnt(2)
	v_fma_mix_f32 v19, v12, v23, v19 op_sel_hi:[0,1,0]
	s_waitcnt vmcnt(1) lgkmcnt(1)
	v_fma_mix_f32 v19, v11, v24, v19 op_sel_hi:[0,1,0]
	v_cmpx_gt_i32_e64 s8, v22
	s_cbranch_execz .LBB434_43
; %bb.38:
	s_clause 0x3
	flat_load_ushort v23, v[2:3] offset:128
	flat_load_ushort v24, v[4:5] offset:128
	;; [unrolled: 1-line block ×4, first 2 shown]
	s_mov_b32 s2, exec_lo
	s_waitcnt vmcnt(3) lgkmcnt(3)
	v_fma_mix_f32 v18, v21, v23, v18 op_sel_hi:[0,1,0]
	v_add_nc_u32_e32 v23, 0x80, v16
	s_waitcnt vmcnt(2) lgkmcnt(2)
	v_fma_mix_f32 v18, v12, v24, v18 op_sel_hi:[0,1,0]
	s_waitcnt vmcnt(1) lgkmcnt(1)
	v_fma_mix_f32 v18, v11, v25, v18 op_sel_hi:[0,1,0]
	v_cmpx_gt_i32_e64 s8, v23
	s_cbranch_execz .LBB434_42
; %bb.39:
	s_clause 0x3
	flat_load_ushort v24, v[2:3] offset:256
	flat_load_ushort v25, v[4:5] offset:256
	;; [unrolled: 1-line block ×4, first 2 shown]
	s_mov_b32 s3, exec_lo
	s_waitcnt vmcnt(3) lgkmcnt(3)
	v_fma_mix_f32 v17, v21, v24, v17 op_sel_hi:[0,1,0]
	v_add_nc_u32_e32 v24, 0xc0, v16
	s_waitcnt vmcnt(2) lgkmcnt(2)
	v_fma_mix_f32 v17, v12, v25, v17 op_sel_hi:[0,1,0]
	s_waitcnt vmcnt(1) lgkmcnt(1)
	v_fma_mix_f32 v16, v11, v26, v17 op_sel_hi:[0,1,0]
	v_cmpx_gt_i32_e64 s8, v24
	s_cbranch_execz .LBB434_41
; %bb.40:
	s_clause 0x3
	flat_load_ushort v2, v[2:3] offset:384
	flat_load_ushort v3, v[4:5] offset:384
	;; [unrolled: 1-line block ×4, first 2 shown]
	s_waitcnt vmcnt(3) lgkmcnt(3)
	v_fma_mix_f32 v2, v21, v2, v15 op_sel_hi:[0,1,0]
	s_waitcnt vmcnt(2) lgkmcnt(2)
	v_fma_mix_f32 v2, v12, v3, v2 op_sel_hi:[0,1,0]
	s_waitcnt vmcnt(1) lgkmcnt(1)
	v_fma_mix_f32 v2, v11, v4, v2 op_sel_hi:[0,1,0]
	s_waitcnt vmcnt(0) lgkmcnt(0)
	v_fma_mix_f32 v15, v10, v5, v2 op_sel_hi:[0,1,0]
.LBB434_41:
	s_or_b32 exec_lo, exec_lo, s3
	s_waitcnt vmcnt(0) lgkmcnt(0)
	v_fma_mix_f32 v17, v10, v23, v16 op_sel_hi:[0,1,0]
.LBB434_42:
	s_or_b32 exec_lo, exec_lo, s2
	s_waitcnt vmcnt(0) lgkmcnt(0)
	v_fma_mix_f32 v18, v10, v22, v18 op_sel_hi:[0,1,0]
.LBB434_43:
	s_or_b32 exec_lo, exec_lo, s0
	s_waitcnt vmcnt(0) lgkmcnt(0)
	v_fma_mix_f32 v19, v10, v20, v19 op_sel_hi:[0,1,0]
.LBB434_44:
	s_or_b32 exec_lo, exec_lo, s1
.LBB434_45:
	v_lshlrev_b32_e32 v0, 2, v0
	s_mov_b32 s0, exec_lo
                                        ; implicit-def: $vgpr5
                                        ; implicit-def: $vgpr2_vgpr3
	v_lshl_add_u32 v1, v1, 10, v0
	ds_write2st64_b32 v1, v19, v18 offset1:1
	ds_write2st64_b32 v1, v17, v15 offset0:2 offset1:3
	s_waitcnt lgkmcnt(0)
	s_barrier
	buffer_gl0_inv
	v_cmpx_gt_u32_e32 0x100, v13
	s_cbranch_execz .LBB434_51
; %bb.46:
	v_lshl_add_u32 v6, v14, 2, v0
	s_mov_b32 s2, s14
	s_mov_b32 s1, exec_lo
	ds_read2st64_b32 v[0:1], v6 offset1:4
	ds_read2st64_b32 v[2:3], v6 offset0:8 offset1:12
	ds_read2st64_b32 v[4:5], v6 offset0:16 offset1:20
	s_waitcnt lgkmcnt(2)
	v_add_f32_e32 v7, v0, v1
	ds_read2st64_b32 v[0:1], v6 offset0:24 offset1:28
	s_waitcnt lgkmcnt(2)
	v_add_f32_e32 v2, v2, v7
	v_add_f32_e32 v7, v3, v2
	ds_read2st64_b32 v[2:3], v6 offset0:32 offset1:36
	s_waitcnt lgkmcnt(2)
	v_add_f32_e32 v4, v4, v7
	;; [unrolled: 4-line block ×3, first 2 shown]
	v_add_f32_e32 v0, v1, v0
	s_waitcnt lgkmcnt(1)
	v_add_f32_e32 v2, v2, v0
	ds_read2st64_b32 v[0:1], v6 offset0:48 offset1:52
	v_add_f32_e32 v2, v3, v2
	s_waitcnt lgkmcnt(1)
	v_add_f32_e32 v4, v4, v2
	ds_read2st64_b32 v[2:3], v6 offset0:56 offset1:60
	v_add_f32_e32 v4, v5, v4
                                        ; implicit-def: $vgpr5
	s_waitcnt lgkmcnt(1)
	v_add_f32_e32 v0, v0, v4
	v_add_f32_e32 v0, v1, v0
	v_or_b32_e32 v1, s5, v13
	s_waitcnt lgkmcnt(0)
	v_add_f32_e32 v0, v2, v0
	v_add_f32_e32 v0, v3, v0
                                        ; implicit-def: $vgpr2_vgpr3
	ds_write_b32 v6, v0
	v_cmpx_gt_i32_e64 s8, v1
	s_cbranch_execz .LBB434_50
; %bb.47:
	v_mul_lo_u32 v2, s19, v1
	v_cmp_eq_f32_e64 s2, s7, 0
	v_mul_f32_e32 v0, s18, v0
	s_and_b32 vcc_lo, exec_lo, s2
	v_ashrrev_i32_e32 v3, 31, v2
	s_cbranch_vccnz .LBB434_49
; %bb.48:
	v_lshlrev_b64 v[4:5], 1, v[2:3]
	v_add_co_u32 v4, vcc_lo, s12, v4
	v_add_co_ci_u32_e64 v5, null, s13, v5, vcc_lo
	flat_load_ushort v1, v[4:5]
	s_waitcnt vmcnt(0) lgkmcnt(0)
	v_fma_mix_f32 v0, s7, v1, v0 op_sel_hi:[0,1,0]
.LBB434_49:
	v_cvt_f16_f32_e32 v5, v0
	s_or_b32 s2, s14, exec_lo
.LBB434_50:
	s_or_b32 exec_lo, exec_lo, s1
	s_andn2_b32 s1, s14, exec_lo
	s_and_b32 s2, s2, exec_lo
	s_or_b32 s14, s1, s2
.LBB434_51:
	s_or_b32 exec_lo, exec_lo, s0
.LBB434_52:
	s_and_saveexec_b32 s0, s14
	s_cbranch_execz .LBB434_54
; %bb.53:
	v_lshlrev_b64 v[0:1], 1, v[2:3]
	v_add_co_u32 v0, vcc_lo, s12, v0
	v_add_co_ci_u32_e64 v1, null, s13, v1, vcc_lo
	flat_store_short v[0:1], v5
.LBB434_54:
	s_endpgm
	.section	.rodata,"a",@progbits
	.p2align	6, 0x0
	.amdhsa_kernel _ZL20rocblas_gemvn_kernelILi64ELi16EiPKDF16_PKfKPDF16_EviiT3_lPKT2_lT1_lS9_lSA_lS6_lPT4_lSA_li
		.amdhsa_group_segment_fixed_size 16384
		.amdhsa_private_segment_fixed_size 0
		.amdhsa_kernarg_size 400
		.amdhsa_user_sgpr_count 6
		.amdhsa_user_sgpr_private_segment_buffer 1
		.amdhsa_user_sgpr_dispatch_ptr 0
		.amdhsa_user_sgpr_queue_ptr 0
		.amdhsa_user_sgpr_kernarg_segment_ptr 1
		.amdhsa_user_sgpr_dispatch_id 0
		.amdhsa_user_sgpr_flat_scratch_init 0
		.amdhsa_user_sgpr_private_segment_size 0
		.amdhsa_wavefront_size32 1
		.amdhsa_uses_dynamic_stack 0
		.amdhsa_system_sgpr_private_segment_wavefront_offset 0
		.amdhsa_system_sgpr_workgroup_id_x 1
		.amdhsa_system_sgpr_workgroup_id_y 0
		.amdhsa_system_sgpr_workgroup_id_z 1
		.amdhsa_system_sgpr_workgroup_info 0
		.amdhsa_system_vgpr_workitem_id 1
		.amdhsa_next_free_vgpr 46
		.amdhsa_next_free_sgpr 28
		.amdhsa_reserve_vcc 1
		.amdhsa_reserve_flat_scratch 1
		.amdhsa_float_round_mode_32 0
		.amdhsa_float_round_mode_16_64 0
		.amdhsa_float_denorm_mode_32 3
		.amdhsa_float_denorm_mode_16_64 3
		.amdhsa_dx10_clamp 1
		.amdhsa_ieee_mode 1
		.amdhsa_fp16_overflow 0
		.amdhsa_workgroup_processor_mode 1
		.amdhsa_memory_ordered 1
		.amdhsa_forward_progress 1
		.amdhsa_shared_vgpr_count 0
		.amdhsa_exception_fp_ieee_invalid_op 0
		.amdhsa_exception_fp_denorm_src 0
		.amdhsa_exception_fp_ieee_div_zero 0
		.amdhsa_exception_fp_ieee_overflow 0
		.amdhsa_exception_fp_ieee_underflow 0
		.amdhsa_exception_fp_ieee_inexact 0
		.amdhsa_exception_int_div_zero 0
	.end_amdhsa_kernel
	.section	.text._ZL20rocblas_gemvn_kernelILi64ELi16EiPKDF16_PKfKPDF16_EviiT3_lPKT2_lT1_lS9_lSA_lS6_lPT4_lSA_li,"axG",@progbits,_ZL20rocblas_gemvn_kernelILi64ELi16EiPKDF16_PKfKPDF16_EviiT3_lPKT2_lT1_lS9_lSA_lS6_lPT4_lSA_li,comdat
.Lfunc_end434:
	.size	_ZL20rocblas_gemvn_kernelILi64ELi16EiPKDF16_PKfKPDF16_EviiT3_lPKT2_lT1_lS9_lSA_lS6_lPT4_lSA_li, .Lfunc_end434-_ZL20rocblas_gemvn_kernelILi64ELi16EiPKDF16_PKfKPDF16_EviiT3_lPKT2_lT1_lS9_lSA_lS6_lPT4_lSA_li
                                        ; -- End function
	.set _ZL20rocblas_gemvn_kernelILi64ELi16EiPKDF16_PKfKPDF16_EviiT3_lPKT2_lT1_lS9_lSA_lS6_lPT4_lSA_li.num_vgpr, 46
	.set _ZL20rocblas_gemvn_kernelILi64ELi16EiPKDF16_PKfKPDF16_EviiT3_lPKT2_lT1_lS9_lSA_lS6_lPT4_lSA_li.num_agpr, 0
	.set _ZL20rocblas_gemvn_kernelILi64ELi16EiPKDF16_PKfKPDF16_EviiT3_lPKT2_lT1_lS9_lSA_lS6_lPT4_lSA_li.numbered_sgpr, 28
	.set _ZL20rocblas_gemvn_kernelILi64ELi16EiPKDF16_PKfKPDF16_EviiT3_lPKT2_lT1_lS9_lSA_lS6_lPT4_lSA_li.num_named_barrier, 0
	.set _ZL20rocblas_gemvn_kernelILi64ELi16EiPKDF16_PKfKPDF16_EviiT3_lPKT2_lT1_lS9_lSA_lS6_lPT4_lSA_li.private_seg_size, 0
	.set _ZL20rocblas_gemvn_kernelILi64ELi16EiPKDF16_PKfKPDF16_EviiT3_lPKT2_lT1_lS9_lSA_lS6_lPT4_lSA_li.uses_vcc, 1
	.set _ZL20rocblas_gemvn_kernelILi64ELi16EiPKDF16_PKfKPDF16_EviiT3_lPKT2_lT1_lS9_lSA_lS6_lPT4_lSA_li.uses_flat_scratch, 1
	.set _ZL20rocblas_gemvn_kernelILi64ELi16EiPKDF16_PKfKPDF16_EviiT3_lPKT2_lT1_lS9_lSA_lS6_lPT4_lSA_li.has_dyn_sized_stack, 0
	.set _ZL20rocblas_gemvn_kernelILi64ELi16EiPKDF16_PKfKPDF16_EviiT3_lPKT2_lT1_lS9_lSA_lS6_lPT4_lSA_li.has_recursion, 0
	.set _ZL20rocblas_gemvn_kernelILi64ELi16EiPKDF16_PKfKPDF16_EviiT3_lPKT2_lT1_lS9_lSA_lS6_lPT4_lSA_li.has_indirect_call, 0
	.section	.AMDGPU.csdata,"",@progbits
; Kernel info:
; codeLenInByte = 2992
; TotalNumSgprs: 30
; NumVgprs: 46
; ScratchSize: 0
; MemoryBound: 0
; FloatMode: 240
; IeeeMode: 1
; LDSByteSize: 16384 bytes/workgroup (compile time only)
; SGPRBlocks: 0
; VGPRBlocks: 5
; NumSGPRsForWavesPerEU: 30
; NumVGPRsForWavesPerEU: 46
; Occupancy: 16
; WaveLimiterHint : 1
; COMPUTE_PGM_RSRC2:SCRATCH_EN: 0
; COMPUTE_PGM_RSRC2:USER_SGPR: 6
; COMPUTE_PGM_RSRC2:TRAP_HANDLER: 0
; COMPUTE_PGM_RSRC2:TGID_X_EN: 1
; COMPUTE_PGM_RSRC2:TGID_Y_EN: 0
; COMPUTE_PGM_RSRC2:TGID_Z_EN: 1
; COMPUTE_PGM_RSRC2:TIDIG_COMP_CNT: 1
	.section	.text._ZL20rocblas_gemvn_kernelILi64ELi16ElPKDF16_PKfKPDF16_EviiT3_lPKT2_lT1_lS9_lSA_lS6_lPT4_lSA_li,"axG",@progbits,_ZL20rocblas_gemvn_kernelILi64ELi16ElPKDF16_PKfKPDF16_EviiT3_lPKT2_lT1_lS9_lSA_lS6_lPT4_lSA_li,comdat
	.globl	_ZL20rocblas_gemvn_kernelILi64ELi16ElPKDF16_PKfKPDF16_EviiT3_lPKT2_lT1_lS9_lSA_lS6_lPT4_lSA_li ; -- Begin function _ZL20rocblas_gemvn_kernelILi64ELi16ElPKDF16_PKfKPDF16_EviiT3_lPKT2_lT1_lS9_lSA_lS6_lPT4_lSA_li
	.p2align	8
	.type	_ZL20rocblas_gemvn_kernelILi64ELi16ElPKDF16_PKfKPDF16_EviiT3_lPKT2_lT1_lS9_lSA_lS6_lPT4_lSA_li,@function
_ZL20rocblas_gemvn_kernelILi64ELi16ElPKDF16_PKfKPDF16_EviiT3_lPKT2_lT1_lS9_lSA_lS6_lPT4_lSA_li: ; @_ZL20rocblas_gemvn_kernelILi64ELi16ElPKDF16_PKfKPDF16_EviiT3_lPKT2_lT1_lS9_lSA_lS6_lPT4_lSA_li
; %bb.0:
	s_load_dwordx2 s[0:1], s[4:5], 0x9c
	s_waitcnt lgkmcnt(0)
	s_lshr_b32 s2, s0, 16
	s_and_b32 s0, s0, 0xffff
	s_and_b32 s1, s1, 0xffff
	s_mul_i32 s0, s2, s0
	s_mul_i32 s0, s0, s1
	s_cmpk_lg_i32 s0, 0x400
	s_cbranch_scc1 .LBB435_54
; %bb.1:
	s_clause 0x1
	s_load_dwordx8 s[16:23], s[4:5], 0x8
	s_load_dwordx8 s[8:15], s[4:5], 0x58
	s_mov_b32 s26, s7
	s_mov_b32 s27, 0
	s_waitcnt lgkmcnt(0)
	s_mul_i32 s1, s19, s7
	s_mul_hi_u32 s2, s18, s7
	s_mul_i32 s0, s18, s7
	s_add_i32 s1, s2, s1
	s_mul_i32 s2, s11, s7
	s_lshl_b64 s[0:1], s[0:1], 2
	s_mul_hi_u32 s3, s10, s7
	s_add_u32 s0, s16, s0
	s_addc_u32 s1, s17, s1
	s_add_i32 s3, s3, s2
	s_mul_i32 s2, s10, s7
	s_lshl_b64 s[2:3], s[2:3], 2
	s_add_u32 s2, s8, s2
	s_addc_u32 s3, s9, s3
	s_load_dword s29, s[0:1], 0x0
	s_load_dword s28, s[2:3], 0x0
	s_waitcnt lgkmcnt(0)
	v_cmp_eq_f32_e64 s7, s29, 0
	v_cmp_eq_f32_e64 s0, s28, 1.0
	s_and_b32 s0, s7, s0
	s_and_b32 vcc_lo, exec_lo, s0
	s_cbranch_vccnz .LBB435_54
; %bb.2:
	s_clause 0x1
	s_load_dwordx2 s[16:17], s[4:5], 0x28
	s_load_dwordx2 s[8:9], s[4:5], 0x78
	v_cmp_neq_f32_e64 s10, s29, 0
	s_mov_b64 s[24:25], 0
	s_and_b32 vcc_lo, exec_lo, s7
	s_mov_b64 s[18:19], 0
	s_cbranch_vccnz .LBB435_4
; %bb.3:
	s_lshl_b64 s[0:1], s[26:27], 3
	s_add_u32 s0, s20, s0
	s_addc_u32 s1, s21, s1
	s_lshl_b64 s[2:3], s[22:23], 1
	s_load_dwordx2 s[0:1], s[0:1], 0x0
	s_waitcnt lgkmcnt(0)
	s_add_u32 s18, s0, s2
	s_addc_u32 s19, s1, s3
.LBB435_4:
	s_clause 0x1
	s_load_dwordx4 s[0:3], s[4:5], 0x38
	s_load_dwordx2 s[20:21], s[4:5], 0x48
	s_andn2_b32 vcc_lo, exec_lo, s10
	s_cbranch_vccnz .LBB435_6
; %bb.5:
	s_lshl_b64 s[10:11], s[26:27], 3
	s_waitcnt lgkmcnt(0)
	s_add_u32 s0, s0, s10
	s_addc_u32 s1, s1, s11
	s_lshl_b64 s[2:3], s[2:3], 1
	s_load_dwordx2 s[0:1], s[0:1], 0x0
	s_waitcnt lgkmcnt(0)
	s_add_u32 s24, s0, s2
	s_addc_u32 s25, s1, s3
.LBB435_6:
	s_waitcnt lgkmcnt(0)
	s_lshl_b64 s[0:1], s[26:27], 3
	v_lshlrev_b32_e32 v22, 6, v1
	s_add_u32 s0, s12, s0
	s_addc_u32 s1, s13, s1
	s_lshl_b64 s[12:13], s[14:15], 1
	s_load_dwordx2 s[2:3], s[0:1], 0x0
	s_load_dwordx2 s[10:11], s[4:5], 0x0
	v_add_nc_u32_e32 v21, v22, v0
	v_cmp_gt_u32_e64 s0, 0x100, v21
	s_waitcnt lgkmcnt(0)
	s_add_u32 s5, s2, s12
	s_addc_u32 s22, s3, s13
	s_andn2_b32 vcc_lo, exec_lo, s7
	s_cbranch_vccnz .LBB435_13
; %bb.7:
	s_mov_b32 s1, 0
	s_mov_b32 s23, 0
                                        ; implicit-def: $vgpr5
                                        ; implicit-def: $vgpr2_vgpr3
	s_and_saveexec_b32 s2, s0
	s_cbranch_execz .LBB435_14
; %bb.8:
	v_lshl_or_b32 v4, s6, 8, v21
	v_mov_b32_e32 v5, 0
	s_ashr_i32 s13, s10, 31
	s_mov_b32 s12, s10
	s_mov_b32 s3, 0
	s_mov_b32 s0, exec_lo
                                        ; implicit-def: $vgpr2_vgpr3
	v_cmpx_gt_i64_e64 s[12:13], v[4:5]
	s_cbranch_execz .LBB435_12
; %bb.9:
	v_mad_u64_u32 v[2:3], null, s8, v4, 0
	v_cmp_eq_f32_e64 s3, s28, 0
	s_and_b32 vcc_lo, exec_lo, s3
	v_mad_u64_u32 v[3:4], null, s9, v4, v[3:4]
	s_cbranch_vccnz .LBB435_11
; %bb.10:
	v_lshlrev_b64 v[4:5], 1, v[2:3]
	v_add_co_u32 v4, vcc_lo, s5, v4
	v_add_co_ci_u32_e64 v5, null, s22, v5, vcc_lo
	flat_load_ushort v4, v[4:5]
	s_waitcnt vmcnt(0) lgkmcnt(0)
	v_fma_mixlo_f16 v5, s28, v4, 0 op_sel_hi:[0,1,0]
.LBB435_11:
	s_mov_b32 s3, exec_lo
.LBB435_12:
	s_or_b32 exec_lo, exec_lo, s0
	s_and_b32 s23, s3, exec_lo
	s_or_b32 exec_lo, exec_lo, s2
	s_and_b32 vcc_lo, exec_lo, s1
	s_cbranch_vccnz .LBB435_15
	s_branch .LBB435_52
.LBB435_13:
	s_mov_b32 s23, 0
                                        ; implicit-def: $vgpr5
                                        ; implicit-def: $vgpr2_vgpr3
	s_cbranch_execnz .LBB435_15
	s_branch .LBB435_52
.LBB435_14:
	s_or_b32 exec_lo, exec_lo, s2
	s_and_b32 vcc_lo, exec_lo, s1
	s_cbranch_vccz .LBB435_52
.LBB435_15:
	s_ashr_i32 s0, s11, 31
	s_lshl_b32 s26, s6, 8
	s_lshr_b32 s0, s0, 26
	v_lshlrev_b32_e32 v24, 2, v1
	v_mov_b32_e32 v27, 0
	v_add_nc_u32_e32 v2, s26, v0
	v_mov_b32_e32 v26, 0
	v_mov_b32_e32 v25, 0
	;; [unrolled: 1-line block ×3, first 2 shown]
	s_add_i32 s27, s11, s0
	s_mov_b32 s30, exec_lo
	s_andn2_b32 s27, s27, 63
	v_cmpx_gt_i32_e64 s27, v24
	s_cbranch_execz .LBB435_27
; %bb.16:
	v_lshlrev_b32_e32 v23, 2, v1
	v_add_nc_u32_e32 v4, 64, v2
	v_mad_u64_u32 v[7:8], null, s20, v1, 0
	v_mad_u64_u32 v[9:10], null, s16, v1, 0
	v_or_b32_e32 v27, 3, v23
	v_add_nc_u32_e32 v11, 0x80, v2
	v_add_nc_u32_e32 v12, 0xc0, v2
	v_cmp_gt_i32_e64 s0, s10, v4
	v_or_b32_e32 v32, 2, v23
	v_mad_u64_u32 v[5:6], null, s16, v27, 0
	v_cmp_gt_i32_e64 s1, s10, v11
	v_cmp_gt_i32_e64 s2, s10, v12
	v_mad_u64_u32 v[16:17], null, s16, v32, 0
	v_mad_u64_u32 v[18:19], null, s20, v27, 0
	v_mov_b32_e32 v4, v6
	v_mov_b32_e32 v6, v8
	;; [unrolled: 1-line block ×3, first 2 shown]
	v_ashrrev_i32_e32 v3, 31, v2
	s_lshl_b64 s[6:7], s[16:17], 7
	v_mad_u64_u32 v[11:12], null, s17, v27, v[4:5]
	v_mad_u64_u32 v[12:13], null, s21, v1, v[6:7]
	;; [unrolled: 1-line block ×4, first 2 shown]
	v_mov_b32_e32 v6, v11
	v_lshlrev_b64 v[3:4], 1, v[2:3]
	v_mov_b32_e32 v8, v12
	s_lshl_b64 s[12:13], s[20:21], 7
	v_mov_b32_e32 v10, v13
	v_lshlrev_b64 v[11:12], 1, v[5:6]
	s_mov_b32 s31, 0
	v_lshlrev_b64 v[5:6], 3, v[7:8]
	v_mov_b32_e32 v7, v17
	v_mov_b32_e32 v8, v15
	v_lshlrev_b64 v[9:10], 3, v[9:10]
	v_add_co_u32 v28, s3, s18, v11
	v_add_co_ci_u32_e64 v29, null, s19, v12, s3
	v_mad_u64_u32 v[11:12], null, s16, v23, s[16:17]
	v_mad_u64_u32 v[25:26], null, s17, v32, v[7:8]
	v_mov_b32_e32 v7, v19
	v_mad_u64_u32 v[19:20], null, s21, v23, v[8:9]
	v_add_co_u32 v30, s3, s18, v9
	v_mad_u64_u32 v[7:8], null, s21, v27, v[7:8]
	v_mov_b32_e32 v8, v12
	v_mov_b32_e32 v17, v25
	v_mad_u64_u32 v[25:26], null, s20, v32, 0
	v_mov_b32_e32 v15, v19
	v_mad_u64_u32 v[12:13], null, s17, v23, v[8:9]
	v_lshlrev_b64 v[16:17], 1, v[16:17]
	v_mov_b32_e32 v19, v7
	v_add_co_ci_u32_e64 v31, null, s19, v10, s3
	v_mov_b32_e32 v8, v26
	v_mov_b32_e32 v23, 0
	v_lshlrev_b64 v[11:12], 1, v[11:12]
	s_mov_b64 s[14:15], s[24:25]
	v_cmp_gt_i32_e32 vcc_lo, s10, v2
	v_mad_u64_u32 v[26:27], null, s21, v32, v[8:9]
	v_add_co_u32 v32, s3, s18, v16
	v_add_co_ci_u32_e64 v33, null, s19, v17, s3
	v_add_co_u32 v34, s3, s18, v11
	v_lshlrev_b64 v[7:8], 1, v[14:15]
	v_lshlrev_b64 v[9:10], 1, v[18:19]
	v_add_co_ci_u32_e64 v35, null, s19, v12, s3
	v_lshlrev_b64 v[11:12], 1, v[25:26]
	v_mov_b32_e32 v27, 0
	v_mov_b32_e32 v26, 0
	;; [unrolled: 1-line block ×3, first 2 shown]
	s_branch .LBB435_21
.LBB435_17:                             ;   in Loop: Header=BB435_21 Depth=1
	s_or_b32 exec_lo, exec_lo, s34
	s_waitcnt vmcnt(3) lgkmcnt(3)
	v_fma_mix_f32 v13, v48, v52, v25 op_sel_hi:[0,1,0]
	s_waitcnt vmcnt(2) lgkmcnt(2)
	v_fma_mix_f32 v13, v49, v53, v13 op_sel_hi:[0,1,0]
	;; [unrolled: 2-line block ×4, first 2 shown]
.LBB435_18:                             ;   in Loop: Header=BB435_21 Depth=1
	s_or_b32 exec_lo, exec_lo, s33
	s_waitcnt vmcnt(3) lgkmcnt(3)
	v_fma_mix_f32 v13, v48, v44, v26 op_sel_hi:[0,1,0]
	s_waitcnt vmcnt(2) lgkmcnt(2)
	v_fma_mix_f32 v13, v49, v45, v13 op_sel_hi:[0,1,0]
	;; [unrolled: 2-line block ×4, first 2 shown]
.LBB435_19:                             ;   in Loop: Header=BB435_21 Depth=1
	s_or_b32 exec_lo, exec_lo, s3
	s_waitcnt vmcnt(3) lgkmcnt(3)
	v_fma_mix_f32 v13, v36, v40, v27 op_sel_hi:[1,1,0]
	s_waitcnt vmcnt(2) lgkmcnt(2)
	v_fma_mix_f32 v13, v37, v41, v13 op_sel_hi:[1,1,0]
	;; [unrolled: 2-line block ×4, first 2 shown]
.LBB435_20:                             ;   in Loop: Header=BB435_21 Depth=1
	s_or_b32 exec_lo, exec_lo, s4
	v_add_co_u32 v28, s3, v28, s6
	v_add_nc_u32_e32 v24, 64, v24
	v_add_co_ci_u32_e64 v29, null, s7, v29, s3
	v_add_co_u32 v30, s3, v30, s6
	v_add_co_ci_u32_e64 v31, null, s7, v31, s3
	v_add_co_u32 v32, s3, v32, s6
	v_add_co_ci_u32_e64 v33, null, s7, v33, s3
	v_cmp_le_i32_e64 s3, s27, v24
	v_add_co_u32 v34, s4, v34, s6
	v_add_co_ci_u32_e64 v35, null, s7, v35, s4
	s_add_u32 s14, s14, s12
	s_addc_u32 s15, s15, s13
	s_or_b32 s31, s3, s31
	s_andn2_b32 exec_lo, exec_lo, s31
	s_cbranch_execz .LBB435_26
.LBB435_21:                             ; =>This Inner Loop Header: Depth=1
	s_and_saveexec_b32 s4, vcc_lo
	s_cbranch_execz .LBB435_20
; %bb.22:                               ;   in Loop: Header=BB435_21 Depth=1
	v_add_co_u32 v36, s3, s14, v5
	v_add_co_ci_u32_e64 v37, null, s15, v6, s3
	v_add_co_u32 v38, s3, s14, v7
	v_add_co_ci_u32_e64 v39, null, s15, v8, s3
	;; [unrolled: 2-line block ×8, first 2 shown]
	s_clause 0x3
	flat_load_ushort v36, v[36:37]
	flat_load_ushort v37, v[38:39]
	;; [unrolled: 1-line block ×8, first 2 shown]
	s_and_saveexec_b32 s3, s0
	s_cbranch_execz .LBB435_19
; %bb.23:                               ;   in Loop: Header=BB435_21 Depth=1
	flat_load_ushort v44, v[13:14] offset:128
	flat_load_ushort v45, v[15:16] offset:128
	;; [unrolled: 1-line block ×4, first 2 shown]
	s_waitcnt vmcnt(11) lgkmcnt(11)
	v_cvt_f32_f16_e32 v48, v36
	s_waitcnt vmcnt(10) lgkmcnt(10)
	v_cvt_f32_f16_e32 v49, v37
	;; [unrolled: 2-line block ×4, first 2 shown]
	s_and_saveexec_b32 s33, s1
	s_cbranch_execz .LBB435_18
; %bb.24:                               ;   in Loop: Header=BB435_21 Depth=1
	flat_load_ushort v52, v[13:14] offset:256
	flat_load_ushort v53, v[15:16] offset:256
	;; [unrolled: 1-line block ×4, first 2 shown]
	s_and_saveexec_b32 s34, s2
	s_cbranch_execz .LBB435_17
; %bb.25:                               ;   in Loop: Header=BB435_21 Depth=1
	flat_load_ushort v13, v[13:14] offset:384
	flat_load_ushort v14, v[15:16] offset:384
	;; [unrolled: 1-line block ×4, first 2 shown]
	s_waitcnt vmcnt(3) lgkmcnt(3)
	v_fma_mix_f32 v13, v48, v13, v23 op_sel_hi:[0,1,0]
	s_waitcnt vmcnt(2) lgkmcnt(2)
	v_fma_mix_f32 v13, v49, v14, v13 op_sel_hi:[0,1,0]
	;; [unrolled: 2-line block ×4, first 2 shown]
	s_branch .LBB435_17
.LBB435_26:
	s_or_b32 exec_lo, exec_lo, s31
.LBB435_27:
	s_or_b32 exec_lo, exec_lo, s30
	s_sub_i32 s0, s11, s27
	s_cmp_lt_i32 s0, 1
	s_cbranch_scc1 .LBB435_45
; %bb.28:
	v_cmp_gt_i32_e32 vcc_lo, s11, v24
	v_mov_b32_e32 v11, 0
	v_or_b32_e32 v4, 1, v24
	v_mov_b32_e32 v12, 0
	v_mov_b32_e32 v13, 0
	;; [unrolled: 1-line block ×3, first 2 shown]
	s_and_saveexec_b32 s1, vcc_lo
	s_cbranch_execz .LBB435_36
; %bb.29:
	v_mad_u64_u32 v[5:6], null, s20, v24, 0
	v_mov_b32_e32 v13, 0
	v_mov_b32_e32 v12, 0
	;; [unrolled: 1-line block ×3, first 2 shown]
	s_mov_b32 s2, exec_lo
	v_mov_b32_e32 v3, v6
	v_mad_u64_u32 v[6:7], null, s21, v24, v[3:4]
	v_lshlrev_b64 v[5:6], 1, v[5:6]
	v_add_co_u32 v5, s0, s24, v5
	v_add_co_ci_u32_e64 v6, null, s25, v6, s0
	flat_load_ushort v3, v[5:6]
	v_cmpx_gt_i32_e64 s11, v4
	s_cbranch_execz .LBB435_35
; %bb.30:
	v_mad_u64_u32 v[5:6], null, s20, v4, 0
	v_mov_b32_e32 v12, 0
	v_mov_b32_e32 v11, 0
	s_mov_b32 s3, exec_lo
	v_mad_u64_u32 v[6:7], null, s21, v4, v[6:7]
	v_lshlrev_b64 v[5:6], 1, v[5:6]
	v_add_co_u32 v5, s0, s24, v5
	v_add_co_ci_u32_e64 v6, null, s25, v6, s0
	flat_load_ushort v5, v[5:6]
	v_or_b32_e32 v6, 2, v24
	v_cmpx_gt_i32_e64 s11, v6
	s_cbranch_execz .LBB435_34
; %bb.31:
	v_mad_u64_u32 v[7:8], null, s20, v6, 0
	v_mov_b32_e32 v11, 0
	s_mov_b32 s4, exec_lo
	v_mad_u64_u32 v[8:9], null, s21, v6, v[8:9]
	v_lshlrev_b64 v[6:7], 1, v[7:8]
	v_add_co_u32 v6, s0, s24, v6
	v_add_co_ci_u32_e64 v7, null, s25, v7, s0
	flat_load_ushort v6, v[6:7]
	v_or_b32_e32 v7, 3, v24
	v_cmpx_gt_i32_e64 s11, v7
	s_cbranch_execz .LBB435_33
; %bb.32:
	v_mad_u64_u32 v[8:9], null, s20, v7, 0
	v_mad_u64_u32 v[9:10], null, s21, v7, v[9:10]
	v_lshlrev_b64 v[7:8], 1, v[8:9]
	v_add_co_u32 v7, s0, s24, v7
	v_add_co_ci_u32_e64 v8, null, s25, v8, s0
	flat_load_ushort v7, v[7:8]
	s_waitcnt vmcnt(0) lgkmcnt(0)
	v_cvt_f32_f16_e32 v11, v7
.LBB435_33:
	s_or_b32 exec_lo, exec_lo, s4
	s_waitcnt vmcnt(0) lgkmcnt(0)
	v_cvt_f32_f16_e32 v12, v6
.LBB435_34:
	s_or_b32 exec_lo, exec_lo, s3
	s_waitcnt vmcnt(0) lgkmcnt(0)
	v_cvt_f32_f16_e32 v13, v5
.LBB435_35:
	s_or_b32 exec_lo, exec_lo, s2
	s_waitcnt vmcnt(0) lgkmcnt(0)
	v_cvt_f32_f16_e32 v14, v3
.LBB435_36:
	s_or_b32 exec_lo, exec_lo, s1
	s_mov_b32 s1, exec_lo
	v_cmpx_gt_i32_e64 s10, v2
	s_cbranch_execz .LBB435_44
; %bb.37:
	v_mad_u64_u32 v[5:6], null, s16, v24, 0
	v_mad_u64_u32 v[7:8], null, s16, v4, 0
	v_ashrrev_i32_e32 v3, 31, v2
	v_or_b32_e32 v20, 2, v24
	v_or_b32_e32 v30, 3, v24
	v_cndmask_b32_e32 v5, 0, v5, vcc_lo
	v_lshlrev_b64 v[9:10], 1, v[2:3]
	v_mad_u64_u32 v[15:16], null, s17, v24, v[6:7]
	v_mov_b32_e32 v3, v8
	v_mad_u64_u32 v[16:17], null, s16, v20, 0
	v_mad_u64_u32 v[18:19], null, s16, v30, 0
	;; [unrolled: 1-line block ×3, first 2 shown]
	v_cndmask_b32_e32 v6, 0, v15, vcc_lo
	v_cmp_gt_i32_e32 vcc_lo, s11, v4
	v_mov_b32_e32 v3, v17
	v_cmp_gt_i32_e64 s0, s11, v20
	v_mov_b32_e32 v8, v19
	v_cndmask_b32_e32 v4, 0, v7, vcc_lo
	v_lshlrev_b64 v[6:7], 1, v[5:6]
	v_cndmask_b32_e32 v5, 0, v28, vcc_lo
	v_cndmask_b32_e64 v15, 0, v16, s0
	v_mad_u64_u32 v[19:20], null, s17, v20, v[3:4]
	v_add_co_u32 v3, vcc_lo, s18, v6
	v_lshlrev_b64 v[5:6], 1, v[4:5]
	v_add_co_ci_u32_e64 v7, null, s19, v7, vcc_lo
	v_add_co_u32 v3, vcc_lo, v3, v9
	v_cndmask_b32_e64 v16, 0, v19, s0
	v_add_co_ci_u32_e64 v4, null, v7, v10, vcc_lo
	v_add_co_u32 v5, vcc_lo, s18, v5
	v_add_co_ci_u32_e64 v6, null, s19, v6, vcc_lo
	v_mad_u64_u32 v[7:8], null, s17, v30, v[8:9]
	v_add_co_u32 v5, vcc_lo, v5, v9
	v_add_co_ci_u32_e64 v6, null, v6, v10, vcc_lo
	v_cmp_gt_i32_e32 vcc_lo, s11, v30
	v_lshlrev_b64 v[15:16], 1, v[15:16]
	s_clause 0x1
	flat_load_ushort v19, v[3:4]
	flat_load_ushort v20, v[5:6]
	s_mov_b32 s0, exec_lo
	v_cndmask_b32_e32 v17, 0, v18, vcc_lo
	v_cndmask_b32_e32 v18, 0, v7, vcc_lo
	v_add_co_u32 v7, vcc_lo, s18, v15
	v_add_co_ci_u32_e64 v8, null, s19, v16, vcc_lo
	v_lshlrev_b64 v[15:16], 1, v[17:18]
	v_add_co_u32 v7, vcc_lo, v7, v9
	v_add_co_ci_u32_e64 v8, null, v8, v10, vcc_lo
	v_add_nc_u32_e32 v18, 64, v2
	v_add_co_u32 v15, vcc_lo, s18, v15
	v_add_co_ci_u32_e64 v16, null, s19, v16, vcc_lo
	flat_load_ushort v17, v[7:8]
	v_add_co_u32 v9, vcc_lo, v15, v9
	v_add_co_ci_u32_e64 v10, null, v16, v10, vcc_lo
	flat_load_ushort v15, v[9:10]
	s_waitcnt vmcnt(3) lgkmcnt(3)
	v_fma_mix_f32 v16, v14, v19, v27 op_sel_hi:[0,1,0]
	s_waitcnt vmcnt(2) lgkmcnt(2)
	v_fma_mix_f32 v16, v13, v20, v16 op_sel_hi:[0,1,0]
	;; [unrolled: 2-line block ×3, first 2 shown]
	v_cmpx_gt_i32_e64 s10, v18
	s_cbranch_execz .LBB435_43
; %bb.38:
	s_clause 0x3
	flat_load_ushort v18, v[3:4] offset:128
	flat_load_ushort v19, v[5:6] offset:128
	;; [unrolled: 1-line block ×4, first 2 shown]
	s_mov_b32 s2, exec_lo
	s_waitcnt vmcnt(3) lgkmcnt(3)
	v_fma_mix_f32 v18, v14, v18, v26 op_sel_hi:[0,1,0]
	s_waitcnt vmcnt(2) lgkmcnt(2)
	v_fma_mix_f32 v18, v13, v19, v18 op_sel_hi:[0,1,0]
	v_add_nc_u32_e32 v19, 0x80, v2
	s_waitcnt vmcnt(1) lgkmcnt(1)
	v_fma_mix_f32 v18, v12, v20, v18 op_sel_hi:[0,1,0]
	v_cmpx_gt_i32_e64 s10, v19
	s_cbranch_execz .LBB435_42
; %bb.39:
	s_clause 0x3
	flat_load_ushort v20, v[3:4] offset:256
	flat_load_ushort v24, v[5:6] offset:256
	;; [unrolled: 1-line block ×4, first 2 shown]
	s_mov_b32 s3, exec_lo
	s_waitcnt vmcnt(3) lgkmcnt(3)
	v_fma_mix_f32 v20, v14, v20, v25 op_sel_hi:[0,1,0]
	s_waitcnt vmcnt(2) lgkmcnt(2)
	v_fma_mix_f32 v20, v13, v24, v20 op_sel_hi:[0,1,0]
	v_add_nc_u32_e32 v24, 0xc0, v2
	s_waitcnt vmcnt(1) lgkmcnt(1)
	v_fma_mix_f32 v2, v12, v26, v20 op_sel_hi:[0,1,0]
	v_cmpx_gt_i32_e64 s10, v24
	s_cbranch_execz .LBB435_41
; %bb.40:
	s_clause 0x3
	flat_load_ushort v3, v[3:4] offset:384
	flat_load_ushort v4, v[5:6] offset:384
	;; [unrolled: 1-line block ×4, first 2 shown]
	s_waitcnt vmcnt(3) lgkmcnt(3)
	v_fma_mix_f32 v3, v14, v3, v23 op_sel_hi:[0,1,0]
	s_waitcnt vmcnt(2) lgkmcnt(2)
	v_fma_mix_f32 v3, v13, v4, v3 op_sel_hi:[0,1,0]
	;; [unrolled: 2-line block ×4, first 2 shown]
.LBB435_41:
	s_or_b32 exec_lo, exec_lo, s3
	s_waitcnt vmcnt(0) lgkmcnt(0)
	v_fma_mix_f32 v25, v11, v19, v2 op_sel_hi:[0,1,0]
.LBB435_42:
	s_or_b32 exec_lo, exec_lo, s2
	s_waitcnt vmcnt(0) lgkmcnt(0)
	v_fma_mix_f32 v26, v11, v17, v18 op_sel_hi:[0,1,0]
.LBB435_43:
	s_or_b32 exec_lo, exec_lo, s0
	s_waitcnt vmcnt(0) lgkmcnt(0)
	v_fma_mix_f32 v27, v11, v15, v16 op_sel_hi:[0,1,0]
.LBB435_44:
	s_or_b32 exec_lo, exec_lo, s1
.LBB435_45:
	v_lshlrev_b32_e32 v0, 2, v0
	s_mov_b32 s0, exec_lo
                                        ; implicit-def: $vgpr5
                                        ; implicit-def: $vgpr2_vgpr3
	v_lshl_add_u32 v1, v1, 10, v0
	ds_write2st64_b32 v1, v27, v26 offset1:1
	ds_write2st64_b32 v1, v25, v23 offset0:2 offset1:3
	s_waitcnt lgkmcnt(0)
	s_barrier
	buffer_gl0_inv
	v_cmpx_gt_u32_e32 0x100, v21
	s_cbranch_execz .LBB435_51
; %bb.46:
	v_lshl_add_u32 v6, v22, 2, v0
	s_mov_b32 s2, s23
	s_mov_b32 s1, exec_lo
	ds_read2st64_b32 v[0:1], v6 offset1:4
	ds_read2st64_b32 v[2:3], v6 offset0:8 offset1:12
	ds_read2st64_b32 v[4:5], v6 offset0:16 offset1:20
	s_waitcnt lgkmcnt(2)
	v_add_f32_e32 v7, v0, v1
	ds_read2st64_b32 v[0:1], v6 offset0:24 offset1:28
	s_waitcnt lgkmcnt(2)
	v_add_f32_e32 v2, v2, v7
	v_add_f32_e32 v7, v3, v2
	ds_read2st64_b32 v[2:3], v6 offset0:32 offset1:36
	s_waitcnt lgkmcnt(2)
	v_add_f32_e32 v4, v4, v7
	;; [unrolled: 4-line block ×3, first 2 shown]
	v_add_f32_e32 v0, v1, v0
	s_waitcnt lgkmcnt(1)
	v_add_f32_e32 v2, v2, v0
	ds_read2st64_b32 v[0:1], v6 offset0:48 offset1:52
	v_add_f32_e32 v2, v3, v2
	s_waitcnt lgkmcnt(1)
	v_add_f32_e32 v4, v4, v2
	ds_read2st64_b32 v[2:3], v6 offset0:56 offset1:60
	v_add_f32_e32 v4, v5, v4
                                        ; implicit-def: $vgpr5
	s_waitcnt lgkmcnt(1)
	v_add_f32_e32 v0, v0, v4
	v_add_f32_e32 v0, v1, v0
	v_or_b32_e32 v1, s26, v21
	s_waitcnt lgkmcnt(0)
	v_add_f32_e32 v0, v2, v0
	v_add_f32_e32 v0, v3, v0
                                        ; implicit-def: $vgpr2_vgpr3
	ds_write_b32 v6, v0
	v_cmpx_gt_i32_e64 s10, v1
	s_cbranch_execz .LBB435_50
; %bb.47:
	v_ashrrev_i32_e32 v4, 31, v1
	v_mul_lo_u32 v5, s9, v1
	v_mad_u64_u32 v[2:3], null, s8, v1, 0
	v_cmp_eq_f32_e64 s2, s28, 0
	v_mul_lo_u32 v1, s8, v4
	v_mul_f32_e32 v0, s29, v0
	s_and_b32 vcc_lo, exec_lo, s2
	v_add3_u32 v3, v3, v1, v5
	s_cbranch_vccnz .LBB435_49
; %bb.48:
	v_lshlrev_b64 v[4:5], 1, v[2:3]
	v_add_co_u32 v4, vcc_lo, s5, v4
	v_add_co_ci_u32_e64 v5, null, s22, v5, vcc_lo
	flat_load_ushort v1, v[4:5]
	s_waitcnt vmcnt(0) lgkmcnt(0)
	v_fma_mix_f32 v0, s28, v1, v0 op_sel_hi:[0,1,0]
.LBB435_49:
	v_cvt_f16_f32_e32 v5, v0
	s_or_b32 s2, s23, exec_lo
.LBB435_50:
	s_or_b32 exec_lo, exec_lo, s1
	s_andn2_b32 s1, s23, exec_lo
	s_and_b32 s2, s2, exec_lo
	s_or_b32 s23, s1, s2
.LBB435_51:
	s_or_b32 exec_lo, exec_lo, s0
.LBB435_52:
	s_and_saveexec_b32 s0, s23
	s_cbranch_execz .LBB435_54
; %bb.53:
	v_lshlrev_b64 v[0:1], 1, v[2:3]
	v_add_co_u32 v0, vcc_lo, s5, v0
	v_add_co_ci_u32_e64 v1, null, s22, v1, vcc_lo
	flat_store_short v[0:1], v5
.LBB435_54:
	s_endpgm
	.section	.rodata,"a",@progbits
	.p2align	6, 0x0
	.amdhsa_kernel _ZL20rocblas_gemvn_kernelILi64ELi16ElPKDF16_PKfKPDF16_EviiT3_lPKT2_lT1_lS9_lSA_lS6_lPT4_lSA_li
		.amdhsa_group_segment_fixed_size 16384
		.amdhsa_private_segment_fixed_size 0
		.amdhsa_kernarg_size 400
		.amdhsa_user_sgpr_count 6
		.amdhsa_user_sgpr_private_segment_buffer 1
		.amdhsa_user_sgpr_dispatch_ptr 0
		.amdhsa_user_sgpr_queue_ptr 0
		.amdhsa_user_sgpr_kernarg_segment_ptr 1
		.amdhsa_user_sgpr_dispatch_id 0
		.amdhsa_user_sgpr_flat_scratch_init 0
		.amdhsa_user_sgpr_private_segment_size 0
		.amdhsa_wavefront_size32 1
		.amdhsa_uses_dynamic_stack 0
		.amdhsa_system_sgpr_private_segment_wavefront_offset 0
		.amdhsa_system_sgpr_workgroup_id_x 1
		.amdhsa_system_sgpr_workgroup_id_y 0
		.amdhsa_system_sgpr_workgroup_id_z 1
		.amdhsa_system_sgpr_workgroup_info 0
		.amdhsa_system_vgpr_workitem_id 1
		.amdhsa_next_free_vgpr 56
		.amdhsa_next_free_sgpr 35
		.amdhsa_reserve_vcc 1
		.amdhsa_reserve_flat_scratch 1
		.amdhsa_float_round_mode_32 0
		.amdhsa_float_round_mode_16_64 0
		.amdhsa_float_denorm_mode_32 3
		.amdhsa_float_denorm_mode_16_64 3
		.amdhsa_dx10_clamp 1
		.amdhsa_ieee_mode 1
		.amdhsa_fp16_overflow 0
		.amdhsa_workgroup_processor_mode 1
		.amdhsa_memory_ordered 1
		.amdhsa_forward_progress 1
		.amdhsa_shared_vgpr_count 0
		.amdhsa_exception_fp_ieee_invalid_op 0
		.amdhsa_exception_fp_denorm_src 0
		.amdhsa_exception_fp_ieee_div_zero 0
		.amdhsa_exception_fp_ieee_overflow 0
		.amdhsa_exception_fp_ieee_underflow 0
		.amdhsa_exception_fp_ieee_inexact 0
		.amdhsa_exception_int_div_zero 0
	.end_amdhsa_kernel
	.section	.text._ZL20rocblas_gemvn_kernelILi64ELi16ElPKDF16_PKfKPDF16_EviiT3_lPKT2_lT1_lS9_lSA_lS6_lPT4_lSA_li,"axG",@progbits,_ZL20rocblas_gemvn_kernelILi64ELi16ElPKDF16_PKfKPDF16_EviiT3_lPKT2_lT1_lS9_lSA_lS6_lPT4_lSA_li,comdat
.Lfunc_end435:
	.size	_ZL20rocblas_gemvn_kernelILi64ELi16ElPKDF16_PKfKPDF16_EviiT3_lPKT2_lT1_lS9_lSA_lS6_lPT4_lSA_li, .Lfunc_end435-_ZL20rocblas_gemvn_kernelILi64ELi16ElPKDF16_PKfKPDF16_EviiT3_lPKT2_lT1_lS9_lSA_lS6_lPT4_lSA_li
                                        ; -- End function
	.set _ZL20rocblas_gemvn_kernelILi64ELi16ElPKDF16_PKfKPDF16_EviiT3_lPKT2_lT1_lS9_lSA_lS6_lPT4_lSA_li.num_vgpr, 56
	.set _ZL20rocblas_gemvn_kernelILi64ELi16ElPKDF16_PKfKPDF16_EviiT3_lPKT2_lT1_lS9_lSA_lS6_lPT4_lSA_li.num_agpr, 0
	.set _ZL20rocblas_gemvn_kernelILi64ELi16ElPKDF16_PKfKPDF16_EviiT3_lPKT2_lT1_lS9_lSA_lS6_lPT4_lSA_li.numbered_sgpr, 35
	.set _ZL20rocblas_gemvn_kernelILi64ELi16ElPKDF16_PKfKPDF16_EviiT3_lPKT2_lT1_lS9_lSA_lS6_lPT4_lSA_li.num_named_barrier, 0
	.set _ZL20rocblas_gemvn_kernelILi64ELi16ElPKDF16_PKfKPDF16_EviiT3_lPKT2_lT1_lS9_lSA_lS6_lPT4_lSA_li.private_seg_size, 0
	.set _ZL20rocblas_gemvn_kernelILi64ELi16ElPKDF16_PKfKPDF16_EviiT3_lPKT2_lT1_lS9_lSA_lS6_lPT4_lSA_li.uses_vcc, 1
	.set _ZL20rocblas_gemvn_kernelILi64ELi16ElPKDF16_PKfKPDF16_EviiT3_lPKT2_lT1_lS9_lSA_lS6_lPT4_lSA_li.uses_flat_scratch, 1
	.set _ZL20rocblas_gemvn_kernelILi64ELi16ElPKDF16_PKfKPDF16_EviiT3_lPKT2_lT1_lS9_lSA_lS6_lPT4_lSA_li.has_dyn_sized_stack, 0
	.set _ZL20rocblas_gemvn_kernelILi64ELi16ElPKDF16_PKfKPDF16_EviiT3_lPKT2_lT1_lS9_lSA_lS6_lPT4_lSA_li.has_recursion, 0
	.set _ZL20rocblas_gemvn_kernelILi64ELi16ElPKDF16_PKfKPDF16_EviiT3_lPKT2_lT1_lS9_lSA_lS6_lPT4_lSA_li.has_indirect_call, 0
	.section	.AMDGPU.csdata,"",@progbits
; Kernel info:
; codeLenInByte = 3288
; TotalNumSgprs: 37
; NumVgprs: 56
; ScratchSize: 0
; MemoryBound: 0
; FloatMode: 240
; IeeeMode: 1
; LDSByteSize: 16384 bytes/workgroup (compile time only)
; SGPRBlocks: 0
; VGPRBlocks: 6
; NumSGPRsForWavesPerEU: 37
; NumVGPRsForWavesPerEU: 56
; Occupancy: 16
; WaveLimiterHint : 1
; COMPUTE_PGM_RSRC2:SCRATCH_EN: 0
; COMPUTE_PGM_RSRC2:USER_SGPR: 6
; COMPUTE_PGM_RSRC2:TRAP_HANDLER: 0
; COMPUTE_PGM_RSRC2:TGID_X_EN: 1
; COMPUTE_PGM_RSRC2:TGID_Y_EN: 0
; COMPUTE_PGM_RSRC2:TGID_Z_EN: 1
; COMPUTE_PGM_RSRC2:TIDIG_COMP_CNT: 1
	.section	.text._ZL20rocblas_gemvn_kernelILi64ELi16EiPKDF16_fKPDF16_EviiT3_lPKT2_lT1_lS7_lS8_lS4_lPT4_lS8_li,"axG",@progbits,_ZL20rocblas_gemvn_kernelILi64ELi16EiPKDF16_fKPDF16_EviiT3_lPKT2_lT1_lS7_lS8_lS4_lPT4_lS8_li,comdat
	.globl	_ZL20rocblas_gemvn_kernelILi64ELi16EiPKDF16_fKPDF16_EviiT3_lPKT2_lT1_lS7_lS8_lS4_lPT4_lS8_li ; -- Begin function _ZL20rocblas_gemvn_kernelILi64ELi16EiPKDF16_fKPDF16_EviiT3_lPKT2_lT1_lS7_lS8_lS4_lPT4_lS8_li
	.p2align	8
	.type	_ZL20rocblas_gemvn_kernelILi64ELi16EiPKDF16_fKPDF16_EviiT3_lPKT2_lT1_lS7_lS8_lS4_lPT4_lS8_li,@function
_ZL20rocblas_gemvn_kernelILi64ELi16EiPKDF16_fKPDF16_EviiT3_lPKT2_lT1_lS7_lS8_lS4_lPT4_lS8_li: ; @_ZL20rocblas_gemvn_kernelILi64ELi16EiPKDF16_fKPDF16_EviiT3_lPKT2_lT1_lS7_lS8_lS4_lPT4_lS8_li
; %bb.0:
	s_load_dwordx2 s[0:1], s[4:5], 0x9c
	s_waitcnt lgkmcnt(0)
	s_lshr_b32 s3, s0, 16
	s_and_b32 s0, s0, 0xffff
	s_and_b32 s1, s1, 0xffff
	s_mul_i32 s0, s3, s0
	s_mul_i32 s0, s0, s1
	s_cmpk_lg_i32 s0, 0x400
	s_cbranch_scc1 .LBB436_56
; %bb.1:
	s_mov_b32 s2, s7
	s_clause 0x1
	s_load_dwordx4 s[8:11], s[4:5], 0x0
	s_load_dword s7, s[4:5], 0x58
	s_mov_b32 s3, 0
	s_waitcnt lgkmcnt(0)
	v_cmp_eq_f32_e64 s18, s10, 0
	v_cmp_eq_f32_e64 s0, s7, 1.0
	s_and_b32 s0, s18, s0
	s_and_b32 vcc_lo, exec_lo, s0
	s_cbranch_vccnz .LBB436_56
; %bb.2:
	v_cmp_neq_f32_e64 s11, s10, 0
	s_and_b32 vcc_lo, exec_lo, s11
	s_cbranch_vccnz .LBB436_4
; %bb.3:
	s_mov_b32 s1, 0
	s_mov_b32 s0, s2
	;; [unrolled: 1-line block ×3, first 2 shown]
	s_mov_b64 s[14:15], 0
	s_andn2_b32 vcc_lo, exec_lo, s12
	s_mov_b64 s[12:13], 0
	s_cbranch_vccz .LBB436_5
	s_branch .LBB436_6
.LBB436_4:
	s_mov_b64 s[0:1], s[2:3]
	s_mov_b64 s[14:15], 0
	;; [unrolled: 1-line block ×3, first 2 shown]
.LBB436_5:
	s_load_dwordx4 s[20:23], s[4:5], 0x18
	s_lshl_b64 s[2:3], s[2:3], 3
	s_waitcnt lgkmcnt(0)
	s_add_u32 s2, s20, s2
	s_addc_u32 s3, s21, s3
	s_lshl_b64 s[12:13], s[22:23], 1
	s_load_dwordx2 s[2:3], s[2:3], 0x0
	s_waitcnt lgkmcnt(0)
	s_add_u32 s12, s2, s12
	s_addc_u32 s13, s3, s13
.LBB436_6:
	s_andn2_b32 vcc_lo, exec_lo, s11
	s_cbranch_vccnz .LBB436_8
; %bb.7:
	s_load_dwordx4 s[20:23], s[4:5], 0x38
	s_lshl_b64 s[2:3], s[0:1], 3
	s_waitcnt lgkmcnt(0)
	s_add_u32 s2, s20, s2
	s_addc_u32 s3, s21, s3
	s_lshl_b64 s[14:15], s[22:23], 1
	s_load_dwordx2 s[2:3], s[2:3], 0x0
	s_waitcnt lgkmcnt(0)
	s_add_u32 s14, s2, s14
	s_addc_u32 s15, s3, s15
.LBB436_8:
	s_clause 0x1
	s_load_dwordx4 s[20:23], s[4:5], 0x68
	s_load_dword s17, s[4:5], 0x78
	s_lshl_b64 s[0:1], s[0:1], 3
	v_lshlrev_b32_e32 v14, 6, v1
	v_add_nc_u32_e32 v13, v14, v0
	s_waitcnt lgkmcnt(0)
	s_add_u32 s0, s20, s0
	s_addc_u32 s1, s21, s1
	s_lshl_b64 s[20:21], s[22:23], 1
	s_load_dwordx2 s[2:3], s[0:1], 0x0
	v_cmp_gt_u32_e64 s0, 0x100, v13
	s_waitcnt lgkmcnt(0)
	s_add_u32 s11, s2, s20
	s_addc_u32 s16, s3, s21
	s_andn2_b32 vcc_lo, exec_lo, s18
	s_cbranch_vccnz .LBB436_15
; %bb.9:
	s_mov_b32 s1, 0
	s_mov_b32 s18, 0
                                        ; implicit-def: $vgpr5
                                        ; implicit-def: $vgpr2_vgpr3
	s_and_saveexec_b32 s2, s0
	s_cbranch_execz .LBB436_16
; %bb.10:
	v_lshl_or_b32 v4, s6, 8, v13
	v_mov_b32_e32 v5, 0
	s_ashr_i32 s19, s8, 31
	s_mov_b32 s18, s8
	s_mov_b32 s3, 0
	s_mov_b32 s0, exec_lo
                                        ; implicit-def: $vgpr2_vgpr3
	v_cmpx_gt_i64_e64 s[18:19], v[4:5]
	s_cbranch_execz .LBB436_14
; %bb.11:
	v_mad_u64_u32 v[2:3], null, s17, v4, 0
	s_ashr_i32 s3, s17, 31
	v_mad_u64_u32 v[3:4], null, s3, v4, v[3:4]
	v_cmp_eq_f32_e64 s3, s7, 0
	s_and_b32 vcc_lo, exec_lo, s3
	s_cbranch_vccnz .LBB436_13
; %bb.12:
	v_lshlrev_b64 v[4:5], 1, v[2:3]
	v_add_co_u32 v4, vcc_lo, s11, v4
	v_add_co_ci_u32_e64 v5, null, s16, v5, vcc_lo
	flat_load_ushort v4, v[4:5]
	s_waitcnt vmcnt(0) lgkmcnt(0)
	v_fma_mixlo_f16 v5, s7, v4, 0 op_sel_hi:[0,1,0]
.LBB436_13:
	s_mov_b32 s3, exec_lo
.LBB436_14:
	s_or_b32 exec_lo, exec_lo, s0
	s_and_b32 s18, s3, exec_lo
	s_or_b32 exec_lo, exec_lo, s2
	s_and_b32 vcc_lo, exec_lo, s1
	s_cbranch_vccnz .LBB436_17
	s_branch .LBB436_54
.LBB436_15:
	s_mov_b32 s18, 0
                                        ; implicit-def: $vgpr5
                                        ; implicit-def: $vgpr2_vgpr3
	s_cbranch_execnz .LBB436_17
	s_branch .LBB436_54
.LBB436_16:
	s_or_b32 exec_lo, exec_lo, s2
	s_and_b32 vcc_lo, exec_lo, s1
	s_cbranch_vccz .LBB436_54
.LBB436_17:
	s_clause 0x1
	s_load_dword s19, s[4:5], 0x28
	s_load_dword s4, s[4:5], 0x48
	s_ashr_i32 s0, s9, 31
	s_lshl_b32 s5, s6, 8
	s_lshr_b32 s0, s0, 26
	v_lshlrev_b32_e32 v20, 2, v1
	v_add_nc_u32_e32 v16, s5, v0
	v_mov_b32_e32 v19, 0
	v_mov_b32_e32 v18, 0
	;; [unrolled: 1-line block ×4, first 2 shown]
	s_add_i32 s0, s9, s0
	s_mov_b32 s20, exec_lo
	s_and_b32 s6, s0, 0xffffffc0
	v_cmpx_gt_i32_e64 s6, v20
	s_cbranch_execz .LBB436_29
; %bb.18:
	v_add_nc_u32_e32 v5, 0xc0, v16
	s_waitcnt lgkmcnt(0)
	v_mul_lo_u32 v3, s19, v20
	v_add_nc_u32_e32 v2, 64, v16
	v_add_nc_u32_e32 v6, 2, v20
	;; [unrolled: 1-line block ×3, first 2 shown]
	v_cmp_gt_i32_e64 s2, s8, v5
	v_mul_lo_u32 v5, v1, s19
	v_add_nc_u32_e32 v7, 3, v20
	v_mul_lo_u32 v8, v1, s4
	v_cmp_gt_i32_e64 s0, s8, v2
	v_add3_u32 v21, v3, s19, v0
	v_mad_u64_u32 v[2:3], null, s19, v6, v[0:1]
	v_cmp_gt_i32_e64 s1, s8, v4
	v_mad_u64_u32 v[3:4], null, s19, v7, v[0:1]
	v_lshl_add_u32 v22, v5, 2, v0
	v_mad_u64_u32 v[4:5], null, s4, v20, s[4:5]
	v_mul_lo_u32 v23, s4, v6
	v_mul_lo_u32 v24, s4, v7
	v_lshlrev_b32_e32 v25, 2, v8
	v_mov_b32_e32 v19, 0
	v_mov_b32_e32 v18, 0
	;; [unrolled: 1-line block ×4, first 2 shown]
	s_lshl_b32 s21, s19, 6
	s_lshl_b32 s23, s4, 6
	s_mov_b32 s22, 0
	s_mov_b32 s24, 0
	v_cmp_gt_i32_e32 vcc_lo, s8, v16
	s_branch .LBB436_23
.LBB436_19:                             ;   in Loop: Header=BB436_23 Depth=1
	s_or_b32 exec_lo, exec_lo, s27
	s_waitcnt vmcnt(3) lgkmcnt(3)
	v_fma_mix_f32 v5, v38, v42, v17 op_sel_hi:[0,1,0]
	s_waitcnt vmcnt(2) lgkmcnt(2)
	v_fma_mix_f32 v5, v39, v43, v5 op_sel_hi:[0,1,0]
	;; [unrolled: 2-line block ×4, first 2 shown]
.LBB436_20:                             ;   in Loop: Header=BB436_23 Depth=1
	s_or_b32 exec_lo, exec_lo, s26
	s_waitcnt vmcnt(3) lgkmcnt(3)
	v_fma_mix_f32 v5, v38, v34, v18 op_sel_hi:[0,1,0]
	s_waitcnt vmcnt(2) lgkmcnt(2)
	v_fma_mix_f32 v5, v39, v35, v5 op_sel_hi:[0,1,0]
	;; [unrolled: 2-line block ×4, first 2 shown]
.LBB436_21:                             ;   in Loop: Header=BB436_23 Depth=1
	s_or_b32 exec_lo, exec_lo, s3
	s_waitcnt vmcnt(3) lgkmcnt(3)
	v_fma_mix_f32 v5, v26, v30, v19 op_sel_hi:[1,1,0]
	s_waitcnt vmcnt(2) lgkmcnt(2)
	v_fma_mix_f32 v5, v27, v31, v5 op_sel_hi:[1,1,0]
	s_waitcnt vmcnt(1) lgkmcnt(1)
	v_fma_mix_f32 v5, v28, v32, v5 op_sel_hi:[1,1,0]
	s_waitcnt vmcnt(0) lgkmcnt(0)
	v_fma_mix_f32 v19, v29, v33, v5 op_sel_hi:[1,1,0]
.LBB436_22:                             ;   in Loop: Header=BB436_23 Depth=1
	s_or_b32 exec_lo, exec_lo, s25
	v_add_nc_u32_e32 v20, 64, v20
	v_add_nc_u32_e32 v21, s21, v21
	v_add_nc_u32_e32 v2, s21, v2
	v_add_nc_u32_e32 v3, s21, v3
	v_add_nc_u32_e32 v22, s21, v22
	v_cmp_le_i32_e64 s3, s6, v20
	s_add_i32 s24, s24, s23
	s_or_b32 s22, s3, s22
	s_andn2_b32 exec_lo, exec_lo, s22
	s_cbranch_execz .LBB436_28
.LBB436_23:                             ; =>This Inner Loop Header: Depth=1
	s_and_saveexec_b32 s25, vcc_lo
	s_cbranch_execz .LBB436_22
; %bb.24:                               ;   in Loop: Header=BB436_23 Depth=1
	v_add_nc_u32_e32 v5, s24, v25
	v_add_nc_u32_e32 v7, s24, v4
	v_add_nc_u32_e32 v9, s24, v23
	v_add_nc_u32_e32 v11, s24, v24
	v_add_nc_u32_e32 v26, s5, v22
	v_ashrrev_i32_e32 v6, 31, v5
	v_ashrrev_i32_e32 v8, 31, v7
	;; [unrolled: 1-line block ×5, first 2 shown]
	v_lshlrev_b64 v[5:6], 1, v[5:6]
	v_lshlrev_b64 v[7:8], 1, v[7:8]
	;; [unrolled: 1-line block ×3, first 2 shown]
	v_add_co_u32 v28, s3, s14, v5
	v_add_co_ci_u32_e64 v29, null, s15, v6, s3
	v_add_co_u32 v30, s3, s14, v7
	v_add_nc_u32_e32 v7, s5, v21
	v_add_co_ci_u32_e64 v31, null, s15, v8, s3
	v_lshlrev_b64 v[5:6], 1, v[11:12]
	v_add_co_u32 v32, s3, s14, v9
	v_add_nc_u32_e32 v11, s5, v2
	v_add_co_ci_u32_e64 v33, null, s15, v10, s3
	v_lshlrev_b64 v[9:10], 1, v[26:27]
	v_add_nc_u32_e32 v26, s5, v3
	v_ashrrev_i32_e32 v8, 31, v7
	v_ashrrev_i32_e32 v12, 31, v11
	v_add_co_u32 v34, s3, s14, v5
	v_ashrrev_i32_e32 v27, 31, v26
	v_add_co_ci_u32_e64 v35, null, s15, v6, s3
	v_lshlrev_b64 v[7:8], 1, v[7:8]
	v_add_co_u32 v5, s3, s12, v9
	v_add_co_ci_u32_e64 v6, null, s13, v10, s3
	v_lshlrev_b64 v[9:10], 1, v[11:12]
	v_lshlrev_b64 v[11:12], 1, v[26:27]
	v_add_co_u32 v7, s3, s12, v7
	v_add_co_ci_u32_e64 v8, null, s13, v8, s3
	v_add_co_u32 v9, s3, s12, v9
	v_add_co_ci_u32_e64 v10, null, s13, v10, s3
	;; [unrolled: 2-line block ×3, first 2 shown]
	s_clause 0x3
	flat_load_ushort v26, v[28:29]
	flat_load_ushort v27, v[30:31]
	;; [unrolled: 1-line block ×4, first 2 shown]
	s_clause 0x3
	flat_load_ushort v30, v[5:6]
	flat_load_ushort v31, v[7:8]
	;; [unrolled: 1-line block ×4, first 2 shown]
	s_and_saveexec_b32 s3, s0
	s_cbranch_execz .LBB436_21
; %bb.25:                               ;   in Loop: Header=BB436_23 Depth=1
	s_clause 0x3
	flat_load_ushort v34, v[5:6] offset:128
	flat_load_ushort v35, v[7:8] offset:128
	;; [unrolled: 1-line block ×4, first 2 shown]
	s_waitcnt vmcnt(11) lgkmcnt(11)
	v_cvt_f32_f16_e32 v38, v26
	s_waitcnt vmcnt(10) lgkmcnt(10)
	v_cvt_f32_f16_e32 v39, v27
	;; [unrolled: 2-line block ×4, first 2 shown]
	s_and_saveexec_b32 s26, s1
	s_cbranch_execz .LBB436_20
; %bb.26:                               ;   in Loop: Header=BB436_23 Depth=1
	s_clause 0x3
	flat_load_ushort v42, v[5:6] offset:256
	flat_load_ushort v43, v[7:8] offset:256
	;; [unrolled: 1-line block ×4, first 2 shown]
	s_and_saveexec_b32 s27, s2
	s_cbranch_execz .LBB436_19
; %bb.27:                               ;   in Loop: Header=BB436_23 Depth=1
	s_clause 0x3
	flat_load_ushort v5, v[5:6] offset:384
	flat_load_ushort v6, v[7:8] offset:384
	;; [unrolled: 1-line block ×4, first 2 shown]
	s_waitcnt vmcnt(3) lgkmcnt(3)
	v_fma_mix_f32 v5, v38, v5, v15 op_sel_hi:[0,1,0]
	s_waitcnt vmcnt(2) lgkmcnt(2)
	v_fma_mix_f32 v5, v39, v6, v5 op_sel_hi:[0,1,0]
	;; [unrolled: 2-line block ×4, first 2 shown]
	s_branch .LBB436_19
.LBB436_28:
	s_or_b32 exec_lo, exec_lo, s22
.LBB436_29:
	s_or_b32 exec_lo, exec_lo, s20
	s_sub_i32 s0, s9, s6
	s_cmp_lt_i32 s0, 1
	s_cbranch_scc1 .LBB436_47
; %bb.30:
	v_cmp_gt_i32_e32 vcc_lo, s9, v20
	v_mov_b32_e32 v10, 0
	v_or_b32_e32 v2, 1, v20
	v_mov_b32_e32 v11, 0
	v_mov_b32_e32 v12, 0
	;; [unrolled: 1-line block ×3, first 2 shown]
	s_and_saveexec_b32 s1, vcc_lo
	s_cbranch_execz .LBB436_38
; %bb.31:
	s_waitcnt lgkmcnt(0)
	v_mul_lo_u32 v3, v20, s4
	v_mov_b32_e32 v12, 0
	v_mov_b32_e32 v11, 0
	;; [unrolled: 1-line block ×3, first 2 shown]
	s_mov_b32 s2, exec_lo
	v_ashrrev_i32_e32 v4, 31, v3
	v_lshlrev_b64 v[3:4], 1, v[3:4]
	v_add_co_u32 v3, s0, s14, v3
	v_add_co_ci_u32_e64 v4, null, s15, v4, s0
	flat_load_ushort v3, v[3:4]
	v_cmpx_gt_i32_e64 s9, v2
	s_cbranch_execz .LBB436_37
; %bb.32:
	v_mul_lo_u32 v4, v2, s4
	v_mov_b32_e32 v11, 0
	v_mov_b32_e32 v10, 0
	s_mov_b32 s3, exec_lo
	v_ashrrev_i32_e32 v5, 31, v4
	v_lshlrev_b64 v[4:5], 1, v[4:5]
	v_add_co_u32 v4, s0, s14, v4
	v_add_co_ci_u32_e64 v5, null, s15, v5, s0
	flat_load_ushort v4, v[4:5]
	v_or_b32_e32 v5, 2, v20
	v_cmpx_gt_i32_e64 s9, v5
	s_cbranch_execz .LBB436_36
; %bb.33:
	v_mul_lo_u32 v5, v5, s4
	v_mov_b32_e32 v10, 0
	s_mov_b32 s6, exec_lo
	v_ashrrev_i32_e32 v6, 31, v5
	v_lshlrev_b64 v[5:6], 1, v[5:6]
	v_add_co_u32 v5, s0, s14, v5
	v_add_co_ci_u32_e64 v6, null, s15, v6, s0
	flat_load_ushort v5, v[5:6]
	v_or_b32_e32 v6, 3, v20
	v_cmpx_gt_i32_e64 s9, v6
	s_cbranch_execz .LBB436_35
; %bb.34:
	v_mul_lo_u32 v6, v6, s4
	v_ashrrev_i32_e32 v7, 31, v6
	v_lshlrev_b64 v[6:7], 1, v[6:7]
	v_add_co_u32 v6, s0, s14, v6
	v_add_co_ci_u32_e64 v7, null, s15, v7, s0
	flat_load_ushort v6, v[6:7]
	s_waitcnt vmcnt(0) lgkmcnt(0)
	v_cvt_f32_f16_e32 v10, v6
.LBB436_35:
	s_or_b32 exec_lo, exec_lo, s6
	s_waitcnt vmcnt(0) lgkmcnt(0)
	v_cvt_f32_f16_e32 v11, v5
.LBB436_36:
	s_or_b32 exec_lo, exec_lo, s3
	s_waitcnt vmcnt(0) lgkmcnt(0)
	v_cvt_f32_f16_e32 v12, v4
.LBB436_37:
	s_or_b32 exec_lo, exec_lo, s2
	s_waitcnt vmcnt(0) lgkmcnt(0)
	v_cvt_f32_f16_e32 v21, v3
.LBB436_38:
	s_or_b32 exec_lo, exec_lo, s1
	s_mov_b32 s1, exec_lo
	v_cmpx_gt_i32_e64 s8, v16
	s_cbranch_execz .LBB436_46
; %bb.39:
	s_waitcnt lgkmcnt(0)
	v_mul_lo_u32 v3, v20, s19
	v_or_b32_e32 v4, 2, v20
	v_mul_lo_u32 v5, v2, s19
	v_or_b32_e32 v6, 3, v20
	s_mov_b32 s0, exec_lo
	v_mul_lo_u32 v7, v4, s19
	v_mul_lo_u32 v8, v6, s19
	v_cndmask_b32_e32 v3, 0, v3, vcc_lo
	v_cmp_gt_i32_e32 vcc_lo, s9, v2
	v_add_nc_u32_e32 v2, v3, v16
	v_cndmask_b32_e32 v5, 0, v5, vcc_lo
	v_cmp_gt_i32_e32 vcc_lo, s9, v4
	v_ashrrev_i32_e32 v3, 31, v2
	v_add_nc_u32_e32 v4, v5, v16
	v_cndmask_b32_e32 v7, 0, v7, vcc_lo
	v_cmp_gt_i32_e32 vcc_lo, s9, v6
	v_lshlrev_b64 v[2:3], 1, v[2:3]
	v_ashrrev_i32_e32 v5, 31, v4
	v_add_nc_u32_e32 v6, v7, v16
	v_cndmask_b32_e32 v8, 0, v8, vcc_lo
	v_lshlrev_b64 v[4:5], 1, v[4:5]
	v_ashrrev_i32_e32 v7, 31, v6
	v_add_nc_u32_e32 v8, v8, v16
	v_add_co_u32 v2, vcc_lo, s12, v2
	v_add_co_ci_u32_e64 v3, null, s13, v3, vcc_lo
	v_lshlrev_b64 v[6:7], 1, v[6:7]
	v_ashrrev_i32_e32 v9, 31, v8
	v_add_co_u32 v4, vcc_lo, s12, v4
	v_add_co_ci_u32_e64 v5, null, s13, v5, vcc_lo
	flat_load_ushort v22, v[2:3]
	v_add_co_u32 v6, vcc_lo, s12, v6
	v_add_co_ci_u32_e64 v7, null, s13, v7, vcc_lo
	v_lshlrev_b64 v[8:9], 1, v[8:9]
	s_clause 0x1
	flat_load_ushort v23, v[4:5]
	flat_load_ushort v24, v[6:7]
	v_add_co_u32 v8, vcc_lo, s12, v8
	v_add_co_ci_u32_e64 v9, null, s13, v9, vcc_lo
	flat_load_ushort v20, v[8:9]
	s_waitcnt vmcnt(3) lgkmcnt(3)
	v_fma_mix_f32 v19, v21, v22, v19 op_sel_hi:[0,1,0]
	v_add_nc_u32_e32 v22, 64, v16
	s_waitcnt vmcnt(2) lgkmcnt(2)
	v_fma_mix_f32 v19, v12, v23, v19 op_sel_hi:[0,1,0]
	s_waitcnt vmcnt(1) lgkmcnt(1)
	v_fma_mix_f32 v19, v11, v24, v19 op_sel_hi:[0,1,0]
	v_cmpx_gt_i32_e64 s8, v22
	s_cbranch_execz .LBB436_45
; %bb.40:
	s_clause 0x3
	flat_load_ushort v23, v[2:3] offset:128
	flat_load_ushort v24, v[4:5] offset:128
	;; [unrolled: 1-line block ×4, first 2 shown]
	s_mov_b32 s2, exec_lo
	s_waitcnt vmcnt(3) lgkmcnt(3)
	v_fma_mix_f32 v18, v21, v23, v18 op_sel_hi:[0,1,0]
	v_add_nc_u32_e32 v23, 0x80, v16
	s_waitcnt vmcnt(2) lgkmcnt(2)
	v_fma_mix_f32 v18, v12, v24, v18 op_sel_hi:[0,1,0]
	s_waitcnt vmcnt(1) lgkmcnt(1)
	v_fma_mix_f32 v18, v11, v25, v18 op_sel_hi:[0,1,0]
	v_cmpx_gt_i32_e64 s8, v23
	s_cbranch_execz .LBB436_44
; %bb.41:
	s_clause 0x3
	flat_load_ushort v24, v[2:3] offset:256
	flat_load_ushort v25, v[4:5] offset:256
	;; [unrolled: 1-line block ×4, first 2 shown]
	s_mov_b32 s3, exec_lo
	s_waitcnt vmcnt(3) lgkmcnt(3)
	v_fma_mix_f32 v17, v21, v24, v17 op_sel_hi:[0,1,0]
	v_add_nc_u32_e32 v24, 0xc0, v16
	s_waitcnt vmcnt(2) lgkmcnt(2)
	v_fma_mix_f32 v17, v12, v25, v17 op_sel_hi:[0,1,0]
	s_waitcnt vmcnt(1) lgkmcnt(1)
	v_fma_mix_f32 v16, v11, v26, v17 op_sel_hi:[0,1,0]
	v_cmpx_gt_i32_e64 s8, v24
	s_cbranch_execz .LBB436_43
; %bb.42:
	s_clause 0x3
	flat_load_ushort v2, v[2:3] offset:384
	flat_load_ushort v3, v[4:5] offset:384
	;; [unrolled: 1-line block ×4, first 2 shown]
	s_waitcnt vmcnt(3) lgkmcnt(3)
	v_fma_mix_f32 v2, v21, v2, v15 op_sel_hi:[0,1,0]
	s_waitcnt vmcnt(2) lgkmcnt(2)
	v_fma_mix_f32 v2, v12, v3, v2 op_sel_hi:[0,1,0]
	;; [unrolled: 2-line block ×4, first 2 shown]
.LBB436_43:
	s_or_b32 exec_lo, exec_lo, s3
	s_waitcnt vmcnt(0) lgkmcnt(0)
	v_fma_mix_f32 v17, v10, v23, v16 op_sel_hi:[0,1,0]
.LBB436_44:
	s_or_b32 exec_lo, exec_lo, s2
	s_waitcnt vmcnt(0) lgkmcnt(0)
	v_fma_mix_f32 v18, v10, v22, v18 op_sel_hi:[0,1,0]
.LBB436_45:
	s_or_b32 exec_lo, exec_lo, s0
	s_waitcnt vmcnt(0) lgkmcnt(0)
	v_fma_mix_f32 v19, v10, v20, v19 op_sel_hi:[0,1,0]
.LBB436_46:
	s_or_b32 exec_lo, exec_lo, s1
.LBB436_47:
	v_lshlrev_b32_e32 v0, 2, v0
	s_mov_b32 s0, exec_lo
                                        ; implicit-def: $vgpr5
                                        ; implicit-def: $vgpr2_vgpr3
	v_lshl_add_u32 v1, v1, 10, v0
	ds_write2st64_b32 v1, v19, v18 offset1:1
	ds_write2st64_b32 v1, v17, v15 offset0:2 offset1:3
	s_waitcnt lgkmcnt(0)
	s_barrier
	buffer_gl0_inv
	v_cmpx_gt_u32_e32 0x100, v13
	s_cbranch_execz .LBB436_53
; %bb.48:
	v_lshl_add_u32 v6, v14, 2, v0
	s_mov_b32 s2, s18
	s_mov_b32 s1, exec_lo
	ds_read2st64_b32 v[0:1], v6 offset1:4
	ds_read2st64_b32 v[2:3], v6 offset0:8 offset1:12
	ds_read2st64_b32 v[4:5], v6 offset0:16 offset1:20
	s_waitcnt lgkmcnt(2)
	v_add_f32_e32 v7, v0, v1
	ds_read2st64_b32 v[0:1], v6 offset0:24 offset1:28
	s_waitcnt lgkmcnt(2)
	v_add_f32_e32 v2, v2, v7
	v_add_f32_e32 v7, v3, v2
	ds_read2st64_b32 v[2:3], v6 offset0:32 offset1:36
	s_waitcnt lgkmcnt(2)
	v_add_f32_e32 v4, v4, v7
	;; [unrolled: 4-line block ×3, first 2 shown]
	v_add_f32_e32 v0, v1, v0
	s_waitcnt lgkmcnt(1)
	v_add_f32_e32 v2, v2, v0
	ds_read2st64_b32 v[0:1], v6 offset0:48 offset1:52
	v_add_f32_e32 v2, v3, v2
	s_waitcnt lgkmcnt(1)
	v_add_f32_e32 v4, v4, v2
	ds_read2st64_b32 v[2:3], v6 offset0:56 offset1:60
	v_add_f32_e32 v4, v5, v4
                                        ; implicit-def: $vgpr5
	s_waitcnt lgkmcnt(1)
	v_add_f32_e32 v0, v0, v4
	v_add_f32_e32 v0, v1, v0
	v_or_b32_e32 v1, s5, v13
	s_waitcnt lgkmcnt(0)
	v_add_f32_e32 v0, v2, v0
	v_add_f32_e32 v0, v3, v0
                                        ; implicit-def: $vgpr2_vgpr3
	ds_write_b32 v6, v0
	v_cmpx_gt_i32_e64 s8, v1
	s_cbranch_execz .LBB436_52
; %bb.49:
	v_mul_lo_u32 v2, s17, v1
	v_cmp_eq_f32_e64 s2, s7, 0
	v_mul_f32_e32 v0, s10, v0
	s_and_b32 vcc_lo, exec_lo, s2
	v_ashrrev_i32_e32 v3, 31, v2
	s_cbranch_vccnz .LBB436_51
; %bb.50:
	v_lshlrev_b64 v[4:5], 1, v[2:3]
	v_add_co_u32 v4, vcc_lo, s11, v4
	v_add_co_ci_u32_e64 v5, null, s16, v5, vcc_lo
	flat_load_ushort v1, v[4:5]
	s_waitcnt vmcnt(0) lgkmcnt(0)
	v_fma_mix_f32 v0, s7, v1, v0 op_sel_hi:[0,1,0]
.LBB436_51:
	v_cvt_f16_f32_e32 v5, v0
	s_or_b32 s2, s18, exec_lo
.LBB436_52:
	s_or_b32 exec_lo, exec_lo, s1
	s_andn2_b32 s1, s18, exec_lo
	s_and_b32 s2, s2, exec_lo
	s_or_b32 s18, s1, s2
.LBB436_53:
	s_or_b32 exec_lo, exec_lo, s0
.LBB436_54:
	s_and_saveexec_b32 s0, s18
	s_cbranch_execz .LBB436_56
; %bb.55:
	v_lshlrev_b64 v[0:1], 1, v[2:3]
	v_add_co_u32 v0, vcc_lo, s11, v0
	v_add_co_ci_u32_e64 v1, null, s16, v1, vcc_lo
	flat_store_short v[0:1], v5
.LBB436_56:
	s_endpgm
	.section	.rodata,"a",@progbits
	.p2align	6, 0x0
	.amdhsa_kernel _ZL20rocblas_gemvn_kernelILi64ELi16EiPKDF16_fKPDF16_EviiT3_lPKT2_lT1_lS7_lS8_lS4_lPT4_lS8_li
		.amdhsa_group_segment_fixed_size 16384
		.amdhsa_private_segment_fixed_size 0
		.amdhsa_kernarg_size 400
		.amdhsa_user_sgpr_count 6
		.amdhsa_user_sgpr_private_segment_buffer 1
		.amdhsa_user_sgpr_dispatch_ptr 0
		.amdhsa_user_sgpr_queue_ptr 0
		.amdhsa_user_sgpr_kernarg_segment_ptr 1
		.amdhsa_user_sgpr_dispatch_id 0
		.amdhsa_user_sgpr_flat_scratch_init 0
		.amdhsa_user_sgpr_private_segment_size 0
		.amdhsa_wavefront_size32 1
		.amdhsa_uses_dynamic_stack 0
		.amdhsa_system_sgpr_private_segment_wavefront_offset 0
		.amdhsa_system_sgpr_workgroup_id_x 1
		.amdhsa_system_sgpr_workgroup_id_y 0
		.amdhsa_system_sgpr_workgroup_id_z 1
		.amdhsa_system_sgpr_workgroup_info 0
		.amdhsa_system_vgpr_workitem_id 1
		.amdhsa_next_free_vgpr 46
		.amdhsa_next_free_sgpr 28
		.amdhsa_reserve_vcc 1
		.amdhsa_reserve_flat_scratch 1
		.amdhsa_float_round_mode_32 0
		.amdhsa_float_round_mode_16_64 0
		.amdhsa_float_denorm_mode_32 3
		.amdhsa_float_denorm_mode_16_64 3
		.amdhsa_dx10_clamp 1
		.amdhsa_ieee_mode 1
		.amdhsa_fp16_overflow 0
		.amdhsa_workgroup_processor_mode 1
		.amdhsa_memory_ordered 1
		.amdhsa_forward_progress 1
		.amdhsa_shared_vgpr_count 0
		.amdhsa_exception_fp_ieee_invalid_op 0
		.amdhsa_exception_fp_denorm_src 0
		.amdhsa_exception_fp_ieee_div_zero 0
		.amdhsa_exception_fp_ieee_overflow 0
		.amdhsa_exception_fp_ieee_underflow 0
		.amdhsa_exception_fp_ieee_inexact 0
		.amdhsa_exception_int_div_zero 0
	.end_amdhsa_kernel
	.section	.text._ZL20rocblas_gemvn_kernelILi64ELi16EiPKDF16_fKPDF16_EviiT3_lPKT2_lT1_lS7_lS8_lS4_lPT4_lS8_li,"axG",@progbits,_ZL20rocblas_gemvn_kernelILi64ELi16EiPKDF16_fKPDF16_EviiT3_lPKT2_lT1_lS7_lS8_lS4_lPT4_lS8_li,comdat
.Lfunc_end436:
	.size	_ZL20rocblas_gemvn_kernelILi64ELi16EiPKDF16_fKPDF16_EviiT3_lPKT2_lT1_lS7_lS8_lS4_lPT4_lS8_li, .Lfunc_end436-_ZL20rocblas_gemvn_kernelILi64ELi16EiPKDF16_fKPDF16_EviiT3_lPKT2_lT1_lS7_lS8_lS4_lPT4_lS8_li
                                        ; -- End function
	.set _ZL20rocblas_gemvn_kernelILi64ELi16EiPKDF16_fKPDF16_EviiT3_lPKT2_lT1_lS7_lS8_lS4_lPT4_lS8_li.num_vgpr, 46
	.set _ZL20rocblas_gemvn_kernelILi64ELi16EiPKDF16_fKPDF16_EviiT3_lPKT2_lT1_lS7_lS8_lS4_lPT4_lS8_li.num_agpr, 0
	.set _ZL20rocblas_gemvn_kernelILi64ELi16EiPKDF16_fKPDF16_EviiT3_lPKT2_lT1_lS7_lS8_lS4_lPT4_lS8_li.numbered_sgpr, 28
	.set _ZL20rocblas_gemvn_kernelILi64ELi16EiPKDF16_fKPDF16_EviiT3_lPKT2_lT1_lS7_lS8_lS4_lPT4_lS8_li.num_named_barrier, 0
	.set _ZL20rocblas_gemvn_kernelILi64ELi16EiPKDF16_fKPDF16_EviiT3_lPKT2_lT1_lS7_lS8_lS4_lPT4_lS8_li.private_seg_size, 0
	.set _ZL20rocblas_gemvn_kernelILi64ELi16EiPKDF16_fKPDF16_EviiT3_lPKT2_lT1_lS7_lS8_lS4_lPT4_lS8_li.uses_vcc, 1
	.set _ZL20rocblas_gemvn_kernelILi64ELi16EiPKDF16_fKPDF16_EviiT3_lPKT2_lT1_lS7_lS8_lS4_lPT4_lS8_li.uses_flat_scratch, 1
	.set _ZL20rocblas_gemvn_kernelILi64ELi16EiPKDF16_fKPDF16_EviiT3_lPKT2_lT1_lS7_lS8_lS4_lPT4_lS8_li.has_dyn_sized_stack, 0
	.set _ZL20rocblas_gemvn_kernelILi64ELi16EiPKDF16_fKPDF16_EviiT3_lPKT2_lT1_lS7_lS8_lS4_lPT4_lS8_li.has_recursion, 0
	.set _ZL20rocblas_gemvn_kernelILi64ELi16EiPKDF16_fKPDF16_EviiT3_lPKT2_lT1_lS7_lS8_lS4_lPT4_lS8_li.has_indirect_call, 0
	.section	.AMDGPU.csdata,"",@progbits
; Kernel info:
; codeLenInByte = 2968
; TotalNumSgprs: 30
; NumVgprs: 46
; ScratchSize: 0
; MemoryBound: 0
; FloatMode: 240
; IeeeMode: 1
; LDSByteSize: 16384 bytes/workgroup (compile time only)
; SGPRBlocks: 0
; VGPRBlocks: 5
; NumSGPRsForWavesPerEU: 30
; NumVGPRsForWavesPerEU: 46
; Occupancy: 16
; WaveLimiterHint : 1
; COMPUTE_PGM_RSRC2:SCRATCH_EN: 0
; COMPUTE_PGM_RSRC2:USER_SGPR: 6
; COMPUTE_PGM_RSRC2:TRAP_HANDLER: 0
; COMPUTE_PGM_RSRC2:TGID_X_EN: 1
; COMPUTE_PGM_RSRC2:TGID_Y_EN: 0
; COMPUTE_PGM_RSRC2:TGID_Z_EN: 1
; COMPUTE_PGM_RSRC2:TIDIG_COMP_CNT: 1
	.section	.text._ZL20rocblas_gemvn_kernelILi64ELi16ElPKDF16_fKPDF16_EviiT3_lPKT2_lT1_lS7_lS8_lS4_lPT4_lS8_li,"axG",@progbits,_ZL20rocblas_gemvn_kernelILi64ELi16ElPKDF16_fKPDF16_EviiT3_lPKT2_lT1_lS7_lS8_lS4_lPT4_lS8_li,comdat
	.globl	_ZL20rocblas_gemvn_kernelILi64ELi16ElPKDF16_fKPDF16_EviiT3_lPKT2_lT1_lS7_lS8_lS4_lPT4_lS8_li ; -- Begin function _ZL20rocblas_gemvn_kernelILi64ELi16ElPKDF16_fKPDF16_EviiT3_lPKT2_lT1_lS7_lS8_lS4_lPT4_lS8_li
	.p2align	8
	.type	_ZL20rocblas_gemvn_kernelILi64ELi16ElPKDF16_fKPDF16_EviiT3_lPKT2_lT1_lS7_lS8_lS4_lPT4_lS8_li,@function
_ZL20rocblas_gemvn_kernelILi64ELi16ElPKDF16_fKPDF16_EviiT3_lPKT2_lT1_lS7_lS8_lS4_lPT4_lS8_li: ; @_ZL20rocblas_gemvn_kernelILi64ELi16ElPKDF16_fKPDF16_EviiT3_lPKT2_lT1_lS7_lS8_lS4_lPT4_lS8_li
; %bb.0:
	s_load_dwordx2 s[0:1], s[4:5], 0x9c
	s_waitcnt lgkmcnt(0)
	s_lshr_b32 s2, s0, 16
	s_and_b32 s0, s0, 0xffff
	s_and_b32 s1, s1, 0xffff
	s_mul_i32 s0, s2, s0
	s_mul_i32 s0, s0, s1
	s_cmpk_lg_i32 s0, 0x400
	s_cbranch_scc1 .LBB437_56
; %bb.1:
	s_load_dwordx4 s[8:11], s[4:5], 0x0
	s_waitcnt lgkmcnt(0)
	s_load_dword s11, s[4:5], 0x58
	s_mov_b32 s20, s7
	s_mov_b32 s21, 0
	v_cmp_eq_f32_e64 s7, s10, 0
	s_waitcnt lgkmcnt(0)
	v_cmp_eq_f32_e64 s0, s11, 1.0
	s_and_b32 s0, s7, s0
	s_and_b32 vcc_lo, exec_lo, s0
	s_cbranch_vccnz .LBB437_56
; %bb.2:
	s_clause 0x1
	s_load_dwordx4 s[0:3], s[4:5], 0x18
	s_load_dwordx2 s[14:15], s[4:5], 0x28
	v_cmp_neq_f32_e64 s22, s10, 0
	s_and_b32 vcc_lo, exec_lo, s22
	s_cbranch_vccnz .LBB437_4
; %bb.3:
	s_mov_b32 s13, 0
	s_mov_b32 s12, s20
	;; [unrolled: 1-line block ×3, first 2 shown]
	s_mov_b64 s[18:19], 0
	s_andn2_b32 vcc_lo, exec_lo, s16
	s_mov_b64 s[16:17], 0
	s_cbranch_vccz .LBB437_5
	s_branch .LBB437_6
.LBB437_4:
	s_mov_b64 s[12:13], s[20:21]
	s_mov_b64 s[18:19], 0
	;; [unrolled: 1-line block ×3, first 2 shown]
.LBB437_5:
	s_lshl_b64 s[16:17], s[20:21], 3
	s_waitcnt lgkmcnt(0)
	s_add_u32 s0, s0, s16
	s_addc_u32 s1, s1, s17
	s_lshl_b64 s[2:3], s[2:3], 1
	s_load_dwordx2 s[0:1], s[0:1], 0x0
	s_waitcnt lgkmcnt(0)
	s_add_u32 s16, s0, s2
	s_addc_u32 s17, s1, s3
.LBB437_6:
	s_waitcnt lgkmcnt(0)
	s_clause 0x1
	s_load_dwordx4 s[0:3], s[4:5], 0x38
	s_load_dwordx2 s[20:21], s[4:5], 0x48
	s_andn2_b32 vcc_lo, exec_lo, s22
	s_cbranch_vccnz .LBB437_8
; %bb.7:
	s_lshl_b64 s[18:19], s[12:13], 3
	s_waitcnt lgkmcnt(0)
	s_add_u32 s0, s0, s18
	s_addc_u32 s1, s1, s19
	s_lshl_b64 s[2:3], s[2:3], 1
	s_load_dwordx2 s[0:1], s[0:1], 0x0
	s_waitcnt lgkmcnt(0)
	s_add_u32 s18, s0, s2
	s_addc_u32 s19, s1, s3
.LBB437_8:
	s_waitcnt lgkmcnt(0)
	s_load_dwordx4 s[0:3], s[4:5], 0x68
	s_lshl_b64 s[22:23], s[12:13], 3
	s_load_dwordx2 s[12:13], s[4:5], 0x78
	v_lshlrev_b32_e32 v22, 6, v1
	v_add_nc_u32_e32 v21, v22, v0
	s_waitcnt lgkmcnt(0)
	s_add_u32 s0, s0, s22
	s_addc_u32 s1, s1, s23
	s_lshl_b64 s[2:3], s[2:3], 1
	s_load_dwordx2 s[22:23], s[0:1], 0x0
	v_cmp_gt_u32_e64 s0, 0x100, v21
	s_waitcnt lgkmcnt(0)
	s_add_u32 s5, s22, s2
	s_addc_u32 s26, s23, s3
	s_andn2_b32 vcc_lo, exec_lo, s7
	s_cbranch_vccnz .LBB437_15
; %bb.9:
	s_mov_b32 s1, 0
	s_mov_b32 s27, 0
                                        ; implicit-def: $vgpr5
                                        ; implicit-def: $vgpr2_vgpr3
	s_and_saveexec_b32 s2, s0
	s_cbranch_execz .LBB437_16
; %bb.10:
	v_lshl_or_b32 v4, s6, 8, v21
	v_mov_b32_e32 v5, 0
	s_ashr_i32 s23, s8, 31
	s_mov_b32 s22, s8
	s_mov_b32 s3, 0
	s_mov_b32 s0, exec_lo
                                        ; implicit-def: $vgpr2_vgpr3
	v_cmpx_gt_i64_e64 s[22:23], v[4:5]
	s_cbranch_execz .LBB437_14
; %bb.11:
	v_mad_u64_u32 v[2:3], null, s12, v4, 0
	v_cmp_eq_f32_e64 s3, s11, 0
	s_and_b32 vcc_lo, exec_lo, s3
	v_mad_u64_u32 v[3:4], null, s13, v4, v[3:4]
	s_cbranch_vccnz .LBB437_13
; %bb.12:
	v_lshlrev_b64 v[4:5], 1, v[2:3]
	v_add_co_u32 v4, vcc_lo, s5, v4
	v_add_co_ci_u32_e64 v5, null, s26, v5, vcc_lo
	flat_load_ushort v4, v[4:5]
	s_waitcnt vmcnt(0) lgkmcnt(0)
	v_fma_mixlo_f16 v5, s11, v4, 0 op_sel_hi:[0,1,0]
.LBB437_13:
	s_mov_b32 s3, exec_lo
.LBB437_14:
	s_or_b32 exec_lo, exec_lo, s0
	s_and_b32 s27, s3, exec_lo
	s_or_b32 exec_lo, exec_lo, s2
	s_and_b32 vcc_lo, exec_lo, s1
	s_cbranch_vccnz .LBB437_17
	s_branch .LBB437_54
.LBB437_15:
	s_mov_b32 s27, 0
                                        ; implicit-def: $vgpr5
                                        ; implicit-def: $vgpr2_vgpr3
	s_cbranch_execnz .LBB437_17
	s_branch .LBB437_54
.LBB437_16:
	s_or_b32 exec_lo, exec_lo, s2
	s_and_b32 vcc_lo, exec_lo, s1
	s_cbranch_vccz .LBB437_54
.LBB437_17:
	s_ashr_i32 s0, s9, 31
	s_lshl_b32 s28, s6, 8
	s_lshr_b32 s0, s0, 26
	v_lshlrev_b32_e32 v24, 2, v1
	v_mov_b32_e32 v27, 0
	v_add_nc_u32_e32 v2, s28, v0
	v_mov_b32_e32 v26, 0
	v_mov_b32_e32 v25, 0
	v_mov_b32_e32 v23, 0
	s_add_i32 s29, s9, s0
	s_mov_b32 s30, exec_lo
	s_andn2_b32 s29, s29, 63
	v_cmpx_gt_i32_e64 s29, v24
	s_cbranch_execz .LBB437_29
; %bb.18:
	v_lshlrev_b32_e32 v23, 2, v1
	v_add_nc_u32_e32 v4, 64, v2
	v_mad_u64_u32 v[7:8], null, s20, v1, 0
	v_mad_u64_u32 v[9:10], null, s14, v1, 0
	v_or_b32_e32 v27, 3, v23
	v_add_nc_u32_e32 v11, 0x80, v2
	v_add_nc_u32_e32 v12, 0xc0, v2
	v_cmp_gt_i32_e64 s0, s8, v4
	v_or_b32_e32 v32, 2, v23
	v_mad_u64_u32 v[5:6], null, s14, v27, 0
	v_cmp_gt_i32_e64 s1, s8, v11
	v_cmp_gt_i32_e64 s2, s8, v12
	v_mad_u64_u32 v[16:17], null, s14, v32, 0
	v_mad_u64_u32 v[18:19], null, s20, v27, 0
	v_mov_b32_e32 v4, v6
	v_mov_b32_e32 v6, v8
	;; [unrolled: 1-line block ×3, first 2 shown]
	v_ashrrev_i32_e32 v3, 31, v2
	s_lshl_b64 s[6:7], s[14:15], 7
	v_mad_u64_u32 v[11:12], null, s15, v27, v[4:5]
	v_mad_u64_u32 v[12:13], null, s21, v1, v[6:7]
	;; [unrolled: 1-line block ×4, first 2 shown]
	v_mov_b32_e32 v6, v11
	v_lshlrev_b64 v[3:4], 1, v[2:3]
	v_mov_b32_e32 v8, v12
	s_lshl_b64 s[22:23], s[20:21], 7
	v_mov_b32_e32 v10, v13
	v_lshlrev_b64 v[11:12], 1, v[5:6]
	s_mov_b32 s31, 0
	v_lshlrev_b64 v[5:6], 3, v[7:8]
	v_mov_b32_e32 v7, v17
	v_mov_b32_e32 v8, v15
	v_lshlrev_b64 v[9:10], 3, v[9:10]
	v_add_co_u32 v28, s3, s16, v11
	v_add_co_ci_u32_e64 v29, null, s17, v12, s3
	v_mad_u64_u32 v[11:12], null, s14, v23, s[14:15]
	v_mad_u64_u32 v[25:26], null, s15, v32, v[7:8]
	v_mov_b32_e32 v7, v19
	v_mad_u64_u32 v[19:20], null, s21, v23, v[8:9]
	v_add_co_u32 v30, s3, s16, v9
	v_mad_u64_u32 v[7:8], null, s21, v27, v[7:8]
	v_mov_b32_e32 v8, v12
	v_mov_b32_e32 v17, v25
	v_mad_u64_u32 v[25:26], null, s20, v32, 0
	v_mov_b32_e32 v15, v19
	v_mad_u64_u32 v[12:13], null, s15, v23, v[8:9]
	v_lshlrev_b64 v[16:17], 1, v[16:17]
	v_mov_b32_e32 v19, v7
	v_add_co_ci_u32_e64 v31, null, s17, v10, s3
	v_mov_b32_e32 v8, v26
	v_mov_b32_e32 v23, 0
	v_lshlrev_b64 v[11:12], 1, v[11:12]
	s_mov_b64 s[24:25], s[18:19]
	v_cmp_gt_i32_e32 vcc_lo, s8, v2
	v_mad_u64_u32 v[26:27], null, s21, v32, v[8:9]
	v_add_co_u32 v32, s3, s16, v16
	v_add_co_ci_u32_e64 v33, null, s17, v17, s3
	v_add_co_u32 v34, s3, s16, v11
	v_lshlrev_b64 v[7:8], 1, v[14:15]
	v_lshlrev_b64 v[9:10], 1, v[18:19]
	v_add_co_ci_u32_e64 v35, null, s17, v12, s3
	v_lshlrev_b64 v[11:12], 1, v[25:26]
	v_mov_b32_e32 v27, 0
	v_mov_b32_e32 v26, 0
	;; [unrolled: 1-line block ×3, first 2 shown]
	s_branch .LBB437_23
.LBB437_19:                             ;   in Loop: Header=BB437_23 Depth=1
	s_or_b32 exec_lo, exec_lo, s34
	s_waitcnt vmcnt(3) lgkmcnt(3)
	v_fma_mix_f32 v13, v48, v52, v25 op_sel_hi:[0,1,0]
	s_waitcnt vmcnt(2) lgkmcnt(2)
	v_fma_mix_f32 v13, v49, v53, v13 op_sel_hi:[0,1,0]
	s_waitcnt vmcnt(1) lgkmcnt(1)
	v_fma_mix_f32 v13, v50, v54, v13 op_sel_hi:[0,1,0]
	s_waitcnt vmcnt(0) lgkmcnt(0)
	v_fma_mix_f32 v25, v51, v55, v13 op_sel_hi:[0,1,0]
.LBB437_20:                             ;   in Loop: Header=BB437_23 Depth=1
	s_or_b32 exec_lo, exec_lo, s33
	s_waitcnt vmcnt(3) lgkmcnt(3)
	v_fma_mix_f32 v13, v48, v44, v26 op_sel_hi:[0,1,0]
	s_waitcnt vmcnt(2) lgkmcnt(2)
	v_fma_mix_f32 v13, v49, v45, v13 op_sel_hi:[0,1,0]
	;; [unrolled: 2-line block ×4, first 2 shown]
.LBB437_21:                             ;   in Loop: Header=BB437_23 Depth=1
	s_or_b32 exec_lo, exec_lo, s3
	s_waitcnt vmcnt(3) lgkmcnt(3)
	v_fma_mix_f32 v13, v36, v40, v27 op_sel_hi:[1,1,0]
	s_waitcnt vmcnt(2) lgkmcnt(2)
	v_fma_mix_f32 v13, v37, v41, v13 op_sel_hi:[1,1,0]
	;; [unrolled: 2-line block ×4, first 2 shown]
.LBB437_22:                             ;   in Loop: Header=BB437_23 Depth=1
	s_or_b32 exec_lo, exec_lo, s4
	v_add_co_u32 v28, s3, v28, s6
	v_add_nc_u32_e32 v24, 64, v24
	v_add_co_ci_u32_e64 v29, null, s7, v29, s3
	v_add_co_u32 v30, s3, v30, s6
	v_add_co_ci_u32_e64 v31, null, s7, v31, s3
	v_add_co_u32 v32, s3, v32, s6
	v_add_co_ci_u32_e64 v33, null, s7, v33, s3
	v_cmp_le_i32_e64 s3, s29, v24
	v_add_co_u32 v34, s4, v34, s6
	v_add_co_ci_u32_e64 v35, null, s7, v35, s4
	s_add_u32 s24, s24, s22
	s_addc_u32 s25, s25, s23
	s_or_b32 s31, s3, s31
	s_andn2_b32 exec_lo, exec_lo, s31
	s_cbranch_execz .LBB437_28
.LBB437_23:                             ; =>This Inner Loop Header: Depth=1
	s_and_saveexec_b32 s4, vcc_lo
	s_cbranch_execz .LBB437_22
; %bb.24:                               ;   in Loop: Header=BB437_23 Depth=1
	v_add_co_u32 v36, s3, s24, v5
	v_add_co_ci_u32_e64 v37, null, s25, v6, s3
	v_add_co_u32 v38, s3, s24, v7
	v_add_co_ci_u32_e64 v39, null, s25, v8, s3
	;; [unrolled: 2-line block ×8, first 2 shown]
	s_clause 0x3
	flat_load_ushort v36, v[36:37]
	flat_load_ushort v37, v[38:39]
	;; [unrolled: 1-line block ×8, first 2 shown]
	s_and_saveexec_b32 s3, s0
	s_cbranch_execz .LBB437_21
; %bb.25:                               ;   in Loop: Header=BB437_23 Depth=1
	flat_load_ushort v44, v[13:14] offset:128
	flat_load_ushort v45, v[15:16] offset:128
	;; [unrolled: 1-line block ×4, first 2 shown]
	s_waitcnt vmcnt(11) lgkmcnt(11)
	v_cvt_f32_f16_e32 v48, v36
	s_waitcnt vmcnt(10) lgkmcnt(10)
	v_cvt_f32_f16_e32 v49, v37
	;; [unrolled: 2-line block ×4, first 2 shown]
	s_and_saveexec_b32 s33, s1
	s_cbranch_execz .LBB437_20
; %bb.26:                               ;   in Loop: Header=BB437_23 Depth=1
	flat_load_ushort v52, v[13:14] offset:256
	flat_load_ushort v53, v[15:16] offset:256
	;; [unrolled: 1-line block ×4, first 2 shown]
	s_and_saveexec_b32 s34, s2
	s_cbranch_execz .LBB437_19
; %bb.27:                               ;   in Loop: Header=BB437_23 Depth=1
	flat_load_ushort v13, v[13:14] offset:384
	flat_load_ushort v14, v[15:16] offset:384
	flat_load_ushort v15, v[17:18] offset:384
	flat_load_ushort v16, v[19:20] offset:384
	s_waitcnt vmcnt(3) lgkmcnt(3)
	v_fma_mix_f32 v13, v48, v13, v23 op_sel_hi:[0,1,0]
	s_waitcnt vmcnt(2) lgkmcnt(2)
	v_fma_mix_f32 v13, v49, v14, v13 op_sel_hi:[0,1,0]
	;; [unrolled: 2-line block ×4, first 2 shown]
	s_branch .LBB437_19
.LBB437_28:
	s_or_b32 exec_lo, exec_lo, s31
.LBB437_29:
	s_or_b32 exec_lo, exec_lo, s30
	s_sub_i32 s0, s9, s29
	s_cmp_lt_i32 s0, 1
	s_cbranch_scc1 .LBB437_47
; %bb.30:
	v_cmp_gt_i32_e32 vcc_lo, s9, v24
	v_mov_b32_e32 v11, 0
	v_or_b32_e32 v4, 1, v24
	v_mov_b32_e32 v12, 0
	v_mov_b32_e32 v13, 0
	;; [unrolled: 1-line block ×3, first 2 shown]
	s_and_saveexec_b32 s1, vcc_lo
	s_cbranch_execz .LBB437_38
; %bb.31:
	v_mad_u64_u32 v[5:6], null, s20, v24, 0
	v_mov_b32_e32 v13, 0
	v_mov_b32_e32 v12, 0
	;; [unrolled: 1-line block ×3, first 2 shown]
	s_mov_b32 s2, exec_lo
	v_mov_b32_e32 v3, v6
	v_mad_u64_u32 v[6:7], null, s21, v24, v[3:4]
	v_lshlrev_b64 v[5:6], 1, v[5:6]
	v_add_co_u32 v5, s0, s18, v5
	v_add_co_ci_u32_e64 v6, null, s19, v6, s0
	flat_load_ushort v3, v[5:6]
	v_cmpx_gt_i32_e64 s9, v4
	s_cbranch_execz .LBB437_37
; %bb.32:
	v_mad_u64_u32 v[5:6], null, s20, v4, 0
	v_mov_b32_e32 v12, 0
	v_mov_b32_e32 v11, 0
	s_mov_b32 s3, exec_lo
	v_mad_u64_u32 v[6:7], null, s21, v4, v[6:7]
	v_lshlrev_b64 v[5:6], 1, v[5:6]
	v_add_co_u32 v5, s0, s18, v5
	v_add_co_ci_u32_e64 v6, null, s19, v6, s0
	flat_load_ushort v5, v[5:6]
	v_or_b32_e32 v6, 2, v24
	v_cmpx_gt_i32_e64 s9, v6
	s_cbranch_execz .LBB437_36
; %bb.33:
	v_mad_u64_u32 v[7:8], null, s20, v6, 0
	v_mov_b32_e32 v11, 0
	s_mov_b32 s4, exec_lo
	v_mad_u64_u32 v[8:9], null, s21, v6, v[8:9]
	v_lshlrev_b64 v[6:7], 1, v[7:8]
	v_add_co_u32 v6, s0, s18, v6
	v_add_co_ci_u32_e64 v7, null, s19, v7, s0
	flat_load_ushort v6, v[6:7]
	v_or_b32_e32 v7, 3, v24
	v_cmpx_gt_i32_e64 s9, v7
	s_cbranch_execz .LBB437_35
; %bb.34:
	v_mad_u64_u32 v[8:9], null, s20, v7, 0
	v_mad_u64_u32 v[9:10], null, s21, v7, v[9:10]
	v_lshlrev_b64 v[7:8], 1, v[8:9]
	v_add_co_u32 v7, s0, s18, v7
	v_add_co_ci_u32_e64 v8, null, s19, v8, s0
	flat_load_ushort v7, v[7:8]
	s_waitcnt vmcnt(0) lgkmcnt(0)
	v_cvt_f32_f16_e32 v11, v7
.LBB437_35:
	s_or_b32 exec_lo, exec_lo, s4
	s_waitcnt vmcnt(0) lgkmcnt(0)
	v_cvt_f32_f16_e32 v12, v6
.LBB437_36:
	s_or_b32 exec_lo, exec_lo, s3
	s_waitcnt vmcnt(0) lgkmcnt(0)
	v_cvt_f32_f16_e32 v13, v5
.LBB437_37:
	s_or_b32 exec_lo, exec_lo, s2
	s_waitcnt vmcnt(0) lgkmcnt(0)
	v_cvt_f32_f16_e32 v14, v3
.LBB437_38:
	s_or_b32 exec_lo, exec_lo, s1
	s_mov_b32 s1, exec_lo
	v_cmpx_gt_i32_e64 s8, v2
	s_cbranch_execz .LBB437_46
; %bb.39:
	v_mad_u64_u32 v[5:6], null, s14, v24, 0
	v_mad_u64_u32 v[7:8], null, s14, v4, 0
	v_ashrrev_i32_e32 v3, 31, v2
	v_or_b32_e32 v20, 2, v24
	v_or_b32_e32 v30, 3, v24
	v_cndmask_b32_e32 v5, 0, v5, vcc_lo
	v_lshlrev_b64 v[9:10], 1, v[2:3]
	v_mad_u64_u32 v[15:16], null, s15, v24, v[6:7]
	v_mov_b32_e32 v3, v8
	v_mad_u64_u32 v[16:17], null, s14, v20, 0
	v_mad_u64_u32 v[18:19], null, s14, v30, 0
	v_mad_u64_u32 v[28:29], null, s15, v4, v[3:4]
	v_cndmask_b32_e32 v6, 0, v15, vcc_lo
	v_cmp_gt_i32_e32 vcc_lo, s9, v4
	v_mov_b32_e32 v3, v17
	v_cmp_gt_i32_e64 s0, s9, v20
	v_mov_b32_e32 v8, v19
	v_cndmask_b32_e32 v4, 0, v7, vcc_lo
	v_lshlrev_b64 v[6:7], 1, v[5:6]
	v_cndmask_b32_e32 v5, 0, v28, vcc_lo
	v_cndmask_b32_e64 v15, 0, v16, s0
	v_mad_u64_u32 v[19:20], null, s15, v20, v[3:4]
	v_add_co_u32 v3, vcc_lo, s16, v6
	v_lshlrev_b64 v[5:6], 1, v[4:5]
	v_add_co_ci_u32_e64 v7, null, s17, v7, vcc_lo
	v_add_co_u32 v3, vcc_lo, v3, v9
	v_cndmask_b32_e64 v16, 0, v19, s0
	v_add_co_ci_u32_e64 v4, null, v7, v10, vcc_lo
	v_add_co_u32 v5, vcc_lo, s16, v5
	v_add_co_ci_u32_e64 v6, null, s17, v6, vcc_lo
	v_mad_u64_u32 v[7:8], null, s15, v30, v[8:9]
	v_add_co_u32 v5, vcc_lo, v5, v9
	v_add_co_ci_u32_e64 v6, null, v6, v10, vcc_lo
	v_cmp_gt_i32_e32 vcc_lo, s9, v30
	v_lshlrev_b64 v[15:16], 1, v[15:16]
	s_clause 0x1
	flat_load_ushort v19, v[3:4]
	flat_load_ushort v20, v[5:6]
	s_mov_b32 s0, exec_lo
	v_cndmask_b32_e32 v17, 0, v18, vcc_lo
	v_cndmask_b32_e32 v18, 0, v7, vcc_lo
	v_add_co_u32 v7, vcc_lo, s16, v15
	v_add_co_ci_u32_e64 v8, null, s17, v16, vcc_lo
	v_lshlrev_b64 v[15:16], 1, v[17:18]
	v_add_co_u32 v7, vcc_lo, v7, v9
	v_add_co_ci_u32_e64 v8, null, v8, v10, vcc_lo
	v_add_nc_u32_e32 v18, 64, v2
	v_add_co_u32 v15, vcc_lo, s16, v15
	v_add_co_ci_u32_e64 v16, null, s17, v16, vcc_lo
	flat_load_ushort v17, v[7:8]
	v_add_co_u32 v9, vcc_lo, v15, v9
	v_add_co_ci_u32_e64 v10, null, v16, v10, vcc_lo
	flat_load_ushort v15, v[9:10]
	s_waitcnt vmcnt(3) lgkmcnt(3)
	v_fma_mix_f32 v16, v14, v19, v27 op_sel_hi:[0,1,0]
	s_waitcnt vmcnt(2) lgkmcnt(2)
	v_fma_mix_f32 v16, v13, v20, v16 op_sel_hi:[0,1,0]
	;; [unrolled: 2-line block ×3, first 2 shown]
	v_cmpx_gt_i32_e64 s8, v18
	s_cbranch_execz .LBB437_45
; %bb.40:
	s_clause 0x3
	flat_load_ushort v18, v[3:4] offset:128
	flat_load_ushort v19, v[5:6] offset:128
	;; [unrolled: 1-line block ×4, first 2 shown]
	s_mov_b32 s2, exec_lo
	s_waitcnt vmcnt(3) lgkmcnt(3)
	v_fma_mix_f32 v18, v14, v18, v26 op_sel_hi:[0,1,0]
	s_waitcnt vmcnt(2) lgkmcnt(2)
	v_fma_mix_f32 v18, v13, v19, v18 op_sel_hi:[0,1,0]
	v_add_nc_u32_e32 v19, 0x80, v2
	s_waitcnt vmcnt(1) lgkmcnt(1)
	v_fma_mix_f32 v18, v12, v20, v18 op_sel_hi:[0,1,0]
	v_cmpx_gt_i32_e64 s8, v19
	s_cbranch_execz .LBB437_44
; %bb.41:
	s_clause 0x3
	flat_load_ushort v20, v[3:4] offset:256
	flat_load_ushort v24, v[5:6] offset:256
	;; [unrolled: 1-line block ×4, first 2 shown]
	s_mov_b32 s3, exec_lo
	s_waitcnt vmcnt(3) lgkmcnt(3)
	v_fma_mix_f32 v20, v14, v20, v25 op_sel_hi:[0,1,0]
	s_waitcnt vmcnt(2) lgkmcnt(2)
	v_fma_mix_f32 v20, v13, v24, v20 op_sel_hi:[0,1,0]
	v_add_nc_u32_e32 v24, 0xc0, v2
	s_waitcnt vmcnt(1) lgkmcnt(1)
	v_fma_mix_f32 v2, v12, v26, v20 op_sel_hi:[0,1,0]
	v_cmpx_gt_i32_e64 s8, v24
	s_cbranch_execz .LBB437_43
; %bb.42:
	s_clause 0x3
	flat_load_ushort v3, v[3:4] offset:384
	flat_load_ushort v4, v[5:6] offset:384
	;; [unrolled: 1-line block ×4, first 2 shown]
	s_waitcnt vmcnt(3) lgkmcnt(3)
	v_fma_mix_f32 v3, v14, v3, v23 op_sel_hi:[0,1,0]
	s_waitcnt vmcnt(2) lgkmcnt(2)
	v_fma_mix_f32 v3, v13, v4, v3 op_sel_hi:[0,1,0]
	;; [unrolled: 2-line block ×4, first 2 shown]
.LBB437_43:
	s_or_b32 exec_lo, exec_lo, s3
	s_waitcnt vmcnt(0) lgkmcnt(0)
	v_fma_mix_f32 v25, v11, v19, v2 op_sel_hi:[0,1,0]
.LBB437_44:
	s_or_b32 exec_lo, exec_lo, s2
	s_waitcnt vmcnt(0) lgkmcnt(0)
	v_fma_mix_f32 v26, v11, v17, v18 op_sel_hi:[0,1,0]
.LBB437_45:
	s_or_b32 exec_lo, exec_lo, s0
	s_waitcnt vmcnt(0) lgkmcnt(0)
	v_fma_mix_f32 v27, v11, v15, v16 op_sel_hi:[0,1,0]
.LBB437_46:
	s_or_b32 exec_lo, exec_lo, s1
.LBB437_47:
	v_lshlrev_b32_e32 v0, 2, v0
	s_mov_b32 s0, exec_lo
                                        ; implicit-def: $vgpr5
                                        ; implicit-def: $vgpr2_vgpr3
	v_lshl_add_u32 v1, v1, 10, v0
	ds_write2st64_b32 v1, v27, v26 offset1:1
	ds_write2st64_b32 v1, v25, v23 offset0:2 offset1:3
	s_waitcnt lgkmcnt(0)
	s_barrier
	buffer_gl0_inv
	v_cmpx_gt_u32_e32 0x100, v21
	s_cbranch_execz .LBB437_53
; %bb.48:
	v_lshl_add_u32 v6, v22, 2, v0
	s_mov_b32 s2, s27
	s_mov_b32 s1, exec_lo
	ds_read2st64_b32 v[0:1], v6 offset1:4
	ds_read2st64_b32 v[2:3], v6 offset0:8 offset1:12
	ds_read2st64_b32 v[4:5], v6 offset0:16 offset1:20
	s_waitcnt lgkmcnt(2)
	v_add_f32_e32 v7, v0, v1
	ds_read2st64_b32 v[0:1], v6 offset0:24 offset1:28
	s_waitcnt lgkmcnt(2)
	v_add_f32_e32 v2, v2, v7
	v_add_f32_e32 v7, v3, v2
	ds_read2st64_b32 v[2:3], v6 offset0:32 offset1:36
	s_waitcnt lgkmcnt(2)
	v_add_f32_e32 v4, v4, v7
	;; [unrolled: 4-line block ×3, first 2 shown]
	v_add_f32_e32 v0, v1, v0
	s_waitcnt lgkmcnt(1)
	v_add_f32_e32 v2, v2, v0
	ds_read2st64_b32 v[0:1], v6 offset0:48 offset1:52
	v_add_f32_e32 v2, v3, v2
	s_waitcnt lgkmcnt(1)
	v_add_f32_e32 v4, v4, v2
	ds_read2st64_b32 v[2:3], v6 offset0:56 offset1:60
	v_add_f32_e32 v4, v5, v4
                                        ; implicit-def: $vgpr5
	s_waitcnt lgkmcnt(1)
	v_add_f32_e32 v0, v0, v4
	v_add_f32_e32 v0, v1, v0
	v_or_b32_e32 v1, s28, v21
	s_waitcnt lgkmcnt(0)
	v_add_f32_e32 v0, v2, v0
	v_add_f32_e32 v0, v3, v0
                                        ; implicit-def: $vgpr2_vgpr3
	ds_write_b32 v6, v0
	v_cmpx_gt_i32_e64 s8, v1
	s_cbranch_execz .LBB437_52
; %bb.49:
	v_ashrrev_i32_e32 v4, 31, v1
	v_mul_lo_u32 v5, s13, v1
	v_mad_u64_u32 v[2:3], null, s12, v1, 0
	v_cmp_eq_f32_e64 s2, s11, 0
	v_mul_lo_u32 v1, s12, v4
	v_mul_f32_e32 v0, s10, v0
	s_and_b32 vcc_lo, exec_lo, s2
	v_add3_u32 v3, v3, v1, v5
	s_cbranch_vccnz .LBB437_51
; %bb.50:
	v_lshlrev_b64 v[4:5], 1, v[2:3]
	v_add_co_u32 v4, vcc_lo, s5, v4
	v_add_co_ci_u32_e64 v5, null, s26, v5, vcc_lo
	flat_load_ushort v1, v[4:5]
	s_waitcnt vmcnt(0) lgkmcnt(0)
	v_fma_mix_f32 v0, s11, v1, v0 op_sel_hi:[0,1,0]
.LBB437_51:
	v_cvt_f16_f32_e32 v5, v0
	s_or_b32 s2, s27, exec_lo
.LBB437_52:
	s_or_b32 exec_lo, exec_lo, s1
	s_andn2_b32 s1, s27, exec_lo
	s_and_b32 s2, s2, exec_lo
	s_or_b32 s27, s1, s2
.LBB437_53:
	s_or_b32 exec_lo, exec_lo, s0
.LBB437_54:
	s_and_saveexec_b32 s0, s27
	s_cbranch_execz .LBB437_56
; %bb.55:
	v_lshlrev_b64 v[0:1], 1, v[2:3]
	v_add_co_u32 v0, vcc_lo, s5, v0
	v_add_co_ci_u32_e64 v1, null, s26, v1, vcc_lo
	flat_store_short v[0:1], v5
.LBB437_56:
	s_endpgm
	.section	.rodata,"a",@progbits
	.p2align	6, 0x0
	.amdhsa_kernel _ZL20rocblas_gemvn_kernelILi64ELi16ElPKDF16_fKPDF16_EviiT3_lPKT2_lT1_lS7_lS8_lS4_lPT4_lS8_li
		.amdhsa_group_segment_fixed_size 16384
		.amdhsa_private_segment_fixed_size 0
		.amdhsa_kernarg_size 400
		.amdhsa_user_sgpr_count 6
		.amdhsa_user_sgpr_private_segment_buffer 1
		.amdhsa_user_sgpr_dispatch_ptr 0
		.amdhsa_user_sgpr_queue_ptr 0
		.amdhsa_user_sgpr_kernarg_segment_ptr 1
		.amdhsa_user_sgpr_dispatch_id 0
		.amdhsa_user_sgpr_flat_scratch_init 0
		.amdhsa_user_sgpr_private_segment_size 0
		.amdhsa_wavefront_size32 1
		.amdhsa_uses_dynamic_stack 0
		.amdhsa_system_sgpr_private_segment_wavefront_offset 0
		.amdhsa_system_sgpr_workgroup_id_x 1
		.amdhsa_system_sgpr_workgroup_id_y 0
		.amdhsa_system_sgpr_workgroup_id_z 1
		.amdhsa_system_sgpr_workgroup_info 0
		.amdhsa_system_vgpr_workitem_id 1
		.amdhsa_next_free_vgpr 56
		.amdhsa_next_free_sgpr 35
		.amdhsa_reserve_vcc 1
		.amdhsa_reserve_flat_scratch 1
		.amdhsa_float_round_mode_32 0
		.amdhsa_float_round_mode_16_64 0
		.amdhsa_float_denorm_mode_32 3
		.amdhsa_float_denorm_mode_16_64 3
		.amdhsa_dx10_clamp 1
		.amdhsa_ieee_mode 1
		.amdhsa_fp16_overflow 0
		.amdhsa_workgroup_processor_mode 1
		.amdhsa_memory_ordered 1
		.amdhsa_forward_progress 1
		.amdhsa_shared_vgpr_count 0
		.amdhsa_exception_fp_ieee_invalid_op 0
		.amdhsa_exception_fp_denorm_src 0
		.amdhsa_exception_fp_ieee_div_zero 0
		.amdhsa_exception_fp_ieee_overflow 0
		.amdhsa_exception_fp_ieee_underflow 0
		.amdhsa_exception_fp_ieee_inexact 0
		.amdhsa_exception_int_div_zero 0
	.end_amdhsa_kernel
	.section	.text._ZL20rocblas_gemvn_kernelILi64ELi16ElPKDF16_fKPDF16_EviiT3_lPKT2_lT1_lS7_lS8_lS4_lPT4_lS8_li,"axG",@progbits,_ZL20rocblas_gemvn_kernelILi64ELi16ElPKDF16_fKPDF16_EviiT3_lPKT2_lT1_lS7_lS8_lS4_lPT4_lS8_li,comdat
.Lfunc_end437:
	.size	_ZL20rocblas_gemvn_kernelILi64ELi16ElPKDF16_fKPDF16_EviiT3_lPKT2_lT1_lS7_lS8_lS4_lPT4_lS8_li, .Lfunc_end437-_ZL20rocblas_gemvn_kernelILi64ELi16ElPKDF16_fKPDF16_EviiT3_lPKT2_lT1_lS7_lS8_lS4_lPT4_lS8_li
                                        ; -- End function
	.set _ZL20rocblas_gemvn_kernelILi64ELi16ElPKDF16_fKPDF16_EviiT3_lPKT2_lT1_lS7_lS8_lS4_lPT4_lS8_li.num_vgpr, 56
	.set _ZL20rocblas_gemvn_kernelILi64ELi16ElPKDF16_fKPDF16_EviiT3_lPKT2_lT1_lS7_lS8_lS4_lPT4_lS8_li.num_agpr, 0
	.set _ZL20rocblas_gemvn_kernelILi64ELi16ElPKDF16_fKPDF16_EviiT3_lPKT2_lT1_lS7_lS8_lS4_lPT4_lS8_li.numbered_sgpr, 35
	.set _ZL20rocblas_gemvn_kernelILi64ELi16ElPKDF16_fKPDF16_EviiT3_lPKT2_lT1_lS7_lS8_lS4_lPT4_lS8_li.num_named_barrier, 0
	.set _ZL20rocblas_gemvn_kernelILi64ELi16ElPKDF16_fKPDF16_EviiT3_lPKT2_lT1_lS7_lS8_lS4_lPT4_lS8_li.private_seg_size, 0
	.set _ZL20rocblas_gemvn_kernelILi64ELi16ElPKDF16_fKPDF16_EviiT3_lPKT2_lT1_lS7_lS8_lS4_lPT4_lS8_li.uses_vcc, 1
	.set _ZL20rocblas_gemvn_kernelILi64ELi16ElPKDF16_fKPDF16_EviiT3_lPKT2_lT1_lS7_lS8_lS4_lPT4_lS8_li.uses_flat_scratch, 1
	.set _ZL20rocblas_gemvn_kernelILi64ELi16ElPKDF16_fKPDF16_EviiT3_lPKT2_lT1_lS7_lS8_lS4_lPT4_lS8_li.has_dyn_sized_stack, 0
	.set _ZL20rocblas_gemvn_kernelILi64ELi16ElPKDF16_fKPDF16_EviiT3_lPKT2_lT1_lS7_lS8_lS4_lPT4_lS8_li.has_recursion, 0
	.set _ZL20rocblas_gemvn_kernelILi64ELi16ElPKDF16_fKPDF16_EviiT3_lPKT2_lT1_lS7_lS8_lS4_lPT4_lS8_li.has_indirect_call, 0
	.section	.AMDGPU.csdata,"",@progbits
; Kernel info:
; codeLenInByte = 3268
; TotalNumSgprs: 37
; NumVgprs: 56
; ScratchSize: 0
; MemoryBound: 0
; FloatMode: 240
; IeeeMode: 1
; LDSByteSize: 16384 bytes/workgroup (compile time only)
; SGPRBlocks: 0
; VGPRBlocks: 6
; NumSGPRsForWavesPerEU: 37
; NumVGPRsForWavesPerEU: 56
; Occupancy: 16
; WaveLimiterHint : 1
; COMPUTE_PGM_RSRC2:SCRATCH_EN: 0
; COMPUTE_PGM_RSRC2:USER_SGPR: 6
; COMPUTE_PGM_RSRC2:TRAP_HANDLER: 0
; COMPUTE_PGM_RSRC2:TGID_X_EN: 1
; COMPUTE_PGM_RSRC2:TGID_Y_EN: 0
; COMPUTE_PGM_RSRC2:TGID_Z_EN: 1
; COMPUTE_PGM_RSRC2:TIDIG_COMP_CNT: 1
	.section	.text._ZL22rocblas_gemvtsm_kernelILb0ELi256EPKDF16_PKfKPDF16_EviiT2_lPKT1_lilS9_lilS6_lPT3_lil,"axG",@progbits,_ZL22rocblas_gemvtsm_kernelILb0ELi256EPKDF16_PKfKPDF16_EviiT2_lPKT1_lilS9_lilS6_lPT3_lil,comdat
	.globl	_ZL22rocblas_gemvtsm_kernelILb0ELi256EPKDF16_PKfKPDF16_EviiT2_lPKT1_lilS9_lilS6_lPT3_lil ; -- Begin function _ZL22rocblas_gemvtsm_kernelILb0ELi256EPKDF16_PKfKPDF16_EviiT2_lPKT1_lilS9_lilS6_lPT3_lil
	.p2align	8
	.type	_ZL22rocblas_gemvtsm_kernelILb0ELi256EPKDF16_PKfKPDF16_EviiT2_lPKT1_lilS9_lilS6_lPT3_lil,@function
_ZL22rocblas_gemvtsm_kernelILb0ELi256EPKDF16_PKfKPDF16_EviiT2_lPKT1_lilS9_lilS6_lPT3_lil: ; @_ZL22rocblas_gemvtsm_kernelILb0ELi256EPKDF16_PKfKPDF16_EviiT2_lPKT1_lilS9_lilS6_lPT3_lil
; %bb.0:
	s_clause 0x1
	s_load_dwordx8 s[16:23], s[4:5], 0x8
	s_load_dwordx8 s[8:15], s[4:5], 0x58
	s_mov_b32 s7, 0
	s_waitcnt lgkmcnt(0)
	s_mul_i32 s1, s19, s6
	s_mul_hi_u32 s2, s18, s6
	s_mul_i32 s0, s18, s6
	s_add_i32 s1, s2, s1
	s_mul_i32 s2, s11, s6
	s_lshl_b64 s[0:1], s[0:1], 2
	s_mul_hi_u32 s3, s10, s6
	s_add_u32 s0, s16, s0
	s_addc_u32 s1, s17, s1
	s_add_i32 s3, s3, s2
	s_mul_i32 s2, s10, s6
	s_lshl_b64 s[2:3], s[2:3], 2
	s_add_u32 s2, s8, s2
	s_addc_u32 s3, s9, s3
	s_load_dword s17, s[0:1], 0x0
	s_load_dword s16, s[2:3], 0x0
	s_waitcnt lgkmcnt(0)
	v_cmp_eq_f32_e64 s0, s17, 0
	v_cmp_eq_f32_e64 s1, s16, 1.0
	s_and_b32 s1, s0, s1
	s_and_b32 vcc_lo, exec_lo, s1
	s_cbranch_vccnz .LBB438_38
; %bb.1:
	v_cmp_neq_f32_e64 s1, s17, 0
	s_mov_b64 s[10:11], 0
	s_and_b32 vcc_lo, exec_lo, s0
	s_mov_b64 s[8:9], 0
	s_cbranch_vccnz .LBB438_3
; %bb.2:
	s_lshl_b64 s[2:3], s[6:7], 3
	s_add_u32 s2, s20, s2
	s_addc_u32 s3, s21, s3
	s_lshl_b64 s[8:9], s[22:23], 1
	s_load_dwordx2 s[2:3], s[2:3], 0x0
	s_waitcnt lgkmcnt(0)
	s_add_u32 s8, s2, s8
	s_addc_u32 s9, s3, s9
.LBB438_3:
	s_andn2_b32 vcc_lo, exec_lo, s1
	s_cbranch_vccnz .LBB438_5
; %bb.4:
	s_load_dwordx4 s[20:23], s[4:5], 0x38
	s_lshl_b64 s[2:3], s[6:7], 3
	s_waitcnt lgkmcnt(0)
	s_add_u32 s2, s20, s2
	s_addc_u32 s3, s21, s3
	s_lshl_b64 s[10:11], s[22:23], 1
	s_load_dwordx2 s[2:3], s[2:3], 0x0
	s_waitcnt lgkmcnt(0)
	s_add_u32 s10, s2, s10
	s_addc_u32 s11, s3, s11
.LBB438_5:
	s_lshl_b64 s[2:3], s[6:7], 3
	s_add_u32 s12, s12, s2
	s_addc_u32 s13, s13, s3
	s_clause 0x1
	s_load_dwordx2 s[2:3], s[4:5], 0x0
	s_load_dword s6, s[4:5], 0x78
	s_load_dwordx2 s[12:13], s[12:13], 0x0
	s_andn2_b32 vcc_lo, exec_lo, s0
	s_mov_b32 s0, -1
	s_cbranch_vccnz .LBB438_20
; %bb.6:
	s_waitcnt lgkmcnt(0)
	s_cmp_gt_i32 s3, 0
	v_cmp_neq_f32_e64 s0, s16, 0
	s_cselect_b32 s18, -1, 0
	v_cndmask_b32_e64 v1, 0, 1, s18
	s_and_b32 vcc_lo, exec_lo, s0
	v_cmp_ne_u32_e64 s0, 1, v1
	s_cbranch_vccnz .LBB438_13
; %bb.7:
	s_and_b32 vcc_lo, exec_lo, s0
	s_cbranch_vccnz .LBB438_12
; %bb.8:
	v_mad_i64_i32 v[1:2], null, s6, v0, 0
	s_lshl_b64 s[0:1], s[14:15], 1
	s_ashr_i32 s7, s6, 31
	s_add_u32 s0, s12, s0
	s_addc_u32 s1, s13, s1
	v_mov_b32_e32 v3, 0
	v_lshlrev_b64 v[1:2], 1, v[1:2]
	v_add_co_u32 v1, vcc_lo, s0, v1
	v_add_co_ci_u32_e64 v2, null, s1, v2, vcc_lo
	s_lshl_b64 s[0:1], s[6:7], 9
	s_mov_b32 s7, 0
	s_branch .LBB438_10
.LBB438_9:                              ;   in Loop: Header=BB438_10 Depth=1
	s_or_b32 exec_lo, exec_lo, s19
	v_add_co_u32 v1, vcc_lo, v1, s0
	v_add_co_ci_u32_e64 v2, null, s1, v2, vcc_lo
	s_addk_i32 s7, 0x100
	s_cmp_ge_i32 s7, s3
	s_cbranch_scc1 .LBB438_12
.LBB438_10:                             ; =>This Inner Loop Header: Depth=1
	v_add_nc_u32_e32 v4, s7, v0
	s_mov_b32 s19, exec_lo
	v_cmpx_gt_i32_e64 s3, v4
	s_cbranch_execz .LBB438_9
; %bb.11:                               ;   in Loop: Header=BB438_10 Depth=1
	flat_store_short v[1:2], v3
	s_branch .LBB438_9
.LBB438_12:
	s_cbranch_execz .LBB438_14
	s_branch .LBB438_19
.LBB438_13:
.LBB438_14:
	s_andn2_b32 vcc_lo, exec_lo, s18
	s_cbranch_vccnz .LBB438_19
; %bb.15:
	v_mad_i64_i32 v[1:2], null, s6, v0, 0
	s_lshl_b64 s[0:1], s[14:15], 1
	s_ashr_i32 s7, s6, 31
	s_add_u32 s0, s12, s0
	s_addc_u32 s1, s13, s1
	v_lshlrev_b64 v[1:2], 1, v[1:2]
	v_add_co_u32 v1, vcc_lo, s0, v1
	v_add_co_ci_u32_e64 v2, null, s1, v2, vcc_lo
	s_lshl_b64 s[0:1], s[6:7], 9
	s_mov_b32 s7, 0
	s_branch .LBB438_17
	.p2align	6
.LBB438_16:                             ;   in Loop: Header=BB438_17 Depth=1
	s_or_b32 exec_lo, exec_lo, s18
	v_add_co_u32 v1, vcc_lo, v1, s0
	v_add_co_ci_u32_e64 v2, null, s1, v2, vcc_lo
	s_addk_i32 s7, 0x100
	s_cmp_ge_i32 s7, s3
	s_cbranch_scc1 .LBB438_19
.LBB438_17:                             ; =>This Inner Loop Header: Depth=1
	v_add_nc_u32_e32 v3, s7, v0
	s_mov_b32 s18, exec_lo
	v_cmpx_gt_i32_e64 s3, v3
	s_cbranch_execz .LBB438_16
; %bb.18:                               ;   in Loop: Header=BB438_17 Depth=1
	flat_load_ushort v3, v[1:2]
	s_waitcnt vmcnt(0) lgkmcnt(0)
	v_fma_mixlo_f16 v3, s16, v3, 0 op_sel_hi:[0,1,0]
	flat_store_short v[1:2], v3
	s_branch .LBB438_16
.LBB438_19:
	s_mov_b32 s0, 0
.LBB438_20:
	s_andn2_b32 vcc_lo, exec_lo, s0
	s_cbranch_vccnz .LBB438_38
; %bb.21:
	s_mov_b32 s0, exec_lo
	s_waitcnt lgkmcnt(0)
	v_cmpx_gt_i32_e64 s2, v0
	s_cbranch_execz .LBB438_23
; %bb.22:
	s_load_dword s1, s[4:5], 0x48
	s_waitcnt lgkmcnt(0)
	v_mad_i64_i32 v[1:2], null, s1, v0, 0
	v_lshlrev_b64 v[1:2], 1, v[1:2]
	v_add_co_u32 v1, vcc_lo, s10, v1
	v_add_co_ci_u32_e64 v2, null, s11, v2, vcc_lo
	flat_load_ushort v1, v[1:2]
	v_lshlrev_b32_e32 v2, 2, v0
	s_waitcnt vmcnt(0) lgkmcnt(0)
	v_cvt_f32_f16_e32 v1, v1
	v_mul_f32_e32 v1, s17, v1
	ds_write_b32 v2, v1
.LBB438_23:
	s_or_b32 exec_lo, exec_lo, s0
	s_cmp_lt_i32 s3, 1
	s_waitcnt lgkmcnt(0)
	s_waitcnt_vscnt null, 0x0
	s_barrier
	buffer_gl0_inv
	s_cbranch_scc1 .LBB438_38
; %bb.24:
	s_load_dword s0, s[4:5], 0x28
	s_lshl_b64 s[4:5], s[14:15], 1
	v_cmp_neq_f32_e64 s10, s16, 0
	s_add_u32 s4, s12, s4
	s_addc_u32 s5, s13, s5
	s_ashr_i32 s7, s6, 31
	s_waitcnt lgkmcnt(0)
	v_mad_i64_i32 v[1:2], null, s0, v0, 0
	s_ashr_i32 s1, s0, 31
	s_cmp_gt_i32 s2, 0
	s_cselect_b32 s11, -1, 0
	s_and_b32 s12, s2, 7
	s_cmp_gt_u32 s2, 7
	v_lshlrev_b64 v[1:2], 1, v[1:2]
	s_cselect_b32 s13, -1, 0
	s_and_b32 s2, s2, 0x7ffffff8
	s_cmp_lg_u32 s12, 0
	v_add_co_u32 v1, vcc_lo, s8, v1
	v_add_co_ci_u32_e64 v2, null, s9, v2, vcc_lo
	s_cselect_b32 s8, -1, 0
	s_mov_b32 s9, 0
	s_lshl_b64 s[0:1], s[0:1], 9
	s_branch .LBB438_27
.LBB438_25:                             ;   in Loop: Header=BB438_27 Depth=1
	v_add_co_u32 v3, vcc_lo, s4, v3
	v_cvt_f16_f32_e32 v5, v7
	v_add_co_ci_u32_e64 v4, null, s5, v4, vcc_lo
	flat_store_short v[3:4], v5
.LBB438_26:                             ;   in Loop: Header=BB438_27 Depth=1
	s_or_b32 exec_lo, exec_lo, s14
	v_add_co_u32 v1, vcc_lo, v1, s0
	v_add_co_ci_u32_e64 v2, null, s1, v2, vcc_lo
	s_addk_i32 s9, 0x100
	s_cmp_ge_i32 s9, s3
	s_cbranch_scc1 .LBB438_38
.LBB438_27:                             ; =>This Loop Header: Depth=1
                                        ;     Child Loop BB438_33 Depth 2
                                        ;     Child Loop BB438_37 Depth 2
	v_add_nc_u32_e32 v3, s9, v0
	s_mov_b32 s14, exec_lo
	v_cmpx_gt_i32_e64 s3, v3
	s_cbranch_execz .LBB438_26
; %bb.28:                               ;   in Loop: Header=BB438_27 Depth=1
	v_mad_u64_u32 v[4:5], null, v3, s6, 0
	s_andn2_b32 vcc_lo, exec_lo, s10
	v_mad_u64_u32 v[5:6], null, v3, s7, v[5:6]
	v_lshlrev_b64 v[3:4], 1, v[4:5]
	s_cbranch_vccnz .LBB438_30
; %bb.29:                               ;   in Loop: Header=BB438_27 Depth=1
	v_add_co_u32 v5, vcc_lo, s4, v3
	v_add_co_ci_u32_e64 v6, null, s5, v4, vcc_lo
	flat_load_ushort v5, v[5:6]
	s_waitcnt vmcnt(0) lgkmcnt(0)
	v_cvt_f32_f16_e32 v5, v5
	v_mul_f32_e32 v7, s16, v5
	s_andn2_b32 vcc_lo, exec_lo, s11
	s_cbranch_vccz .LBB438_31
	s_branch .LBB438_25
.LBB438_30:                             ;   in Loop: Header=BB438_27 Depth=1
	v_mov_b32_e32 v7, 0
	s_andn2_b32 vcc_lo, exec_lo, s11
	s_cbranch_vccnz .LBB438_25
.LBB438_31:                             ;   in Loop: Header=BB438_27 Depth=1
	s_andn2_b32 vcc_lo, exec_lo, s13
	s_mov_b32 s15, 0
	s_cbranch_vccnz .LBB438_35
; %bb.32:                               ;   in Loop: Header=BB438_27 Depth=1
	v_mov_b32_e32 v6, v2
	v_mov_b32_e32 v5, v1
	s_mov_b32 s17, 0
	.p2align	6
.LBB438_33:                             ;   Parent Loop BB438_27 Depth=1
                                        ; =>  This Inner Loop Header: Depth=2
	flat_load_dwordx4 v[8:11], v[5:6]
	v_mov_b32_e32 v16, s15
	v_add_co_u32 v5, vcc_lo, v5, 16
	v_add_co_ci_u32_e64 v6, null, 0, v6, vcc_lo
	ds_read_b128 v[12:15], v16
	ds_read_b128 v[16:19], v16 offset:16
	s_add_i32 s17, s17, 8
	s_add_i32 s15, s15, 32
	s_cmp_eq_u32 s2, s17
	s_waitcnt vmcnt(0) lgkmcnt(1)
	v_fma_mix_f32 v7, v12, v8, v7 op_sel_hi:[0,1,0]
	v_fma_mix_f32 v7, v13, v8, v7 op_sel:[0,1,0] op_sel_hi:[0,1,0]
	v_fma_mix_f32 v7, v14, v9, v7 op_sel_hi:[0,1,0]
	v_fma_mix_f32 v7, v15, v9, v7 op_sel:[0,1,0] op_sel_hi:[0,1,0]
	s_waitcnt lgkmcnt(0)
	v_fma_mix_f32 v7, v16, v10, v7 op_sel_hi:[0,1,0]
	v_fma_mix_f32 v7, v17, v10, v7 op_sel:[0,1,0] op_sel_hi:[0,1,0]
	v_fma_mix_f32 v7, v18, v11, v7 op_sel_hi:[0,1,0]
	v_fma_mix_f32 v7, v19, v11, v7 op_sel:[0,1,0] op_sel_hi:[0,1,0]
	s_cbranch_scc0 .LBB438_33
; %bb.34:                               ;   in Loop: Header=BB438_27 Depth=1
	s_mov_b32 s15, s2
.LBB438_35:                             ;   in Loop: Header=BB438_27 Depth=1
	s_andn2_b32 vcc_lo, exec_lo, s8
	s_cbranch_vccnz .LBB438_25
; %bb.36:                               ;   in Loop: Header=BB438_27 Depth=1
	s_lshl_b32 s17, s15, 1
	s_lshl_b32 s15, s15, 2
	v_add_co_u32 v5, vcc_lo, v1, s17
	v_add_co_ci_u32_e64 v6, null, 0, v2, vcc_lo
	s_mov_b32 s17, s12
.LBB438_37:                             ;   Parent Loop BB438_27 Depth=1
                                        ; =>  This Inner Loop Header: Depth=2
	flat_load_ushort v8, v[5:6]
	v_mov_b32_e32 v9, s15
	v_add_co_u32 v5, vcc_lo, v5, 2
	v_add_co_ci_u32_e64 v6, null, 0, v6, vcc_lo
	ds_read_b32 v9, v9
	s_add_i32 s17, s17, -1
	s_add_i32 s15, s15, 4
	s_cmp_lg_u32 s17, 0
	s_waitcnt vmcnt(0) lgkmcnt(0)
	v_fma_mix_f32 v7, v9, v8, v7 op_sel_hi:[0,1,0]
	s_cbranch_scc1 .LBB438_37
	s_branch .LBB438_25
.LBB438_38:
	s_endpgm
	.section	.rodata,"a",@progbits
	.p2align	6, 0x0
	.amdhsa_kernel _ZL22rocblas_gemvtsm_kernelILb0ELi256EPKDF16_PKfKPDF16_EviiT2_lPKT1_lilS9_lilS6_lPT3_lil
		.amdhsa_group_segment_fixed_size 256
		.amdhsa_private_segment_fixed_size 0
		.amdhsa_kernarg_size 136
		.amdhsa_user_sgpr_count 6
		.amdhsa_user_sgpr_private_segment_buffer 1
		.amdhsa_user_sgpr_dispatch_ptr 0
		.amdhsa_user_sgpr_queue_ptr 0
		.amdhsa_user_sgpr_kernarg_segment_ptr 1
		.amdhsa_user_sgpr_dispatch_id 0
		.amdhsa_user_sgpr_flat_scratch_init 0
		.amdhsa_user_sgpr_private_segment_size 0
		.amdhsa_wavefront_size32 1
		.amdhsa_uses_dynamic_stack 0
		.amdhsa_system_sgpr_private_segment_wavefront_offset 0
		.amdhsa_system_sgpr_workgroup_id_x 1
		.amdhsa_system_sgpr_workgroup_id_y 0
		.amdhsa_system_sgpr_workgroup_id_z 0
		.amdhsa_system_sgpr_workgroup_info 0
		.amdhsa_system_vgpr_workitem_id 0
		.amdhsa_next_free_vgpr 20
		.amdhsa_next_free_sgpr 24
		.amdhsa_reserve_vcc 1
		.amdhsa_reserve_flat_scratch 0
		.amdhsa_float_round_mode_32 0
		.amdhsa_float_round_mode_16_64 0
		.amdhsa_float_denorm_mode_32 3
		.amdhsa_float_denorm_mode_16_64 3
		.amdhsa_dx10_clamp 1
		.amdhsa_ieee_mode 1
		.amdhsa_fp16_overflow 0
		.amdhsa_workgroup_processor_mode 1
		.amdhsa_memory_ordered 1
		.amdhsa_forward_progress 1
		.amdhsa_shared_vgpr_count 0
		.amdhsa_exception_fp_ieee_invalid_op 0
		.amdhsa_exception_fp_denorm_src 0
		.amdhsa_exception_fp_ieee_div_zero 0
		.amdhsa_exception_fp_ieee_overflow 0
		.amdhsa_exception_fp_ieee_underflow 0
		.amdhsa_exception_fp_ieee_inexact 0
		.amdhsa_exception_int_div_zero 0
	.end_amdhsa_kernel
	.section	.text._ZL22rocblas_gemvtsm_kernelILb0ELi256EPKDF16_PKfKPDF16_EviiT2_lPKT1_lilS9_lilS6_lPT3_lil,"axG",@progbits,_ZL22rocblas_gemvtsm_kernelILb0ELi256EPKDF16_PKfKPDF16_EviiT2_lPKT1_lilS9_lilS6_lPT3_lil,comdat
.Lfunc_end438:
	.size	_ZL22rocblas_gemvtsm_kernelILb0ELi256EPKDF16_PKfKPDF16_EviiT2_lPKT1_lilS9_lilS6_lPT3_lil, .Lfunc_end438-_ZL22rocblas_gemvtsm_kernelILb0ELi256EPKDF16_PKfKPDF16_EviiT2_lPKT1_lilS9_lilS6_lPT3_lil
                                        ; -- End function
	.set _ZL22rocblas_gemvtsm_kernelILb0ELi256EPKDF16_PKfKPDF16_EviiT2_lPKT1_lilS9_lilS6_lPT3_lil.num_vgpr, 20
	.set _ZL22rocblas_gemvtsm_kernelILb0ELi256EPKDF16_PKfKPDF16_EviiT2_lPKT1_lilS9_lilS6_lPT3_lil.num_agpr, 0
	.set _ZL22rocblas_gemvtsm_kernelILb0ELi256EPKDF16_PKfKPDF16_EviiT2_lPKT1_lilS9_lilS6_lPT3_lil.numbered_sgpr, 24
	.set _ZL22rocblas_gemvtsm_kernelILb0ELi256EPKDF16_PKfKPDF16_EviiT2_lPKT1_lilS9_lilS6_lPT3_lil.num_named_barrier, 0
	.set _ZL22rocblas_gemvtsm_kernelILb0ELi256EPKDF16_PKfKPDF16_EviiT2_lPKT1_lilS9_lilS6_lPT3_lil.private_seg_size, 0
	.set _ZL22rocblas_gemvtsm_kernelILb0ELi256EPKDF16_PKfKPDF16_EviiT2_lPKT1_lilS9_lilS6_lPT3_lil.uses_vcc, 1
	.set _ZL22rocblas_gemvtsm_kernelILb0ELi256EPKDF16_PKfKPDF16_EviiT2_lPKT1_lilS9_lilS6_lPT3_lil.uses_flat_scratch, 0
	.set _ZL22rocblas_gemvtsm_kernelILb0ELi256EPKDF16_PKfKPDF16_EviiT2_lPKT1_lilS9_lilS6_lPT3_lil.has_dyn_sized_stack, 0
	.set _ZL22rocblas_gemvtsm_kernelILb0ELi256EPKDF16_PKfKPDF16_EviiT2_lPKT1_lilS9_lilS6_lPT3_lil.has_recursion, 0
	.set _ZL22rocblas_gemvtsm_kernelILb0ELi256EPKDF16_PKfKPDF16_EviiT2_lPKT1_lilS9_lilS6_lPT3_lil.has_indirect_call, 0
	.section	.AMDGPU.csdata,"",@progbits
; Kernel info:
; codeLenInByte = 1396
; TotalNumSgprs: 26
; NumVgprs: 20
; ScratchSize: 0
; MemoryBound: 0
; FloatMode: 240
; IeeeMode: 1
; LDSByteSize: 256 bytes/workgroup (compile time only)
; SGPRBlocks: 0
; VGPRBlocks: 2
; NumSGPRsForWavesPerEU: 26
; NumVGPRsForWavesPerEU: 20
; Occupancy: 16
; WaveLimiterHint : 1
; COMPUTE_PGM_RSRC2:SCRATCH_EN: 0
; COMPUTE_PGM_RSRC2:USER_SGPR: 6
; COMPUTE_PGM_RSRC2:TRAP_HANDLER: 0
; COMPUTE_PGM_RSRC2:TGID_X_EN: 1
; COMPUTE_PGM_RSRC2:TGID_Y_EN: 0
; COMPUTE_PGM_RSRC2:TGID_Z_EN: 0
; COMPUTE_PGM_RSRC2:TIDIG_COMP_CNT: 0
	.section	.text._ZL22rocblas_gemvtsm_kernelILb0ELi256EPKDF16_fKPDF16_EviiT2_lPKT1_lilS7_lilS4_lPT3_lil,"axG",@progbits,_ZL22rocblas_gemvtsm_kernelILb0ELi256EPKDF16_fKPDF16_EviiT2_lPKT1_lilS7_lilS4_lPT3_lil,comdat
	.globl	_ZL22rocblas_gemvtsm_kernelILb0ELi256EPKDF16_fKPDF16_EviiT2_lPKT1_lilS7_lilS4_lPT3_lil ; -- Begin function _ZL22rocblas_gemvtsm_kernelILb0ELi256EPKDF16_fKPDF16_EviiT2_lPKT1_lilS7_lilS4_lPT3_lil
	.p2align	8
	.type	_ZL22rocblas_gemvtsm_kernelILb0ELi256EPKDF16_fKPDF16_EviiT2_lPKT1_lilS7_lilS4_lPT3_lil,@function
_ZL22rocblas_gemvtsm_kernelILb0ELi256EPKDF16_fKPDF16_EviiT2_lPKT1_lilS7_lilS4_lPT3_lil: ; @_ZL22rocblas_gemvtsm_kernelILb0ELi256EPKDF16_fKPDF16_EviiT2_lPKT1_lilS7_lilS4_lPT3_lil
; %bb.0:
	s_load_dwordx4 s[8:11], s[4:5], 0x0
	s_waitcnt lgkmcnt(0)
	s_load_dword s11, s[4:5], 0x58
	s_mov_b32 s7, 0
	v_cmp_eq_f32_e64 s18, s10, 0
	s_waitcnt lgkmcnt(0)
	v_cmp_eq_f32_e64 s0, s11, 1.0
	s_and_b32 s0, s18, s0
	s_and_b32 vcc_lo, exec_lo, s0
	s_cbranch_vccnz .LBB439_40
; %bb.1:
	v_cmp_neq_f32_e64 s0, s10, 0
	s_and_b32 vcc_lo, exec_lo, s0
	s_cbranch_vccnz .LBB439_3
; %bb.2:
	s_mov_b32 s17, 0
	s_mov_b32 s16, s6
	;; [unrolled: 1-line block ×3, first 2 shown]
	s_mov_b64 s[14:15], 0
	s_andn2_b32 vcc_lo, exec_lo, s1
	s_mov_b64 s[12:13], 0
	s_cbranch_vccz .LBB439_4
	s_branch .LBB439_5
.LBB439_3:
	s_mov_b64 s[16:17], s[6:7]
	s_mov_b64 s[14:15], 0
	;; [unrolled: 1-line block ×3, first 2 shown]
.LBB439_4:
	s_load_dwordx4 s[20:23], s[4:5], 0x18
	s_lshl_b64 s[2:3], s[6:7], 3
	s_waitcnt lgkmcnt(0)
	s_add_u32 s2, s20, s2
	s_addc_u32 s3, s21, s3
	s_lshl_b64 s[6:7], s[22:23], 1
	s_load_dwordx2 s[2:3], s[2:3], 0x0
	s_waitcnt lgkmcnt(0)
	s_add_u32 s12, s2, s6
	s_addc_u32 s13, s3, s7
.LBB439_5:
	s_andn2_b32 vcc_lo, exec_lo, s0
	s_cbranch_vccnz .LBB439_7
; %bb.6:
	s_load_dwordx4 s[0:3], s[4:5], 0x38
	s_lshl_b64 s[6:7], s[16:17], 3
	s_waitcnt lgkmcnt(0)
	s_add_u32 s0, s0, s6
	s_addc_u32 s1, s1, s7
	s_lshl_b64 s[2:3], s[2:3], 1
	s_load_dwordx2 s[0:1], s[0:1], 0x0
	s_waitcnt lgkmcnt(0)
	s_add_u32 s14, s0, s2
	s_addc_u32 s15, s1, s3
.LBB439_7:
	s_clause 0x1
	s_load_dwordx4 s[0:3], s[4:5], 0x68
	s_load_dword s6, s[4:5], 0x78
	s_lshl_b64 s[16:17], s[16:17], 3
	s_waitcnt lgkmcnt(0)
	s_add_u32 s0, s0, s16
	s_addc_u32 s1, s1, s17
	s_andn2_b32 vcc_lo, exec_lo, s18
	s_load_dwordx2 s[16:17], s[0:1], 0x0
	s_mov_b32 s0, -1
	s_cbranch_vccnz .LBB439_22
; %bb.8:
	s_cmp_gt_i32 s9, 0
	v_cmp_neq_f32_e64 s0, s11, 0
	s_cselect_b32 s18, -1, 0
	v_cndmask_b32_e64 v1, 0, 1, s18
	s_and_b32 vcc_lo, exec_lo, s0
	v_cmp_ne_u32_e64 s0, 1, v1
	s_cbranch_vccnz .LBB439_15
; %bb.9:
	s_and_b32 vcc_lo, exec_lo, s0
	s_cbranch_vccnz .LBB439_14
; %bb.10:
	v_mad_i64_i32 v[1:2], null, s6, v0, 0
	s_lshl_b64 s[0:1], s[2:3], 1
	s_ashr_i32 s7, s6, 31
	s_waitcnt lgkmcnt(0)
	s_add_u32 s0, s16, s0
	s_addc_u32 s1, s17, s1
	v_mov_b32_e32 v3, 0
	v_lshlrev_b64 v[1:2], 1, v[1:2]
	v_add_co_u32 v1, vcc_lo, s0, v1
	v_add_co_ci_u32_e64 v2, null, s1, v2, vcc_lo
	s_lshl_b64 s[0:1], s[6:7], 9
	s_mov_b32 s7, 0
	s_branch .LBB439_12
.LBB439_11:                             ;   in Loop: Header=BB439_12 Depth=1
	s_or_b32 exec_lo, exec_lo, s19
	v_add_co_u32 v1, vcc_lo, v1, s0
	v_add_co_ci_u32_e64 v2, null, s1, v2, vcc_lo
	s_addk_i32 s7, 0x100
	s_cmp_ge_i32 s7, s9
	s_cbranch_scc1 .LBB439_14
.LBB439_12:                             ; =>This Inner Loop Header: Depth=1
	v_add_nc_u32_e32 v4, s7, v0
	s_mov_b32 s19, exec_lo
	v_cmpx_gt_i32_e64 s9, v4
	s_cbranch_execz .LBB439_11
; %bb.13:                               ;   in Loop: Header=BB439_12 Depth=1
	flat_store_short v[1:2], v3
	s_branch .LBB439_11
.LBB439_14:
	s_cbranch_execz .LBB439_16
	s_branch .LBB439_21
.LBB439_15:
.LBB439_16:
	s_andn2_b32 vcc_lo, exec_lo, s18
	s_cbranch_vccnz .LBB439_21
; %bb.17:
	v_mad_i64_i32 v[1:2], null, s6, v0, 0
	s_lshl_b64 s[0:1], s[2:3], 1
	s_ashr_i32 s7, s6, 31
	s_waitcnt lgkmcnt(0)
	s_add_u32 s0, s16, s0
	s_addc_u32 s1, s17, s1
	v_lshlrev_b64 v[1:2], 1, v[1:2]
	v_add_co_u32 v1, vcc_lo, s0, v1
	v_add_co_ci_u32_e64 v2, null, s1, v2, vcc_lo
	s_lshl_b64 s[0:1], s[6:7], 9
	s_mov_b32 s7, 0
	s_branch .LBB439_19
	.p2align	6
.LBB439_18:                             ;   in Loop: Header=BB439_19 Depth=1
	s_or_b32 exec_lo, exec_lo, s18
	v_add_co_u32 v1, vcc_lo, v1, s0
	v_add_co_ci_u32_e64 v2, null, s1, v2, vcc_lo
	s_addk_i32 s7, 0x100
	s_cmp_ge_i32 s7, s9
	s_cbranch_scc1 .LBB439_21
.LBB439_19:                             ; =>This Inner Loop Header: Depth=1
	v_add_nc_u32_e32 v3, s7, v0
	s_mov_b32 s18, exec_lo
	v_cmpx_gt_i32_e64 s9, v3
	s_cbranch_execz .LBB439_18
; %bb.20:                               ;   in Loop: Header=BB439_19 Depth=1
	flat_load_ushort v3, v[1:2]
	s_waitcnt vmcnt(0) lgkmcnt(0)
	v_fma_mixlo_f16 v3, s11, v3, 0 op_sel_hi:[0,1,0]
	flat_store_short v[1:2], v3
	s_branch .LBB439_18
.LBB439_21:
	s_mov_b32 s0, 0
.LBB439_22:
	s_andn2_b32 vcc_lo, exec_lo, s0
	s_cbranch_vccnz .LBB439_40
; %bb.23:
	s_mov_b32 s0, exec_lo
	v_cmpx_gt_i32_e64 s8, v0
	s_cbranch_execz .LBB439_25
; %bb.24:
	s_load_dword s1, s[4:5], 0x48
	s_waitcnt lgkmcnt(0)
	v_mad_i64_i32 v[1:2], null, s1, v0, 0
	v_lshlrev_b64 v[1:2], 1, v[1:2]
	v_add_co_u32 v1, vcc_lo, s14, v1
	v_add_co_ci_u32_e64 v2, null, s15, v2, vcc_lo
	flat_load_ushort v1, v[1:2]
	v_lshlrev_b32_e32 v2, 2, v0
	s_waitcnt vmcnt(0) lgkmcnt(0)
	v_cvt_f32_f16_e32 v1, v1
	v_mul_f32_e32 v1, s10, v1
	ds_write_b32 v2, v1
.LBB439_25:
	s_or_b32 exec_lo, exec_lo, s0
	s_cmp_lt_i32 s9, 1
	s_waitcnt lgkmcnt(0)
	s_waitcnt_vscnt null, 0x0
	s_barrier
	buffer_gl0_inv
	s_cbranch_scc1 .LBB439_40
; %bb.26:
	s_load_dword s0, s[4:5], 0x28
	s_lshl_b64 s[2:3], s[2:3], 1
	v_cmp_neq_f32_e64 s5, s11, 0
	s_add_u32 s2, s16, s2
	s_addc_u32 s3, s17, s3
	s_ashr_i32 s4, s6, 31
	s_waitcnt lgkmcnt(0)
	v_mad_i64_i32 v[1:2], null, s0, v0, 0
	s_ashr_i32 s1, s0, 31
	s_cmp_gt_i32 s8, 0
	s_cselect_b32 s7, -1, 0
	s_and_b32 s10, s8, 7
	s_cmp_gt_u32 s8, 7
	v_lshlrev_b64 v[1:2], 1, v[1:2]
	s_cselect_b32 s14, -1, 0
	s_and_b32 s8, s8, 0x7ffffff8
	s_cmp_lg_u32 s10, 0
	v_add_co_u32 v1, vcc_lo, s12, v1
	v_add_co_ci_u32_e64 v2, null, s13, v2, vcc_lo
	s_cselect_b32 s12, -1, 0
	s_mov_b32 s13, 0
	s_lshl_b64 s[0:1], s[0:1], 9
	s_branch .LBB439_29
.LBB439_27:                             ;   in Loop: Header=BB439_29 Depth=1
	v_add_co_u32 v3, vcc_lo, s2, v3
	v_cvt_f16_f32_e32 v5, v7
	v_add_co_ci_u32_e64 v4, null, s3, v4, vcc_lo
	flat_store_short v[3:4], v5
.LBB439_28:                             ;   in Loop: Header=BB439_29 Depth=1
	s_or_b32 exec_lo, exec_lo, s15
	v_add_co_u32 v1, vcc_lo, v1, s0
	v_add_co_ci_u32_e64 v2, null, s1, v2, vcc_lo
	s_addk_i32 s13, 0x100
	s_cmp_ge_i32 s13, s9
	s_cbranch_scc1 .LBB439_40
.LBB439_29:                             ; =>This Loop Header: Depth=1
                                        ;     Child Loop BB439_35 Depth 2
                                        ;     Child Loop BB439_39 Depth 2
	v_add_nc_u32_e32 v3, s13, v0
	s_mov_b32 s15, exec_lo
	v_cmpx_gt_i32_e64 s9, v3
	s_cbranch_execz .LBB439_28
; %bb.30:                               ;   in Loop: Header=BB439_29 Depth=1
	v_mad_u64_u32 v[4:5], null, v3, s6, 0
	s_andn2_b32 vcc_lo, exec_lo, s5
	v_mad_u64_u32 v[5:6], null, v3, s4, v[5:6]
	v_lshlrev_b64 v[3:4], 1, v[4:5]
	s_cbranch_vccnz .LBB439_32
; %bb.31:                               ;   in Loop: Header=BB439_29 Depth=1
	v_add_co_u32 v5, vcc_lo, s2, v3
	v_add_co_ci_u32_e64 v6, null, s3, v4, vcc_lo
	flat_load_ushort v5, v[5:6]
	s_waitcnt vmcnt(0) lgkmcnt(0)
	v_cvt_f32_f16_e32 v5, v5
	v_mul_f32_e32 v7, s11, v5
	s_andn2_b32 vcc_lo, exec_lo, s7
	s_cbranch_vccz .LBB439_33
	s_branch .LBB439_27
.LBB439_32:                             ;   in Loop: Header=BB439_29 Depth=1
	v_mov_b32_e32 v7, 0
	s_andn2_b32 vcc_lo, exec_lo, s7
	s_cbranch_vccnz .LBB439_27
.LBB439_33:                             ;   in Loop: Header=BB439_29 Depth=1
	s_andn2_b32 vcc_lo, exec_lo, s14
	s_mov_b32 s16, 0
	s_cbranch_vccnz .LBB439_37
; %bb.34:                               ;   in Loop: Header=BB439_29 Depth=1
	v_mov_b32_e32 v6, v2
	v_mov_b32_e32 v5, v1
	s_mov_b32 s17, 0
	.p2align	6
.LBB439_35:                             ;   Parent Loop BB439_29 Depth=1
                                        ; =>  This Inner Loop Header: Depth=2
	flat_load_dwordx4 v[8:11], v[5:6]
	v_mov_b32_e32 v16, s16
	v_add_co_u32 v5, vcc_lo, v5, 16
	v_add_co_ci_u32_e64 v6, null, 0, v6, vcc_lo
	ds_read_b128 v[12:15], v16
	ds_read_b128 v[16:19], v16 offset:16
	s_add_i32 s17, s17, 8
	s_add_i32 s16, s16, 32
	s_cmp_eq_u32 s8, s17
	s_waitcnt vmcnt(0) lgkmcnt(1)
	v_fma_mix_f32 v7, v12, v8, v7 op_sel_hi:[0,1,0]
	v_fma_mix_f32 v7, v13, v8, v7 op_sel:[0,1,0] op_sel_hi:[0,1,0]
	v_fma_mix_f32 v7, v14, v9, v7 op_sel_hi:[0,1,0]
	v_fma_mix_f32 v7, v15, v9, v7 op_sel:[0,1,0] op_sel_hi:[0,1,0]
	s_waitcnt lgkmcnt(0)
	v_fma_mix_f32 v7, v16, v10, v7 op_sel_hi:[0,1,0]
	v_fma_mix_f32 v7, v17, v10, v7 op_sel:[0,1,0] op_sel_hi:[0,1,0]
	v_fma_mix_f32 v7, v18, v11, v7 op_sel_hi:[0,1,0]
	v_fma_mix_f32 v7, v19, v11, v7 op_sel:[0,1,0] op_sel_hi:[0,1,0]
	s_cbranch_scc0 .LBB439_35
; %bb.36:                               ;   in Loop: Header=BB439_29 Depth=1
	s_mov_b32 s16, s8
.LBB439_37:                             ;   in Loop: Header=BB439_29 Depth=1
	s_andn2_b32 vcc_lo, exec_lo, s12
	s_cbranch_vccnz .LBB439_27
; %bb.38:                               ;   in Loop: Header=BB439_29 Depth=1
	s_lshl_b32 s17, s16, 1
	s_lshl_b32 s16, s16, 2
	v_add_co_u32 v5, vcc_lo, v1, s17
	v_add_co_ci_u32_e64 v6, null, 0, v2, vcc_lo
	s_mov_b32 s17, s10
.LBB439_39:                             ;   Parent Loop BB439_29 Depth=1
                                        ; =>  This Inner Loop Header: Depth=2
	flat_load_ushort v8, v[5:6]
	v_mov_b32_e32 v9, s16
	v_add_co_u32 v5, vcc_lo, v5, 2
	v_add_co_ci_u32_e64 v6, null, 0, v6, vcc_lo
	ds_read_b32 v9, v9
	s_add_i32 s17, s17, -1
	s_add_i32 s16, s16, 4
	s_cmp_lg_u32 s17, 0
	s_waitcnt vmcnt(0) lgkmcnt(0)
	v_fma_mix_f32 v7, v9, v8, v7 op_sel_hi:[0,1,0]
	s_cbranch_scc1 .LBB439_39
	s_branch .LBB439_27
.LBB439_40:
	s_endpgm
	.section	.rodata,"a",@progbits
	.p2align	6, 0x0
	.amdhsa_kernel _ZL22rocblas_gemvtsm_kernelILb0ELi256EPKDF16_fKPDF16_EviiT2_lPKT1_lilS7_lilS4_lPT3_lil
		.amdhsa_group_segment_fixed_size 256
		.amdhsa_private_segment_fixed_size 0
		.amdhsa_kernarg_size 136
		.amdhsa_user_sgpr_count 6
		.amdhsa_user_sgpr_private_segment_buffer 1
		.amdhsa_user_sgpr_dispatch_ptr 0
		.amdhsa_user_sgpr_queue_ptr 0
		.amdhsa_user_sgpr_kernarg_segment_ptr 1
		.amdhsa_user_sgpr_dispatch_id 0
		.amdhsa_user_sgpr_flat_scratch_init 0
		.amdhsa_user_sgpr_private_segment_size 0
		.amdhsa_wavefront_size32 1
		.amdhsa_uses_dynamic_stack 0
		.amdhsa_system_sgpr_private_segment_wavefront_offset 0
		.amdhsa_system_sgpr_workgroup_id_x 1
		.amdhsa_system_sgpr_workgroup_id_y 0
		.amdhsa_system_sgpr_workgroup_id_z 0
		.amdhsa_system_sgpr_workgroup_info 0
		.amdhsa_system_vgpr_workitem_id 0
		.amdhsa_next_free_vgpr 20
		.amdhsa_next_free_sgpr 24
		.amdhsa_reserve_vcc 1
		.amdhsa_reserve_flat_scratch 0
		.amdhsa_float_round_mode_32 0
		.amdhsa_float_round_mode_16_64 0
		.amdhsa_float_denorm_mode_32 3
		.amdhsa_float_denorm_mode_16_64 3
		.amdhsa_dx10_clamp 1
		.amdhsa_ieee_mode 1
		.amdhsa_fp16_overflow 0
		.amdhsa_workgroup_processor_mode 1
		.amdhsa_memory_ordered 1
		.amdhsa_forward_progress 1
		.amdhsa_shared_vgpr_count 0
		.amdhsa_exception_fp_ieee_invalid_op 0
		.amdhsa_exception_fp_denorm_src 0
		.amdhsa_exception_fp_ieee_div_zero 0
		.amdhsa_exception_fp_ieee_overflow 0
		.amdhsa_exception_fp_ieee_underflow 0
		.amdhsa_exception_fp_ieee_inexact 0
		.amdhsa_exception_int_div_zero 0
	.end_amdhsa_kernel
	.section	.text._ZL22rocblas_gemvtsm_kernelILb0ELi256EPKDF16_fKPDF16_EviiT2_lPKT1_lilS7_lilS4_lPT3_lil,"axG",@progbits,_ZL22rocblas_gemvtsm_kernelILb0ELi256EPKDF16_fKPDF16_EviiT2_lPKT1_lilS7_lilS4_lPT3_lil,comdat
.Lfunc_end439:
	.size	_ZL22rocblas_gemvtsm_kernelILb0ELi256EPKDF16_fKPDF16_EviiT2_lPKT1_lilS7_lilS4_lPT3_lil, .Lfunc_end439-_ZL22rocblas_gemvtsm_kernelILb0ELi256EPKDF16_fKPDF16_EviiT2_lPKT1_lilS7_lilS4_lPT3_lil
                                        ; -- End function
	.set _ZL22rocblas_gemvtsm_kernelILb0ELi256EPKDF16_fKPDF16_EviiT2_lPKT1_lilS7_lilS4_lPT3_lil.num_vgpr, 20
	.set _ZL22rocblas_gemvtsm_kernelILb0ELi256EPKDF16_fKPDF16_EviiT2_lPKT1_lilS7_lilS4_lPT3_lil.num_agpr, 0
	.set _ZL22rocblas_gemvtsm_kernelILb0ELi256EPKDF16_fKPDF16_EviiT2_lPKT1_lilS7_lilS4_lPT3_lil.numbered_sgpr, 24
	.set _ZL22rocblas_gemvtsm_kernelILb0ELi256EPKDF16_fKPDF16_EviiT2_lPKT1_lilS7_lilS4_lPT3_lil.num_named_barrier, 0
	.set _ZL22rocblas_gemvtsm_kernelILb0ELi256EPKDF16_fKPDF16_EviiT2_lPKT1_lilS7_lilS4_lPT3_lil.private_seg_size, 0
	.set _ZL22rocblas_gemvtsm_kernelILb0ELi256EPKDF16_fKPDF16_EviiT2_lPKT1_lilS7_lilS4_lPT3_lil.uses_vcc, 1
	.set _ZL22rocblas_gemvtsm_kernelILb0ELi256EPKDF16_fKPDF16_EviiT2_lPKT1_lilS7_lilS4_lPT3_lil.uses_flat_scratch, 0
	.set _ZL22rocblas_gemvtsm_kernelILb0ELi256EPKDF16_fKPDF16_EviiT2_lPKT1_lilS7_lilS4_lPT3_lil.has_dyn_sized_stack, 0
	.set _ZL22rocblas_gemvtsm_kernelILb0ELi256EPKDF16_fKPDF16_EviiT2_lPKT1_lilS7_lilS4_lPT3_lil.has_recursion, 0
	.set _ZL22rocblas_gemvtsm_kernelILb0ELi256EPKDF16_fKPDF16_EviiT2_lPKT1_lilS7_lilS4_lPT3_lil.has_indirect_call, 0
	.section	.AMDGPU.csdata,"",@progbits
; Kernel info:
; codeLenInByte = 1396
; TotalNumSgprs: 26
; NumVgprs: 20
; ScratchSize: 0
; MemoryBound: 0
; FloatMode: 240
; IeeeMode: 1
; LDSByteSize: 256 bytes/workgroup (compile time only)
; SGPRBlocks: 0
; VGPRBlocks: 2
; NumSGPRsForWavesPerEU: 26
; NumVGPRsForWavesPerEU: 20
; Occupancy: 16
; WaveLimiterHint : 1
; COMPUTE_PGM_RSRC2:SCRATCH_EN: 0
; COMPUTE_PGM_RSRC2:USER_SGPR: 6
; COMPUTE_PGM_RSRC2:TRAP_HANDLER: 0
; COMPUTE_PGM_RSRC2:TGID_X_EN: 1
; COMPUTE_PGM_RSRC2:TGID_Y_EN: 0
; COMPUTE_PGM_RSRC2:TGID_Z_EN: 0
; COMPUTE_PGM_RSRC2:TIDIG_COMP_CNT: 0
	.section	.text._ZL23rocblas_gemvt_sn_kernelILb0ELi256ELi4EiPKDF16_PKffEviiT4_lPKT3_lilS7_lilPT5_i,"axG",@progbits,_ZL23rocblas_gemvt_sn_kernelILb0ELi256ELi4EiPKDF16_PKffEviiT4_lPKT3_lilS7_lilPT5_i,comdat
	.globl	_ZL23rocblas_gemvt_sn_kernelILb0ELi256ELi4EiPKDF16_PKffEviiT4_lPKT3_lilS7_lilPT5_i ; -- Begin function _ZL23rocblas_gemvt_sn_kernelILb0ELi256ELi4EiPKDF16_PKffEviiT4_lPKT3_lilS7_lilPT5_i
	.p2align	8
	.type	_ZL23rocblas_gemvt_sn_kernelILb0ELi256ELi4EiPKDF16_PKffEviiT4_lPKT3_lilS7_lilPT5_i,@function
_ZL23rocblas_gemvt_sn_kernelILb0ELi256ELi4EiPKDF16_PKffEviiT4_lPKT3_lilS7_lilPT5_i: ; @_ZL23rocblas_gemvt_sn_kernelILb0ELi256ELi4EiPKDF16_PKffEviiT4_lPKT3_lilS7_lilPT5_i
; %bb.0:
	s_load_dwordx8 s[8:15], s[4:5], 0x8
	s_mov_b32 s2, s7
	s_mov_b32 s3, 0
	s_waitcnt lgkmcnt(0)
	s_mul_i32 s0, s11, s7
	s_mul_hi_u32 s1, s10, s7
	s_add_i32 s1, s1, s0
	s_mul_i32 s0, s10, s7
	s_mov_b64 s[10:11], 0
	s_lshl_b64 s[0:1], s[0:1], 2
	s_add_u32 s0, s8, s0
	s_addc_u32 s1, s9, s1
	s_load_dword s26, s[0:1], 0x0
	s_mov_b64 s[0:1], 0
	s_waitcnt lgkmcnt(0)
	v_cmp_eq_f32_e64 s7, s26, 0
	v_cmp_neq_f32_e64 s8, s26, 0
	s_and_b32 vcc_lo, exec_lo, s7
	s_cbranch_vccnz .LBB440_2
; %bb.1:
	s_lshl_b64 s[0:1], s[2:3], 3
	s_add_u32 s0, s12, s0
	s_addc_u32 s1, s13, s1
	s_lshl_b64 s[12:13], s[14:15], 1
	s_load_dwordx2 s[0:1], s[0:1], 0x0
	s_waitcnt lgkmcnt(0)
	s_add_u32 s0, s0, s12
	s_addc_u32 s1, s1, s13
.LBB440_2:
	s_andn2_b32 vcc_lo, exec_lo, s8
	s_cbranch_vccnz .LBB440_4
; %bb.3:
	s_load_dwordx4 s[8:11], s[4:5], 0x38
	s_lshl_b64 s[12:13], s[2:3], 3
	s_waitcnt lgkmcnt(0)
	s_add_u32 s8, s8, s12
	s_addc_u32 s9, s9, s13
	s_lshl_b64 s[10:11], s[10:11], 1
	s_load_dwordx2 s[8:9], s[8:9], 0x0
	s_waitcnt lgkmcnt(0)
	s_add_u32 s10, s8, s10
	s_addc_u32 s11, s9, s11
.LBB440_4:
	s_clause 0x2
	s_load_dwordx2 s[12:13], s[4:5], 0x0
	s_load_dword s14, s[4:5], 0x68
	s_load_dwordx2 s[8:9], s[4:5], 0x58
	s_waitcnt lgkmcnt(0)
	s_ashr_i32 s17, s13, 31
	s_mul_hi_u32 s3, s13, s2
	s_mul_i32 s15, s17, s2
	s_mul_i32 s2, s13, s2
	s_add_i32 s3, s3, s15
	s_mul_hi_u32 s15, s2, s14
	s_mul_i32 s3, s3, s14
	s_mul_i32 s2, s2, s14
	s_add_i32 s3, s15, s3
	s_mov_b32 s15, 0
	s_lshl_b64 s[2:3], s[2:3], 2
	s_add_u32 s28, s8, s2
	s_addc_u32 s29, s9, s3
	s_andn2_b32 vcc_lo, exec_lo, s7
	s_mov_b32 s2, -1
	s_cbranch_vccnz .LBB440_9
; %bb.5:
	v_cmp_eq_u32_e32 vcc_lo, 0, v0
	s_cmp_gt_i32 s13, 0
	s_cselect_b32 s2, -1, 0
	s_and_b32 s2, vcc_lo, s2
	s_and_saveexec_b32 s16, s2
	s_cbranch_execz .LBB440_8
; %bb.6:
	s_mov_b32 s7, 0
	v_mov_b32_e32 v1, 0
	s_lshl_b64 s[2:3], s[6:7], 2
	s_mov_b32 s7, s13
	s_add_u32 s2, s28, s2
	s_addc_u32 s3, s29, s3
	s_lshl_b64 s[8:9], s[14:15], 2
.LBB440_7:                              ; =>This Inner Loop Header: Depth=1
	s_add_i32 s7, s7, -1
	global_store_dword v1, v1, s[2:3]
	s_add_u32 s2, s2, s8
	s_addc_u32 s3, s3, s9
	s_cmp_eq_u32 s7, 0
	s_cbranch_scc0 .LBB440_7
.LBB440_8:
	s_or_b32 exec_lo, exec_lo, s16
	s_mov_b32 s2, 0
.LBB440_9:
	s_andn2_b32 vcc_lo, exec_lo, s2
	s_cbranch_vccnz .LBB440_84
; %bb.10:
	s_clause 0x1
	s_load_dword s16, s[4:5], 0x28
	s_load_dword s15, s[4:5], 0x48
	s_lshl_b32 s2, s6, 10
	s_lshr_b32 s3, s17, 30
	v_lshl_or_b32 v1, v0, 2, s2
	s_ashr_i32 s2, s12, 31
	s_add_i32 s3, s13, s3
	s_lshr_b32 s2, s2, 30
	v_and_b32_e32 v21, 31, v0
	v_ashrrev_i32_e32 v2, 31, v1
	s_add_i32 s2, s12, s2
	v_add_nc_u32_e32 v24, 4, v1
	s_and_b32 s2, s2, -4
	v_mbcnt_lo_u32_b32 v23, -1, 0
	v_lshlrev_b64 v[2:3], 1, v[1:2]
	s_sub_i32 s27, s12, s2
	v_lshrrev_b32_e32 v22, 3, v0
	v_add_nc_u32_e32 v25, s27, v1
	v_cmp_eq_u32_e64 s2, 0, v0
	s_and_b32 s30, s3, -4
	v_add_co_u32 v19, vcc_lo, s0, v2
	s_waitcnt lgkmcnt(0)
	v_mul_lo_u32 v9, s15, v1
	v_add_co_ci_u32_e64 v20, null, s1, v3, vcc_lo
	v_cmp_gt_u32_e64 s0, 32, v0
	v_cmp_gt_u32_e64 s1, 8, v0
	s_cmp_lt_i32 s30, 1
	s_cbranch_scc1 .LBB440_59
; %bb.11:
	v_cmp_gt_u32_e32 vcc_lo, 24, v23
	v_mul_lo_u32 v10, s15, v1
	s_cmp_gt_i32 s27, 0
	s_mov_b32 s9, 0
	v_cmp_ge_i32_e64 s3, s12, v24
	v_cndmask_b32_e64 v2, 0, 8, vcc_lo
	v_cmp_gt_u32_e32 vcc_lo, 28, v23
	v_cmp_ge_i32_e64 s4, s12, v25
	v_lshl_or_b32 v26, v23, 2, 64
	v_add_nc_u32_e32 v1, s15, v10
	v_ashrrev_i32_e32 v11, 31, v10
	v_cndmask_b32_e64 v3, 0, 4, vcc_lo
	v_cmp_gt_u32_e32 vcc_lo, 30, v23
	v_add_lshl_u32 v27, v2, v23, 2
	v_ashrrev_i32_e32 v2, 31, v1
	v_cmp_eq_u32_e64 s5, 0, v21
	v_add_lshl_u32 v28, v3, v23, 2
	v_cndmask_b32_e64 v4, 0, 2, vcc_lo
	v_cmp_ne_u32_e32 vcc_lo, 31, v23
	v_add_nc_u32_e32 v3, s15, v1
	v_lshlrev_b64 v[1:2], 1, v[1:2]
	v_lshlrev_b32_e32 v31, 2, v21
	v_add_lshl_u32 v29, v4, v23, 2
	v_add_co_ci_u32_e64 v5, null, 0, v23, vcc_lo
	v_add_nc_u32_e32 v7, s15, v3
	v_ashrrev_i32_e32 v4, 31, v3
	v_and_b32_e32 v32, 28, v22
	v_lshlrev_b32_e32 v30, 2, v5
	v_lshlrev_b64 v[5:6], 1, v[10:11]
	v_ashrrev_i32_e32 v8, 31, v7
	v_lshlrev_b64 v[3:4], 1, v[3:4]
	s_cselect_b32 s31, -1, 0
	s_mov_b32 s17, s9
	s_lshl_b32 s8, s16, 1
	v_add_co_u32 v11, vcc_lo, s10, v5
	v_add_co_ci_u32_e64 v12, null, s11, v6, vcc_lo
	v_add_co_u32 v13, vcc_lo, s10, v1
	v_mov_b32_e32 v5, 0
	v_add_co_ci_u32_e64 v14, null, s11, v2, vcc_lo
	v_lshlrev_b64 v[1:2], 1, v[7:8]
	v_add_co_u32 v15, vcc_lo, s10, v3
	v_mov_b32_e32 v6, v5
	v_mov_b32_e32 v7, v5
	;; [unrolled: 1-line block ×3, first 2 shown]
	v_add_co_ci_u32_e64 v16, null, s11, v4, vcc_lo
	v_add_co_u32 v17, vcc_lo, s10, v1
	v_add_co_ci_u32_e64 v18, null, s11, v2, vcc_lo
	v_mov_b32_e32 v1, v5
	v_mov_b32_e32 v2, v6
	;; [unrolled: 1-line block ×4, first 2 shown]
	s_lshl_b32 s33, s16, 2
	s_mul_i32 s34, s16, 3
	s_mov_b32 s35, s9
	s_mov_b32 s18, s9
	s_mov_b64 s[20:21], s[8:9]
	s_mov_b64 s[22:23], s[16:17]
	s_mov_b32 s17, 0
	s_branch .LBB440_13
.LBB440_12:                             ;   in Loop: Header=BB440_13 Depth=1
	s_or_b32 exec_lo, exec_lo, s7
	s_add_i32 s17, s17, 4
	s_add_u32 s22, s22, s33
	s_addc_u32 s23, s23, 0
	s_add_u32 s20, s20, s33
	s_addc_u32 s21, s21, 0
	;; [unrolled: 2-line block ×3, first 2 shown]
	s_add_i32 s18, s18, s33
	s_cmp_ge_i32 s17, s30
	s_cbranch_scc1 .LBB440_60
.LBB440_13:                             ; =>This Loop Header: Depth=1
                                        ;     Child Loop BB440_44 Depth 2
                                        ;     Child Loop BB440_47 Depth 2
                                        ; implicit-def: $vgpr8
                                        ; implicit-def: $vgpr33
                                        ; implicit-def: $vgpr34
                                        ; implicit-def: $vgpr35
	s_and_saveexec_b32 s7, s3
	s_xor_b32 s7, exec_lo, s7
	s_cbranch_execnz .LBB440_40
; %bb.14:                               ;   in Loop: Header=BB440_13 Depth=1
	s_andn2_saveexec_b32 s36, s7
	s_cbranch_execnz .LBB440_41
.LBB440_15:                             ;   in Loop: Header=BB440_13 Depth=1
	s_or_b32 exec_lo, exec_lo, s36
	s_and_saveexec_b32 s7, s0
.LBB440_16:                             ;   in Loop: Header=BB440_13 Depth=1
	ds_write_b32 v31, v5
.LBB440_17:                             ;   in Loop: Header=BB440_13 Depth=1
	s_or_b32 exec_lo, exec_lo, s7
	ds_bpermute_b32 v6, v26, v35
	s_waitcnt lgkmcnt(0)
	s_waitcnt_vscnt null, 0x0
	s_barrier
	buffer_gl0_inv
	v_add_f32_e32 v6, v35, v6
	ds_bpermute_b32 v7, v27, v6
	s_waitcnt lgkmcnt(0)
	v_add_f32_e32 v6, v6, v7
	ds_bpermute_b32 v7, v28, v6
	s_waitcnt lgkmcnt(0)
	;; [unrolled: 3-line block ×3, first 2 shown]
	v_add_f32_e32 v6, v6, v7
	ds_bpermute_b32 v7, v30, v6
	s_and_saveexec_b32 s7, s5
	s_cbranch_execz .LBB440_19
; %bb.18:                               ;   in Loop: Header=BB440_13 Depth=1
	s_waitcnt lgkmcnt(0)
	v_add_f32_e32 v6, v6, v7
	ds_write_b32 v32, v6
.LBB440_19:                             ;   in Loop: Header=BB440_13 Depth=1
	s_or_b32 exec_lo, exec_lo, s7
	v_mov_b32_e32 v6, 0
	s_waitcnt lgkmcnt(0)
	s_barrier
	buffer_gl0_inv
	s_and_saveexec_b32 s7, s1
	s_cbranch_execnz .LBB440_48
; %bb.20:                               ;   in Loop: Header=BB440_13 Depth=1
	s_or_b32 exec_lo, exec_lo, s7
	s_and_saveexec_b32 s7, s0
	s_cbranch_execnz .LBB440_49
.LBB440_21:                             ;   in Loop: Header=BB440_13 Depth=1
	s_or_b32 exec_lo, exec_lo, s7
	s_and_saveexec_b32 s7, s0
.LBB440_22:                             ;   in Loop: Header=BB440_13 Depth=1
	ds_write_b32 v31, v5
.LBB440_23:                             ;   in Loop: Header=BB440_13 Depth=1
	s_or_b32 exec_lo, exec_lo, s7
	ds_bpermute_b32 v7, v26, v34
	s_waitcnt lgkmcnt(0)
	s_barrier
	buffer_gl0_inv
	v_add_f32_e32 v7, v34, v7
	ds_bpermute_b32 v34, v27, v7
	s_waitcnt lgkmcnt(0)
	v_add_f32_e32 v7, v7, v34
	ds_bpermute_b32 v34, v28, v7
	s_waitcnt lgkmcnt(0)
	;; [unrolled: 3-line block ×3, first 2 shown]
	v_add_f32_e32 v7, v7, v34
	ds_bpermute_b32 v34, v30, v7
	s_and_saveexec_b32 s7, s5
	s_cbranch_execz .LBB440_25
; %bb.24:                               ;   in Loop: Header=BB440_13 Depth=1
	s_waitcnt lgkmcnt(0)
	v_add_f32_e32 v7, v7, v34
	ds_write_b32 v32, v7
.LBB440_25:                             ;   in Loop: Header=BB440_13 Depth=1
	s_or_b32 exec_lo, exec_lo, s7
	v_mov_b32_e32 v7, 0
	s_waitcnt lgkmcnt(0)
	s_barrier
	buffer_gl0_inv
	s_and_saveexec_b32 s7, s1
	s_cbranch_execnz .LBB440_50
; %bb.26:                               ;   in Loop: Header=BB440_13 Depth=1
	s_or_b32 exec_lo, exec_lo, s7
	s_and_saveexec_b32 s7, s0
	s_cbranch_execnz .LBB440_51
.LBB440_27:                             ;   in Loop: Header=BB440_13 Depth=1
	s_or_b32 exec_lo, exec_lo, s7
	s_and_saveexec_b32 s7, s0
.LBB440_28:                             ;   in Loop: Header=BB440_13 Depth=1
	ds_write_b32 v31, v5
.LBB440_29:                             ;   in Loop: Header=BB440_13 Depth=1
	s_or_b32 exec_lo, exec_lo, s7
	ds_bpermute_b32 v34, v26, v33
	s_waitcnt lgkmcnt(0)
	s_barrier
	buffer_gl0_inv
	v_add_f32_e32 v33, v33, v34
	ds_bpermute_b32 v34, v27, v33
	s_waitcnt lgkmcnt(0)
	v_add_f32_e32 v33, v33, v34
	ds_bpermute_b32 v34, v28, v33
	s_waitcnt lgkmcnt(0)
	;; [unrolled: 3-line block ×3, first 2 shown]
	v_add_f32_e32 v33, v33, v34
	ds_bpermute_b32 v34, v30, v33
	s_and_saveexec_b32 s7, s5
	s_cbranch_execz .LBB440_31
; %bb.30:                               ;   in Loop: Header=BB440_13 Depth=1
	s_waitcnt lgkmcnt(0)
	v_add_f32_e32 v33, v33, v34
	ds_write_b32 v32, v33
.LBB440_31:                             ;   in Loop: Header=BB440_13 Depth=1
	s_or_b32 exec_lo, exec_lo, s7
	v_mov_b32_e32 v33, 0
	s_waitcnt lgkmcnt(0)
	s_barrier
	buffer_gl0_inv
	s_and_saveexec_b32 s7, s1
	s_cbranch_execnz .LBB440_52
; %bb.32:                               ;   in Loop: Header=BB440_13 Depth=1
	s_or_b32 exec_lo, exec_lo, s7
	s_and_saveexec_b32 s7, s0
	s_cbranch_execnz .LBB440_53
.LBB440_33:                             ;   in Loop: Header=BB440_13 Depth=1
	s_or_b32 exec_lo, exec_lo, s7
	s_and_saveexec_b32 s7, s0
.LBB440_34:                             ;   in Loop: Header=BB440_13 Depth=1
	ds_write_b32 v31, v5
.LBB440_35:                             ;   in Loop: Header=BB440_13 Depth=1
	s_or_b32 exec_lo, exec_lo, s7
	ds_bpermute_b32 v34, v26, v8
	s_waitcnt lgkmcnt(0)
	s_barrier
	buffer_gl0_inv
	v_add_f32_e32 v8, v8, v34
	ds_bpermute_b32 v34, v27, v8
	s_waitcnt lgkmcnt(0)
	v_add_f32_e32 v8, v8, v34
	ds_bpermute_b32 v34, v28, v8
	s_waitcnt lgkmcnt(0)
	;; [unrolled: 3-line block ×3, first 2 shown]
	v_add_f32_e32 v8, v8, v34
	ds_bpermute_b32 v34, v30, v8
	s_and_saveexec_b32 s7, s5
	s_cbranch_execz .LBB440_37
; %bb.36:                               ;   in Loop: Header=BB440_13 Depth=1
	s_waitcnt lgkmcnt(0)
	v_add_f32_e32 v8, v8, v34
	ds_write_b32 v32, v8
.LBB440_37:                             ;   in Loop: Header=BB440_13 Depth=1
	s_or_b32 exec_lo, exec_lo, s7
	v_mov_b32_e32 v8, 0
	s_waitcnt lgkmcnt(0)
	s_barrier
	buffer_gl0_inv
	s_and_saveexec_b32 s7, s1
	s_cbranch_execnz .LBB440_54
; %bb.38:                               ;   in Loop: Header=BB440_13 Depth=1
	s_or_b32 exec_lo, exec_lo, s7
	s_and_saveexec_b32 s7, s0
	s_cbranch_execnz .LBB440_55
.LBB440_39:                             ;   in Loop: Header=BB440_13 Depth=1
	s_or_b32 exec_lo, exec_lo, s7
	s_and_saveexec_b32 s7, s2
	s_cbranch_execz .LBB440_12
	s_branch .LBB440_56
.LBB440_40:                             ;   in Loop: Header=BB440_13 Depth=1
	s_mul_i32 s24, s17, s16
	s_ashr_i32 s25, s24, 31
	s_add_i32 s36, s24, s16
	s_lshl_b64 s[24:25], s[24:25], 1
	s_ashr_i32 s37, s36, 31
	v_add_co_u32 v1, vcc_lo, v19, s24
	v_add_co_ci_u32_e64 v2, null, s25, v20, vcc_lo
	s_lshl_b64 s[24:25], s[36:37], 1
	s_add_i32 s36, s36, s16
	v_add_co_u32 v3, vcc_lo, v19, s24
	s_ashr_i32 s37, s36, 31
	s_add_i32 s24, s36, s16
	v_add_co_ci_u32_e64 v4, null, s25, v20, vcc_lo
	s_lshl_b64 s[36:37], s[36:37], 1
	s_ashr_i32 s25, s24, 31
	v_add_co_u32 v6, vcc_lo, v19, s36
	s_lshl_b64 s[24:25], s[24:25], 1
	v_add_co_ci_u32_e64 v7, null, s37, v20, vcc_lo
	v_add_co_u32 v33, vcc_lo, v19, s24
	v_add_co_ci_u32_e64 v34, null, s25, v20, vcc_lo
	s_waitcnt lgkmcnt(0)
	flat_load_ushort v8, v[11:12]
	s_clause 0x3
	flat_load_dwordx2 v[35:36], v[1:2]
	flat_load_dwordx2 v[37:38], v[3:4]
	;; [unrolled: 1-line block ×4, first 2 shown]
	s_clause 0x2
	flat_load_ushort v3, v[13:14]
	flat_load_ushort v4, v[15:16]
	;; [unrolled: 1-line block ×3, first 2 shown]
	s_waitcnt vmcnt(7) lgkmcnt(7)
	v_cvt_f32_f16_e32 v1, v8
	s_waitcnt vmcnt(6) lgkmcnt(6)
	v_fma_mix_f32 v33, v8, v35, 0 op_sel_hi:[1,1,0]
	s_waitcnt vmcnt(5) lgkmcnt(5)
	v_fma_mix_f32 v34, v8, v37, 0 op_sel_hi:[1,1,0]
	s_waitcnt vmcnt(4) lgkmcnt(4)
	v_fma_mix_f32 v42, v8, v6, 0 op_sel_hi:[1,1,0]
	s_waitcnt vmcnt(3) lgkmcnt(3)
	v_fma_mix_f32 v8, v8, v39, 0 op_sel_hi:[1,1,0]
	s_waitcnt vmcnt(2) lgkmcnt(2)
	v_cvt_f32_f16_e32 v2, v3
	v_fma_mix_f32 v33, v3, v35, v33 op_sel:[0,1,0] op_sel_hi:[1,1,0]
	v_fma_mix_f32 v34, v3, v37, v34 op_sel:[0,1,0] op_sel_hi:[1,1,0]
	;; [unrolled: 1-line block ×4, first 2 shown]
	s_waitcnt vmcnt(1) lgkmcnt(1)
	v_cvt_f32_f16_e32 v3, v4
	v_fma_mix_f32 v33, v4, v36, v33 op_sel_hi:[1,1,0]
	v_fma_mix_f32 v34, v4, v38, v34 op_sel_hi:[1,1,0]
	;; [unrolled: 1-line block ×4, first 2 shown]
	s_waitcnt vmcnt(0) lgkmcnt(0)
	v_cvt_f32_f16_e32 v4, v41
	v_fma_mix_f32 v35, v41, v36, v33 op_sel:[0,1,0] op_sel_hi:[1,1,0]
	v_fma_mix_f32 v34, v41, v38, v34 op_sel:[0,1,0] op_sel_hi:[1,1,0]
	;; [unrolled: 1-line block ×4, first 2 shown]
	s_andn2_saveexec_b32 s36, s7
	s_cbranch_execz .LBB440_15
.LBB440_41:                             ;   in Loop: Header=BB440_13 Depth=1
	s_waitcnt lgkmcnt(0)
	v_mov_b32_e32 v8, 0
	v_mov_b32_e32 v33, 0
	;; [unrolled: 1-line block ×4, first 2 shown]
	s_and_saveexec_b32 s37, s4
	s_cbranch_execz .LBB440_58
; %bb.42:                               ;   in Loop: Header=BB440_13 Depth=1
	s_andn2_b32 vcc_lo, exec_lo, s31
	s_cbranch_vccnz .LBB440_45
; %bb.43:                               ;   in Loop: Header=BB440_13 Depth=1
	v_mov_b32_e32 v6, v10
	s_mov_b64 s[24:25], 0
	.p2align	6
.LBB440_44:                             ;   Parent Loop BB440_13 Depth=1
                                        ; =>  This Inner Loop Header: Depth=2
	v_ashrrev_i32_e32 v7, 31, v6
	s_cmp_eq_u32 s24, 3
	v_lshlrev_b64 v[7:8], 1, v[6:7]
	v_add_nc_u32_e32 v6, s15, v6
	v_add_co_u32 v7, vcc_lo, s10, v7
	v_add_co_ci_u32_e64 v8, null, s11, v8, vcc_lo
	s_cselect_b32 vcc_lo, -1, 0
	s_cmp_eq_u32 s24, 2
	s_cselect_b32 s7, -1, 0
	flat_load_ushort v7, v[7:8]
	s_cmp_eq_u32 s24, 1
	s_cselect_b32 s8, -1, 0
	s_cmp_eq_u32 s24, 0
	s_waitcnt vmcnt(0) lgkmcnt(0)
	v_cvt_f32_f16_e32 v7, v7
	v_cndmask_b32_e32 v4, v4, v7, vcc_lo
	s_cselect_b32 vcc_lo, -1, 0
	v_cndmask_b32_e64 v3, v3, v7, s7
	v_cndmask_b32_e64 v2, v2, v7, s8
	v_cndmask_b32_e32 v1, v1, v7, vcc_lo
	s_add_u32 s24, s24, 1
	s_addc_u32 s25, s25, 0
	s_cmp_eq_u32 s27, s24
	s_cbranch_scc0 .LBB440_44
.LBB440_45:                             ;   in Loop: Header=BB440_13 Depth=1
	s_andn2_b32 vcc_lo, exec_lo, s31
	s_cbranch_vccnz .LBB440_57
; %bb.46:                               ;   in Loop: Header=BB440_13 Depth=1
	s_ashr_i32 s19, s18, 31
	v_mov_b32_e32 v35, 0
	s_lshl_b64 s[24:25], s[18:19], 1
	v_mov_b32_e32 v34, 0
	v_add_co_u32 v6, vcc_lo, v19, s24
	v_add_co_ci_u32_e64 v7, null, s25, v20, vcc_lo
	v_mov_b32_e32 v33, 0
	v_mov_b32_e32 v8, 0
	s_mov_b64 s[24:25], 0
.LBB440_47:                             ;   Parent Loop BB440_13 Depth=1
                                        ; =>  This Inner Loop Header: Depth=2
	s_cmp_eq_u32 s24, 1
	s_cselect_b32 vcc_lo, -1, 0
	s_cmp_eq_u32 s24, 2
	v_cndmask_b32_e32 v36, v1, v2, vcc_lo
	s_cselect_b32 vcc_lo, -1, 0
	s_cmp_eq_u32 s24, 3
	v_cndmask_b32_e32 v42, v36, v3, vcc_lo
	s_cselect_b32 vcc_lo, -1, 0
	s_add_i32 s38, s22, s24
	s_add_i32 s40, s20, s24
	s_ashr_i32 s39, s38, 31
	s_add_i32 s42, s34, s24
	s_ashr_i32 s41, s40, 31
	s_lshl_b64 s[38:39], s[38:39], 1
	s_ashr_i32 s43, s42, 31
	s_lshl_b64 s[40:41], s[40:41], 1
	v_add_co_u32 v36, s7, v19, s38
	s_lshl_b64 s[42:43], s[42:43], 1
	v_add_co_ci_u32_e64 v37, null, s39, v20, s7
	v_add_co_u32 v38, s7, v19, s40
	v_add_co_ci_u32_e64 v39, null, s41, v20, s7
	v_add_co_u32 v40, s7, v19, s42
	v_add_co_ci_u32_e64 v41, null, s43, v20, s7
	flat_load_ushort v43, v[6:7]
	s_clause 0x2
	flat_load_ushort v36, v[36:37]
	flat_load_ushort v37, v[38:39]
	;; [unrolled: 1-line block ×3, first 2 shown]
	v_cndmask_b32_e32 v39, v42, v4, vcc_lo
	v_add_co_u32 v6, s7, v6, 2
	v_add_co_ci_u32_e64 v7, null, 0, v7, s7
	s_add_u32 s24, s24, 1
	s_addc_u32 s25, s25, 0
	s_cmp_lg_u32 s27, s24
	s_waitcnt vmcnt(3) lgkmcnt(3)
	v_fma_mix_f32 v35, v39, v43, v35 op_sel_hi:[0,1,0]
	s_waitcnt vmcnt(2) lgkmcnt(2)
	v_fma_mix_f32 v34, v39, v36, v34 op_sel_hi:[0,1,0]
	s_waitcnt vmcnt(1) lgkmcnt(1)
	v_fma_mix_f32 v33, v39, v37, v33 op_sel_hi:[0,1,0]
	s_waitcnt vmcnt(0) lgkmcnt(0)
	v_fma_mix_f32 v8, v39, v38, v8 op_sel_hi:[0,1,0]
	s_cbranch_scc1 .LBB440_47
	s_branch .LBB440_58
.LBB440_48:                             ;   in Loop: Header=BB440_13 Depth=1
	ds_read_b32 v6, v31
	s_or_b32 exec_lo, exec_lo, s7
	s_and_saveexec_b32 s7, s0
	s_cbranch_execz .LBB440_21
.LBB440_49:                             ;   in Loop: Header=BB440_13 Depth=1
	s_waitcnt lgkmcnt(0)
	ds_bpermute_b32 v7, v28, v6
	s_waitcnt lgkmcnt(0)
	v_add_f32_e32 v6, v6, v7
	ds_bpermute_b32 v7, v29, v6
	s_waitcnt lgkmcnt(0)
	v_add_f32_e32 v6, v6, v7
	;; [unrolled: 3-line block ×3, first 2 shown]
	s_or_b32 exec_lo, exec_lo, s7
	s_and_saveexec_b32 s7, s0
	s_cbranch_execnz .LBB440_22
	s_branch .LBB440_23
.LBB440_50:                             ;   in Loop: Header=BB440_13 Depth=1
	ds_read_b32 v7, v31
	s_or_b32 exec_lo, exec_lo, s7
	s_and_saveexec_b32 s7, s0
	s_cbranch_execz .LBB440_27
.LBB440_51:                             ;   in Loop: Header=BB440_13 Depth=1
	s_waitcnt lgkmcnt(0)
	ds_bpermute_b32 v34, v28, v7
	s_waitcnt lgkmcnt(0)
	v_add_f32_e32 v7, v7, v34
	ds_bpermute_b32 v34, v29, v7
	s_waitcnt lgkmcnt(0)
	v_add_f32_e32 v7, v7, v34
	;; [unrolled: 3-line block ×3, first 2 shown]
	s_or_b32 exec_lo, exec_lo, s7
	s_and_saveexec_b32 s7, s0
	s_cbranch_execnz .LBB440_28
	s_branch .LBB440_29
.LBB440_52:                             ;   in Loop: Header=BB440_13 Depth=1
	ds_read_b32 v33, v31
	s_or_b32 exec_lo, exec_lo, s7
	s_and_saveexec_b32 s7, s0
	s_cbranch_execz .LBB440_33
.LBB440_53:                             ;   in Loop: Header=BB440_13 Depth=1
	s_waitcnt lgkmcnt(0)
	ds_bpermute_b32 v34, v28, v33
	s_waitcnt lgkmcnt(0)
	v_add_f32_e32 v33, v33, v34
	ds_bpermute_b32 v34, v29, v33
	s_waitcnt lgkmcnt(0)
	v_add_f32_e32 v33, v33, v34
	;; [unrolled: 3-line block ×3, first 2 shown]
	s_or_b32 exec_lo, exec_lo, s7
	s_and_saveexec_b32 s7, s0
	s_cbranch_execnz .LBB440_34
	s_branch .LBB440_35
.LBB440_54:                             ;   in Loop: Header=BB440_13 Depth=1
	ds_read_b32 v8, v31
	s_or_b32 exec_lo, exec_lo, s7
	s_and_saveexec_b32 s7, s0
	s_cbranch_execz .LBB440_39
.LBB440_55:                             ;   in Loop: Header=BB440_13 Depth=1
	s_waitcnt lgkmcnt(0)
	ds_bpermute_b32 v34, v28, v8
	s_waitcnt lgkmcnt(0)
	v_add_f32_e32 v8, v8, v34
	ds_bpermute_b32 v34, v29, v8
	s_waitcnt lgkmcnt(0)
	v_add_f32_e32 v8, v8, v34
	;; [unrolled: 3-line block ×3, first 2 shown]
	s_or_b32 exec_lo, exec_lo, s7
	s_and_saveexec_b32 s7, s2
	s_cbranch_execz .LBB440_12
.LBB440_56:                             ;   in Loop: Header=BB440_13 Depth=1
	s_mul_i32 s8, s17, s14
	v_mul_f32_e32 v6, s26, v6
	s_add_i32 s8, s8, s6
	v_mul_f32_e32 v7, s26, v7
	s_lshl_b64 s[24:25], s[8:9], 2
	v_mul_f32_e32 v33, s26, v33
	s_add_u32 s24, s28, s24
	s_addc_u32 s25, s29, s25
	s_add_i32 s8, s8, s14
	global_store_dword v5, v6, s[24:25]
	s_lshl_b64 s[36:37], s[8:9], 2
	s_waitcnt lgkmcnt(0)
	v_mul_f32_e32 v6, s26, v8
	s_add_u32 s36, s28, s36
	s_addc_u32 s37, s29, s37
	s_add_i32 s8, s8, s14
	global_store_dword v5, v7, s[36:37]
	s_lshl_b64 s[38:39], s[8:9], 2
	s_add_u32 s24, s28, s38
	s_addc_u32 s25, s29, s39
	s_add_i32 s8, s8, s14
	s_lshl_b64 s[38:39], s[8:9], 2
	s_add_u32 s36, s28, s38
	s_addc_u32 s37, s29, s39
	global_store_dword v5, v33, s[24:25]
	global_store_dword v5, v6, s[36:37]
	s_branch .LBB440_12
.LBB440_57:                             ;   in Loop: Header=BB440_13 Depth=1
	v_mov_b32_e32 v8, 0
	v_mov_b32_e32 v33, 0
	;; [unrolled: 1-line block ×4, first 2 shown]
.LBB440_58:                             ;   in Loop: Header=BB440_13 Depth=1
	s_or_b32 exec_lo, exec_lo, s37
	s_or_b32 exec_lo, exec_lo, s36
	s_and_saveexec_b32 s7, s0
	s_cbranch_execnz .LBB440_16
	s_branch .LBB440_17
.LBB440_59:
	v_mov_b32_e32 v1, 0
	s_mov_b32 s17, 0
	v_mov_b32_e32 v2, v1
	v_mov_b32_e32 v3, v1
	v_mov_b32_e32 v4, v1
.LBB440_60:
	s_cmp_ge_i32 s17, s13
	s_cbranch_scc1 .LBB440_84
; %bb.61:
	v_cmp_gt_u32_e32 vcc_lo, 24, v23
	v_cmp_ge_i32_e64 s0, s12, v24
	v_lshl_or_b32 v17, v23, 2, 64
	v_ashrrev_i32_e32 v10, 31, v9
	v_cmp_ge_i32_e64 s1, s12, v25
	v_cndmask_b32_e64 v5, 0, 8, vcc_lo
	v_cmp_gt_u32_e32 vcc_lo, 28, v23
	s_cmp_gt_i32 s27, 0
	v_lshlrev_b64 v[10:11], 1, v[9:10]
	s_mov_b32 s7, 0
	v_add_lshl_u32 v18, v5, v23, 2
	v_cndmask_b32_e64 v6, 0, 4, vcc_lo
	v_cmp_gt_u32_e32 vcc_lo, 30, v23
	v_add_nc_u32_e32 v5, s15, v9
	s_cselect_b32 s12, -1, 0
	v_cmp_gt_u32_e64 s2, 32, v0
	v_add_lshl_u32 v24, v6, v23, 2
	v_cndmask_b32_e64 v7, 0, 2, vcc_lo
	v_cmp_ne_u32_e32 vcc_lo, 31, v23
	v_ashrrev_i32_e32 v6, 31, v5
	v_lshlrev_b32_e32 v16, 2, v21
	v_cmp_eq_u32_e64 s3, 0, v21
	v_and_b32_e32 v21, 28, v22
	s_waitcnt lgkmcnt(0)
	v_add_co_ci_u32_e64 v8, null, 0, v23, vcc_lo
	v_add_lshl_u32 v23, v7, v23, 2
	v_add_nc_u32_e32 v7, s15, v5
	v_lshlrev_b64 v[12:13], 1, v[5:6]
	v_lshlrev_b32_e32 v25, 2, v8
	v_add_co_u32 v5, vcc_lo, s10, v10
	v_add_nc_u32_e32 v14, s15, v7
	v_ashrrev_i32_e32 v8, 31, v7
	v_add_co_ci_u32_e64 v6, null, s11, v11, vcc_lo
	v_cmp_gt_u32_e64 s4, 8, v0
	v_ashrrev_i32_e32 v15, 31, v14
	v_lshlrev_b64 v[10:11], 1, v[7:8]
	v_add_co_u32 v7, vcc_lo, s10, v12
	v_add_co_ci_u32_e64 v8, null, s11, v13, vcc_lo
	v_lshlrev_b64 v[12:13], 1, v[14:15]
	v_add_co_u32 v10, vcc_lo, s10, v10
	v_add_co_ci_u32_e64 v11, null, s11, v11, vcc_lo
	v_cmp_eq_u32_e64 s5, 0, v0
	v_add_co_u32 v12, vcc_lo, s10, v12
	s_lshl_b64 s[8:9], s[6:7], 2
	v_add_co_ci_u32_e64 v13, null, s11, v13, vcc_lo
	v_mov_b32_e32 v0, 0
	s_add_u32 s22, s28, s8
	s_addc_u32 s23, s29, s9
	s_mul_i32 s18, s17, s16
	s_branch .LBB440_63
.LBB440_62:                             ;   in Loop: Header=BB440_63 Depth=1
	s_or_b32 exec_lo, exec_lo, s6
	s_add_i32 s17, s17, 1
	s_add_i32 s18, s18, s16
	s_cmp_ge_i32 s17, s13
	s_cbranch_scc1 .LBB440_84
.LBB440_63:                             ; =>This Loop Header: Depth=1
                                        ;     Child Loop BB440_76 Depth 2
                                        ;     Child Loop BB440_79 Depth 2
	v_mov_b32_e32 v22, s7
	s_and_saveexec_b32 s6, s0
	s_xor_b32 s6, exec_lo, s6
	s_cbranch_execnz .LBB440_72
; %bb.64:                               ;   in Loop: Header=BB440_63 Depth=1
	s_andn2_saveexec_b32 s24, s6
	s_cbranch_execnz .LBB440_73
.LBB440_65:                             ;   in Loop: Header=BB440_63 Depth=1
	s_or_b32 exec_lo, exec_lo, s24
	s_and_saveexec_b32 s6, s2
.LBB440_66:                             ;   in Loop: Header=BB440_63 Depth=1
	ds_write_b32 v16, v0
.LBB440_67:                             ;   in Loop: Header=BB440_63 Depth=1
	s_or_b32 exec_lo, exec_lo, s6
	s_waitcnt lgkmcnt(0)
	ds_bpermute_b32 v14, v17, v22
	s_waitcnt lgkmcnt(0)
	s_waitcnt_vscnt null, 0x0
	s_barrier
	buffer_gl0_inv
	v_add_f32_e32 v14, v22, v14
	ds_bpermute_b32 v15, v18, v14
	s_waitcnt lgkmcnt(0)
	v_add_f32_e32 v14, v14, v15
	ds_bpermute_b32 v15, v24, v14
	s_waitcnt lgkmcnt(0)
	;; [unrolled: 3-line block ×3, first 2 shown]
	v_add_f32_e32 v14, v14, v15
	ds_bpermute_b32 v15, v25, v14
	s_and_saveexec_b32 s6, s3
	s_cbranch_execz .LBB440_69
; %bb.68:                               ;   in Loop: Header=BB440_63 Depth=1
	s_waitcnt lgkmcnt(0)
	v_add_f32_e32 v14, v14, v15
	ds_write_b32 v21, v14
.LBB440_69:                             ;   in Loop: Header=BB440_63 Depth=1
	s_or_b32 exec_lo, exec_lo, s6
	v_mov_b32_e32 v14, 0
	s_waitcnt lgkmcnt(0)
	s_barrier
	buffer_gl0_inv
	s_and_saveexec_b32 s6, s4
	s_cbranch_execnz .LBB440_81
; %bb.70:                               ;   in Loop: Header=BB440_63 Depth=1
	s_or_b32 exec_lo, exec_lo, s6
	s_and_saveexec_b32 s6, s2
	s_cbranch_execnz .LBB440_82
.LBB440_71:                             ;   in Loop: Header=BB440_63 Depth=1
	s_or_b32 exec_lo, exec_lo, s6
	s_and_saveexec_b32 s6, s5
	s_cbranch_execz .LBB440_62
	s_branch .LBB440_83
.LBB440_72:                             ;   in Loop: Header=BB440_63 Depth=1
	s_mul_i32 s8, s17, s16
	s_ashr_i32 s9, s8, 31
	s_lshl_b64 s[8:9], s[8:9], 1
	v_add_co_u32 v1, vcc_lo, v19, s8
	v_add_co_ci_u32_e64 v2, null, s9, v20, vcc_lo
	s_waitcnt lgkmcnt(0)
	flat_load_dwordx2 v[14:15], v[1:2]
	s_clause 0x3
	flat_load_ushort v1, v[5:6]
	flat_load_ushort v2, v[7:8]
	;; [unrolled: 1-line block ×4, first 2 shown]
	s_waitcnt vmcnt(3) lgkmcnt(3)
	v_fma_mix_f32 v4, v1, v14, 0 op_sel_hi:[1,1,0]
	v_cvt_f32_f16_e32 v1, v1
	s_waitcnt vmcnt(2) lgkmcnt(2)
	v_fma_mix_f32 v4, v2, v14, v4 op_sel:[0,1,0] op_sel_hi:[1,1,0]
	v_cvt_f32_f16_e32 v2, v2
	s_waitcnt vmcnt(1) lgkmcnt(1)
	v_fma_mix_f32 v14, v3, v15, v4 op_sel_hi:[1,1,0]
	v_cvt_f32_f16_e32 v3, v3
	s_waitcnt vmcnt(0) lgkmcnt(0)
	v_cvt_f32_f16_e32 v4, v22
	v_fma_mix_f32 v22, v22, v15, v14 op_sel:[0,1,0] op_sel_hi:[1,1,0]
	s_andn2_saveexec_b32 s24, s6
	s_cbranch_execz .LBB440_65
.LBB440_73:                             ;   in Loop: Header=BB440_63 Depth=1
	s_and_saveexec_b32 s25, s1
	s_cbranch_execz .LBB440_80
; %bb.74:                               ;   in Loop: Header=BB440_63 Depth=1
	s_andn2_b32 vcc_lo, exec_lo, s12
	s_cbranch_vccnz .LBB440_77
; %bb.75:                               ;   in Loop: Header=BB440_63 Depth=1
	s_waitcnt lgkmcnt(0)
	v_mov_b32_e32 v14, v9
	s_mov_b64 s[20:21], 0
	.p2align	6
.LBB440_76:                             ;   Parent Loop BB440_63 Depth=1
                                        ; =>  This Inner Loop Header: Depth=2
	v_ashrrev_i32_e32 v15, 31, v14
	s_cmp_eq_u32 s20, 3
	v_lshlrev_b64 v[26:27], 1, v[14:15]
	v_add_nc_u32_e32 v14, s15, v14
	v_add_co_u32 v26, vcc_lo, s10, v26
	v_add_co_ci_u32_e64 v27, null, s11, v27, vcc_lo
	s_cselect_b32 vcc_lo, -1, 0
	s_cmp_eq_u32 s20, 2
	s_cselect_b32 s6, -1, 0
	flat_load_ushort v15, v[26:27]
	s_cmp_eq_u32 s20, 1
	s_cselect_b32 s8, -1, 0
	s_cmp_eq_u32 s20, 0
	s_waitcnt vmcnt(0) lgkmcnt(0)
	v_cvt_f32_f16_e32 v15, v15
	v_cndmask_b32_e32 v4, v4, v15, vcc_lo
	s_cselect_b32 vcc_lo, -1, 0
	v_cndmask_b32_e64 v3, v3, v15, s6
	v_cndmask_b32_e64 v2, v2, v15, s8
	v_cndmask_b32_e32 v1, v1, v15, vcc_lo
	s_add_u32 s20, s20, 1
	s_addc_u32 s21, s21, 0
	s_cmp_eq_u32 s27, s20
	s_cbranch_scc0 .LBB440_76
.LBB440_77:                             ;   in Loop: Header=BB440_63 Depth=1
	s_andn2_b32 vcc_lo, exec_lo, s12
	s_cbranch_vccnz .LBB440_80
; %bb.78:                               ;   in Loop: Header=BB440_63 Depth=1
	s_ashr_i32 s19, s18, 31
	s_lshl_b64 s[8:9], s[18:19], 1
	s_waitcnt lgkmcnt(0)
	v_add_co_u32 v14, vcc_lo, v19, s8
	v_add_co_ci_u32_e64 v15, null, s9, v20, vcc_lo
	s_mov_b64 s[8:9], 0
	.p2align	6
.LBB440_79:                             ;   Parent Loop BB440_63 Depth=1
                                        ; =>  This Inner Loop Header: Depth=2
	flat_load_ushort v26, v[14:15]
	s_cmp_eq_u32 s8, 1
	s_cselect_b32 vcc_lo, -1, 0
	s_cmp_eq_u32 s8, 2
	v_cndmask_b32_e32 v27, v1, v2, vcc_lo
	s_cselect_b32 vcc_lo, -1, 0
	s_cmp_eq_u32 s8, 3
	v_cndmask_b32_e32 v27, v27, v3, vcc_lo
	s_cselect_b32 vcc_lo, -1, 0
	s_add_u32 s8, s8, 1
	s_addc_u32 s9, s9, 0
	s_cmp_lg_u32 s27, s8
	v_cndmask_b32_e32 v27, v27, v4, vcc_lo
	v_add_co_u32 v14, vcc_lo, v14, 2
	v_add_co_ci_u32_e64 v15, null, 0, v15, vcc_lo
	s_waitcnt vmcnt(0) lgkmcnt(0)
	v_fma_mix_f32 v22, v27, v26, v22 op_sel_hi:[0,1,0]
	s_cbranch_scc1 .LBB440_79
.LBB440_80:                             ;   in Loop: Header=BB440_63 Depth=1
	s_or_b32 exec_lo, exec_lo, s25
	s_or_b32 exec_lo, exec_lo, s24
	s_and_saveexec_b32 s6, s2
	s_cbranch_execnz .LBB440_66
	s_branch .LBB440_67
.LBB440_81:                             ;   in Loop: Header=BB440_63 Depth=1
	ds_read_b32 v14, v16
	s_or_b32 exec_lo, exec_lo, s6
	s_and_saveexec_b32 s6, s2
	s_cbranch_execz .LBB440_71
.LBB440_82:                             ;   in Loop: Header=BB440_63 Depth=1
	s_waitcnt lgkmcnt(0)
	ds_bpermute_b32 v15, v24, v14
	s_waitcnt lgkmcnt(0)
	v_add_f32_e32 v14, v14, v15
	ds_bpermute_b32 v15, v23, v14
	s_waitcnt lgkmcnt(0)
	v_add_f32_e32 v14, v14, v15
	;; [unrolled: 3-line block ×3, first 2 shown]
	s_or_b32 exec_lo, exec_lo, s6
	s_and_saveexec_b32 s6, s5
	s_cbranch_execz .LBB440_62
.LBB440_83:                             ;   in Loop: Header=BB440_63 Depth=1
	s_mul_hi_u32 s9, s17, s14
	s_mul_i32 s8, s17, s14
	s_waitcnt lgkmcnt(0)
	v_mul_f32_e32 v14, s26, v14
	s_lshl_b64 s[8:9], s[8:9], 2
	s_add_u32 s8, s22, s8
	s_addc_u32 s9, s23, s9
	global_store_dword v0, v14, s[8:9]
	s_branch .LBB440_62
.LBB440_84:
	s_endpgm
	.section	.rodata,"a",@progbits
	.p2align	6, 0x0
	.amdhsa_kernel _ZL23rocblas_gemvt_sn_kernelILb0ELi256ELi4EiPKDF16_PKffEviiT4_lPKT3_lilS7_lilPT5_i
		.amdhsa_group_segment_fixed_size 128
		.amdhsa_private_segment_fixed_size 0
		.amdhsa_kernarg_size 360
		.amdhsa_user_sgpr_count 6
		.amdhsa_user_sgpr_private_segment_buffer 1
		.amdhsa_user_sgpr_dispatch_ptr 0
		.amdhsa_user_sgpr_queue_ptr 0
		.amdhsa_user_sgpr_kernarg_segment_ptr 1
		.amdhsa_user_sgpr_dispatch_id 0
		.amdhsa_user_sgpr_flat_scratch_init 0
		.amdhsa_user_sgpr_private_segment_size 0
		.amdhsa_wavefront_size32 1
		.amdhsa_uses_dynamic_stack 0
		.amdhsa_system_sgpr_private_segment_wavefront_offset 0
		.amdhsa_system_sgpr_workgroup_id_x 1
		.amdhsa_system_sgpr_workgroup_id_y 0
		.amdhsa_system_sgpr_workgroup_id_z 1
		.amdhsa_system_sgpr_workgroup_info 0
		.amdhsa_system_vgpr_workitem_id 0
		.amdhsa_next_free_vgpr 44
		.amdhsa_next_free_sgpr 44
		.amdhsa_reserve_vcc 1
		.amdhsa_reserve_flat_scratch 1
		.amdhsa_float_round_mode_32 0
		.amdhsa_float_round_mode_16_64 0
		.amdhsa_float_denorm_mode_32 3
		.amdhsa_float_denorm_mode_16_64 3
		.amdhsa_dx10_clamp 1
		.amdhsa_ieee_mode 1
		.amdhsa_fp16_overflow 0
		.amdhsa_workgroup_processor_mode 1
		.amdhsa_memory_ordered 1
		.amdhsa_forward_progress 1
		.amdhsa_shared_vgpr_count 0
		.amdhsa_exception_fp_ieee_invalid_op 0
		.amdhsa_exception_fp_denorm_src 0
		.amdhsa_exception_fp_ieee_div_zero 0
		.amdhsa_exception_fp_ieee_overflow 0
		.amdhsa_exception_fp_ieee_underflow 0
		.amdhsa_exception_fp_ieee_inexact 0
		.amdhsa_exception_int_div_zero 0
	.end_amdhsa_kernel
	.section	.text._ZL23rocblas_gemvt_sn_kernelILb0ELi256ELi4EiPKDF16_PKffEviiT4_lPKT3_lilS7_lilPT5_i,"axG",@progbits,_ZL23rocblas_gemvt_sn_kernelILb0ELi256ELi4EiPKDF16_PKffEviiT4_lPKT3_lilS7_lilPT5_i,comdat
.Lfunc_end440:
	.size	_ZL23rocblas_gemvt_sn_kernelILb0ELi256ELi4EiPKDF16_PKffEviiT4_lPKT3_lilS7_lilPT5_i, .Lfunc_end440-_ZL23rocblas_gemvt_sn_kernelILb0ELi256ELi4EiPKDF16_PKffEviiT4_lPKT3_lilS7_lilPT5_i
                                        ; -- End function
	.set _ZL23rocblas_gemvt_sn_kernelILb0ELi256ELi4EiPKDF16_PKffEviiT4_lPKT3_lilS7_lilPT5_i.num_vgpr, 44
	.set _ZL23rocblas_gemvt_sn_kernelILb0ELi256ELi4EiPKDF16_PKffEviiT4_lPKT3_lilS7_lilPT5_i.num_agpr, 0
	.set _ZL23rocblas_gemvt_sn_kernelILb0ELi256ELi4EiPKDF16_PKffEviiT4_lPKT3_lilS7_lilPT5_i.numbered_sgpr, 44
	.set _ZL23rocblas_gemvt_sn_kernelILb0ELi256ELi4EiPKDF16_PKffEviiT4_lPKT3_lilS7_lilPT5_i.num_named_barrier, 0
	.set _ZL23rocblas_gemvt_sn_kernelILb0ELi256ELi4EiPKDF16_PKffEviiT4_lPKT3_lilS7_lilPT5_i.private_seg_size, 0
	.set _ZL23rocblas_gemvt_sn_kernelILb0ELi256ELi4EiPKDF16_PKffEviiT4_lPKT3_lilS7_lilPT5_i.uses_vcc, 1
	.set _ZL23rocblas_gemvt_sn_kernelILb0ELi256ELi4EiPKDF16_PKffEviiT4_lPKT3_lilS7_lilPT5_i.uses_flat_scratch, 1
	.set _ZL23rocblas_gemvt_sn_kernelILb0ELi256ELi4EiPKDF16_PKffEviiT4_lPKT3_lilS7_lilPT5_i.has_dyn_sized_stack, 0
	.set _ZL23rocblas_gemvt_sn_kernelILb0ELi256ELi4EiPKDF16_PKffEviiT4_lPKT3_lilS7_lilPT5_i.has_recursion, 0
	.set _ZL23rocblas_gemvt_sn_kernelILb0ELi256ELi4EiPKDF16_PKffEviiT4_lPKT3_lilS7_lilPT5_i.has_indirect_call, 0
	.section	.AMDGPU.csdata,"",@progbits
; Kernel info:
; codeLenInByte = 4268
; TotalNumSgprs: 46
; NumVgprs: 44
; ScratchSize: 0
; MemoryBound: 0
; FloatMode: 240
; IeeeMode: 1
; LDSByteSize: 128 bytes/workgroup (compile time only)
; SGPRBlocks: 0
; VGPRBlocks: 5
; NumSGPRsForWavesPerEU: 46
; NumVGPRsForWavesPerEU: 44
; Occupancy: 16
; WaveLimiterHint : 0
; COMPUTE_PGM_RSRC2:SCRATCH_EN: 0
; COMPUTE_PGM_RSRC2:USER_SGPR: 6
; COMPUTE_PGM_RSRC2:TRAP_HANDLER: 0
; COMPUTE_PGM_RSRC2:TGID_X_EN: 1
; COMPUTE_PGM_RSRC2:TGID_Y_EN: 0
; COMPUTE_PGM_RSRC2:TGID_Z_EN: 1
; COMPUTE_PGM_RSRC2:TIDIG_COMP_CNT: 0
	.section	.text._ZL23rocblas_gemvt_sn_kernelILb0ELi256ELi4ElPKDF16_PKffEviiT4_lPKT3_lilS7_lilPT5_i,"axG",@progbits,_ZL23rocblas_gemvt_sn_kernelILb0ELi256ELi4ElPKDF16_PKffEviiT4_lPKT3_lilS7_lilPT5_i,comdat
	.globl	_ZL23rocblas_gemvt_sn_kernelILb0ELi256ELi4ElPKDF16_PKffEviiT4_lPKT3_lilS7_lilPT5_i ; -- Begin function _ZL23rocblas_gemvt_sn_kernelILb0ELi256ELi4ElPKDF16_PKffEviiT4_lPKT3_lilS7_lilPT5_i
	.p2align	8
	.type	_ZL23rocblas_gemvt_sn_kernelILb0ELi256ELi4ElPKDF16_PKffEviiT4_lPKT3_lilS7_lilPT5_i,@function
_ZL23rocblas_gemvt_sn_kernelILb0ELi256ELi4ElPKDF16_PKffEviiT4_lPKT3_lilS7_lilPT5_i: ; @_ZL23rocblas_gemvt_sn_kernelILb0ELi256ELi4ElPKDF16_PKffEviiT4_lPKT3_lilS7_lilPT5_i
; %bb.0:
	s_load_dwordx8 s[8:15], s[4:5], 0x8
	s_mov_b32 s0, s7
	s_mov_b64 s[18:19], 0
	s_mov_b64 s[16:17], 0
	s_waitcnt lgkmcnt(0)
	s_mul_i32 s1, s11, s7
	s_mul_hi_u32 s2, s10, s7
	s_add_i32 s3, s2, s1
	s_mul_i32 s2, s10, s7
	s_mov_b32 s1, 0
	s_lshl_b64 s[2:3], s[2:3], 2
	s_add_u32 s2, s8, s2
	s_addc_u32 s3, s9, s3
	s_load_dword s33, s[2:3], 0x0
	s_waitcnt lgkmcnt(0)
	v_cmp_eq_f32_e64 s2, s33, 0
	v_cmp_neq_f32_e64 s3, s33, 0
	s_and_b32 vcc_lo, exec_lo, s2
	s_cbranch_vccnz .LBB441_2
; %bb.1:
	s_lshl_b64 s[8:9], s[0:1], 3
	s_add_u32 s8, s12, s8
	s_addc_u32 s9, s13, s9
	s_lshl_b64 s[10:11], s[14:15], 1
	s_load_dwordx2 s[8:9], s[8:9], 0x0
	s_waitcnt lgkmcnt(0)
	s_add_u32 s16, s8, s10
	s_addc_u32 s17, s9, s11
.LBB441_2:
	s_andn2_b32 vcc_lo, exec_lo, s3
	s_cbranch_vccnz .LBB441_4
; %bb.3:
	s_load_dwordx4 s[8:11], s[4:5], 0x38
	s_lshl_b64 s[12:13], s[0:1], 3
	s_waitcnt lgkmcnt(0)
	s_add_u32 s8, s8, s12
	s_addc_u32 s9, s9, s13
	s_lshl_b64 s[10:11], s[10:11], 1
	s_load_dwordx2 s[8:9], s[8:9], 0x0
	s_waitcnt lgkmcnt(0)
	s_add_u32 s18, s8, s10
	s_addc_u32 s19, s9, s11
.LBB441_4:
	s_clause 0x2
	s_load_dwordx2 s[10:11], s[4:5], 0x0
	s_load_dword s12, s[4:5], 0x68
	s_load_dwordx2 s[14:15], s[4:5], 0x58
	s_mov_b32 s13, 0
	s_waitcnt lgkmcnt(0)
	s_ashr_i32 s8, s11, 31
	s_mul_hi_u32 s1, s11, s0
	s_mul_i32 s3, s8, s0
	s_mul_i32 s0, s11, s0
	s_add_i32 s1, s1, s3
	s_mul_hi_u32 s3, s0, s12
	s_mul_i32 s1, s1, s12
	s_mul_i32 s0, s0, s12
	s_add_i32 s1, s3, s1
	s_lshl_b64 s[0:1], s[0:1], 2
	s_add_u32 s34, s14, s0
	s_addc_u32 s35, s15, s1
	s_andn2_b32 vcc_lo, exec_lo, s2
	s_mov_b32 s0, -1
	s_cbranch_vccnz .LBB441_9
; %bb.5:
	v_cmp_eq_u32_e32 vcc_lo, 0, v0
	s_cmp_gt_i32 s11, 0
	s_cselect_b32 s0, -1, 0
	s_and_b32 s0, vcc_lo, s0
	s_and_saveexec_b32 s9, s0
	s_cbranch_execz .LBB441_8
; %bb.6:
	s_mov_b32 s7, 0
	v_mov_b32_e32 v1, 0
	s_lshl_b64 s[0:1], s[6:7], 2
	s_mov_b32 s7, s11
	s_add_u32 s0, s34, s0
	s_addc_u32 s1, s35, s1
	s_lshl_b64 s[2:3], s[12:13], 2
.LBB441_7:                              ; =>This Inner Loop Header: Depth=1
	s_add_i32 s7, s7, -1
	global_store_dword v1, v1, s[0:1]
	s_add_u32 s0, s0, s2
	s_addc_u32 s1, s1, s3
	s_cmp_eq_u32 s7, 0
	s_cbranch_scc0 .LBB441_7
.LBB441_8:
	s_or_b32 exec_lo, exec_lo, s9
	s_mov_b32 s0, 0
.LBB441_9:
	s_andn2_b32 vcc_lo, exec_lo, s0
	s_cbranch_vccnz .LBB441_84
; %bb.10:
	s_lshl_b32 s0, s6, 10
	s_clause 0x1
	s_load_dword s14, s[4:5], 0x28
	s_load_dword s20, s[4:5], 0x48
	v_lshl_or_b32 v13, v0, 2, s0
	s_ashr_i32 s0, s10, 31
	s_lshr_b32 s1, s8, 30
	s_lshr_b32 s0, s0, 30
	s_add_i32 s1, s11, s1
	v_ashrrev_i32_e32 v14, 31, v13
	s_add_i32 s0, s10, s0
	s_and_b32 s36, s1, -4
	s_and_b32 s0, s0, -4
	v_add_nc_u32_e32 v30, 4, v13
	v_lshlrev_b64 v[11:12], 1, v[13:14]
	s_sub_i32 s13, s10, s0
	v_and_b32_e32 v27, 31, v0
	v_add_nc_u32_e32 v31, s13, v13
	v_cmp_gt_u32_e64 s0, 32, v0
	v_mbcnt_lo_u32_b32 v29, -1, 0
	v_add_co_u32 v9, vcc_lo, s16, v11
	v_add_co_ci_u32_e64 v10, null, s17, v12, vcc_lo
	v_cmp_gt_u32_e64 s1, 8, v0
	v_lshrrev_b32_e32 v28, 3, v0
	v_cmp_eq_u32_e64 s2, 0, v0
	v_or_b32_e32 v26, 1, v13
	v_or_b32_e32 v25, 2, v13
	;; [unrolled: 1-line block ×3, first 2 shown]
	s_waitcnt lgkmcnt(0)
	s_ashr_i32 s15, s14, 31
	s_ashr_i32 s21, s20, 31
	s_cmp_lt_i32 s36, 1
	s_cbranch_scc1 .LBB441_59
; %bb.11:
	v_cmp_gt_u32_e32 vcc_lo, 24, v29
	v_mad_i64_i32 v[5:6], null, s20, v25, 0
	v_mad_i64_i32 v[7:8], null, s20, v24, 0
	v_cndmask_b32_e64 v1, 0, 8, vcc_lo
	v_cmp_gt_u32_e32 vcc_lo, 28, v29
	s_cmp_gt_i32 s13, 0
	s_mov_b32 s7, 0
	v_mov_b32_e32 v23, v10
	v_add_lshl_u32 v33, v1, v29, 2
	v_cndmask_b32_e64 v2, 0, 4, vcc_lo
	v_cmp_gt_u32_e32 vcc_lo, 30, v29
	v_cmp_ge_i32_e64 s3, s10, v30
	v_cmp_ge_i32_e64 s4, s10, v31
	s_cselect_b32 s37, -1, 0
	v_add_lshl_u32 v34, v2, v29, 2
	v_cndmask_b32_e64 v3, 0, 2, vcc_lo
	v_cmp_ne_u32_e32 vcc_lo, 31, v29
	v_mad_i64_i32 v[1:2], null, s20, v13, 0
	v_lshl_or_b32 v32, v29, 2, 64
	v_add_lshl_u32 v35, v3, v29, 2
	v_add_co_ci_u32_e64 v4, null, 0, v29, vcc_lo
	v_cmp_eq_u32_e64 s5, 0, v27
	v_lshlrev_b32_e32 v37, 2, v27
	v_lshlrev_b64 v[1:2], 1, v[1:2]
	v_lshlrev_b32_e32 v36, 2, v4
	v_mad_i64_i32 v[3:4], null, s20, v26, 0
	s_lshl_b64 s[8:9], s[6:7], 2
	v_and_b32_e32 v38, 28, v28
	v_add_co_u32 v14, vcc_lo, s18, v1
	v_add_co_ci_u32_e64 v15, null, s19, v2, vcc_lo
	v_lshlrev_b64 v[3:4], 1, v[3:4]
	v_lshlrev_b64 v[1:2], 1, v[5:6]
	v_mov_b32_e32 v5, 0
	v_mov_b32_e32 v22, v9
	s_add_u32 s38, s34, s8
	s_addc_u32 s39, s35, s9
	v_add_co_u32 v16, vcc_lo, s18, v3
	v_add_co_ci_u32_e64 v17, null, s19, v4, vcc_lo
	v_lshlrev_b64 v[3:4], 1, v[7:8]
	v_add_co_u32 v18, vcc_lo, s18, v1
	v_mov_b32_e32 v6, v5
	v_mov_b32_e32 v7, v5
	v_mov_b32_e32 v8, v5
	v_add_co_ci_u32_e64 v19, null, s19, v2, vcc_lo
	v_add_co_u32 v20, vcc_lo, s18, v3
	v_add_co_ci_u32_e64 v21, null, s19, v4, vcc_lo
	v_mov_b32_e32 v1, v5
	v_mov_b32_e32 v2, v6
	v_mov_b32_e32 v3, v7
	v_mov_b32_e32 v4, v8
	s_lshl_b64 s[22:23], s[20:21], 1
	s_mul_hi_i32 s40, s14, 6
	s_mul_i32 s41, s14, 6
	s_lshl_b64 s[24:25], s[14:15], 3
	s_lshl_b64 s[26:27], s[14:15], 2
	;; [unrolled: 1-line block ×3, first 2 shown]
	s_branch .LBB441_13
.LBB441_12:                             ;   in Loop: Header=BB441_13 Depth=1
	s_or_b32 exec_lo, exec_lo, s8
	v_add_co_u32 v22, vcc_lo, v22, s24
	v_add_co_ci_u32_e64 v23, null, s25, v23, vcc_lo
	s_add_i32 s7, s7, 4
	s_cmp_ge_i32 s7, s36
	s_cbranch_scc1 .LBB441_60
.LBB441_13:                             ; =>This Loop Header: Depth=1
                                        ;     Child Loop BB441_44 Depth 2
                                        ;     Child Loop BB441_47 Depth 2
                                        ; implicit-def: $vgpr8
                                        ; implicit-def: $vgpr39
                                        ; implicit-def: $vgpr40
                                        ; implicit-def: $vgpr41
	s_and_saveexec_b32 s8, s3
	s_xor_b32 s8, exec_lo, s8
	s_cbranch_execnz .LBB441_40
; %bb.14:                               ;   in Loop: Header=BB441_13 Depth=1
	s_andn2_saveexec_b32 s42, s8
	s_cbranch_execnz .LBB441_41
.LBB441_15:                             ;   in Loop: Header=BB441_13 Depth=1
	s_or_b32 exec_lo, exec_lo, s42
	s_and_saveexec_b32 s8, s0
.LBB441_16:                             ;   in Loop: Header=BB441_13 Depth=1
	ds_write_b32 v37, v5
.LBB441_17:                             ;   in Loop: Header=BB441_13 Depth=1
	s_or_b32 exec_lo, exec_lo, s8
	ds_bpermute_b32 v6, v32, v41
	s_waitcnt lgkmcnt(0)
	s_waitcnt_vscnt null, 0x0
	s_barrier
	buffer_gl0_inv
	v_add_f32_e32 v6, v41, v6
	ds_bpermute_b32 v7, v33, v6
	s_waitcnt lgkmcnt(0)
	v_add_f32_e32 v6, v6, v7
	ds_bpermute_b32 v7, v34, v6
	s_waitcnt lgkmcnt(0)
	;; [unrolled: 3-line block ×3, first 2 shown]
	v_add_f32_e32 v6, v6, v7
	ds_bpermute_b32 v7, v36, v6
	s_and_saveexec_b32 s8, s5
	s_cbranch_execz .LBB441_19
; %bb.18:                               ;   in Loop: Header=BB441_13 Depth=1
	s_waitcnt lgkmcnt(0)
	v_add_f32_e32 v6, v6, v7
	ds_write_b32 v38, v6
.LBB441_19:                             ;   in Loop: Header=BB441_13 Depth=1
	s_or_b32 exec_lo, exec_lo, s8
	v_mov_b32_e32 v6, 0
	s_waitcnt lgkmcnt(0)
	s_barrier
	buffer_gl0_inv
	s_and_saveexec_b32 s8, s1
	s_cbranch_execnz .LBB441_48
; %bb.20:                               ;   in Loop: Header=BB441_13 Depth=1
	s_or_b32 exec_lo, exec_lo, s8
	s_and_saveexec_b32 s8, s0
	s_cbranch_execnz .LBB441_49
.LBB441_21:                             ;   in Loop: Header=BB441_13 Depth=1
	s_or_b32 exec_lo, exec_lo, s8
	s_and_saveexec_b32 s8, s0
.LBB441_22:                             ;   in Loop: Header=BB441_13 Depth=1
	ds_write_b32 v37, v5
.LBB441_23:                             ;   in Loop: Header=BB441_13 Depth=1
	s_or_b32 exec_lo, exec_lo, s8
	ds_bpermute_b32 v7, v32, v40
	s_waitcnt lgkmcnt(0)
	s_barrier
	buffer_gl0_inv
	v_add_f32_e32 v7, v40, v7
	ds_bpermute_b32 v40, v33, v7
	s_waitcnt lgkmcnt(0)
	v_add_f32_e32 v7, v7, v40
	ds_bpermute_b32 v40, v34, v7
	s_waitcnt lgkmcnt(0)
	;; [unrolled: 3-line block ×3, first 2 shown]
	v_add_f32_e32 v7, v7, v40
	ds_bpermute_b32 v40, v36, v7
	s_and_saveexec_b32 s8, s5
	s_cbranch_execz .LBB441_25
; %bb.24:                               ;   in Loop: Header=BB441_13 Depth=1
	s_waitcnt lgkmcnt(0)
	v_add_f32_e32 v7, v7, v40
	ds_write_b32 v38, v7
.LBB441_25:                             ;   in Loop: Header=BB441_13 Depth=1
	s_or_b32 exec_lo, exec_lo, s8
	v_mov_b32_e32 v7, 0
	s_waitcnt lgkmcnt(0)
	s_barrier
	buffer_gl0_inv
	s_and_saveexec_b32 s8, s1
	s_cbranch_execnz .LBB441_50
; %bb.26:                               ;   in Loop: Header=BB441_13 Depth=1
	s_or_b32 exec_lo, exec_lo, s8
	s_and_saveexec_b32 s8, s0
	s_cbranch_execnz .LBB441_51
.LBB441_27:                             ;   in Loop: Header=BB441_13 Depth=1
	s_or_b32 exec_lo, exec_lo, s8
	s_and_saveexec_b32 s8, s0
.LBB441_28:                             ;   in Loop: Header=BB441_13 Depth=1
	ds_write_b32 v37, v5
.LBB441_29:                             ;   in Loop: Header=BB441_13 Depth=1
	s_or_b32 exec_lo, exec_lo, s8
	ds_bpermute_b32 v40, v32, v39
	s_waitcnt lgkmcnt(0)
	s_barrier
	buffer_gl0_inv
	v_add_f32_e32 v39, v39, v40
	ds_bpermute_b32 v40, v33, v39
	s_waitcnt lgkmcnt(0)
	v_add_f32_e32 v39, v39, v40
	ds_bpermute_b32 v40, v34, v39
	s_waitcnt lgkmcnt(0)
	;; [unrolled: 3-line block ×3, first 2 shown]
	v_add_f32_e32 v39, v39, v40
	ds_bpermute_b32 v40, v36, v39
	s_and_saveexec_b32 s8, s5
	s_cbranch_execz .LBB441_31
; %bb.30:                               ;   in Loop: Header=BB441_13 Depth=1
	s_waitcnt lgkmcnt(0)
	v_add_f32_e32 v39, v39, v40
	ds_write_b32 v38, v39
.LBB441_31:                             ;   in Loop: Header=BB441_13 Depth=1
	s_or_b32 exec_lo, exec_lo, s8
	v_mov_b32_e32 v39, 0
	s_waitcnt lgkmcnt(0)
	s_barrier
	buffer_gl0_inv
	s_and_saveexec_b32 s8, s1
	s_cbranch_execnz .LBB441_52
; %bb.32:                               ;   in Loop: Header=BB441_13 Depth=1
	s_or_b32 exec_lo, exec_lo, s8
	s_and_saveexec_b32 s8, s0
	s_cbranch_execnz .LBB441_53
.LBB441_33:                             ;   in Loop: Header=BB441_13 Depth=1
	s_or_b32 exec_lo, exec_lo, s8
	s_and_saveexec_b32 s8, s0
.LBB441_34:                             ;   in Loop: Header=BB441_13 Depth=1
	ds_write_b32 v37, v5
.LBB441_35:                             ;   in Loop: Header=BB441_13 Depth=1
	s_or_b32 exec_lo, exec_lo, s8
	ds_bpermute_b32 v40, v32, v8
	s_waitcnt lgkmcnt(0)
	s_barrier
	buffer_gl0_inv
	v_add_f32_e32 v8, v8, v40
	ds_bpermute_b32 v40, v33, v8
	s_waitcnt lgkmcnt(0)
	v_add_f32_e32 v8, v8, v40
	ds_bpermute_b32 v40, v34, v8
	s_waitcnt lgkmcnt(0)
	;; [unrolled: 3-line block ×3, first 2 shown]
	v_add_f32_e32 v8, v8, v40
	ds_bpermute_b32 v40, v36, v8
	s_and_saveexec_b32 s8, s5
	s_cbranch_execz .LBB441_37
; %bb.36:                               ;   in Loop: Header=BB441_13 Depth=1
	s_waitcnt lgkmcnt(0)
	v_add_f32_e32 v8, v8, v40
	ds_write_b32 v38, v8
.LBB441_37:                             ;   in Loop: Header=BB441_13 Depth=1
	s_or_b32 exec_lo, exec_lo, s8
	v_mov_b32_e32 v8, 0
	s_waitcnt lgkmcnt(0)
	s_barrier
	buffer_gl0_inv
	s_and_saveexec_b32 s8, s1
	s_cbranch_execnz .LBB441_54
; %bb.38:                               ;   in Loop: Header=BB441_13 Depth=1
	s_or_b32 exec_lo, exec_lo, s8
	s_and_saveexec_b32 s8, s0
	s_cbranch_execnz .LBB441_55
.LBB441_39:                             ;   in Loop: Header=BB441_13 Depth=1
	s_or_b32 exec_lo, exec_lo, s8
	s_and_saveexec_b32 s8, s2
	s_cbranch_execz .LBB441_12
	s_branch .LBB441_56
.LBB441_40:                             ;   in Loop: Header=BB441_13 Depth=1
	s_mul_i32 s9, s7, s15
	s_mul_hi_u32 s30, s7, s14
	s_add_i32 s31, s30, s9
	s_mul_i32 s30, s7, s14
	s_or_b32 s9, s7, 1
	s_lshl_b64 s[30:31], s[30:31], 1
	s_mul_i32 s42, s9, s15
	s_mul_hi_u32 s43, s9, s14
	v_add_co_u32 v1, vcc_lo, v9, s30
	v_add_co_ci_u32_e64 v2, null, s31, v10, vcc_lo
	s_add_i32 s31, s43, s42
	s_mul_i32 s30, s9, s14
	s_or_b32 s9, s7, 2
	s_lshl_b64 s[30:31], s[30:31], 1
	s_mul_i32 s42, s9, s15
	s_mul_hi_u32 s43, s9, s14
	v_add_co_u32 v3, vcc_lo, v9, s30
	v_add_co_ci_u32_e64 v4, null, s31, v10, vcc_lo
	s_add_i32 s31, s43, s42
	s_or_b32 s42, s7, 3
	s_mul_i32 s30, s9, s14
	s_mul_i32 s9, s42, s15
	s_mul_hi_u32 s43, s42, s14
	s_lshl_b64 s[30:31], s[30:31], 1
	s_add_i32 s43, s43, s9
	s_mul_i32 s42, s42, s14
	v_add_co_u32 v6, vcc_lo, v9, s30
	v_add_co_ci_u32_e64 v7, null, s31, v10, vcc_lo
	s_lshl_b64 s[30:31], s[42:43], 1
	v_add_co_u32 v39, vcc_lo, v9, s30
	v_add_co_ci_u32_e64 v40, null, s31, v10, vcc_lo
	s_waitcnt lgkmcnt(0)
	flat_load_ushort v8, v[14:15]
	s_clause 0x3
	flat_load_dwordx2 v[41:42], v[1:2]
	flat_load_dwordx2 v[43:44], v[3:4]
	;; [unrolled: 1-line block ×4, first 2 shown]
	s_clause 0x2
	flat_load_ushort v3, v[16:17]
	flat_load_ushort v4, v[18:19]
	;; [unrolled: 1-line block ×3, first 2 shown]
	s_waitcnt vmcnt(7) lgkmcnt(7)
	v_cvt_f32_f16_e32 v1, v8
	s_waitcnt vmcnt(6) lgkmcnt(6)
	v_fma_mix_f32 v39, v8, v41, 0 op_sel_hi:[1,1,0]
	s_waitcnt vmcnt(5) lgkmcnt(5)
	v_fma_mix_f32 v40, v8, v43, 0 op_sel_hi:[1,1,0]
	;; [unrolled: 2-line block ×4, first 2 shown]
	s_waitcnt vmcnt(2) lgkmcnt(2)
	v_cvt_f32_f16_e32 v2, v3
	v_fma_mix_f32 v39, v3, v41, v39 op_sel:[0,1,0] op_sel_hi:[1,1,0]
	v_fma_mix_f32 v40, v3, v43, v40 op_sel:[0,1,0] op_sel_hi:[1,1,0]
	;; [unrolled: 1-line block ×4, first 2 shown]
	s_waitcnt vmcnt(1) lgkmcnt(1)
	v_cvt_f32_f16_e32 v3, v4
	v_fma_mix_f32 v39, v4, v42, v39 op_sel_hi:[1,1,0]
	v_fma_mix_f32 v40, v4, v44, v40 op_sel_hi:[1,1,0]
	v_fma_mix_f32 v6, v4, v7, v6 op_sel_hi:[1,1,0]
	v_fma_mix_f32 v8, v46, v4, v8 op_sel_hi:[1,1,0]
	s_waitcnt vmcnt(0) lgkmcnt(0)
	v_cvt_f32_f16_e32 v4, v47
	v_fma_mix_f32 v41, v47, v42, v39 op_sel:[0,1,0] op_sel_hi:[1,1,0]
	v_fma_mix_f32 v40, v47, v44, v40 op_sel:[0,1,0] op_sel_hi:[1,1,0]
	;; [unrolled: 1-line block ×4, first 2 shown]
	s_andn2_saveexec_b32 s42, s8
	s_cbranch_execz .LBB441_15
.LBB441_41:                             ;   in Loop: Header=BB441_13 Depth=1
	s_waitcnt lgkmcnt(0)
	v_mov_b32_e32 v8, 0
	v_mov_b32_e32 v39, 0
	;; [unrolled: 1-line block ×4, first 2 shown]
	s_and_saveexec_b32 s43, s4
	s_cbranch_execz .LBB441_58
; %bb.42:                               ;   in Loop: Header=BB441_13 Depth=1
	s_andn2_b32 vcc_lo, exec_lo, s37
	s_cbranch_vccnz .LBB441_45
; %bb.43:                               ;   in Loop: Header=BB441_13 Depth=1
	v_mov_b32_e32 v6, v14
	v_mov_b32_e32 v7, v15
	s_mov_b64 s[30:31], 0
	.p2align	6
.LBB441_44:                             ;   Parent Loop BB441_13 Depth=1
                                        ; =>  This Inner Loop Header: Depth=2
	flat_load_ushort v8, v[6:7]
	s_cmp_eq_u32 s30, 3
	v_add_co_u32 v6, vcc_lo, v6, s22
	v_add_co_ci_u32_e64 v7, null, s23, v7, vcc_lo
	s_cselect_b32 vcc_lo, -1, 0
	s_cmp_eq_u32 s30, 2
	s_cselect_b32 s8, -1, 0
	s_cmp_eq_u32 s30, 1
	s_cselect_b32 s9, -1, 0
	s_cmp_eq_u32 s30, 0
	s_waitcnt vmcnt(0) lgkmcnt(0)
	v_cvt_f32_f16_e32 v8, v8
	v_cndmask_b32_e32 v4, v4, v8, vcc_lo
	s_cselect_b32 vcc_lo, -1, 0
	v_cndmask_b32_e64 v3, v3, v8, s8
	v_cndmask_b32_e64 v2, v2, v8, s9
	v_cndmask_b32_e32 v1, v1, v8, vcc_lo
	s_add_u32 s30, s30, 1
	s_addc_u32 s31, s31, 0
	s_cmp_eq_u32 s13, s30
	s_cbranch_scc0 .LBB441_44
.LBB441_45:                             ;   in Loop: Header=BB441_13 Depth=1
	s_andn2_b32 vcc_lo, exec_lo, s37
	s_cbranch_vccnz .LBB441_57
; %bb.46:                               ;   in Loop: Header=BB441_13 Depth=1
	v_mov_b32_e32 v6, v22
	v_mov_b32_e32 v41, 0
	;; [unrolled: 1-line block ×6, first 2 shown]
	s_mov_b64 s[30:31], 0
	s_inst_prefetch 0x1
	.p2align	6
.LBB441_47:                             ;   Parent Loop BB441_13 Depth=1
                                        ; =>  This Inner Loop Header: Depth=2
	v_add_co_u32 v42, vcc_lo, v6, s28
	v_add_co_ci_u32_e64 v43, null, s29, v7, vcc_lo
	v_add_co_u32 v44, vcc_lo, v6, s26
	v_add_co_ci_u32_e64 v45, null, s27, v7, vcc_lo
	;; [unrolled: 2-line block ×3, first 2 shown]
	s_clause 0x3
	flat_load_ushort v48, v[6:7]
	flat_load_ushort v42, v[42:43]
	flat_load_ushort v43, v[44:45]
	flat_load_ushort v44, v[46:47]
	s_cmp_eq_u32 s30, 1
	v_add_co_u32 v6, s8, v6, 2
	s_cselect_b32 vcc_lo, -1, 0
	s_cmp_eq_u32 s30, 2
	v_cndmask_b32_e32 v45, v1, v2, vcc_lo
	s_cselect_b32 vcc_lo, -1, 0
	s_cmp_eq_u32 s30, 3
	v_add_co_ci_u32_e64 v7, null, 0, v7, s8
	v_cndmask_b32_e32 v45, v45, v3, vcc_lo
	s_cselect_b32 vcc_lo, -1, 0
	s_add_u32 s30, s30, 1
	s_addc_u32 s31, s31, 0
	s_cmp_lg_u32 s13, s30
	v_cndmask_b32_e32 v45, v45, v4, vcc_lo
	s_waitcnt vmcnt(3) lgkmcnt(3)
	v_fma_mix_f32 v41, v45, v48, v41 op_sel_hi:[0,1,0]
	s_waitcnt vmcnt(2) lgkmcnt(2)
	v_fma_mix_f32 v40, v45, v42, v40 op_sel_hi:[0,1,0]
	;; [unrolled: 2-line block ×4, first 2 shown]
	s_cbranch_scc1 .LBB441_47
	s_branch .LBB441_58
.LBB441_48:                             ;   in Loop: Header=BB441_13 Depth=1
	ds_read_b32 v6, v37
	s_or_b32 exec_lo, exec_lo, s8
	s_and_saveexec_b32 s8, s0
	s_cbranch_execz .LBB441_21
.LBB441_49:                             ;   in Loop: Header=BB441_13 Depth=1
	s_waitcnt lgkmcnt(0)
	ds_bpermute_b32 v7, v34, v6
	s_waitcnt lgkmcnt(0)
	v_add_f32_e32 v6, v6, v7
	ds_bpermute_b32 v7, v35, v6
	s_waitcnt lgkmcnt(0)
	v_add_f32_e32 v6, v6, v7
	ds_bpermute_b32 v7, v36, v6
	s_waitcnt lgkmcnt(0)
	v_add_f32_e32 v6, v6, v7
	s_or_b32 exec_lo, exec_lo, s8
	s_and_saveexec_b32 s8, s0
	s_cbranch_execnz .LBB441_22
	s_branch .LBB441_23
.LBB441_50:                             ;   in Loop: Header=BB441_13 Depth=1
	ds_read_b32 v7, v37
	s_or_b32 exec_lo, exec_lo, s8
	s_and_saveexec_b32 s8, s0
	s_cbranch_execz .LBB441_27
.LBB441_51:                             ;   in Loop: Header=BB441_13 Depth=1
	s_waitcnt lgkmcnt(0)
	ds_bpermute_b32 v40, v34, v7
	s_waitcnt lgkmcnt(0)
	v_add_f32_e32 v7, v7, v40
	ds_bpermute_b32 v40, v35, v7
	s_waitcnt lgkmcnt(0)
	v_add_f32_e32 v7, v7, v40
	ds_bpermute_b32 v40, v36, v7
	s_waitcnt lgkmcnt(0)
	v_add_f32_e32 v7, v7, v40
	s_or_b32 exec_lo, exec_lo, s8
	s_and_saveexec_b32 s8, s0
	s_cbranch_execnz .LBB441_28
	s_branch .LBB441_29
.LBB441_52:                             ;   in Loop: Header=BB441_13 Depth=1
	ds_read_b32 v39, v37
	s_or_b32 exec_lo, exec_lo, s8
	s_and_saveexec_b32 s8, s0
	s_cbranch_execz .LBB441_33
.LBB441_53:                             ;   in Loop: Header=BB441_13 Depth=1
	s_waitcnt lgkmcnt(0)
	ds_bpermute_b32 v40, v34, v39
	s_waitcnt lgkmcnt(0)
	v_add_f32_e32 v39, v39, v40
	ds_bpermute_b32 v40, v35, v39
	s_waitcnt lgkmcnt(0)
	v_add_f32_e32 v39, v39, v40
	;; [unrolled: 3-line block ×3, first 2 shown]
	s_or_b32 exec_lo, exec_lo, s8
	s_and_saveexec_b32 s8, s0
	s_cbranch_execnz .LBB441_34
	s_branch .LBB441_35
.LBB441_54:                             ;   in Loop: Header=BB441_13 Depth=1
	ds_read_b32 v8, v37
	s_or_b32 exec_lo, exec_lo, s8
	s_and_saveexec_b32 s8, s0
	s_cbranch_execz .LBB441_39
.LBB441_55:                             ;   in Loop: Header=BB441_13 Depth=1
	s_waitcnt lgkmcnt(0)
	ds_bpermute_b32 v40, v34, v8
	s_waitcnt lgkmcnt(0)
	v_add_f32_e32 v8, v8, v40
	ds_bpermute_b32 v40, v35, v8
	s_waitcnt lgkmcnt(0)
	v_add_f32_e32 v8, v8, v40
	;; [unrolled: 3-line block ×3, first 2 shown]
	s_or_b32 exec_lo, exec_lo, s8
	s_and_saveexec_b32 s8, s2
	s_cbranch_execz .LBB441_12
.LBB441_56:                             ;   in Loop: Header=BB441_13 Depth=1
	s_mul_hi_u32 s31, s7, s12
	s_mul_i32 s30, s7, s12
	v_mul_f32_e32 v6, s33, v6
	s_lshl_b64 s[30:31], s[30:31], 2
	v_mul_f32_e32 v7, s33, v7
	s_add_u32 s30, s38, s30
	s_addc_u32 s31, s39, s31
	s_or_b32 s9, s7, 1
	global_store_dword v5, v6, s[30:31]
	s_mul_hi_u32 s43, s9, s12
	s_mul_i32 s42, s9, s12
	v_mul_f32_e32 v6, s33, v39
	s_lshl_b64 s[42:43], s[42:43], 2
	s_waitcnt lgkmcnt(0)
	v_mul_f32_e32 v8, s33, v8
	s_add_u32 s42, s38, s42
	s_addc_u32 s43, s39, s43
	s_or_b32 s9, s7, 2
	global_store_dword v5, v7, s[42:43]
	s_mul_hi_u32 s45, s9, s12
	s_mul_i32 s44, s9, s12
	s_lshl_b64 s[44:45], s[44:45], 2
	s_add_u32 s30, s38, s44
	s_addc_u32 s31, s39, s45
	s_or_b32 s9, s7, 3
	s_mul_hi_u32 s45, s9, s12
	s_mul_i32 s44, s9, s12
	s_lshl_b64 s[44:45], s[44:45], 2
	s_add_u32 s42, s38, s44
	s_addc_u32 s43, s39, s45
	global_store_dword v5, v6, s[30:31]
	global_store_dword v5, v8, s[42:43]
	s_branch .LBB441_12
.LBB441_57:                             ;   in Loop: Header=BB441_13 Depth=1
	v_mov_b32_e32 v8, 0
	v_mov_b32_e32 v39, 0
	;; [unrolled: 1-line block ×4, first 2 shown]
.LBB441_58:                             ;   in Loop: Header=BB441_13 Depth=1
	s_inst_prefetch 0x2
	s_or_b32 exec_lo, exec_lo, s43
	s_or_b32 exec_lo, exec_lo, s42
	s_and_saveexec_b32 s8, s0
	s_cbranch_execnz .LBB441_16
	s_branch .LBB441_17
.LBB441_59:
	v_mov_b32_e32 v1, 0
	s_mov_b32 s7, 0
	v_mov_b32_e32 v2, v1
	v_mov_b32_e32 v3, v1
	;; [unrolled: 1-line block ×3, first 2 shown]
.LBB441_60:
	s_cmp_ge_i32 s7, s11
	s_cbranch_scc1 .LBB441_84
; %bb.61:
	v_cmp_gt_u32_e32 vcc_lo, 24, v29
	v_lshl_or_b32 v20, v29, 2, 64
	v_mad_i64_i32 v[15:16], null, s20, v24, 0
	s_cmp_gt_i32 s13, 0
	v_cndmask_b32_e64 v5, 0, 8, vcc_lo
	v_cmp_gt_u32_e32 vcc_lo, 28, v29
	s_mov_b32 s9, 0
	s_mov_b32 s8, s6
	v_cmp_ge_i32_e64 s0, s10, v30
	v_add_lshl_u32 v21, v5, v29, 2
	v_cndmask_b32_e64 v6, 0, 4, vcc_lo
	v_cmp_gt_u32_e32 vcc_lo, 30, v29
	v_lshlrev_b64 v[15:16], 1, v[15:16]
	v_cmp_ge_i32_e64 s1, s10, v31
	s_cselect_b32 s10, -1, 0
	v_add_lshl_u32 v22, v6, v29, 2
	v_cndmask_b32_e64 v7, 0, 2, vcc_lo
	v_cmp_ne_u32_e32 vcc_lo, 31, v29
	v_mad_i64_i32 v[5:6], null, s20, v13, 0
	v_mad_i64_i32 v[13:14], null, s20, v25, 0
	s_waitcnt lgkmcnt(0)
	v_add_co_ci_u32_e64 v8, null, 0, v29, vcc_lo
	v_add_lshl_u32 v23, v7, v29, 2
	s_lshl_b64 s[22:23], s[8:9], 2
	v_lshlrev_b64 v[5:6], 1, v[5:6]
	v_lshlrev_b32_e32 v29, 2, v8
	v_mad_i64_i32 v[7:8], null, s20, v26, 0
	v_lshlrev_b64 v[13:14], 1, v[13:14]
	s_mul_i32 s6, s15, s7
	v_add_co_u32 v5, vcc_lo, s18, v5
	v_add_co_ci_u32_e64 v6, null, s19, v6, vcc_lo
	v_lshlrev_b64 v[7:8], 1, v[7:8]
	s_mul_hi_u32 s8, s14, s7
	s_add_u32 s22, s34, s22
	s_addc_u32 s23, s35, s23
	s_add_i32 s25, s8, s6
	s_mul_i32 s24, s14, s7
	v_add_co_u32 v7, vcc_lo, s18, v7
	v_add_co_ci_u32_e64 v8, null, s19, v8, vcc_lo
	v_add_co_u32 v13, vcc_lo, s18, v13
	v_add_co_ci_u32_e64 v14, null, s19, v14, vcc_lo
	v_add_co_u32 v15, vcc_lo, s18, v15
	s_lshl_b64 s[24:25], s[24:25], 1
	v_add_co_ci_u32_e64 v16, null, s19, v16, vcc_lo
	s_lshl_b64 s[18:19], s[20:21], 1
	s_add_u32 s6, s16, s24
	s_addc_u32 s8, s17, s25
	v_add_co_u32 v11, vcc_lo, s6, v11
	v_cmp_gt_u32_e64 s2, 32, v0
	v_lshlrev_b32_e32 v19, 2, v27
	v_cmp_eq_u32_e64 s3, 0, v27
	v_and_b32_e32 v27, 28, v28
	v_cmp_gt_u32_e64 s4, 8, v0
	v_cmp_eq_u32_e64 s5, 0, v0
	v_add_co_ci_u32_e64 v12, null, s8, v12, vcc_lo
	v_mov_b32_e32 v0, 0
	s_lshl_b64 s[16:17], s[14:15], 1
	s_branch .LBB441_63
.LBB441_62:                             ;   in Loop: Header=BB441_63 Depth=1
	s_or_b32 exec_lo, exec_lo, s6
	v_add_co_u32 v11, vcc_lo, v11, s16
	v_add_co_ci_u32_e64 v12, null, s17, v12, vcc_lo
	s_add_i32 s7, s7, 1
	s_cmp_ge_i32 s7, s11
	s_cbranch_scc1 .LBB441_84
.LBB441_63:                             ; =>This Loop Header: Depth=1
                                        ;     Child Loop BB441_76 Depth 2
                                        ;     Child Loop BB441_79 Depth 2
	v_mov_b32_e32 v24, s9
	s_and_saveexec_b32 s6, s0
	s_xor_b32 s6, exec_lo, s6
	s_cbranch_execnz .LBB441_72
; %bb.64:                               ;   in Loop: Header=BB441_63 Depth=1
	s_andn2_saveexec_b32 s24, s6
	s_cbranch_execnz .LBB441_73
.LBB441_65:                             ;   in Loop: Header=BB441_63 Depth=1
	s_or_b32 exec_lo, exec_lo, s24
	s_and_saveexec_b32 s6, s2
.LBB441_66:                             ;   in Loop: Header=BB441_63 Depth=1
	ds_write_b32 v19, v0
.LBB441_67:                             ;   in Loop: Header=BB441_63 Depth=1
	s_or_b32 exec_lo, exec_lo, s6
	s_waitcnt lgkmcnt(0)
	ds_bpermute_b32 v17, v20, v24
	s_waitcnt lgkmcnt(0)
	s_waitcnt_vscnt null, 0x0
	s_barrier
	buffer_gl0_inv
	v_add_f32_e32 v17, v24, v17
	ds_bpermute_b32 v18, v21, v17
	s_waitcnt lgkmcnt(0)
	v_add_f32_e32 v17, v17, v18
	ds_bpermute_b32 v18, v22, v17
	s_waitcnt lgkmcnt(0)
	;; [unrolled: 3-line block ×3, first 2 shown]
	v_add_f32_e32 v17, v17, v18
	ds_bpermute_b32 v18, v29, v17
	s_and_saveexec_b32 s6, s3
	s_cbranch_execz .LBB441_69
; %bb.68:                               ;   in Loop: Header=BB441_63 Depth=1
	s_waitcnt lgkmcnt(0)
	v_add_f32_e32 v17, v17, v18
	ds_write_b32 v27, v17
.LBB441_69:                             ;   in Loop: Header=BB441_63 Depth=1
	s_or_b32 exec_lo, exec_lo, s6
	v_mov_b32_e32 v17, 0
	s_waitcnt lgkmcnt(0)
	s_barrier
	buffer_gl0_inv
	s_and_saveexec_b32 s6, s4
	s_cbranch_execnz .LBB441_81
; %bb.70:                               ;   in Loop: Header=BB441_63 Depth=1
	s_or_b32 exec_lo, exec_lo, s6
	s_and_saveexec_b32 s6, s2
	s_cbranch_execnz .LBB441_82
.LBB441_71:                             ;   in Loop: Header=BB441_63 Depth=1
	s_or_b32 exec_lo, exec_lo, s6
	s_and_saveexec_b32 s6, s5
	s_cbranch_execz .LBB441_62
	s_branch .LBB441_83
.LBB441_72:                             ;   in Loop: Header=BB441_63 Depth=1
	s_mul_i32 s8, s7, s15
	s_mul_hi_u32 s21, s7, s14
	s_mul_i32 s20, s7, s14
	s_add_i32 s21, s21, s8
	s_lshl_b64 s[20:21], s[20:21], 1
	v_add_co_u32 v1, vcc_lo, v9, s20
	v_add_co_ci_u32_e64 v2, null, s21, v10, vcc_lo
	s_waitcnt lgkmcnt(0)
	flat_load_dwordx2 v[17:18], v[1:2]
	s_clause 0x3
	flat_load_ushort v1, v[5:6]
	flat_load_ushort v2, v[7:8]
	;; [unrolled: 1-line block ×4, first 2 shown]
	s_waitcnt vmcnt(3) lgkmcnt(3)
	v_fma_mix_f32 v4, v1, v17, 0 op_sel_hi:[1,1,0]
	v_cvt_f32_f16_e32 v1, v1
	s_waitcnt vmcnt(2) lgkmcnt(2)
	v_fma_mix_f32 v4, v2, v17, v4 op_sel:[0,1,0] op_sel_hi:[1,1,0]
	v_cvt_f32_f16_e32 v2, v2
	s_waitcnt vmcnt(1) lgkmcnt(1)
	v_fma_mix_f32 v17, v3, v18, v4 op_sel_hi:[1,1,0]
	v_cvt_f32_f16_e32 v3, v3
	s_waitcnt vmcnt(0) lgkmcnt(0)
	v_cvt_f32_f16_e32 v4, v24
	v_fma_mix_f32 v24, v24, v18, v17 op_sel:[0,1,0] op_sel_hi:[1,1,0]
	s_andn2_saveexec_b32 s24, s6
	s_cbranch_execz .LBB441_65
.LBB441_73:                             ;   in Loop: Header=BB441_63 Depth=1
	s_and_saveexec_b32 s25, s1
	s_cbranch_execz .LBB441_80
; %bb.74:                               ;   in Loop: Header=BB441_63 Depth=1
	s_andn2_b32 vcc_lo, exec_lo, s10
	s_cbranch_vccnz .LBB441_77
; %bb.75:                               ;   in Loop: Header=BB441_63 Depth=1
	s_waitcnt lgkmcnt(0)
	v_mov_b32_e32 v18, v6
	v_mov_b32_e32 v17, v5
	s_mov_b64 s[20:21], 0
	.p2align	6
.LBB441_76:                             ;   Parent Loop BB441_63 Depth=1
                                        ; =>  This Inner Loop Header: Depth=2
	flat_load_ushort v25, v[17:18]
	s_cmp_eq_u32 s20, 3
	v_add_co_u32 v17, vcc_lo, v17, s18
	v_add_co_ci_u32_e64 v18, null, s19, v18, vcc_lo
	s_cselect_b32 vcc_lo, -1, 0
	s_cmp_eq_u32 s20, 2
	s_cselect_b32 s6, -1, 0
	s_cmp_eq_u32 s20, 1
	s_cselect_b32 s8, -1, 0
	s_cmp_eq_u32 s20, 0
	s_waitcnt vmcnt(0) lgkmcnt(0)
	v_cvt_f32_f16_e32 v25, v25
	v_cndmask_b32_e32 v4, v4, v25, vcc_lo
	s_cselect_b32 vcc_lo, -1, 0
	v_cndmask_b32_e64 v3, v3, v25, s6
	v_cndmask_b32_e64 v2, v2, v25, s8
	v_cndmask_b32_e32 v1, v1, v25, vcc_lo
	s_add_u32 s20, s20, 1
	s_addc_u32 s21, s21, 0
	s_cmp_eq_u32 s13, s20
	s_cbranch_scc0 .LBB441_76
.LBB441_77:                             ;   in Loop: Header=BB441_63 Depth=1
	s_andn2_b32 vcc_lo, exec_lo, s10
	s_cbranch_vccnz .LBB441_80
; %bb.78:                               ;   in Loop: Header=BB441_63 Depth=1
	s_waitcnt lgkmcnt(0)
	v_mov_b32_e32 v18, v12
	v_mov_b32_e32 v17, v11
	s_mov_b64 s[20:21], 0
	.p2align	6
.LBB441_79:                             ;   Parent Loop BB441_63 Depth=1
                                        ; =>  This Inner Loop Header: Depth=2
	flat_load_ushort v25, v[17:18]
	s_cmp_eq_u32 s20, 1
	s_cselect_b32 vcc_lo, -1, 0
	s_cmp_eq_u32 s20, 2
	v_cndmask_b32_e32 v26, v1, v2, vcc_lo
	s_cselect_b32 vcc_lo, -1, 0
	s_cmp_eq_u32 s20, 3
	v_cndmask_b32_e32 v26, v26, v3, vcc_lo
	s_cselect_b32 vcc_lo, -1, 0
	s_add_u32 s20, s20, 1
	s_addc_u32 s21, s21, 0
	s_cmp_lg_u32 s13, s20
	v_cndmask_b32_e32 v26, v26, v4, vcc_lo
	v_add_co_u32 v17, vcc_lo, v17, 2
	v_add_co_ci_u32_e64 v18, null, 0, v18, vcc_lo
	s_waitcnt vmcnt(0) lgkmcnt(0)
	v_fma_mix_f32 v24, v26, v25, v24 op_sel_hi:[0,1,0]
	s_cbranch_scc1 .LBB441_79
.LBB441_80:                             ;   in Loop: Header=BB441_63 Depth=1
	s_or_b32 exec_lo, exec_lo, s25
	s_or_b32 exec_lo, exec_lo, s24
	s_and_saveexec_b32 s6, s2
	s_cbranch_execnz .LBB441_66
	s_branch .LBB441_67
.LBB441_81:                             ;   in Loop: Header=BB441_63 Depth=1
	ds_read_b32 v17, v19
	s_or_b32 exec_lo, exec_lo, s6
	s_and_saveexec_b32 s6, s2
	s_cbranch_execz .LBB441_71
.LBB441_82:                             ;   in Loop: Header=BB441_63 Depth=1
	s_waitcnt lgkmcnt(0)
	ds_bpermute_b32 v18, v22, v17
	s_waitcnt lgkmcnt(0)
	v_add_f32_e32 v17, v17, v18
	ds_bpermute_b32 v18, v23, v17
	s_waitcnt lgkmcnt(0)
	v_add_f32_e32 v17, v17, v18
	ds_bpermute_b32 v18, v29, v17
	s_waitcnt lgkmcnt(0)
	v_add_f32_e32 v17, v17, v18
	s_or_b32 exec_lo, exec_lo, s6
	s_and_saveexec_b32 s6, s5
	s_cbranch_execz .LBB441_62
.LBB441_83:                             ;   in Loop: Header=BB441_63 Depth=1
	s_mul_hi_u32 s21, s7, s12
	s_mul_i32 s20, s7, s12
	s_waitcnt lgkmcnt(0)
	v_mul_f32_e32 v17, s33, v17
	s_lshl_b64 s[20:21], s[20:21], 2
	s_add_u32 s20, s22, s20
	s_addc_u32 s21, s23, s21
	global_store_dword v0, v17, s[20:21]
	s_branch .LBB441_62
.LBB441_84:
	s_endpgm
	.section	.rodata,"a",@progbits
	.p2align	6, 0x0
	.amdhsa_kernel _ZL23rocblas_gemvt_sn_kernelILb0ELi256ELi4ElPKDF16_PKffEviiT4_lPKT3_lilS7_lilPT5_i
		.amdhsa_group_segment_fixed_size 128
		.amdhsa_private_segment_fixed_size 0
		.amdhsa_kernarg_size 360
		.amdhsa_user_sgpr_count 6
		.amdhsa_user_sgpr_private_segment_buffer 1
		.amdhsa_user_sgpr_dispatch_ptr 0
		.amdhsa_user_sgpr_queue_ptr 0
		.amdhsa_user_sgpr_kernarg_segment_ptr 1
		.amdhsa_user_sgpr_dispatch_id 0
		.amdhsa_user_sgpr_flat_scratch_init 0
		.amdhsa_user_sgpr_private_segment_size 0
		.amdhsa_wavefront_size32 1
		.amdhsa_uses_dynamic_stack 0
		.amdhsa_system_sgpr_private_segment_wavefront_offset 0
		.amdhsa_system_sgpr_workgroup_id_x 1
		.amdhsa_system_sgpr_workgroup_id_y 0
		.amdhsa_system_sgpr_workgroup_id_z 1
		.amdhsa_system_sgpr_workgroup_info 0
		.amdhsa_system_vgpr_workitem_id 0
		.amdhsa_next_free_vgpr 49
		.amdhsa_next_free_sgpr 46
		.amdhsa_reserve_vcc 1
		.amdhsa_reserve_flat_scratch 1
		.amdhsa_float_round_mode_32 0
		.amdhsa_float_round_mode_16_64 0
		.amdhsa_float_denorm_mode_32 3
		.amdhsa_float_denorm_mode_16_64 3
		.amdhsa_dx10_clamp 1
		.amdhsa_ieee_mode 1
		.amdhsa_fp16_overflow 0
		.amdhsa_workgroup_processor_mode 1
		.amdhsa_memory_ordered 1
		.amdhsa_forward_progress 1
		.amdhsa_shared_vgpr_count 0
		.amdhsa_exception_fp_ieee_invalid_op 0
		.amdhsa_exception_fp_denorm_src 0
		.amdhsa_exception_fp_ieee_div_zero 0
		.amdhsa_exception_fp_ieee_overflow 0
		.amdhsa_exception_fp_ieee_underflow 0
		.amdhsa_exception_fp_ieee_inexact 0
		.amdhsa_exception_int_div_zero 0
	.end_amdhsa_kernel
	.section	.text._ZL23rocblas_gemvt_sn_kernelILb0ELi256ELi4ElPKDF16_PKffEviiT4_lPKT3_lilS7_lilPT5_i,"axG",@progbits,_ZL23rocblas_gemvt_sn_kernelILb0ELi256ELi4ElPKDF16_PKffEviiT4_lPKT3_lilS7_lilPT5_i,comdat
.Lfunc_end441:
	.size	_ZL23rocblas_gemvt_sn_kernelILb0ELi256ELi4ElPKDF16_PKffEviiT4_lPKT3_lilS7_lilPT5_i, .Lfunc_end441-_ZL23rocblas_gemvt_sn_kernelILb0ELi256ELi4ElPKDF16_PKffEviiT4_lPKT3_lilS7_lilPT5_i
                                        ; -- End function
	.set _ZL23rocblas_gemvt_sn_kernelILb0ELi256ELi4ElPKDF16_PKffEviiT4_lPKT3_lilS7_lilPT5_i.num_vgpr, 49
	.set _ZL23rocblas_gemvt_sn_kernelILb0ELi256ELi4ElPKDF16_PKffEviiT4_lPKT3_lilS7_lilPT5_i.num_agpr, 0
	.set _ZL23rocblas_gemvt_sn_kernelILb0ELi256ELi4ElPKDF16_PKffEviiT4_lPKT3_lilS7_lilPT5_i.numbered_sgpr, 46
	.set _ZL23rocblas_gemvt_sn_kernelILb0ELi256ELi4ElPKDF16_PKffEviiT4_lPKT3_lilS7_lilPT5_i.num_named_barrier, 0
	.set _ZL23rocblas_gemvt_sn_kernelILb0ELi256ELi4ElPKDF16_PKffEviiT4_lPKT3_lilS7_lilPT5_i.private_seg_size, 0
	.set _ZL23rocblas_gemvt_sn_kernelILb0ELi256ELi4ElPKDF16_PKffEviiT4_lPKT3_lilS7_lilPT5_i.uses_vcc, 1
	.set _ZL23rocblas_gemvt_sn_kernelILb0ELi256ELi4ElPKDF16_PKffEviiT4_lPKT3_lilS7_lilPT5_i.uses_flat_scratch, 1
	.set _ZL23rocblas_gemvt_sn_kernelILb0ELi256ELi4ElPKDF16_PKffEviiT4_lPKT3_lilS7_lilPT5_i.has_dyn_sized_stack, 0
	.set _ZL23rocblas_gemvt_sn_kernelILb0ELi256ELi4ElPKDF16_PKffEviiT4_lPKT3_lilS7_lilPT5_i.has_recursion, 0
	.set _ZL23rocblas_gemvt_sn_kernelILb0ELi256ELi4ElPKDF16_PKffEviiT4_lPKT3_lilS7_lilPT5_i.has_indirect_call, 0
	.section	.AMDGPU.csdata,"",@progbits
; Kernel info:
; codeLenInByte = 4268
; TotalNumSgprs: 48
; NumVgprs: 49
; ScratchSize: 0
; MemoryBound: 0
; FloatMode: 240
; IeeeMode: 1
; LDSByteSize: 128 bytes/workgroup (compile time only)
; SGPRBlocks: 0
; VGPRBlocks: 6
; NumSGPRsForWavesPerEU: 48
; NumVGPRsForWavesPerEU: 49
; Occupancy: 16
; WaveLimiterHint : 0
; COMPUTE_PGM_RSRC2:SCRATCH_EN: 0
; COMPUTE_PGM_RSRC2:USER_SGPR: 6
; COMPUTE_PGM_RSRC2:TRAP_HANDLER: 0
; COMPUTE_PGM_RSRC2:TGID_X_EN: 1
; COMPUTE_PGM_RSRC2:TGID_Y_EN: 0
; COMPUTE_PGM_RSRC2:TGID_Z_EN: 1
; COMPUTE_PGM_RSRC2:TIDIG_COMP_CNT: 0
	.section	.text._ZL23rocblas_gemvt_sn_reduceILi256ELi8EfPKfKPDF16_EviT2_lPT3_lilPT1_i,"axG",@progbits,_ZL23rocblas_gemvt_sn_reduceILi256ELi8EfPKfKPDF16_EviT2_lPT3_lilPT1_i,comdat
	.globl	_ZL23rocblas_gemvt_sn_reduceILi256ELi8EfPKfKPDF16_EviT2_lPT3_lilPT1_i ; -- Begin function _ZL23rocblas_gemvt_sn_reduceILi256ELi8EfPKfKPDF16_EviT2_lPT3_lilPT1_i
	.p2align	8
	.type	_ZL23rocblas_gemvt_sn_reduceILi256ELi8EfPKfKPDF16_EviT2_lPT3_lilPT1_i,@function
_ZL23rocblas_gemvt_sn_reduceILi256ELi8EfPKfKPDF16_EviT2_lPT3_lilPT1_i: ; @_ZL23rocblas_gemvt_sn_reduceILi256ELi8EfPKfKPDF16_EviT2_lPT3_lilPT1_i
; %bb.0:
	s_clause 0x1
	s_load_dword s20, s[4:5], 0x0
	s_load_dwordx8 s[12:19], s[4:5], 0x8
	s_mov_b32 s9, 0
	s_clause 0x1
	s_load_dword s21, s[4:5], 0x4c
	s_load_dwordx2 s[10:11], s[4:5], 0x38
	s_lshl_b64 s[0:1], s[8:9], 3
	v_lshlrev_b32_e32 v4, 3, v0
	v_mov_b32_e32 v3, 0
	s_waitcnt lgkmcnt(0)
	s_ashr_i32 s22, s20, 31
	s_mul_i32 s2, s15, s8
	s_mul_hi_u32 s3, s14, s8
	s_add_u32 s0, s16, s0
	s_addc_u32 s1, s17, s1
	s_add_i32 s3, s3, s2
	s_mul_i32 s2, s14, s8
	s_mul_i32 s8, s21, s8
	s_lshl_b64 s[2:3], s[2:3], 2
	s_add_u32 s12, s12, s2
	s_addc_u32 s13, s13, s3
	s_load_dwordx2 s[2:3], s[0:1], 0x0
	s_load_dword s6, s[12:13], 0x0
	s_add_u32 s0, s4, 0x48
	s_addc_u32 s1, s5, 0
	s_add_i32 s12, s8, s7
	s_lshr_b32 s8, s22, 29
	s_mul_i32 s13, s12, s22
	s_add_i32 s8, s20, s8
	s_mul_hi_u32 s14, s12, s20
	s_and_b32 s8, s8, -8
	s_add_i32 s13, s14, s13
	s_mul_i32 s12, s12, s20
	s_mov_b32 s14, exec_lo
	v_cmpx_gt_i32_e64 s8, v4
	s_cbranch_execz .LBB442_4
; %bb.1:
	s_load_dword s0, s[0:1], 0xc
	v_lshlrev_b32_e32 v1, 5, v0
	s_lshl_b64 s[16:17], s[12:13], 2
	v_mov_b32_e32 v3, 0
	s_waitcnt lgkmcnt(0)
	s_and_b32 s0, s0, 0xffff
	s_lshl_b32 s1, s0, 3
	s_add_u32 s15, s10, s16
	s_addc_u32 s16, s11, s17
	v_add_co_u32 v1, s15, s15, v1
	v_add_co_ci_u32_e64 v2, null, s16, 0, s15
	s_lshl_b32 s15, s0, 5
	v_add_co_u32 v1, vcc_lo, v1, 28
	v_add_co_ci_u32_e64 v2, null, 0, v2, vcc_lo
	.p2align	6
.LBB442_2:                              ; =>This Inner Loop Header: Depth=1
	s_clause 0x1
	global_load_dwordx4 v[5:8], v[1:2], off offset:-28
	global_load_dwordx4 v[9:12], v[1:2], off offset:-12
	v_add_nc_u32_e32 v4, s1, v4
	v_add_co_u32 v1, vcc_lo, v1, s15
	v_add_co_ci_u32_e64 v2, null, 0, v2, vcc_lo
	v_cmp_le_i32_e64 s0, s8, v4
	s_or_b32 s9, s0, s9
	s_waitcnt vmcnt(1)
	v_add_f32_e32 v3, v3, v5
	v_add_f32_e32 v3, v3, v6
	;; [unrolled: 1-line block ×4, first 2 shown]
	s_waitcnt vmcnt(0)
	v_add_f32_e32 v3, v3, v9
	v_add_f32_e32 v3, v3, v10
	;; [unrolled: 1-line block ×4, first 2 shown]
	s_andn2_b32 exec_lo, exec_lo, s9
	s_cbranch_execnz .LBB442_2
; %bb.3:
	s_or_b32 exec_lo, exec_lo, s9
.LBB442_4:
	s_or_b32 exec_lo, exec_lo, s14
	s_sub_i32 s0, s20, s8
	v_cmp_gt_u32_e32 vcc_lo, s0, v0
	s_and_saveexec_b32 s0, vcc_lo
	s_cbranch_execz .LBB442_6
; %bb.5:
	v_xad_u32 v1, v0, -1, s20
	v_mov_b32_e32 v2, 0
	s_lshl_b64 s[8:9], s[12:13], 2
	s_add_u32 s1, s10, s8
	s_addc_u32 s8, s11, s9
	v_lshlrev_b64 v[1:2], 2, v[1:2]
	v_add_co_u32 v1, vcc_lo, s1, v1
	v_add_co_ci_u32_e64 v2, null, s8, v2, vcc_lo
	global_load_dword v1, v[1:2], off
	s_waitcnt vmcnt(0)
	v_add_f32_e32 v3, v3, v1
.LBB442_6:
	s_or_b32 exec_lo, exec_lo, s0
	v_and_b32_e32 v1, 31, v0
	v_cmp_gt_u32_e32 vcc_lo, 32, v0
	v_lshlrev_b32_e32 v2, 2, v1
	s_and_saveexec_b32 s0, vcc_lo
; %bb.7:
	v_mov_b32_e32 v4, 0
	ds_write_b32 v2, v4
; %bb.8:
	s_or_b32 exec_lo, exec_lo, s0
	v_mbcnt_lo_u32_b32 v5, -1, 0
	s_mov_b32 s1, exec_lo
	s_waitcnt lgkmcnt(0)
	s_barrier
	buffer_gl0_inv
	v_lshl_or_b32 v4, v5, 2, 64
	v_cmp_gt_u32_e64 s0, 24, v5
	ds_bpermute_b32 v4, v4, v3
	v_cndmask_b32_e64 v6, 0, 8, s0
	v_cmp_gt_u32_e64 s0, 28, v5
	v_add_lshl_u32 v6, v6, v5, 2
	s_waitcnt lgkmcnt(0)
	v_add_f32_e32 v4, v3, v4
	v_cndmask_b32_e64 v3, 0, 4, s0
	v_cmp_gt_u32_e64 s0, 30, v5
	ds_bpermute_b32 v6, v6, v4
	v_add_lshl_u32 v3, v3, v5, 2
	s_waitcnt lgkmcnt(0)
	v_add_f32_e32 v6, v4, v6
	v_cndmask_b32_e64 v4, 0, 2, s0
	v_cmp_ne_u32_e64 s0, 31, v5
	ds_bpermute_b32 v7, v3, v6
	v_add_lshl_u32 v4, v4, v5, 2
	v_add_co_ci_u32_e64 v5, null, 0, v5, s0
	v_lshlrev_b32_e32 v5, 2, v5
	s_waitcnt lgkmcnt(0)
	v_add_f32_e32 v6, v6, v7
	ds_bpermute_b32 v7, v4, v6
	s_waitcnt lgkmcnt(0)
	v_add_f32_e32 v6, v6, v7
	ds_bpermute_b32 v7, v5, v6
	v_cmpx_eq_u32_e32 0, v1
	s_cbranch_execz .LBB442_10
; %bb.9:
	v_lshrrev_b32_e32 v1, 3, v0
	s_waitcnt lgkmcnt(0)
	v_add_f32_e32 v6, v6, v7
	v_and_b32_e32 v1, 28, v1
	ds_write_b32 v1, v6
.LBB442_10:
	s_or_b32 exec_lo, exec_lo, s1
	v_mov_b32_e32 v1, 0
	s_mov_b32 s1, exec_lo
	s_waitcnt lgkmcnt(0)
	s_barrier
	buffer_gl0_inv
	v_cmpx_gt_u32_e32 8, v0
; %bb.11:
	ds_read_b32 v1, v2
; %bb.12:
	s_or_b32 exec_lo, exec_lo, s1
	s_and_saveexec_b32 s0, vcc_lo
	s_cbranch_execz .LBB442_14
; %bb.13:
	s_waitcnt lgkmcnt(0)
	ds_bpermute_b32 v2, v3, v1
	s_waitcnt lgkmcnt(0)
	v_add_f32_e32 v1, v1, v2
	ds_bpermute_b32 v2, v4, v1
	s_waitcnt lgkmcnt(0)
	v_add_f32_e32 v1, v1, v2
	;; [unrolled: 3-line block ×3, first 2 shown]
.LBB442_14:
	s_or_b32 exec_lo, exec_lo, s0
	s_mov_b32 s0, exec_lo
	v_cmpx_eq_u32_e32 0, v0
	s_cbranch_execz .LBB442_18
; %bb.15:
	s_load_dword s0, s[4:5], 0x28
	v_cmp_eq_f32_e64 s1, s6, 0
	s_lshl_b64 s[4:5], s[18:19], 1
	s_waitcnt lgkmcnt(0)
	s_ashr_i32 s8, s0, 31
	s_mul_hi_u32 s9, s0, s7
	s_mul_i32 s8, s8, s7
	s_add_u32 s2, s2, s4
	s_mul_i32 s0, s0, s7
	s_addc_u32 s3, s3, s5
	s_and_b32 vcc_lo, exec_lo, s1
	s_add_i32 s1, s9, s8
	s_cbranch_vccnz .LBB442_17
; %bb.16:
	s_lshl_b64 s[4:5], s[0:1], 1
	s_add_u32 s4, s2, s4
	s_addc_u32 s5, s3, s5
	v_mov_b32_e32 v2, s4
	v_mov_b32_e32 v3, s5
	flat_load_ushort v0, v[2:3]
	s_waitcnt vmcnt(0) lgkmcnt(0)
	v_fma_mix_f32 v1, s6, v0, v1 op_sel_hi:[0,1,0]
.LBB442_17:
	s_lshl_b64 s[0:1], s[0:1], 1
	v_cvt_f16_f32_e32 v2, v1
	s_add_u32 s0, s2, s0
	s_addc_u32 s1, s3, s1
	v_mov_b32_e32 v0, s0
	v_mov_b32_e32 v1, s1
	flat_store_short v[0:1], v2
.LBB442_18:
	s_endpgm
	.section	.rodata,"a",@progbits
	.p2align	6, 0x0
	.amdhsa_kernel _ZL23rocblas_gemvt_sn_reduceILi256ELi8EfPKfKPDF16_EviT2_lPT3_lilPT1_i
		.amdhsa_group_segment_fixed_size 128
		.amdhsa_private_segment_fixed_size 0
		.amdhsa_kernarg_size 328
		.amdhsa_user_sgpr_count 6
		.amdhsa_user_sgpr_private_segment_buffer 1
		.amdhsa_user_sgpr_dispatch_ptr 0
		.amdhsa_user_sgpr_queue_ptr 0
		.amdhsa_user_sgpr_kernarg_segment_ptr 1
		.amdhsa_user_sgpr_dispatch_id 0
		.amdhsa_user_sgpr_flat_scratch_init 0
		.amdhsa_user_sgpr_private_segment_size 0
		.amdhsa_wavefront_size32 1
		.amdhsa_uses_dynamic_stack 0
		.amdhsa_system_sgpr_private_segment_wavefront_offset 0
		.amdhsa_system_sgpr_workgroup_id_x 1
		.amdhsa_system_sgpr_workgroup_id_y 1
		.amdhsa_system_sgpr_workgroup_id_z 1
		.amdhsa_system_sgpr_workgroup_info 0
		.amdhsa_system_vgpr_workitem_id 0
		.amdhsa_next_free_vgpr 13
		.amdhsa_next_free_sgpr 23
		.amdhsa_reserve_vcc 1
		.amdhsa_reserve_flat_scratch 0
		.amdhsa_float_round_mode_32 0
		.amdhsa_float_round_mode_16_64 0
		.amdhsa_float_denorm_mode_32 3
		.amdhsa_float_denorm_mode_16_64 3
		.amdhsa_dx10_clamp 1
		.amdhsa_ieee_mode 1
		.amdhsa_fp16_overflow 0
		.amdhsa_workgroup_processor_mode 1
		.amdhsa_memory_ordered 1
		.amdhsa_forward_progress 1
		.amdhsa_shared_vgpr_count 0
		.amdhsa_exception_fp_ieee_invalid_op 0
		.amdhsa_exception_fp_denorm_src 0
		.amdhsa_exception_fp_ieee_div_zero 0
		.amdhsa_exception_fp_ieee_overflow 0
		.amdhsa_exception_fp_ieee_underflow 0
		.amdhsa_exception_fp_ieee_inexact 0
		.amdhsa_exception_int_div_zero 0
	.end_amdhsa_kernel
	.section	.text._ZL23rocblas_gemvt_sn_reduceILi256ELi8EfPKfKPDF16_EviT2_lPT3_lilPT1_i,"axG",@progbits,_ZL23rocblas_gemvt_sn_reduceILi256ELi8EfPKfKPDF16_EviT2_lPT3_lilPT1_i,comdat
.Lfunc_end442:
	.size	_ZL23rocblas_gemvt_sn_reduceILi256ELi8EfPKfKPDF16_EviT2_lPT3_lilPT1_i, .Lfunc_end442-_ZL23rocblas_gemvt_sn_reduceILi256ELi8EfPKfKPDF16_EviT2_lPT3_lilPT1_i
                                        ; -- End function
	.set _ZL23rocblas_gemvt_sn_reduceILi256ELi8EfPKfKPDF16_EviT2_lPT3_lilPT1_i.num_vgpr, 13
	.set _ZL23rocblas_gemvt_sn_reduceILi256ELi8EfPKfKPDF16_EviT2_lPT3_lilPT1_i.num_agpr, 0
	.set _ZL23rocblas_gemvt_sn_reduceILi256ELi8EfPKfKPDF16_EviT2_lPT3_lilPT1_i.numbered_sgpr, 23
	.set _ZL23rocblas_gemvt_sn_reduceILi256ELi8EfPKfKPDF16_EviT2_lPT3_lilPT1_i.num_named_barrier, 0
	.set _ZL23rocblas_gemvt_sn_reduceILi256ELi8EfPKfKPDF16_EviT2_lPT3_lilPT1_i.private_seg_size, 0
	.set _ZL23rocblas_gemvt_sn_reduceILi256ELi8EfPKfKPDF16_EviT2_lPT3_lilPT1_i.uses_vcc, 1
	.set _ZL23rocblas_gemvt_sn_reduceILi256ELi8EfPKfKPDF16_EviT2_lPT3_lilPT1_i.uses_flat_scratch, 0
	.set _ZL23rocblas_gemvt_sn_reduceILi256ELi8EfPKfKPDF16_EviT2_lPT3_lilPT1_i.has_dyn_sized_stack, 0
	.set _ZL23rocblas_gemvt_sn_reduceILi256ELi8EfPKfKPDF16_EviT2_lPT3_lilPT1_i.has_recursion, 0
	.set _ZL23rocblas_gemvt_sn_reduceILi256ELi8EfPKfKPDF16_EviT2_lPT3_lilPT1_i.has_indirect_call, 0
	.section	.AMDGPU.csdata,"",@progbits
; Kernel info:
; codeLenInByte = 1032
; TotalNumSgprs: 25
; NumVgprs: 13
; ScratchSize: 0
; MemoryBound: 0
; FloatMode: 240
; IeeeMode: 1
; LDSByteSize: 128 bytes/workgroup (compile time only)
; SGPRBlocks: 0
; VGPRBlocks: 1
; NumSGPRsForWavesPerEU: 25
; NumVGPRsForWavesPerEU: 13
; Occupancy: 16
; WaveLimiterHint : 1
; COMPUTE_PGM_RSRC2:SCRATCH_EN: 0
; COMPUTE_PGM_RSRC2:USER_SGPR: 6
; COMPUTE_PGM_RSRC2:TRAP_HANDLER: 0
; COMPUTE_PGM_RSRC2:TGID_X_EN: 1
; COMPUTE_PGM_RSRC2:TGID_Y_EN: 1
; COMPUTE_PGM_RSRC2:TGID_Z_EN: 1
; COMPUTE_PGM_RSRC2:TIDIG_COMP_CNT: 0
	.section	.text._ZL23rocblas_gemvt_sn_kernelILb0ELi256ELi4EiPKDF16_ffEviiT4_lPKT3_lilS5_lilPT5_i,"axG",@progbits,_ZL23rocblas_gemvt_sn_kernelILb0ELi256ELi4EiPKDF16_ffEviiT4_lPKT3_lilS5_lilPT5_i,comdat
	.globl	_ZL23rocblas_gemvt_sn_kernelILb0ELi256ELi4EiPKDF16_ffEviiT4_lPKT3_lilS5_lilPT5_i ; -- Begin function _ZL23rocblas_gemvt_sn_kernelILb0ELi256ELi4EiPKDF16_ffEviiT4_lPKT3_lilS5_lilPT5_i
	.p2align	8
	.type	_ZL23rocblas_gemvt_sn_kernelILb0ELi256ELi4EiPKDF16_ffEviiT4_lPKT3_lilS5_lilPT5_i,@function
_ZL23rocblas_gemvt_sn_kernelILb0ELi256ELi4EiPKDF16_ffEviiT4_lPKT3_lilS5_lilPT5_i: ; @_ZL23rocblas_gemvt_sn_kernelILb0ELi256ELi4EiPKDF16_ffEviiT4_lPKT3_lilS5_lilPT5_i
; %bb.0:
	s_load_dwordx4 s[12:15], s[4:5], 0x0
	s_mov_b32 s2, s7
	s_mov_b32 s3, 0
	s_waitcnt lgkmcnt(0)
	v_cmp_neq_f32_e64 s8, s14, 0
	v_cmp_eq_f32_e64 s7, s14, 0
	s_and_b32 vcc_lo, exec_lo, s8
	s_cbranch_vccnz .LBB443_2
; %bb.1:
	s_mov_b32 s0, s3
	s_mov_b64 s[10:11], 0
	s_andn2_b32 vcc_lo, exec_lo, s0
	s_mov_b64 s[0:1], 0
	s_cbranch_vccz .LBB443_3
	s_branch .LBB443_4
.LBB443_2:
	s_mov_b64 s[10:11], 0
	s_mov_b64 s[0:1], 0
.LBB443_3:
	s_load_dwordx4 s[16:19], s[4:5], 0x18
	s_lshl_b64 s[0:1], s[2:3], 3
	s_waitcnt lgkmcnt(0)
	s_add_u32 s0, s16, s0
	s_addc_u32 s1, s17, s1
	s_lshl_b64 s[16:17], s[18:19], 1
	s_load_dwordx2 s[0:1], s[0:1], 0x0
	s_waitcnt lgkmcnt(0)
	s_add_u32 s0, s0, s16
	s_addc_u32 s1, s1, s17
.LBB443_4:
	s_andn2_b32 vcc_lo, exec_lo, s8
	s_cbranch_vccnz .LBB443_6
; %bb.5:
	s_load_dwordx4 s[8:11], s[4:5], 0x38
	s_lshl_b64 s[16:17], s[2:3], 3
	s_waitcnt lgkmcnt(0)
	s_add_u32 s8, s8, s16
	s_addc_u32 s9, s9, s17
	s_lshl_b64 s[10:11], s[10:11], 1
	s_load_dwordx2 s[8:9], s[8:9], 0x0
	s_waitcnt lgkmcnt(0)
	s_add_u32 s10, s8, s10
	s_addc_u32 s11, s9, s11
.LBB443_6:
	s_clause 0x1
	s_load_dword s16, s[4:5], 0x68
	s_load_dwordx2 s[8:9], s[4:5], 0x58
	s_ashr_i32 s19, s13, 31
	s_mul_hi_u32 s3, s2, s13
	s_mul_i32 s15, s2, s19
	s_mul_i32 s2, s2, s13
	s_add_i32 s3, s3, s15
	s_mov_b32 s17, 0
	s_waitcnt lgkmcnt(0)
	s_mul_i32 s3, s3, s16
	s_mul_hi_u32 s15, s2, s16
	s_mul_i32 s2, s2, s16
	s_add_i32 s3, s15, s3
	s_lshl_b64 s[2:3], s[2:3], 2
	s_add_u32 s28, s8, s2
	s_addc_u32 s29, s9, s3
	s_andn2_b32 vcc_lo, exec_lo, s7
	s_mov_b32 s2, -1
	s_cbranch_vccnz .LBB443_11
; %bb.7:
	v_cmp_eq_u32_e32 vcc_lo, 0, v0
	s_cmp_gt_i32 s13, 0
	s_cselect_b32 s2, -1, 0
	s_and_b32 s2, vcc_lo, s2
	s_and_saveexec_b32 s15, s2
	s_cbranch_execz .LBB443_10
; %bb.8:
	s_mov_b32 s7, 0
	v_mov_b32_e32 v1, 0
	s_lshl_b64 s[2:3], s[6:7], 2
	s_mov_b32 s7, s13
	s_add_u32 s2, s28, s2
	s_addc_u32 s3, s29, s3
	s_lshl_b64 s[8:9], s[16:17], 2
.LBB443_9:                              ; =>This Inner Loop Header: Depth=1
	s_add_i32 s7, s7, -1
	global_store_dword v1, v1, s[2:3]
	s_add_u32 s2, s2, s8
	s_addc_u32 s3, s3, s9
	s_cmp_eq_u32 s7, 0
	s_cbranch_scc0 .LBB443_9
.LBB443_10:
	s_or_b32 exec_lo, exec_lo, s15
	s_mov_b32 s2, 0
.LBB443_11:
	s_andn2_b32 vcc_lo, exec_lo, s2
	s_cbranch_vccnz .LBB443_86
; %bb.12:
	s_clause 0x1
	s_load_dword s18, s[4:5], 0x28
	s_load_dword s15, s[4:5], 0x48
	s_lshl_b32 s2, s6, 10
	s_lshr_b32 s3, s19, 30
	v_lshl_or_b32 v1, v0, 2, s2
	s_ashr_i32 s2, s12, 31
	s_add_i32 s3, s13, s3
	s_lshr_b32 s2, s2, 30
	v_and_b32_e32 v21, 31, v0
	v_ashrrev_i32_e32 v2, 31, v1
	s_add_i32 s2, s12, s2
	v_add_nc_u32_e32 v24, 4, v1
	s_and_b32 s2, s2, -4
	v_mbcnt_lo_u32_b32 v23, -1, 0
	v_lshlrev_b64 v[2:3], 1, v[1:2]
	s_sub_i32 s17, s12, s2
	v_lshrrev_b32_e32 v22, 3, v0
	v_add_nc_u32_e32 v25, s17, v1
	v_cmp_eq_u32_e64 s2, 0, v0
	s_and_b32 s30, s3, -4
	v_add_co_u32 v19, vcc_lo, s0, v2
	s_waitcnt lgkmcnt(0)
	v_mul_lo_u32 v9, s15, v1
	v_add_co_ci_u32_e64 v20, null, s1, v3, vcc_lo
	v_cmp_gt_u32_e64 s0, 32, v0
	v_cmp_gt_u32_e64 s1, 8, v0
	s_cmp_lt_i32 s30, 1
	s_cbranch_scc1 .LBB443_61
; %bb.13:
	v_cmp_gt_u32_e32 vcc_lo, 24, v23
	v_mul_lo_u32 v10, s15, v1
	s_cmp_gt_i32 s17, 0
	s_mov_b32 s9, 0
	v_cmp_ge_i32_e64 s3, s12, v24
	v_cndmask_b32_e64 v2, 0, 8, vcc_lo
	v_cmp_gt_u32_e32 vcc_lo, 28, v23
	v_cmp_ge_i32_e64 s4, s12, v25
	v_lshl_or_b32 v26, v23, 2, 64
	v_add_nc_u32_e32 v1, s15, v10
	v_ashrrev_i32_e32 v11, 31, v10
	v_cndmask_b32_e64 v3, 0, 4, vcc_lo
	v_cmp_gt_u32_e32 vcc_lo, 30, v23
	v_add_lshl_u32 v27, v2, v23, 2
	v_ashrrev_i32_e32 v2, 31, v1
	v_cmp_eq_u32_e64 s5, 0, v21
	v_add_lshl_u32 v28, v3, v23, 2
	v_cndmask_b32_e64 v4, 0, 2, vcc_lo
	v_cmp_ne_u32_e32 vcc_lo, 31, v23
	v_add_nc_u32_e32 v3, s15, v1
	v_lshlrev_b64 v[1:2], 1, v[1:2]
	v_lshlrev_b32_e32 v31, 2, v21
	v_add_lshl_u32 v29, v4, v23, 2
	v_add_co_ci_u32_e64 v5, null, 0, v23, vcc_lo
	v_add_nc_u32_e32 v7, s15, v3
	v_ashrrev_i32_e32 v4, 31, v3
	v_and_b32_e32 v32, 28, v22
	v_lshlrev_b32_e32 v30, 2, v5
	v_lshlrev_b64 v[5:6], 1, v[10:11]
	v_ashrrev_i32_e32 v8, 31, v7
	v_lshlrev_b64 v[3:4], 1, v[3:4]
	s_cselect_b32 s31, -1, 0
	s_mov_b32 s19, s9
	s_lshl_b32 s8, s18, 1
	v_add_co_u32 v11, vcc_lo, s10, v5
	v_add_co_ci_u32_e64 v12, null, s11, v6, vcc_lo
	v_add_co_u32 v13, vcc_lo, s10, v1
	v_mov_b32_e32 v5, 0
	v_add_co_ci_u32_e64 v14, null, s11, v2, vcc_lo
	v_lshlrev_b64 v[1:2], 1, v[7:8]
	v_add_co_u32 v15, vcc_lo, s10, v3
	v_mov_b32_e32 v6, v5
	v_mov_b32_e32 v7, v5
	;; [unrolled: 1-line block ×3, first 2 shown]
	v_add_co_ci_u32_e64 v16, null, s11, v4, vcc_lo
	v_add_co_u32 v17, vcc_lo, s10, v1
	v_add_co_ci_u32_e64 v18, null, s11, v2, vcc_lo
	v_mov_b32_e32 v1, v5
	v_mov_b32_e32 v2, v6
	;; [unrolled: 1-line block ×4, first 2 shown]
	s_lshl_b32 s33, s18, 2
	s_mul_i32 s34, s18, 3
	s_mov_b32 s35, s9
	s_mov_b32 s20, s9
	s_mov_b64 s[22:23], s[8:9]
	s_mov_b64 s[24:25], s[18:19]
	s_mov_b32 s19, 0
	s_branch .LBB443_15
.LBB443_14:                             ;   in Loop: Header=BB443_15 Depth=1
	s_or_b32 exec_lo, exec_lo, s7
	s_add_i32 s19, s19, 4
	s_add_u32 s24, s24, s33
	s_addc_u32 s25, s25, 0
	s_add_u32 s22, s22, s33
	s_addc_u32 s23, s23, 0
	;; [unrolled: 2-line block ×3, first 2 shown]
	s_add_i32 s20, s20, s33
	s_cmp_ge_i32 s19, s30
	s_cbranch_scc1 .LBB443_62
.LBB443_15:                             ; =>This Loop Header: Depth=1
                                        ;     Child Loop BB443_46 Depth 2
                                        ;     Child Loop BB443_49 Depth 2
                                        ; implicit-def: $vgpr8
                                        ; implicit-def: $vgpr33
                                        ; implicit-def: $vgpr34
                                        ; implicit-def: $vgpr35
	s_and_saveexec_b32 s7, s3
	s_xor_b32 s7, exec_lo, s7
	s_cbranch_execnz .LBB443_42
; %bb.16:                               ;   in Loop: Header=BB443_15 Depth=1
	s_andn2_saveexec_b32 s36, s7
	s_cbranch_execnz .LBB443_43
.LBB443_17:                             ;   in Loop: Header=BB443_15 Depth=1
	s_or_b32 exec_lo, exec_lo, s36
	s_and_saveexec_b32 s7, s0
.LBB443_18:                             ;   in Loop: Header=BB443_15 Depth=1
	ds_write_b32 v31, v5
.LBB443_19:                             ;   in Loop: Header=BB443_15 Depth=1
	s_or_b32 exec_lo, exec_lo, s7
	ds_bpermute_b32 v6, v26, v35
	s_waitcnt lgkmcnt(0)
	s_waitcnt_vscnt null, 0x0
	s_barrier
	buffer_gl0_inv
	v_add_f32_e32 v6, v35, v6
	ds_bpermute_b32 v7, v27, v6
	s_waitcnt lgkmcnt(0)
	v_add_f32_e32 v6, v6, v7
	ds_bpermute_b32 v7, v28, v6
	s_waitcnt lgkmcnt(0)
	;; [unrolled: 3-line block ×3, first 2 shown]
	v_add_f32_e32 v6, v6, v7
	ds_bpermute_b32 v7, v30, v6
	s_and_saveexec_b32 s7, s5
	s_cbranch_execz .LBB443_21
; %bb.20:                               ;   in Loop: Header=BB443_15 Depth=1
	s_waitcnt lgkmcnt(0)
	v_add_f32_e32 v6, v6, v7
	ds_write_b32 v32, v6
.LBB443_21:                             ;   in Loop: Header=BB443_15 Depth=1
	s_or_b32 exec_lo, exec_lo, s7
	v_mov_b32_e32 v6, 0
	s_waitcnt lgkmcnt(0)
	s_barrier
	buffer_gl0_inv
	s_and_saveexec_b32 s7, s1
	s_cbranch_execnz .LBB443_50
; %bb.22:                               ;   in Loop: Header=BB443_15 Depth=1
	s_or_b32 exec_lo, exec_lo, s7
	s_and_saveexec_b32 s7, s0
	s_cbranch_execnz .LBB443_51
.LBB443_23:                             ;   in Loop: Header=BB443_15 Depth=1
	s_or_b32 exec_lo, exec_lo, s7
	s_and_saveexec_b32 s7, s0
.LBB443_24:                             ;   in Loop: Header=BB443_15 Depth=1
	ds_write_b32 v31, v5
.LBB443_25:                             ;   in Loop: Header=BB443_15 Depth=1
	s_or_b32 exec_lo, exec_lo, s7
	ds_bpermute_b32 v7, v26, v34
	s_waitcnt lgkmcnt(0)
	s_barrier
	buffer_gl0_inv
	v_add_f32_e32 v7, v34, v7
	ds_bpermute_b32 v34, v27, v7
	s_waitcnt lgkmcnt(0)
	v_add_f32_e32 v7, v7, v34
	ds_bpermute_b32 v34, v28, v7
	s_waitcnt lgkmcnt(0)
	;; [unrolled: 3-line block ×3, first 2 shown]
	v_add_f32_e32 v7, v7, v34
	ds_bpermute_b32 v34, v30, v7
	s_and_saveexec_b32 s7, s5
	s_cbranch_execz .LBB443_27
; %bb.26:                               ;   in Loop: Header=BB443_15 Depth=1
	s_waitcnt lgkmcnt(0)
	v_add_f32_e32 v7, v7, v34
	ds_write_b32 v32, v7
.LBB443_27:                             ;   in Loop: Header=BB443_15 Depth=1
	s_or_b32 exec_lo, exec_lo, s7
	v_mov_b32_e32 v7, 0
	s_waitcnt lgkmcnt(0)
	s_barrier
	buffer_gl0_inv
	s_and_saveexec_b32 s7, s1
	s_cbranch_execnz .LBB443_52
; %bb.28:                               ;   in Loop: Header=BB443_15 Depth=1
	s_or_b32 exec_lo, exec_lo, s7
	s_and_saveexec_b32 s7, s0
	s_cbranch_execnz .LBB443_53
.LBB443_29:                             ;   in Loop: Header=BB443_15 Depth=1
	s_or_b32 exec_lo, exec_lo, s7
	s_and_saveexec_b32 s7, s0
.LBB443_30:                             ;   in Loop: Header=BB443_15 Depth=1
	ds_write_b32 v31, v5
.LBB443_31:                             ;   in Loop: Header=BB443_15 Depth=1
	s_or_b32 exec_lo, exec_lo, s7
	ds_bpermute_b32 v34, v26, v33
	s_waitcnt lgkmcnt(0)
	s_barrier
	buffer_gl0_inv
	v_add_f32_e32 v33, v33, v34
	ds_bpermute_b32 v34, v27, v33
	s_waitcnt lgkmcnt(0)
	v_add_f32_e32 v33, v33, v34
	ds_bpermute_b32 v34, v28, v33
	s_waitcnt lgkmcnt(0)
	;; [unrolled: 3-line block ×3, first 2 shown]
	v_add_f32_e32 v33, v33, v34
	ds_bpermute_b32 v34, v30, v33
	s_and_saveexec_b32 s7, s5
	s_cbranch_execz .LBB443_33
; %bb.32:                               ;   in Loop: Header=BB443_15 Depth=1
	s_waitcnt lgkmcnt(0)
	v_add_f32_e32 v33, v33, v34
	ds_write_b32 v32, v33
.LBB443_33:                             ;   in Loop: Header=BB443_15 Depth=1
	s_or_b32 exec_lo, exec_lo, s7
	v_mov_b32_e32 v33, 0
	s_waitcnt lgkmcnt(0)
	s_barrier
	buffer_gl0_inv
	s_and_saveexec_b32 s7, s1
	s_cbranch_execnz .LBB443_54
; %bb.34:                               ;   in Loop: Header=BB443_15 Depth=1
	s_or_b32 exec_lo, exec_lo, s7
	s_and_saveexec_b32 s7, s0
	s_cbranch_execnz .LBB443_55
.LBB443_35:                             ;   in Loop: Header=BB443_15 Depth=1
	s_or_b32 exec_lo, exec_lo, s7
	s_and_saveexec_b32 s7, s0
.LBB443_36:                             ;   in Loop: Header=BB443_15 Depth=1
	ds_write_b32 v31, v5
.LBB443_37:                             ;   in Loop: Header=BB443_15 Depth=1
	s_or_b32 exec_lo, exec_lo, s7
	ds_bpermute_b32 v34, v26, v8
	s_waitcnt lgkmcnt(0)
	s_barrier
	buffer_gl0_inv
	v_add_f32_e32 v8, v8, v34
	ds_bpermute_b32 v34, v27, v8
	s_waitcnt lgkmcnt(0)
	v_add_f32_e32 v8, v8, v34
	ds_bpermute_b32 v34, v28, v8
	s_waitcnt lgkmcnt(0)
	;; [unrolled: 3-line block ×3, first 2 shown]
	v_add_f32_e32 v8, v8, v34
	ds_bpermute_b32 v34, v30, v8
	s_and_saveexec_b32 s7, s5
	s_cbranch_execz .LBB443_39
; %bb.38:                               ;   in Loop: Header=BB443_15 Depth=1
	s_waitcnt lgkmcnt(0)
	v_add_f32_e32 v8, v8, v34
	ds_write_b32 v32, v8
.LBB443_39:                             ;   in Loop: Header=BB443_15 Depth=1
	s_or_b32 exec_lo, exec_lo, s7
	v_mov_b32_e32 v8, 0
	s_waitcnt lgkmcnt(0)
	s_barrier
	buffer_gl0_inv
	s_and_saveexec_b32 s7, s1
	s_cbranch_execnz .LBB443_56
; %bb.40:                               ;   in Loop: Header=BB443_15 Depth=1
	s_or_b32 exec_lo, exec_lo, s7
	s_and_saveexec_b32 s7, s0
	s_cbranch_execnz .LBB443_57
.LBB443_41:                             ;   in Loop: Header=BB443_15 Depth=1
	s_or_b32 exec_lo, exec_lo, s7
	s_and_saveexec_b32 s7, s2
	s_cbranch_execz .LBB443_14
	s_branch .LBB443_58
.LBB443_42:                             ;   in Loop: Header=BB443_15 Depth=1
	s_mul_i32 s26, s19, s18
	s_ashr_i32 s27, s26, 31
	s_add_i32 s36, s26, s18
	s_lshl_b64 s[26:27], s[26:27], 1
	s_ashr_i32 s37, s36, 31
	v_add_co_u32 v1, vcc_lo, v19, s26
	v_add_co_ci_u32_e64 v2, null, s27, v20, vcc_lo
	s_lshl_b64 s[26:27], s[36:37], 1
	s_add_i32 s36, s36, s18
	v_add_co_u32 v3, vcc_lo, v19, s26
	s_ashr_i32 s37, s36, 31
	s_add_i32 s26, s36, s18
	v_add_co_ci_u32_e64 v4, null, s27, v20, vcc_lo
	s_lshl_b64 s[36:37], s[36:37], 1
	s_ashr_i32 s27, s26, 31
	v_add_co_u32 v6, vcc_lo, v19, s36
	s_lshl_b64 s[26:27], s[26:27], 1
	v_add_co_ci_u32_e64 v7, null, s37, v20, vcc_lo
	v_add_co_u32 v33, vcc_lo, v19, s26
	v_add_co_ci_u32_e64 v34, null, s27, v20, vcc_lo
	s_waitcnt lgkmcnt(0)
	flat_load_ushort v8, v[11:12]
	s_clause 0x3
	flat_load_dwordx2 v[35:36], v[1:2]
	flat_load_dwordx2 v[37:38], v[3:4]
	;; [unrolled: 1-line block ×4, first 2 shown]
	s_clause 0x2
	flat_load_ushort v3, v[13:14]
	flat_load_ushort v4, v[15:16]
	flat_load_ushort v41, v[17:18]
	s_waitcnt vmcnt(7) lgkmcnt(7)
	v_cvt_f32_f16_e32 v1, v8
	s_waitcnt vmcnt(6) lgkmcnt(6)
	v_fma_mix_f32 v33, v8, v35, 0 op_sel_hi:[1,1,0]
	s_waitcnt vmcnt(5) lgkmcnt(5)
	v_fma_mix_f32 v34, v8, v37, 0 op_sel_hi:[1,1,0]
	s_waitcnt vmcnt(4) lgkmcnt(4)
	v_fma_mix_f32 v42, v8, v6, 0 op_sel_hi:[1,1,0]
	s_waitcnt vmcnt(3) lgkmcnt(3)
	v_fma_mix_f32 v8, v8, v39, 0 op_sel_hi:[1,1,0]
	s_waitcnt vmcnt(2) lgkmcnt(2)
	v_cvt_f32_f16_e32 v2, v3
	v_fma_mix_f32 v33, v3, v35, v33 op_sel:[0,1,0] op_sel_hi:[1,1,0]
	v_fma_mix_f32 v34, v3, v37, v34 op_sel:[0,1,0] op_sel_hi:[1,1,0]
	v_fma_mix_f32 v6, v3, v6, v42 op_sel:[0,1,0] op_sel_hi:[1,1,0]
	v_fma_mix_f32 v8, v3, v39, v8 op_sel:[0,1,0] op_sel_hi:[1,1,0]
	s_waitcnt vmcnt(1) lgkmcnt(1)
	v_cvt_f32_f16_e32 v3, v4
	v_fma_mix_f32 v33, v4, v36, v33 op_sel_hi:[1,1,0]
	v_fma_mix_f32 v34, v4, v38, v34 op_sel_hi:[1,1,0]
	;; [unrolled: 1-line block ×4, first 2 shown]
	s_waitcnt vmcnt(0) lgkmcnt(0)
	v_cvt_f32_f16_e32 v4, v41
	v_fma_mix_f32 v35, v41, v36, v33 op_sel:[0,1,0] op_sel_hi:[1,1,0]
	v_fma_mix_f32 v34, v41, v38, v34 op_sel:[0,1,0] op_sel_hi:[1,1,0]
	;; [unrolled: 1-line block ×4, first 2 shown]
	s_andn2_saveexec_b32 s36, s7
	s_cbranch_execz .LBB443_17
.LBB443_43:                             ;   in Loop: Header=BB443_15 Depth=1
	s_waitcnt lgkmcnt(0)
	v_mov_b32_e32 v8, 0
	v_mov_b32_e32 v33, 0
	;; [unrolled: 1-line block ×4, first 2 shown]
	s_and_saveexec_b32 s37, s4
	s_cbranch_execz .LBB443_60
; %bb.44:                               ;   in Loop: Header=BB443_15 Depth=1
	s_andn2_b32 vcc_lo, exec_lo, s31
	s_cbranch_vccnz .LBB443_47
; %bb.45:                               ;   in Loop: Header=BB443_15 Depth=1
	v_mov_b32_e32 v6, v10
	s_mov_b64 s[26:27], 0
	.p2align	6
.LBB443_46:                             ;   Parent Loop BB443_15 Depth=1
                                        ; =>  This Inner Loop Header: Depth=2
	v_ashrrev_i32_e32 v7, 31, v6
	s_cmp_eq_u32 s26, 3
	v_lshlrev_b64 v[7:8], 1, v[6:7]
	v_add_nc_u32_e32 v6, s15, v6
	v_add_co_u32 v7, vcc_lo, s10, v7
	v_add_co_ci_u32_e64 v8, null, s11, v8, vcc_lo
	s_cselect_b32 vcc_lo, -1, 0
	s_cmp_eq_u32 s26, 2
	s_cselect_b32 s7, -1, 0
	flat_load_ushort v7, v[7:8]
	s_cmp_eq_u32 s26, 1
	s_cselect_b32 s8, -1, 0
	s_cmp_eq_u32 s26, 0
	s_waitcnt vmcnt(0) lgkmcnt(0)
	v_cvt_f32_f16_e32 v7, v7
	v_cndmask_b32_e32 v4, v4, v7, vcc_lo
	s_cselect_b32 vcc_lo, -1, 0
	v_cndmask_b32_e64 v3, v3, v7, s7
	v_cndmask_b32_e64 v2, v2, v7, s8
	v_cndmask_b32_e32 v1, v1, v7, vcc_lo
	s_add_u32 s26, s26, 1
	s_addc_u32 s27, s27, 0
	s_cmp_eq_u32 s17, s26
	s_cbranch_scc0 .LBB443_46
.LBB443_47:                             ;   in Loop: Header=BB443_15 Depth=1
	s_andn2_b32 vcc_lo, exec_lo, s31
	s_cbranch_vccnz .LBB443_59
; %bb.48:                               ;   in Loop: Header=BB443_15 Depth=1
	s_ashr_i32 s21, s20, 31
	v_mov_b32_e32 v35, 0
	s_lshl_b64 s[26:27], s[20:21], 1
	v_mov_b32_e32 v34, 0
	v_add_co_u32 v6, vcc_lo, v19, s26
	v_add_co_ci_u32_e64 v7, null, s27, v20, vcc_lo
	v_mov_b32_e32 v33, 0
	v_mov_b32_e32 v8, 0
	s_mov_b64 s[26:27], 0
.LBB443_49:                             ;   Parent Loop BB443_15 Depth=1
                                        ; =>  This Inner Loop Header: Depth=2
	s_cmp_eq_u32 s26, 1
	s_cselect_b32 vcc_lo, -1, 0
	s_cmp_eq_u32 s26, 2
	v_cndmask_b32_e32 v36, v1, v2, vcc_lo
	s_cselect_b32 vcc_lo, -1, 0
	s_cmp_eq_u32 s26, 3
	v_cndmask_b32_e32 v42, v36, v3, vcc_lo
	s_cselect_b32 vcc_lo, -1, 0
	s_add_i32 s38, s24, s26
	s_add_i32 s40, s22, s26
	s_ashr_i32 s39, s38, 31
	s_add_i32 s42, s34, s26
	s_ashr_i32 s41, s40, 31
	s_lshl_b64 s[38:39], s[38:39], 1
	s_ashr_i32 s43, s42, 31
	s_lshl_b64 s[40:41], s[40:41], 1
	v_add_co_u32 v36, s7, v19, s38
	s_lshl_b64 s[42:43], s[42:43], 1
	v_add_co_ci_u32_e64 v37, null, s39, v20, s7
	v_add_co_u32 v38, s7, v19, s40
	v_add_co_ci_u32_e64 v39, null, s41, v20, s7
	v_add_co_u32 v40, s7, v19, s42
	v_add_co_ci_u32_e64 v41, null, s43, v20, s7
	flat_load_ushort v43, v[6:7]
	s_clause 0x2
	flat_load_ushort v36, v[36:37]
	flat_load_ushort v37, v[38:39]
	;; [unrolled: 1-line block ×3, first 2 shown]
	v_cndmask_b32_e32 v39, v42, v4, vcc_lo
	v_add_co_u32 v6, s7, v6, 2
	v_add_co_ci_u32_e64 v7, null, 0, v7, s7
	s_add_u32 s26, s26, 1
	s_addc_u32 s27, s27, 0
	s_cmp_lg_u32 s17, s26
	s_waitcnt vmcnt(3) lgkmcnt(3)
	v_fma_mix_f32 v35, v39, v43, v35 op_sel_hi:[0,1,0]
	s_waitcnt vmcnt(2) lgkmcnt(2)
	v_fma_mix_f32 v34, v39, v36, v34 op_sel_hi:[0,1,0]
	;; [unrolled: 2-line block ×4, first 2 shown]
	s_cbranch_scc1 .LBB443_49
	s_branch .LBB443_60
.LBB443_50:                             ;   in Loop: Header=BB443_15 Depth=1
	ds_read_b32 v6, v31
	s_or_b32 exec_lo, exec_lo, s7
	s_and_saveexec_b32 s7, s0
	s_cbranch_execz .LBB443_23
.LBB443_51:                             ;   in Loop: Header=BB443_15 Depth=1
	s_waitcnt lgkmcnt(0)
	ds_bpermute_b32 v7, v28, v6
	s_waitcnt lgkmcnt(0)
	v_add_f32_e32 v6, v6, v7
	ds_bpermute_b32 v7, v29, v6
	s_waitcnt lgkmcnt(0)
	v_add_f32_e32 v6, v6, v7
	;; [unrolled: 3-line block ×3, first 2 shown]
	s_or_b32 exec_lo, exec_lo, s7
	s_and_saveexec_b32 s7, s0
	s_cbranch_execnz .LBB443_24
	s_branch .LBB443_25
.LBB443_52:                             ;   in Loop: Header=BB443_15 Depth=1
	ds_read_b32 v7, v31
	s_or_b32 exec_lo, exec_lo, s7
	s_and_saveexec_b32 s7, s0
	s_cbranch_execz .LBB443_29
.LBB443_53:                             ;   in Loop: Header=BB443_15 Depth=1
	s_waitcnt lgkmcnt(0)
	ds_bpermute_b32 v34, v28, v7
	s_waitcnt lgkmcnt(0)
	v_add_f32_e32 v7, v7, v34
	ds_bpermute_b32 v34, v29, v7
	s_waitcnt lgkmcnt(0)
	v_add_f32_e32 v7, v7, v34
	;; [unrolled: 3-line block ×3, first 2 shown]
	s_or_b32 exec_lo, exec_lo, s7
	s_and_saveexec_b32 s7, s0
	s_cbranch_execnz .LBB443_30
	s_branch .LBB443_31
.LBB443_54:                             ;   in Loop: Header=BB443_15 Depth=1
	ds_read_b32 v33, v31
	s_or_b32 exec_lo, exec_lo, s7
	s_and_saveexec_b32 s7, s0
	s_cbranch_execz .LBB443_35
.LBB443_55:                             ;   in Loop: Header=BB443_15 Depth=1
	s_waitcnt lgkmcnt(0)
	ds_bpermute_b32 v34, v28, v33
	s_waitcnt lgkmcnt(0)
	v_add_f32_e32 v33, v33, v34
	ds_bpermute_b32 v34, v29, v33
	s_waitcnt lgkmcnt(0)
	v_add_f32_e32 v33, v33, v34
	;; [unrolled: 3-line block ×3, first 2 shown]
	s_or_b32 exec_lo, exec_lo, s7
	s_and_saveexec_b32 s7, s0
	s_cbranch_execnz .LBB443_36
	s_branch .LBB443_37
.LBB443_56:                             ;   in Loop: Header=BB443_15 Depth=1
	ds_read_b32 v8, v31
	s_or_b32 exec_lo, exec_lo, s7
	s_and_saveexec_b32 s7, s0
	s_cbranch_execz .LBB443_41
.LBB443_57:                             ;   in Loop: Header=BB443_15 Depth=1
	s_waitcnt lgkmcnt(0)
	ds_bpermute_b32 v34, v28, v8
	s_waitcnt lgkmcnt(0)
	v_add_f32_e32 v8, v8, v34
	ds_bpermute_b32 v34, v29, v8
	s_waitcnt lgkmcnt(0)
	v_add_f32_e32 v8, v8, v34
	;; [unrolled: 3-line block ×3, first 2 shown]
	s_or_b32 exec_lo, exec_lo, s7
	s_and_saveexec_b32 s7, s2
	s_cbranch_execz .LBB443_14
.LBB443_58:                             ;   in Loop: Header=BB443_15 Depth=1
	s_mul_i32 s8, s19, s16
	v_mul_f32_e32 v6, s14, v6
	s_add_i32 s8, s8, s6
	v_mul_f32_e32 v7, s14, v7
	s_lshl_b64 s[26:27], s[8:9], 2
	v_mul_f32_e32 v33, s14, v33
	s_add_u32 s26, s28, s26
	s_addc_u32 s27, s29, s27
	s_add_i32 s8, s8, s16
	global_store_dword v5, v6, s[26:27]
	s_lshl_b64 s[36:37], s[8:9], 2
	s_waitcnt lgkmcnt(0)
	v_mul_f32_e32 v6, s14, v8
	s_add_u32 s36, s28, s36
	s_addc_u32 s37, s29, s37
	s_add_i32 s8, s8, s16
	global_store_dword v5, v7, s[36:37]
	s_lshl_b64 s[38:39], s[8:9], 2
	s_add_u32 s26, s28, s38
	s_addc_u32 s27, s29, s39
	s_add_i32 s8, s8, s16
	s_lshl_b64 s[38:39], s[8:9], 2
	s_add_u32 s36, s28, s38
	s_addc_u32 s37, s29, s39
	global_store_dword v5, v33, s[26:27]
	global_store_dword v5, v6, s[36:37]
	s_branch .LBB443_14
.LBB443_59:                             ;   in Loop: Header=BB443_15 Depth=1
	v_mov_b32_e32 v8, 0
	v_mov_b32_e32 v33, 0
	;; [unrolled: 1-line block ×4, first 2 shown]
.LBB443_60:                             ;   in Loop: Header=BB443_15 Depth=1
	s_or_b32 exec_lo, exec_lo, s37
	s_or_b32 exec_lo, exec_lo, s36
	s_and_saveexec_b32 s7, s0
	s_cbranch_execnz .LBB443_18
	s_branch .LBB443_19
.LBB443_61:
	v_mov_b32_e32 v1, 0
	s_mov_b32 s19, 0
	v_mov_b32_e32 v2, v1
	v_mov_b32_e32 v3, v1
	;; [unrolled: 1-line block ×3, first 2 shown]
.LBB443_62:
	s_cmp_ge_i32 s19, s13
	s_cbranch_scc1 .LBB443_86
; %bb.63:
	v_cmp_gt_u32_e32 vcc_lo, 24, v23
	v_cmp_ge_i32_e64 s0, s12, v24
	v_lshl_or_b32 v17, v23, 2, 64
	v_ashrrev_i32_e32 v10, 31, v9
	v_cmp_ge_i32_e64 s1, s12, v25
	v_cndmask_b32_e64 v5, 0, 8, vcc_lo
	v_cmp_gt_u32_e32 vcc_lo, 28, v23
	s_cmp_gt_i32 s17, 0
	v_lshlrev_b64 v[10:11], 1, v[9:10]
	s_mov_b32 s7, 0
	v_add_lshl_u32 v18, v5, v23, 2
	v_cndmask_b32_e64 v6, 0, 4, vcc_lo
	v_cmp_gt_u32_e32 vcc_lo, 30, v23
	v_add_nc_u32_e32 v5, s15, v9
	s_cselect_b32 s12, -1, 0
	v_cmp_gt_u32_e64 s2, 32, v0
	v_add_lshl_u32 v24, v6, v23, 2
	v_cndmask_b32_e64 v7, 0, 2, vcc_lo
	v_cmp_ne_u32_e32 vcc_lo, 31, v23
	v_ashrrev_i32_e32 v6, 31, v5
	v_lshlrev_b32_e32 v16, 2, v21
	v_cmp_eq_u32_e64 s3, 0, v21
	v_and_b32_e32 v21, 28, v22
	s_waitcnt lgkmcnt(0)
	v_add_co_ci_u32_e64 v8, null, 0, v23, vcc_lo
	v_add_lshl_u32 v23, v7, v23, 2
	v_add_nc_u32_e32 v7, s15, v5
	v_lshlrev_b64 v[12:13], 1, v[5:6]
	v_lshlrev_b32_e32 v25, 2, v8
	v_add_co_u32 v5, vcc_lo, s10, v10
	v_add_nc_u32_e32 v14, s15, v7
	v_ashrrev_i32_e32 v8, 31, v7
	v_add_co_ci_u32_e64 v6, null, s11, v11, vcc_lo
	v_cmp_gt_u32_e64 s4, 8, v0
	v_ashrrev_i32_e32 v15, 31, v14
	v_lshlrev_b64 v[10:11], 1, v[7:8]
	v_add_co_u32 v7, vcc_lo, s10, v12
	v_add_co_ci_u32_e64 v8, null, s11, v13, vcc_lo
	v_lshlrev_b64 v[12:13], 1, v[14:15]
	v_add_co_u32 v10, vcc_lo, s10, v10
	v_add_co_ci_u32_e64 v11, null, s11, v11, vcc_lo
	v_cmp_eq_u32_e64 s5, 0, v0
	v_add_co_u32 v12, vcc_lo, s10, v12
	s_lshl_b64 s[8:9], s[6:7], 2
	v_add_co_ci_u32_e64 v13, null, s11, v13, vcc_lo
	v_mov_b32_e32 v0, 0
	s_add_u32 s24, s28, s8
	s_addc_u32 s25, s29, s9
	s_mul_i32 s20, s19, s18
	s_branch .LBB443_65
.LBB443_64:                             ;   in Loop: Header=BB443_65 Depth=1
	s_or_b32 exec_lo, exec_lo, s6
	s_add_i32 s19, s19, 1
	s_add_i32 s20, s20, s18
	s_cmp_ge_i32 s19, s13
	s_cbranch_scc1 .LBB443_86
.LBB443_65:                             ; =>This Loop Header: Depth=1
                                        ;     Child Loop BB443_78 Depth 2
                                        ;     Child Loop BB443_81 Depth 2
	v_mov_b32_e32 v22, s7
	s_and_saveexec_b32 s6, s0
	s_xor_b32 s6, exec_lo, s6
	s_cbranch_execnz .LBB443_74
; %bb.66:                               ;   in Loop: Header=BB443_65 Depth=1
	s_andn2_saveexec_b32 s26, s6
	s_cbranch_execnz .LBB443_75
.LBB443_67:                             ;   in Loop: Header=BB443_65 Depth=1
	s_or_b32 exec_lo, exec_lo, s26
	s_and_saveexec_b32 s6, s2
.LBB443_68:                             ;   in Loop: Header=BB443_65 Depth=1
	ds_write_b32 v16, v0
.LBB443_69:                             ;   in Loop: Header=BB443_65 Depth=1
	s_or_b32 exec_lo, exec_lo, s6
	s_waitcnt lgkmcnt(0)
	ds_bpermute_b32 v14, v17, v22
	s_waitcnt lgkmcnt(0)
	s_waitcnt_vscnt null, 0x0
	s_barrier
	buffer_gl0_inv
	v_add_f32_e32 v14, v22, v14
	ds_bpermute_b32 v15, v18, v14
	s_waitcnt lgkmcnt(0)
	v_add_f32_e32 v14, v14, v15
	ds_bpermute_b32 v15, v24, v14
	s_waitcnt lgkmcnt(0)
	;; [unrolled: 3-line block ×3, first 2 shown]
	v_add_f32_e32 v14, v14, v15
	ds_bpermute_b32 v15, v25, v14
	s_and_saveexec_b32 s6, s3
	s_cbranch_execz .LBB443_71
; %bb.70:                               ;   in Loop: Header=BB443_65 Depth=1
	s_waitcnt lgkmcnt(0)
	v_add_f32_e32 v14, v14, v15
	ds_write_b32 v21, v14
.LBB443_71:                             ;   in Loop: Header=BB443_65 Depth=1
	s_or_b32 exec_lo, exec_lo, s6
	v_mov_b32_e32 v14, 0
	s_waitcnt lgkmcnt(0)
	s_barrier
	buffer_gl0_inv
	s_and_saveexec_b32 s6, s4
	s_cbranch_execnz .LBB443_83
; %bb.72:                               ;   in Loop: Header=BB443_65 Depth=1
	s_or_b32 exec_lo, exec_lo, s6
	s_and_saveexec_b32 s6, s2
	s_cbranch_execnz .LBB443_84
.LBB443_73:                             ;   in Loop: Header=BB443_65 Depth=1
	s_or_b32 exec_lo, exec_lo, s6
	s_and_saveexec_b32 s6, s5
	s_cbranch_execz .LBB443_64
	s_branch .LBB443_85
.LBB443_74:                             ;   in Loop: Header=BB443_65 Depth=1
	s_mul_i32 s8, s19, s18
	s_ashr_i32 s9, s8, 31
	s_lshl_b64 s[8:9], s[8:9], 1
	v_add_co_u32 v1, vcc_lo, v19, s8
	v_add_co_ci_u32_e64 v2, null, s9, v20, vcc_lo
	s_waitcnt lgkmcnt(0)
	flat_load_dwordx2 v[14:15], v[1:2]
	s_clause 0x3
	flat_load_ushort v1, v[5:6]
	flat_load_ushort v2, v[7:8]
	;; [unrolled: 1-line block ×4, first 2 shown]
	s_waitcnt vmcnt(3) lgkmcnt(3)
	v_fma_mix_f32 v4, v1, v14, 0 op_sel_hi:[1,1,0]
	v_cvt_f32_f16_e32 v1, v1
	s_waitcnt vmcnt(2) lgkmcnt(2)
	v_fma_mix_f32 v4, v2, v14, v4 op_sel:[0,1,0] op_sel_hi:[1,1,0]
	v_cvt_f32_f16_e32 v2, v2
	s_waitcnt vmcnt(1) lgkmcnt(1)
	v_fma_mix_f32 v14, v3, v15, v4 op_sel_hi:[1,1,0]
	v_cvt_f32_f16_e32 v3, v3
	s_waitcnt vmcnt(0) lgkmcnt(0)
	v_cvt_f32_f16_e32 v4, v22
	v_fma_mix_f32 v22, v22, v15, v14 op_sel:[0,1,0] op_sel_hi:[1,1,0]
	s_andn2_saveexec_b32 s26, s6
	s_cbranch_execz .LBB443_67
.LBB443_75:                             ;   in Loop: Header=BB443_65 Depth=1
	s_and_saveexec_b32 s27, s1
	s_cbranch_execz .LBB443_82
; %bb.76:                               ;   in Loop: Header=BB443_65 Depth=1
	s_andn2_b32 vcc_lo, exec_lo, s12
	s_cbranch_vccnz .LBB443_79
; %bb.77:                               ;   in Loop: Header=BB443_65 Depth=1
	s_waitcnt lgkmcnt(0)
	v_mov_b32_e32 v14, v9
	s_mov_b64 s[22:23], 0
	.p2align	6
.LBB443_78:                             ;   Parent Loop BB443_65 Depth=1
                                        ; =>  This Inner Loop Header: Depth=2
	v_ashrrev_i32_e32 v15, 31, v14
	s_cmp_eq_u32 s22, 3
	v_lshlrev_b64 v[26:27], 1, v[14:15]
	v_add_nc_u32_e32 v14, s15, v14
	v_add_co_u32 v26, vcc_lo, s10, v26
	v_add_co_ci_u32_e64 v27, null, s11, v27, vcc_lo
	s_cselect_b32 vcc_lo, -1, 0
	s_cmp_eq_u32 s22, 2
	s_cselect_b32 s6, -1, 0
	flat_load_ushort v15, v[26:27]
	s_cmp_eq_u32 s22, 1
	s_cselect_b32 s8, -1, 0
	s_cmp_eq_u32 s22, 0
	s_waitcnt vmcnt(0) lgkmcnt(0)
	v_cvt_f32_f16_e32 v15, v15
	v_cndmask_b32_e32 v4, v4, v15, vcc_lo
	s_cselect_b32 vcc_lo, -1, 0
	v_cndmask_b32_e64 v3, v3, v15, s6
	v_cndmask_b32_e64 v2, v2, v15, s8
	v_cndmask_b32_e32 v1, v1, v15, vcc_lo
	s_add_u32 s22, s22, 1
	s_addc_u32 s23, s23, 0
	s_cmp_eq_u32 s17, s22
	s_cbranch_scc0 .LBB443_78
.LBB443_79:                             ;   in Loop: Header=BB443_65 Depth=1
	s_andn2_b32 vcc_lo, exec_lo, s12
	s_cbranch_vccnz .LBB443_82
; %bb.80:                               ;   in Loop: Header=BB443_65 Depth=1
	s_ashr_i32 s21, s20, 31
	s_lshl_b64 s[8:9], s[20:21], 1
	s_waitcnt lgkmcnt(0)
	v_add_co_u32 v14, vcc_lo, v19, s8
	v_add_co_ci_u32_e64 v15, null, s9, v20, vcc_lo
	s_mov_b64 s[8:9], 0
	.p2align	6
.LBB443_81:                             ;   Parent Loop BB443_65 Depth=1
                                        ; =>  This Inner Loop Header: Depth=2
	flat_load_ushort v26, v[14:15]
	s_cmp_eq_u32 s8, 1
	s_cselect_b32 vcc_lo, -1, 0
	s_cmp_eq_u32 s8, 2
	v_cndmask_b32_e32 v27, v1, v2, vcc_lo
	s_cselect_b32 vcc_lo, -1, 0
	s_cmp_eq_u32 s8, 3
	v_cndmask_b32_e32 v27, v27, v3, vcc_lo
	s_cselect_b32 vcc_lo, -1, 0
	s_add_u32 s8, s8, 1
	s_addc_u32 s9, s9, 0
	s_cmp_lg_u32 s17, s8
	v_cndmask_b32_e32 v27, v27, v4, vcc_lo
	v_add_co_u32 v14, vcc_lo, v14, 2
	v_add_co_ci_u32_e64 v15, null, 0, v15, vcc_lo
	s_waitcnt vmcnt(0) lgkmcnt(0)
	v_fma_mix_f32 v22, v27, v26, v22 op_sel_hi:[0,1,0]
	s_cbranch_scc1 .LBB443_81
.LBB443_82:                             ;   in Loop: Header=BB443_65 Depth=1
	s_or_b32 exec_lo, exec_lo, s27
	s_or_b32 exec_lo, exec_lo, s26
	s_and_saveexec_b32 s6, s2
	s_cbranch_execnz .LBB443_68
	s_branch .LBB443_69
.LBB443_83:                             ;   in Loop: Header=BB443_65 Depth=1
	ds_read_b32 v14, v16
	s_or_b32 exec_lo, exec_lo, s6
	s_and_saveexec_b32 s6, s2
	s_cbranch_execz .LBB443_73
.LBB443_84:                             ;   in Loop: Header=BB443_65 Depth=1
	s_waitcnt lgkmcnt(0)
	ds_bpermute_b32 v15, v24, v14
	s_waitcnt lgkmcnt(0)
	v_add_f32_e32 v14, v14, v15
	ds_bpermute_b32 v15, v23, v14
	s_waitcnt lgkmcnt(0)
	v_add_f32_e32 v14, v14, v15
	;; [unrolled: 3-line block ×3, first 2 shown]
	s_or_b32 exec_lo, exec_lo, s6
	s_and_saveexec_b32 s6, s5
	s_cbranch_execz .LBB443_64
.LBB443_85:                             ;   in Loop: Header=BB443_65 Depth=1
	s_mul_hi_u32 s9, s19, s16
	s_mul_i32 s8, s19, s16
	s_waitcnt lgkmcnt(0)
	v_mul_f32_e32 v14, s14, v14
	s_lshl_b64 s[8:9], s[8:9], 2
	s_add_u32 s8, s24, s8
	s_addc_u32 s9, s25, s9
	global_store_dword v0, v14, s[8:9]
	s_branch .LBB443_64
.LBB443_86:
	s_endpgm
	.section	.rodata,"a",@progbits
	.p2align	6, 0x0
	.amdhsa_kernel _ZL23rocblas_gemvt_sn_kernelILb0ELi256ELi4EiPKDF16_ffEviiT4_lPKT3_lilS5_lilPT5_i
		.amdhsa_group_segment_fixed_size 128
		.amdhsa_private_segment_fixed_size 0
		.amdhsa_kernarg_size 360
		.amdhsa_user_sgpr_count 6
		.amdhsa_user_sgpr_private_segment_buffer 1
		.amdhsa_user_sgpr_dispatch_ptr 0
		.amdhsa_user_sgpr_queue_ptr 0
		.amdhsa_user_sgpr_kernarg_segment_ptr 1
		.amdhsa_user_sgpr_dispatch_id 0
		.amdhsa_user_sgpr_flat_scratch_init 0
		.amdhsa_user_sgpr_private_segment_size 0
		.amdhsa_wavefront_size32 1
		.amdhsa_uses_dynamic_stack 0
		.amdhsa_system_sgpr_private_segment_wavefront_offset 0
		.amdhsa_system_sgpr_workgroup_id_x 1
		.amdhsa_system_sgpr_workgroup_id_y 0
		.amdhsa_system_sgpr_workgroup_id_z 1
		.amdhsa_system_sgpr_workgroup_info 0
		.amdhsa_system_vgpr_workitem_id 0
		.amdhsa_next_free_vgpr 44
		.amdhsa_next_free_sgpr 44
		.amdhsa_reserve_vcc 1
		.amdhsa_reserve_flat_scratch 1
		.amdhsa_float_round_mode_32 0
		.amdhsa_float_round_mode_16_64 0
		.amdhsa_float_denorm_mode_32 3
		.amdhsa_float_denorm_mode_16_64 3
		.amdhsa_dx10_clamp 1
		.amdhsa_ieee_mode 1
		.amdhsa_fp16_overflow 0
		.amdhsa_workgroup_processor_mode 1
		.amdhsa_memory_ordered 1
		.amdhsa_forward_progress 1
		.amdhsa_shared_vgpr_count 0
		.amdhsa_exception_fp_ieee_invalid_op 0
		.amdhsa_exception_fp_denorm_src 0
		.amdhsa_exception_fp_ieee_div_zero 0
		.amdhsa_exception_fp_ieee_overflow 0
		.amdhsa_exception_fp_ieee_underflow 0
		.amdhsa_exception_fp_ieee_inexact 0
		.amdhsa_exception_int_div_zero 0
	.end_amdhsa_kernel
	.section	.text._ZL23rocblas_gemvt_sn_kernelILb0ELi256ELi4EiPKDF16_ffEviiT4_lPKT3_lilS5_lilPT5_i,"axG",@progbits,_ZL23rocblas_gemvt_sn_kernelILb0ELi256ELi4EiPKDF16_ffEviiT4_lPKT3_lilS5_lilPT5_i,comdat
.Lfunc_end443:
	.size	_ZL23rocblas_gemvt_sn_kernelILb0ELi256ELi4EiPKDF16_ffEviiT4_lPKT3_lilS5_lilPT5_i, .Lfunc_end443-_ZL23rocblas_gemvt_sn_kernelILb0ELi256ELi4EiPKDF16_ffEviiT4_lPKT3_lilS5_lilPT5_i
                                        ; -- End function
	.set _ZL23rocblas_gemvt_sn_kernelILb0ELi256ELi4EiPKDF16_ffEviiT4_lPKT3_lilS5_lilPT5_i.num_vgpr, 44
	.set _ZL23rocblas_gemvt_sn_kernelILb0ELi256ELi4EiPKDF16_ffEviiT4_lPKT3_lilS5_lilPT5_i.num_agpr, 0
	.set _ZL23rocblas_gemvt_sn_kernelILb0ELi256ELi4EiPKDF16_ffEviiT4_lPKT3_lilS5_lilPT5_i.numbered_sgpr, 44
	.set _ZL23rocblas_gemvt_sn_kernelILb0ELi256ELi4EiPKDF16_ffEviiT4_lPKT3_lilS5_lilPT5_i.num_named_barrier, 0
	.set _ZL23rocblas_gemvt_sn_kernelILb0ELi256ELi4EiPKDF16_ffEviiT4_lPKT3_lilS5_lilPT5_i.private_seg_size, 0
	.set _ZL23rocblas_gemvt_sn_kernelILb0ELi256ELi4EiPKDF16_ffEviiT4_lPKT3_lilS5_lilPT5_i.uses_vcc, 1
	.set _ZL23rocblas_gemvt_sn_kernelILb0ELi256ELi4EiPKDF16_ffEviiT4_lPKT3_lilS5_lilPT5_i.uses_flat_scratch, 1
	.set _ZL23rocblas_gemvt_sn_kernelILb0ELi256ELi4EiPKDF16_ffEviiT4_lPKT3_lilS5_lilPT5_i.has_dyn_sized_stack, 0
	.set _ZL23rocblas_gemvt_sn_kernelILb0ELi256ELi4EiPKDF16_ffEviiT4_lPKT3_lilS5_lilPT5_i.has_recursion, 0
	.set _ZL23rocblas_gemvt_sn_kernelILb0ELi256ELi4EiPKDF16_ffEviiT4_lPKT3_lilS5_lilPT5_i.has_indirect_call, 0
	.section	.AMDGPU.csdata,"",@progbits
; Kernel info:
; codeLenInByte = 4204
; TotalNumSgprs: 46
; NumVgprs: 44
; ScratchSize: 0
; MemoryBound: 0
; FloatMode: 240
; IeeeMode: 1
; LDSByteSize: 128 bytes/workgroup (compile time only)
; SGPRBlocks: 0
; VGPRBlocks: 5
; NumSGPRsForWavesPerEU: 46
; NumVGPRsForWavesPerEU: 44
; Occupancy: 16
; WaveLimiterHint : 0
; COMPUTE_PGM_RSRC2:SCRATCH_EN: 0
; COMPUTE_PGM_RSRC2:USER_SGPR: 6
; COMPUTE_PGM_RSRC2:TRAP_HANDLER: 0
; COMPUTE_PGM_RSRC2:TGID_X_EN: 1
; COMPUTE_PGM_RSRC2:TGID_Y_EN: 0
; COMPUTE_PGM_RSRC2:TGID_Z_EN: 1
; COMPUTE_PGM_RSRC2:TIDIG_COMP_CNT: 0
	.section	.text._ZL23rocblas_gemvt_sn_kernelILb0ELi256ELi4ElPKDF16_ffEviiT4_lPKT3_lilS5_lilPT5_i,"axG",@progbits,_ZL23rocblas_gemvt_sn_kernelILb0ELi256ELi4ElPKDF16_ffEviiT4_lPKT3_lilS5_lilPT5_i,comdat
	.globl	_ZL23rocblas_gemvt_sn_kernelILb0ELi256ELi4ElPKDF16_ffEviiT4_lPKT3_lilS5_lilPT5_i ; -- Begin function _ZL23rocblas_gemvt_sn_kernelILb0ELi256ELi4ElPKDF16_ffEviiT4_lPKT3_lilS5_lilPT5_i
	.p2align	8
	.type	_ZL23rocblas_gemvt_sn_kernelILb0ELi256ELi4ElPKDF16_ffEviiT4_lPKT3_lilS5_lilPT5_i,@function
_ZL23rocblas_gemvt_sn_kernelILb0ELi256ELi4ElPKDF16_ffEviiT4_lPKT3_lilS5_lilPT5_i: ; @_ZL23rocblas_gemvt_sn_kernelILb0ELi256ELi4ElPKDF16_ffEviiT4_lPKT3_lilS5_lilPT5_i
; %bb.0:
	s_load_dwordx4 s[12:15], s[4:5], 0x0
	s_mov_b32 s0, s7
	s_mov_b32 s1, 0
	s_waitcnt lgkmcnt(0)
	v_cmp_neq_f32_e64 s3, s14, 0
	v_cmp_eq_f32_e64 s2, s14, 0
	s_and_b32 vcc_lo, exec_lo, s3
	s_cbranch_vccnz .LBB444_2
; %bb.1:
	s_mov_b32 s7, s1
	s_mov_b64 s[20:21], 0
	s_andn2_b32 vcc_lo, exec_lo, s7
	s_mov_b64 s[18:19], 0
	s_cbranch_vccz .LBB444_3
	s_branch .LBB444_4
.LBB444_2:
	s_mov_b64 s[20:21], 0
	s_mov_b64 s[18:19], 0
.LBB444_3:
	s_load_dwordx4 s[8:11], s[4:5], 0x18
	s_lshl_b64 s[16:17], s[0:1], 3
	s_waitcnt lgkmcnt(0)
	s_add_u32 s8, s8, s16
	s_addc_u32 s9, s9, s17
	s_lshl_b64 s[10:11], s[10:11], 1
	s_load_dwordx2 s[8:9], s[8:9], 0x0
	s_waitcnt lgkmcnt(0)
	s_add_u32 s18, s8, s10
	s_addc_u32 s19, s9, s11
.LBB444_4:
	s_andn2_b32 vcc_lo, exec_lo, s3
	s_cbranch_vccnz .LBB444_6
; %bb.5:
	s_load_dwordx4 s[8:11], s[4:5], 0x38
	s_lshl_b64 s[16:17], s[0:1], 3
	s_waitcnt lgkmcnt(0)
	s_add_u32 s8, s8, s16
	s_addc_u32 s9, s9, s17
	s_lshl_b64 s[10:11], s[10:11], 1
	s_load_dwordx2 s[8:9], s[8:9], 0x0
	s_waitcnt lgkmcnt(0)
	s_add_u32 s20, s8, s10
	s_addc_u32 s21, s9, s11
.LBB444_6:
	s_clause 0x1
	s_load_dword s10, s[4:5], 0x68
	s_load_dwordx2 s[16:17], s[4:5], 0x58
	s_ashr_i32 s8, s13, 31
	s_mul_hi_u32 s1, s0, s13
	s_mul_i32 s3, s0, s8
	s_mul_i32 s0, s0, s13
	s_add_i32 s1, s1, s3
	s_mov_b32 s11, 0
	s_waitcnt lgkmcnt(0)
	s_mul_i32 s1, s1, s10
	s_mul_hi_u32 s3, s0, s10
	s_mul_i32 s0, s0, s10
	s_add_i32 s1, s3, s1
	s_lshl_b64 s[0:1], s[0:1], 2
	s_add_u32 s15, s16, s0
	s_addc_u32 s33, s17, s1
	s_andn2_b32 vcc_lo, exec_lo, s2
	s_mov_b32 s0, -1
	s_cbranch_vccnz .LBB444_11
; %bb.7:
	v_cmp_eq_u32_e32 vcc_lo, 0, v0
	s_cmp_gt_i32 s13, 0
	s_cselect_b32 s0, -1, 0
	s_and_b32 s0, vcc_lo, s0
	s_and_saveexec_b32 s9, s0
	s_cbranch_execz .LBB444_10
; %bb.8:
	s_mov_b32 s7, 0
	v_mov_b32_e32 v1, 0
	s_lshl_b64 s[0:1], s[6:7], 2
	s_mov_b32 s7, s13
	s_add_u32 s0, s15, s0
	s_addc_u32 s1, s33, s1
	s_lshl_b64 s[2:3], s[10:11], 2
.LBB444_9:                              ; =>This Inner Loop Header: Depth=1
	s_add_i32 s7, s7, -1
	global_store_dword v1, v1, s[0:1]
	s_add_u32 s0, s0, s2
	s_addc_u32 s1, s1, s3
	s_cmp_eq_u32 s7, 0
	s_cbranch_scc0 .LBB444_9
.LBB444_10:
	s_or_b32 exec_lo, exec_lo, s9
	s_mov_b32 s0, 0
.LBB444_11:
	s_andn2_b32 vcc_lo, exec_lo, s0
	s_cbranch_vccnz .LBB444_86
; %bb.12:
	s_lshl_b32 s0, s6, 10
	s_clause 0x1
	s_load_dword s16, s[4:5], 0x28
	s_load_dword s22, s[4:5], 0x48
	v_lshl_or_b32 v13, v0, 2, s0
	s_ashr_i32 s0, s12, 31
	s_lshr_b32 s1, s8, 30
	s_lshr_b32 s0, s0, 30
	s_add_i32 s1, s13, s1
	v_ashrrev_i32_e32 v14, 31, v13
	s_add_i32 s0, s12, s0
	s_and_b32 s36, s1, -4
	s_and_b32 s0, s0, -4
	v_add_nc_u32_e32 v30, 4, v13
	v_lshlrev_b64 v[11:12], 1, v[13:14]
	s_sub_i32 s11, s12, s0
	v_and_b32_e32 v27, 31, v0
	v_add_nc_u32_e32 v31, s11, v13
	v_cmp_gt_u32_e64 s0, 32, v0
	v_mbcnt_lo_u32_b32 v29, -1, 0
	v_add_co_u32 v9, vcc_lo, s18, v11
	v_add_co_ci_u32_e64 v10, null, s19, v12, vcc_lo
	v_cmp_gt_u32_e64 s1, 8, v0
	v_lshrrev_b32_e32 v28, 3, v0
	v_cmp_eq_u32_e64 s2, 0, v0
	v_or_b32_e32 v26, 1, v13
	v_or_b32_e32 v25, 2, v13
	;; [unrolled: 1-line block ×3, first 2 shown]
	s_waitcnt lgkmcnt(0)
	s_ashr_i32 s17, s16, 31
	s_ashr_i32 s23, s22, 31
	s_cmp_lt_i32 s36, 1
	s_cbranch_scc1 .LBB444_61
; %bb.13:
	v_cmp_gt_u32_e32 vcc_lo, 24, v29
	v_mad_i64_i32 v[5:6], null, s22, v25, 0
	v_mad_i64_i32 v[7:8], null, s22, v24, 0
	v_cndmask_b32_e64 v1, 0, 8, vcc_lo
	v_cmp_gt_u32_e32 vcc_lo, 28, v29
	s_cmp_gt_i32 s11, 0
	s_mov_b32 s7, 0
	v_mov_b32_e32 v23, v10
	v_add_lshl_u32 v33, v1, v29, 2
	v_cndmask_b32_e64 v2, 0, 4, vcc_lo
	v_cmp_gt_u32_e32 vcc_lo, 30, v29
	v_cmp_ge_i32_e64 s3, s12, v30
	v_cmp_ge_i32_e64 s4, s12, v31
	s_cselect_b32 s37, -1, 0
	v_add_lshl_u32 v34, v2, v29, 2
	v_cndmask_b32_e64 v3, 0, 2, vcc_lo
	v_cmp_ne_u32_e32 vcc_lo, 31, v29
	v_mad_i64_i32 v[1:2], null, s22, v13, 0
	v_lshl_or_b32 v32, v29, 2, 64
	v_add_lshl_u32 v35, v3, v29, 2
	v_add_co_ci_u32_e64 v4, null, 0, v29, vcc_lo
	v_cmp_eq_u32_e64 s5, 0, v27
	v_lshlrev_b32_e32 v37, 2, v27
	v_lshlrev_b64 v[1:2], 1, v[1:2]
	v_lshlrev_b32_e32 v36, 2, v4
	v_mad_i64_i32 v[3:4], null, s22, v26, 0
	s_lshl_b64 s[8:9], s[6:7], 2
	v_and_b32_e32 v38, 28, v28
	v_add_co_u32 v14, vcc_lo, s20, v1
	v_add_co_ci_u32_e64 v15, null, s21, v2, vcc_lo
	v_lshlrev_b64 v[3:4], 1, v[3:4]
	v_lshlrev_b64 v[1:2], 1, v[5:6]
	v_mov_b32_e32 v5, 0
	v_mov_b32_e32 v22, v9
	s_add_u32 s38, s15, s8
	s_addc_u32 s39, s33, s9
	v_add_co_u32 v16, vcc_lo, s20, v3
	v_add_co_ci_u32_e64 v17, null, s21, v4, vcc_lo
	v_lshlrev_b64 v[3:4], 1, v[7:8]
	v_add_co_u32 v18, vcc_lo, s20, v1
	v_mov_b32_e32 v6, v5
	v_mov_b32_e32 v7, v5
	;; [unrolled: 1-line block ×3, first 2 shown]
	v_add_co_ci_u32_e64 v19, null, s21, v2, vcc_lo
	v_add_co_u32 v20, vcc_lo, s20, v3
	v_add_co_ci_u32_e64 v21, null, s21, v4, vcc_lo
	v_mov_b32_e32 v1, v5
	v_mov_b32_e32 v2, v6
	;; [unrolled: 1-line block ×4, first 2 shown]
	s_lshl_b64 s[24:25], s[22:23], 1
	s_mul_hi_i32 s40, s16, 6
	s_mul_i32 s41, s16, 6
	s_lshl_b64 s[26:27], s[16:17], 3
	s_lshl_b64 s[28:29], s[16:17], 2
	;; [unrolled: 1-line block ×3, first 2 shown]
	s_branch .LBB444_15
.LBB444_14:                             ;   in Loop: Header=BB444_15 Depth=1
	s_or_b32 exec_lo, exec_lo, s8
	v_add_co_u32 v22, vcc_lo, v22, s26
	v_add_co_ci_u32_e64 v23, null, s27, v23, vcc_lo
	s_add_i32 s7, s7, 4
	s_cmp_ge_i32 s7, s36
	s_cbranch_scc1 .LBB444_62
.LBB444_15:                             ; =>This Loop Header: Depth=1
                                        ;     Child Loop BB444_46 Depth 2
                                        ;     Child Loop BB444_49 Depth 2
                                        ; implicit-def: $vgpr8
                                        ; implicit-def: $vgpr39
                                        ; implicit-def: $vgpr40
                                        ; implicit-def: $vgpr41
	s_and_saveexec_b32 s8, s3
	s_xor_b32 s8, exec_lo, s8
	s_cbranch_execnz .LBB444_42
; %bb.16:                               ;   in Loop: Header=BB444_15 Depth=1
	s_andn2_saveexec_b32 s42, s8
	s_cbranch_execnz .LBB444_43
.LBB444_17:                             ;   in Loop: Header=BB444_15 Depth=1
	s_or_b32 exec_lo, exec_lo, s42
	s_and_saveexec_b32 s8, s0
.LBB444_18:                             ;   in Loop: Header=BB444_15 Depth=1
	ds_write_b32 v37, v5
.LBB444_19:                             ;   in Loop: Header=BB444_15 Depth=1
	s_or_b32 exec_lo, exec_lo, s8
	ds_bpermute_b32 v6, v32, v41
	s_waitcnt lgkmcnt(0)
	s_waitcnt_vscnt null, 0x0
	s_barrier
	buffer_gl0_inv
	v_add_f32_e32 v6, v41, v6
	ds_bpermute_b32 v7, v33, v6
	s_waitcnt lgkmcnt(0)
	v_add_f32_e32 v6, v6, v7
	ds_bpermute_b32 v7, v34, v6
	s_waitcnt lgkmcnt(0)
	;; [unrolled: 3-line block ×3, first 2 shown]
	v_add_f32_e32 v6, v6, v7
	ds_bpermute_b32 v7, v36, v6
	s_and_saveexec_b32 s8, s5
	s_cbranch_execz .LBB444_21
; %bb.20:                               ;   in Loop: Header=BB444_15 Depth=1
	s_waitcnt lgkmcnt(0)
	v_add_f32_e32 v6, v6, v7
	ds_write_b32 v38, v6
.LBB444_21:                             ;   in Loop: Header=BB444_15 Depth=1
	s_or_b32 exec_lo, exec_lo, s8
	v_mov_b32_e32 v6, 0
	s_waitcnt lgkmcnt(0)
	s_barrier
	buffer_gl0_inv
	s_and_saveexec_b32 s8, s1
	s_cbranch_execnz .LBB444_50
; %bb.22:                               ;   in Loop: Header=BB444_15 Depth=1
	s_or_b32 exec_lo, exec_lo, s8
	s_and_saveexec_b32 s8, s0
	s_cbranch_execnz .LBB444_51
.LBB444_23:                             ;   in Loop: Header=BB444_15 Depth=1
	s_or_b32 exec_lo, exec_lo, s8
	s_and_saveexec_b32 s8, s0
.LBB444_24:                             ;   in Loop: Header=BB444_15 Depth=1
	ds_write_b32 v37, v5
.LBB444_25:                             ;   in Loop: Header=BB444_15 Depth=1
	s_or_b32 exec_lo, exec_lo, s8
	ds_bpermute_b32 v7, v32, v40
	s_waitcnt lgkmcnt(0)
	s_barrier
	buffer_gl0_inv
	v_add_f32_e32 v7, v40, v7
	ds_bpermute_b32 v40, v33, v7
	s_waitcnt lgkmcnt(0)
	v_add_f32_e32 v7, v7, v40
	ds_bpermute_b32 v40, v34, v7
	s_waitcnt lgkmcnt(0)
	;; [unrolled: 3-line block ×3, first 2 shown]
	v_add_f32_e32 v7, v7, v40
	ds_bpermute_b32 v40, v36, v7
	s_and_saveexec_b32 s8, s5
	s_cbranch_execz .LBB444_27
; %bb.26:                               ;   in Loop: Header=BB444_15 Depth=1
	s_waitcnt lgkmcnt(0)
	v_add_f32_e32 v7, v7, v40
	ds_write_b32 v38, v7
.LBB444_27:                             ;   in Loop: Header=BB444_15 Depth=1
	s_or_b32 exec_lo, exec_lo, s8
	v_mov_b32_e32 v7, 0
	s_waitcnt lgkmcnt(0)
	s_barrier
	buffer_gl0_inv
	s_and_saveexec_b32 s8, s1
	s_cbranch_execnz .LBB444_52
; %bb.28:                               ;   in Loop: Header=BB444_15 Depth=1
	s_or_b32 exec_lo, exec_lo, s8
	s_and_saveexec_b32 s8, s0
	s_cbranch_execnz .LBB444_53
.LBB444_29:                             ;   in Loop: Header=BB444_15 Depth=1
	s_or_b32 exec_lo, exec_lo, s8
	s_and_saveexec_b32 s8, s0
.LBB444_30:                             ;   in Loop: Header=BB444_15 Depth=1
	ds_write_b32 v37, v5
.LBB444_31:                             ;   in Loop: Header=BB444_15 Depth=1
	s_or_b32 exec_lo, exec_lo, s8
	ds_bpermute_b32 v40, v32, v39
	s_waitcnt lgkmcnt(0)
	s_barrier
	buffer_gl0_inv
	v_add_f32_e32 v39, v39, v40
	ds_bpermute_b32 v40, v33, v39
	s_waitcnt lgkmcnt(0)
	v_add_f32_e32 v39, v39, v40
	ds_bpermute_b32 v40, v34, v39
	s_waitcnt lgkmcnt(0)
	;; [unrolled: 3-line block ×3, first 2 shown]
	v_add_f32_e32 v39, v39, v40
	ds_bpermute_b32 v40, v36, v39
	s_and_saveexec_b32 s8, s5
	s_cbranch_execz .LBB444_33
; %bb.32:                               ;   in Loop: Header=BB444_15 Depth=1
	s_waitcnt lgkmcnt(0)
	v_add_f32_e32 v39, v39, v40
	ds_write_b32 v38, v39
.LBB444_33:                             ;   in Loop: Header=BB444_15 Depth=1
	s_or_b32 exec_lo, exec_lo, s8
	v_mov_b32_e32 v39, 0
	s_waitcnt lgkmcnt(0)
	s_barrier
	buffer_gl0_inv
	s_and_saveexec_b32 s8, s1
	s_cbranch_execnz .LBB444_54
; %bb.34:                               ;   in Loop: Header=BB444_15 Depth=1
	s_or_b32 exec_lo, exec_lo, s8
	s_and_saveexec_b32 s8, s0
	s_cbranch_execnz .LBB444_55
.LBB444_35:                             ;   in Loop: Header=BB444_15 Depth=1
	s_or_b32 exec_lo, exec_lo, s8
	s_and_saveexec_b32 s8, s0
.LBB444_36:                             ;   in Loop: Header=BB444_15 Depth=1
	ds_write_b32 v37, v5
.LBB444_37:                             ;   in Loop: Header=BB444_15 Depth=1
	s_or_b32 exec_lo, exec_lo, s8
	ds_bpermute_b32 v40, v32, v8
	s_waitcnt lgkmcnt(0)
	s_barrier
	buffer_gl0_inv
	v_add_f32_e32 v8, v8, v40
	ds_bpermute_b32 v40, v33, v8
	s_waitcnt lgkmcnt(0)
	v_add_f32_e32 v8, v8, v40
	ds_bpermute_b32 v40, v34, v8
	s_waitcnt lgkmcnt(0)
	;; [unrolled: 3-line block ×3, first 2 shown]
	v_add_f32_e32 v8, v8, v40
	ds_bpermute_b32 v40, v36, v8
	s_and_saveexec_b32 s8, s5
	s_cbranch_execz .LBB444_39
; %bb.38:                               ;   in Loop: Header=BB444_15 Depth=1
	s_waitcnt lgkmcnt(0)
	v_add_f32_e32 v8, v8, v40
	ds_write_b32 v38, v8
.LBB444_39:                             ;   in Loop: Header=BB444_15 Depth=1
	s_or_b32 exec_lo, exec_lo, s8
	v_mov_b32_e32 v8, 0
	s_waitcnt lgkmcnt(0)
	s_barrier
	buffer_gl0_inv
	s_and_saveexec_b32 s8, s1
	s_cbranch_execnz .LBB444_56
; %bb.40:                               ;   in Loop: Header=BB444_15 Depth=1
	s_or_b32 exec_lo, exec_lo, s8
	s_and_saveexec_b32 s8, s0
	s_cbranch_execnz .LBB444_57
.LBB444_41:                             ;   in Loop: Header=BB444_15 Depth=1
	s_or_b32 exec_lo, exec_lo, s8
	s_and_saveexec_b32 s8, s2
	s_cbranch_execz .LBB444_14
	s_branch .LBB444_58
.LBB444_42:                             ;   in Loop: Header=BB444_15 Depth=1
	s_mul_i32 s9, s7, s17
	s_mul_hi_u32 s34, s7, s16
	s_add_i32 s35, s34, s9
	s_mul_i32 s34, s7, s16
	s_or_b32 s9, s7, 1
	s_lshl_b64 s[34:35], s[34:35], 1
	s_mul_i32 s42, s9, s17
	s_mul_hi_u32 s43, s9, s16
	v_add_co_u32 v1, vcc_lo, v9, s34
	v_add_co_ci_u32_e64 v2, null, s35, v10, vcc_lo
	s_add_i32 s35, s43, s42
	s_mul_i32 s34, s9, s16
	s_or_b32 s9, s7, 2
	s_lshl_b64 s[34:35], s[34:35], 1
	s_mul_i32 s42, s9, s17
	s_mul_hi_u32 s43, s9, s16
	v_add_co_u32 v3, vcc_lo, v9, s34
	v_add_co_ci_u32_e64 v4, null, s35, v10, vcc_lo
	s_add_i32 s35, s43, s42
	s_or_b32 s42, s7, 3
	s_mul_i32 s34, s9, s16
	s_mul_i32 s9, s42, s17
	s_mul_hi_u32 s43, s42, s16
	s_lshl_b64 s[34:35], s[34:35], 1
	s_add_i32 s43, s43, s9
	s_mul_i32 s42, s42, s16
	v_add_co_u32 v6, vcc_lo, v9, s34
	v_add_co_ci_u32_e64 v7, null, s35, v10, vcc_lo
	s_lshl_b64 s[34:35], s[42:43], 1
	v_add_co_u32 v39, vcc_lo, v9, s34
	v_add_co_ci_u32_e64 v40, null, s35, v10, vcc_lo
	s_waitcnt lgkmcnt(0)
	flat_load_ushort v8, v[14:15]
	s_clause 0x3
	flat_load_dwordx2 v[41:42], v[1:2]
	flat_load_dwordx2 v[43:44], v[3:4]
	;; [unrolled: 1-line block ×4, first 2 shown]
	s_clause 0x2
	flat_load_ushort v3, v[16:17]
	flat_load_ushort v4, v[18:19]
	;; [unrolled: 1-line block ×3, first 2 shown]
	s_waitcnt vmcnt(7) lgkmcnt(7)
	v_cvt_f32_f16_e32 v1, v8
	s_waitcnt vmcnt(6) lgkmcnt(6)
	v_fma_mix_f32 v39, v8, v41, 0 op_sel_hi:[1,1,0]
	s_waitcnt vmcnt(5) lgkmcnt(5)
	v_fma_mix_f32 v40, v8, v43, 0 op_sel_hi:[1,1,0]
	;; [unrolled: 2-line block ×4, first 2 shown]
	s_waitcnt vmcnt(2) lgkmcnt(2)
	v_cvt_f32_f16_e32 v2, v3
	v_fma_mix_f32 v39, v3, v41, v39 op_sel:[0,1,0] op_sel_hi:[1,1,0]
	v_fma_mix_f32 v40, v3, v43, v40 op_sel:[0,1,0] op_sel_hi:[1,1,0]
	;; [unrolled: 1-line block ×4, first 2 shown]
	s_waitcnt vmcnt(1) lgkmcnt(1)
	v_cvt_f32_f16_e32 v3, v4
	v_fma_mix_f32 v39, v4, v42, v39 op_sel_hi:[1,1,0]
	v_fma_mix_f32 v40, v4, v44, v40 op_sel_hi:[1,1,0]
	;; [unrolled: 1-line block ×4, first 2 shown]
	s_waitcnt vmcnt(0) lgkmcnt(0)
	v_cvt_f32_f16_e32 v4, v47
	v_fma_mix_f32 v41, v47, v42, v39 op_sel:[0,1,0] op_sel_hi:[1,1,0]
	v_fma_mix_f32 v40, v47, v44, v40 op_sel:[0,1,0] op_sel_hi:[1,1,0]
	;; [unrolled: 1-line block ×4, first 2 shown]
	s_andn2_saveexec_b32 s42, s8
	s_cbranch_execz .LBB444_17
.LBB444_43:                             ;   in Loop: Header=BB444_15 Depth=1
	s_waitcnt lgkmcnt(0)
	v_mov_b32_e32 v8, 0
	v_mov_b32_e32 v39, 0
	;; [unrolled: 1-line block ×4, first 2 shown]
	s_and_saveexec_b32 s43, s4
	s_cbranch_execz .LBB444_60
; %bb.44:                               ;   in Loop: Header=BB444_15 Depth=1
	s_andn2_b32 vcc_lo, exec_lo, s37
	s_cbranch_vccnz .LBB444_47
; %bb.45:                               ;   in Loop: Header=BB444_15 Depth=1
	v_mov_b32_e32 v6, v14
	v_mov_b32_e32 v7, v15
	s_mov_b64 s[34:35], 0
	.p2align	6
.LBB444_46:                             ;   Parent Loop BB444_15 Depth=1
                                        ; =>  This Inner Loop Header: Depth=2
	flat_load_ushort v8, v[6:7]
	s_cmp_eq_u32 s34, 3
	v_add_co_u32 v6, vcc_lo, v6, s24
	v_add_co_ci_u32_e64 v7, null, s25, v7, vcc_lo
	s_cselect_b32 vcc_lo, -1, 0
	s_cmp_eq_u32 s34, 2
	s_cselect_b32 s8, -1, 0
	s_cmp_eq_u32 s34, 1
	s_cselect_b32 s9, -1, 0
	s_cmp_eq_u32 s34, 0
	s_waitcnt vmcnt(0) lgkmcnt(0)
	v_cvt_f32_f16_e32 v8, v8
	v_cndmask_b32_e32 v4, v4, v8, vcc_lo
	s_cselect_b32 vcc_lo, -1, 0
	v_cndmask_b32_e64 v3, v3, v8, s8
	v_cndmask_b32_e64 v2, v2, v8, s9
	v_cndmask_b32_e32 v1, v1, v8, vcc_lo
	s_add_u32 s34, s34, 1
	s_addc_u32 s35, s35, 0
	s_cmp_eq_u32 s11, s34
	s_cbranch_scc0 .LBB444_46
.LBB444_47:                             ;   in Loop: Header=BB444_15 Depth=1
	s_andn2_b32 vcc_lo, exec_lo, s37
	s_cbranch_vccnz .LBB444_59
; %bb.48:                               ;   in Loop: Header=BB444_15 Depth=1
	v_mov_b32_e32 v6, v22
	v_mov_b32_e32 v41, 0
	;; [unrolled: 1-line block ×6, first 2 shown]
	s_mov_b64 s[34:35], 0
	s_inst_prefetch 0x1
	.p2align	6
.LBB444_49:                             ;   Parent Loop BB444_15 Depth=1
                                        ; =>  This Inner Loop Header: Depth=2
	v_add_co_u32 v42, vcc_lo, v6, s30
	v_add_co_ci_u32_e64 v43, null, s31, v7, vcc_lo
	v_add_co_u32 v44, vcc_lo, v6, s28
	v_add_co_ci_u32_e64 v45, null, s29, v7, vcc_lo
	;; [unrolled: 2-line block ×3, first 2 shown]
	s_clause 0x3
	flat_load_ushort v48, v[6:7]
	flat_load_ushort v42, v[42:43]
	;; [unrolled: 1-line block ×4, first 2 shown]
	s_cmp_eq_u32 s34, 1
	v_add_co_u32 v6, s8, v6, 2
	s_cselect_b32 vcc_lo, -1, 0
	s_cmp_eq_u32 s34, 2
	v_cndmask_b32_e32 v45, v1, v2, vcc_lo
	s_cselect_b32 vcc_lo, -1, 0
	s_cmp_eq_u32 s34, 3
	v_add_co_ci_u32_e64 v7, null, 0, v7, s8
	v_cndmask_b32_e32 v45, v45, v3, vcc_lo
	s_cselect_b32 vcc_lo, -1, 0
	s_add_u32 s34, s34, 1
	s_addc_u32 s35, s35, 0
	s_cmp_lg_u32 s11, s34
	v_cndmask_b32_e32 v45, v45, v4, vcc_lo
	s_waitcnt vmcnt(3) lgkmcnt(3)
	v_fma_mix_f32 v41, v45, v48, v41 op_sel_hi:[0,1,0]
	s_waitcnt vmcnt(2) lgkmcnt(2)
	v_fma_mix_f32 v40, v45, v42, v40 op_sel_hi:[0,1,0]
	;; [unrolled: 2-line block ×4, first 2 shown]
	s_cbranch_scc1 .LBB444_49
	s_branch .LBB444_60
.LBB444_50:                             ;   in Loop: Header=BB444_15 Depth=1
	ds_read_b32 v6, v37
	s_or_b32 exec_lo, exec_lo, s8
	s_and_saveexec_b32 s8, s0
	s_cbranch_execz .LBB444_23
.LBB444_51:                             ;   in Loop: Header=BB444_15 Depth=1
	s_waitcnt lgkmcnt(0)
	ds_bpermute_b32 v7, v34, v6
	s_waitcnt lgkmcnt(0)
	v_add_f32_e32 v6, v6, v7
	ds_bpermute_b32 v7, v35, v6
	s_waitcnt lgkmcnt(0)
	v_add_f32_e32 v6, v6, v7
	;; [unrolled: 3-line block ×3, first 2 shown]
	s_or_b32 exec_lo, exec_lo, s8
	s_and_saveexec_b32 s8, s0
	s_cbranch_execnz .LBB444_24
	s_branch .LBB444_25
.LBB444_52:                             ;   in Loop: Header=BB444_15 Depth=1
	ds_read_b32 v7, v37
	s_or_b32 exec_lo, exec_lo, s8
	s_and_saveexec_b32 s8, s0
	s_cbranch_execz .LBB444_29
.LBB444_53:                             ;   in Loop: Header=BB444_15 Depth=1
	s_waitcnt lgkmcnt(0)
	ds_bpermute_b32 v40, v34, v7
	s_waitcnt lgkmcnt(0)
	v_add_f32_e32 v7, v7, v40
	ds_bpermute_b32 v40, v35, v7
	s_waitcnt lgkmcnt(0)
	v_add_f32_e32 v7, v7, v40
	;; [unrolled: 3-line block ×3, first 2 shown]
	s_or_b32 exec_lo, exec_lo, s8
	s_and_saveexec_b32 s8, s0
	s_cbranch_execnz .LBB444_30
	s_branch .LBB444_31
.LBB444_54:                             ;   in Loop: Header=BB444_15 Depth=1
	ds_read_b32 v39, v37
	s_or_b32 exec_lo, exec_lo, s8
	s_and_saveexec_b32 s8, s0
	s_cbranch_execz .LBB444_35
.LBB444_55:                             ;   in Loop: Header=BB444_15 Depth=1
	s_waitcnt lgkmcnt(0)
	ds_bpermute_b32 v40, v34, v39
	s_waitcnt lgkmcnt(0)
	v_add_f32_e32 v39, v39, v40
	ds_bpermute_b32 v40, v35, v39
	s_waitcnt lgkmcnt(0)
	v_add_f32_e32 v39, v39, v40
	;; [unrolled: 3-line block ×3, first 2 shown]
	s_or_b32 exec_lo, exec_lo, s8
	s_and_saveexec_b32 s8, s0
	s_cbranch_execnz .LBB444_36
	s_branch .LBB444_37
.LBB444_56:                             ;   in Loop: Header=BB444_15 Depth=1
	ds_read_b32 v8, v37
	s_or_b32 exec_lo, exec_lo, s8
	s_and_saveexec_b32 s8, s0
	s_cbranch_execz .LBB444_41
.LBB444_57:                             ;   in Loop: Header=BB444_15 Depth=1
	s_waitcnt lgkmcnt(0)
	ds_bpermute_b32 v40, v34, v8
	s_waitcnt lgkmcnt(0)
	v_add_f32_e32 v8, v8, v40
	ds_bpermute_b32 v40, v35, v8
	s_waitcnt lgkmcnt(0)
	v_add_f32_e32 v8, v8, v40
	;; [unrolled: 3-line block ×3, first 2 shown]
	s_or_b32 exec_lo, exec_lo, s8
	s_and_saveexec_b32 s8, s2
	s_cbranch_execz .LBB444_14
.LBB444_58:                             ;   in Loop: Header=BB444_15 Depth=1
	s_mul_hi_u32 s35, s7, s10
	s_mul_i32 s34, s7, s10
	v_mul_f32_e32 v6, s14, v6
	s_lshl_b64 s[34:35], s[34:35], 2
	v_mul_f32_e32 v7, s14, v7
	s_add_u32 s34, s38, s34
	s_addc_u32 s35, s39, s35
	s_or_b32 s9, s7, 1
	global_store_dword v5, v6, s[34:35]
	s_mul_hi_u32 s43, s9, s10
	s_mul_i32 s42, s9, s10
	v_mul_f32_e32 v6, s14, v39
	s_lshl_b64 s[42:43], s[42:43], 2
	s_waitcnt lgkmcnt(0)
	v_mul_f32_e32 v8, s14, v8
	s_add_u32 s42, s38, s42
	s_addc_u32 s43, s39, s43
	s_or_b32 s9, s7, 2
	global_store_dword v5, v7, s[42:43]
	s_mul_hi_u32 s45, s9, s10
	s_mul_i32 s44, s9, s10
	s_lshl_b64 s[44:45], s[44:45], 2
	s_add_u32 s34, s38, s44
	s_addc_u32 s35, s39, s45
	s_or_b32 s9, s7, 3
	s_mul_hi_u32 s45, s9, s10
	s_mul_i32 s44, s9, s10
	s_lshl_b64 s[44:45], s[44:45], 2
	s_add_u32 s42, s38, s44
	s_addc_u32 s43, s39, s45
	global_store_dword v5, v6, s[34:35]
	global_store_dword v5, v8, s[42:43]
	s_branch .LBB444_14
.LBB444_59:                             ;   in Loop: Header=BB444_15 Depth=1
	v_mov_b32_e32 v8, 0
	v_mov_b32_e32 v39, 0
	;; [unrolled: 1-line block ×4, first 2 shown]
.LBB444_60:                             ;   in Loop: Header=BB444_15 Depth=1
	s_inst_prefetch 0x2
	s_or_b32 exec_lo, exec_lo, s43
	s_or_b32 exec_lo, exec_lo, s42
	s_and_saveexec_b32 s8, s0
	s_cbranch_execnz .LBB444_18
	s_branch .LBB444_19
.LBB444_61:
	v_mov_b32_e32 v1, 0
	s_mov_b32 s7, 0
	v_mov_b32_e32 v2, v1
	v_mov_b32_e32 v3, v1
	;; [unrolled: 1-line block ×3, first 2 shown]
.LBB444_62:
	s_cmp_ge_i32 s7, s13
	s_cbranch_scc1 .LBB444_86
; %bb.63:
	v_cmp_gt_u32_e32 vcc_lo, 24, v29
	v_lshl_or_b32 v20, v29, 2, 64
	v_mad_i64_i32 v[15:16], null, s22, v24, 0
	s_cmp_gt_i32 s11, 0
	v_cndmask_b32_e64 v5, 0, 8, vcc_lo
	v_cmp_gt_u32_e32 vcc_lo, 28, v29
	s_mov_b32 s9, 0
	s_mov_b32 s8, s6
	v_cmp_ge_i32_e64 s0, s12, v30
	v_add_lshl_u32 v21, v5, v29, 2
	v_cndmask_b32_e64 v6, 0, 4, vcc_lo
	v_cmp_gt_u32_e32 vcc_lo, 30, v29
	v_lshlrev_b64 v[15:16], 1, v[15:16]
	v_cmp_ge_i32_e64 s1, s12, v31
	s_cselect_b32 s12, -1, 0
	v_add_lshl_u32 v22, v6, v29, 2
	v_cndmask_b32_e64 v7, 0, 2, vcc_lo
	v_cmp_ne_u32_e32 vcc_lo, 31, v29
	v_mad_i64_i32 v[5:6], null, s22, v13, 0
	v_mad_i64_i32 v[13:14], null, s22, v25, 0
	s_waitcnt lgkmcnt(0)
	v_add_co_ci_u32_e64 v8, null, 0, v29, vcc_lo
	v_add_lshl_u32 v23, v7, v29, 2
	s_lshl_b64 s[24:25], s[8:9], 2
	v_lshlrev_b64 v[5:6], 1, v[5:6]
	v_lshlrev_b32_e32 v29, 2, v8
	v_mad_i64_i32 v[7:8], null, s22, v26, 0
	v_lshlrev_b64 v[13:14], 1, v[13:14]
	s_mul_i32 s6, s17, s7
	v_add_co_u32 v5, vcc_lo, s20, v5
	v_add_co_ci_u32_e64 v6, null, s21, v6, vcc_lo
	v_lshlrev_b64 v[7:8], 1, v[7:8]
	s_mul_hi_u32 s8, s16, s7
	s_add_u32 s15, s15, s24
	s_addc_u32 s24, s33, s25
	s_add_i32 s27, s8, s6
	s_mul_i32 s26, s16, s7
	v_add_co_u32 v7, vcc_lo, s20, v7
	v_add_co_ci_u32_e64 v8, null, s21, v8, vcc_lo
	v_add_co_u32 v13, vcc_lo, s20, v13
	v_add_co_ci_u32_e64 v14, null, s21, v14, vcc_lo
	v_add_co_u32 v15, vcc_lo, s20, v15
	s_lshl_b64 s[26:27], s[26:27], 1
	v_add_co_ci_u32_e64 v16, null, s21, v16, vcc_lo
	s_lshl_b64 s[20:21], s[22:23], 1
	s_add_u32 s6, s18, s26
	s_addc_u32 s8, s19, s27
	v_add_co_u32 v11, vcc_lo, s6, v11
	v_cmp_gt_u32_e64 s2, 32, v0
	v_lshlrev_b32_e32 v19, 2, v27
	v_cmp_eq_u32_e64 s3, 0, v27
	v_and_b32_e32 v27, 28, v28
	v_cmp_gt_u32_e64 s4, 8, v0
	v_cmp_eq_u32_e64 s5, 0, v0
	v_add_co_ci_u32_e64 v12, null, s8, v12, vcc_lo
	v_mov_b32_e32 v0, 0
	s_lshl_b64 s[18:19], s[16:17], 1
	s_branch .LBB444_65
.LBB444_64:                             ;   in Loop: Header=BB444_65 Depth=1
	s_or_b32 exec_lo, exec_lo, s6
	v_add_co_u32 v11, vcc_lo, v11, s18
	v_add_co_ci_u32_e64 v12, null, s19, v12, vcc_lo
	s_add_i32 s7, s7, 1
	s_cmp_ge_i32 s7, s13
	s_cbranch_scc1 .LBB444_86
.LBB444_65:                             ; =>This Loop Header: Depth=1
                                        ;     Child Loop BB444_78 Depth 2
                                        ;     Child Loop BB444_81 Depth 2
	v_mov_b32_e32 v24, s9
	s_and_saveexec_b32 s6, s0
	s_xor_b32 s6, exec_lo, s6
	s_cbranch_execnz .LBB444_74
; %bb.66:                               ;   in Loop: Header=BB444_65 Depth=1
	s_andn2_saveexec_b32 s25, s6
	s_cbranch_execnz .LBB444_75
.LBB444_67:                             ;   in Loop: Header=BB444_65 Depth=1
	s_or_b32 exec_lo, exec_lo, s25
	s_and_saveexec_b32 s6, s2
.LBB444_68:                             ;   in Loop: Header=BB444_65 Depth=1
	ds_write_b32 v19, v0
.LBB444_69:                             ;   in Loop: Header=BB444_65 Depth=1
	s_or_b32 exec_lo, exec_lo, s6
	s_waitcnt lgkmcnt(0)
	ds_bpermute_b32 v17, v20, v24
	s_waitcnt lgkmcnt(0)
	s_waitcnt_vscnt null, 0x0
	s_barrier
	buffer_gl0_inv
	v_add_f32_e32 v17, v24, v17
	ds_bpermute_b32 v18, v21, v17
	s_waitcnt lgkmcnt(0)
	v_add_f32_e32 v17, v17, v18
	ds_bpermute_b32 v18, v22, v17
	s_waitcnt lgkmcnt(0)
	;; [unrolled: 3-line block ×3, first 2 shown]
	v_add_f32_e32 v17, v17, v18
	ds_bpermute_b32 v18, v29, v17
	s_and_saveexec_b32 s6, s3
	s_cbranch_execz .LBB444_71
; %bb.70:                               ;   in Loop: Header=BB444_65 Depth=1
	s_waitcnt lgkmcnt(0)
	v_add_f32_e32 v17, v17, v18
	ds_write_b32 v27, v17
.LBB444_71:                             ;   in Loop: Header=BB444_65 Depth=1
	s_or_b32 exec_lo, exec_lo, s6
	v_mov_b32_e32 v17, 0
	s_waitcnt lgkmcnt(0)
	s_barrier
	buffer_gl0_inv
	s_and_saveexec_b32 s6, s4
	s_cbranch_execnz .LBB444_83
; %bb.72:                               ;   in Loop: Header=BB444_65 Depth=1
	s_or_b32 exec_lo, exec_lo, s6
	s_and_saveexec_b32 s6, s2
	s_cbranch_execnz .LBB444_84
.LBB444_73:                             ;   in Loop: Header=BB444_65 Depth=1
	s_or_b32 exec_lo, exec_lo, s6
	s_and_saveexec_b32 s6, s5
	s_cbranch_execz .LBB444_64
	s_branch .LBB444_85
.LBB444_74:                             ;   in Loop: Header=BB444_65 Depth=1
	s_mul_i32 s8, s7, s17
	s_mul_hi_u32 s23, s7, s16
	s_mul_i32 s22, s7, s16
	s_add_i32 s23, s23, s8
	s_lshl_b64 s[22:23], s[22:23], 1
	v_add_co_u32 v1, vcc_lo, v9, s22
	v_add_co_ci_u32_e64 v2, null, s23, v10, vcc_lo
	s_waitcnt lgkmcnt(0)
	flat_load_dwordx2 v[17:18], v[1:2]
	s_clause 0x3
	flat_load_ushort v1, v[5:6]
	flat_load_ushort v2, v[7:8]
	;; [unrolled: 1-line block ×4, first 2 shown]
	s_waitcnt vmcnt(3) lgkmcnt(3)
	v_fma_mix_f32 v4, v1, v17, 0 op_sel_hi:[1,1,0]
	v_cvt_f32_f16_e32 v1, v1
	s_waitcnt vmcnt(2) lgkmcnt(2)
	v_fma_mix_f32 v4, v2, v17, v4 op_sel:[0,1,0] op_sel_hi:[1,1,0]
	v_cvt_f32_f16_e32 v2, v2
	s_waitcnt vmcnt(1) lgkmcnt(1)
	v_fma_mix_f32 v17, v3, v18, v4 op_sel_hi:[1,1,0]
	v_cvt_f32_f16_e32 v3, v3
	s_waitcnt vmcnt(0) lgkmcnt(0)
	v_cvt_f32_f16_e32 v4, v24
	v_fma_mix_f32 v24, v24, v18, v17 op_sel:[0,1,0] op_sel_hi:[1,1,0]
	s_andn2_saveexec_b32 s25, s6
	s_cbranch_execz .LBB444_67
.LBB444_75:                             ;   in Loop: Header=BB444_65 Depth=1
	s_and_saveexec_b32 s26, s1
	s_cbranch_execz .LBB444_82
; %bb.76:                               ;   in Loop: Header=BB444_65 Depth=1
	s_andn2_b32 vcc_lo, exec_lo, s12
	s_cbranch_vccnz .LBB444_79
; %bb.77:                               ;   in Loop: Header=BB444_65 Depth=1
	s_waitcnt lgkmcnt(0)
	v_mov_b32_e32 v18, v6
	v_mov_b32_e32 v17, v5
	s_mov_b64 s[22:23], 0
	.p2align	6
.LBB444_78:                             ;   Parent Loop BB444_65 Depth=1
                                        ; =>  This Inner Loop Header: Depth=2
	flat_load_ushort v25, v[17:18]
	s_cmp_eq_u32 s22, 3
	v_add_co_u32 v17, vcc_lo, v17, s20
	v_add_co_ci_u32_e64 v18, null, s21, v18, vcc_lo
	s_cselect_b32 vcc_lo, -1, 0
	s_cmp_eq_u32 s22, 2
	s_cselect_b32 s6, -1, 0
	s_cmp_eq_u32 s22, 1
	s_cselect_b32 s8, -1, 0
	s_cmp_eq_u32 s22, 0
	s_waitcnt vmcnt(0) lgkmcnt(0)
	v_cvt_f32_f16_e32 v25, v25
	v_cndmask_b32_e32 v4, v4, v25, vcc_lo
	s_cselect_b32 vcc_lo, -1, 0
	v_cndmask_b32_e64 v3, v3, v25, s6
	v_cndmask_b32_e64 v2, v2, v25, s8
	v_cndmask_b32_e32 v1, v1, v25, vcc_lo
	s_add_u32 s22, s22, 1
	s_addc_u32 s23, s23, 0
	s_cmp_eq_u32 s11, s22
	s_cbranch_scc0 .LBB444_78
.LBB444_79:                             ;   in Loop: Header=BB444_65 Depth=1
	s_andn2_b32 vcc_lo, exec_lo, s12
	s_cbranch_vccnz .LBB444_82
; %bb.80:                               ;   in Loop: Header=BB444_65 Depth=1
	s_waitcnt lgkmcnt(0)
	v_mov_b32_e32 v18, v12
	v_mov_b32_e32 v17, v11
	s_mov_b64 s[22:23], 0
	.p2align	6
.LBB444_81:                             ;   Parent Loop BB444_65 Depth=1
                                        ; =>  This Inner Loop Header: Depth=2
	flat_load_ushort v25, v[17:18]
	s_cmp_eq_u32 s22, 1
	s_cselect_b32 vcc_lo, -1, 0
	s_cmp_eq_u32 s22, 2
	v_cndmask_b32_e32 v26, v1, v2, vcc_lo
	s_cselect_b32 vcc_lo, -1, 0
	s_cmp_eq_u32 s22, 3
	v_cndmask_b32_e32 v26, v26, v3, vcc_lo
	s_cselect_b32 vcc_lo, -1, 0
	s_add_u32 s22, s22, 1
	s_addc_u32 s23, s23, 0
	s_cmp_lg_u32 s11, s22
	v_cndmask_b32_e32 v26, v26, v4, vcc_lo
	v_add_co_u32 v17, vcc_lo, v17, 2
	v_add_co_ci_u32_e64 v18, null, 0, v18, vcc_lo
	s_waitcnt vmcnt(0) lgkmcnt(0)
	v_fma_mix_f32 v24, v26, v25, v24 op_sel_hi:[0,1,0]
	s_cbranch_scc1 .LBB444_81
.LBB444_82:                             ;   in Loop: Header=BB444_65 Depth=1
	s_or_b32 exec_lo, exec_lo, s26
	s_or_b32 exec_lo, exec_lo, s25
	s_and_saveexec_b32 s6, s2
	s_cbranch_execnz .LBB444_68
	s_branch .LBB444_69
.LBB444_83:                             ;   in Loop: Header=BB444_65 Depth=1
	ds_read_b32 v17, v19
	s_or_b32 exec_lo, exec_lo, s6
	s_and_saveexec_b32 s6, s2
	s_cbranch_execz .LBB444_73
.LBB444_84:                             ;   in Loop: Header=BB444_65 Depth=1
	s_waitcnt lgkmcnt(0)
	ds_bpermute_b32 v18, v22, v17
	s_waitcnt lgkmcnt(0)
	v_add_f32_e32 v17, v17, v18
	ds_bpermute_b32 v18, v23, v17
	s_waitcnt lgkmcnt(0)
	v_add_f32_e32 v17, v17, v18
	;; [unrolled: 3-line block ×3, first 2 shown]
	s_or_b32 exec_lo, exec_lo, s6
	s_and_saveexec_b32 s6, s5
	s_cbranch_execz .LBB444_64
.LBB444_85:                             ;   in Loop: Header=BB444_65 Depth=1
	s_mul_hi_u32 s23, s7, s10
	s_mul_i32 s22, s7, s10
	s_waitcnt lgkmcnt(0)
	v_mul_f32_e32 v17, s14, v17
	s_lshl_b64 s[22:23], s[22:23], 2
	s_add_u32 s22, s15, s22
	s_addc_u32 s23, s24, s23
	global_store_dword v0, v17, s[22:23]
	s_branch .LBB444_64
.LBB444_86:
	s_endpgm
	.section	.rodata,"a",@progbits
	.p2align	6, 0x0
	.amdhsa_kernel _ZL23rocblas_gemvt_sn_kernelILb0ELi256ELi4ElPKDF16_ffEviiT4_lPKT3_lilS5_lilPT5_i
		.amdhsa_group_segment_fixed_size 128
		.amdhsa_private_segment_fixed_size 0
		.amdhsa_kernarg_size 360
		.amdhsa_user_sgpr_count 6
		.amdhsa_user_sgpr_private_segment_buffer 1
		.amdhsa_user_sgpr_dispatch_ptr 0
		.amdhsa_user_sgpr_queue_ptr 0
		.amdhsa_user_sgpr_kernarg_segment_ptr 1
		.amdhsa_user_sgpr_dispatch_id 0
		.amdhsa_user_sgpr_flat_scratch_init 0
		.amdhsa_user_sgpr_private_segment_size 0
		.amdhsa_wavefront_size32 1
		.amdhsa_uses_dynamic_stack 0
		.amdhsa_system_sgpr_private_segment_wavefront_offset 0
		.amdhsa_system_sgpr_workgroup_id_x 1
		.amdhsa_system_sgpr_workgroup_id_y 0
		.amdhsa_system_sgpr_workgroup_id_z 1
		.amdhsa_system_sgpr_workgroup_info 0
		.amdhsa_system_vgpr_workitem_id 0
		.amdhsa_next_free_vgpr 49
		.amdhsa_next_free_sgpr 46
		.amdhsa_reserve_vcc 1
		.amdhsa_reserve_flat_scratch 1
		.amdhsa_float_round_mode_32 0
		.amdhsa_float_round_mode_16_64 0
		.amdhsa_float_denorm_mode_32 3
		.amdhsa_float_denorm_mode_16_64 3
		.amdhsa_dx10_clamp 1
		.amdhsa_ieee_mode 1
		.amdhsa_fp16_overflow 0
		.amdhsa_workgroup_processor_mode 1
		.amdhsa_memory_ordered 1
		.amdhsa_forward_progress 1
		.amdhsa_shared_vgpr_count 0
		.amdhsa_exception_fp_ieee_invalid_op 0
		.amdhsa_exception_fp_denorm_src 0
		.amdhsa_exception_fp_ieee_div_zero 0
		.amdhsa_exception_fp_ieee_overflow 0
		.amdhsa_exception_fp_ieee_underflow 0
		.amdhsa_exception_fp_ieee_inexact 0
		.amdhsa_exception_int_div_zero 0
	.end_amdhsa_kernel
	.section	.text._ZL23rocblas_gemvt_sn_kernelILb0ELi256ELi4ElPKDF16_ffEviiT4_lPKT3_lilS5_lilPT5_i,"axG",@progbits,_ZL23rocblas_gemvt_sn_kernelILb0ELi256ELi4ElPKDF16_ffEviiT4_lPKT3_lilS5_lilPT5_i,comdat
.Lfunc_end444:
	.size	_ZL23rocblas_gemvt_sn_kernelILb0ELi256ELi4ElPKDF16_ffEviiT4_lPKT3_lilS5_lilPT5_i, .Lfunc_end444-_ZL23rocblas_gemvt_sn_kernelILb0ELi256ELi4ElPKDF16_ffEviiT4_lPKT3_lilS5_lilPT5_i
                                        ; -- End function
	.set _ZL23rocblas_gemvt_sn_kernelILb0ELi256ELi4ElPKDF16_ffEviiT4_lPKT3_lilS5_lilPT5_i.num_vgpr, 49
	.set _ZL23rocblas_gemvt_sn_kernelILb0ELi256ELi4ElPKDF16_ffEviiT4_lPKT3_lilS5_lilPT5_i.num_agpr, 0
	.set _ZL23rocblas_gemvt_sn_kernelILb0ELi256ELi4ElPKDF16_ffEviiT4_lPKT3_lilS5_lilPT5_i.numbered_sgpr, 46
	.set _ZL23rocblas_gemvt_sn_kernelILb0ELi256ELi4ElPKDF16_ffEviiT4_lPKT3_lilS5_lilPT5_i.num_named_barrier, 0
	.set _ZL23rocblas_gemvt_sn_kernelILb0ELi256ELi4ElPKDF16_ffEviiT4_lPKT3_lilS5_lilPT5_i.private_seg_size, 0
	.set _ZL23rocblas_gemvt_sn_kernelILb0ELi256ELi4ElPKDF16_ffEviiT4_lPKT3_lilS5_lilPT5_i.uses_vcc, 1
	.set _ZL23rocblas_gemvt_sn_kernelILb0ELi256ELi4ElPKDF16_ffEviiT4_lPKT3_lilS5_lilPT5_i.uses_flat_scratch, 1
	.set _ZL23rocblas_gemvt_sn_kernelILb0ELi256ELi4ElPKDF16_ffEviiT4_lPKT3_lilS5_lilPT5_i.has_dyn_sized_stack, 0
	.set _ZL23rocblas_gemvt_sn_kernelILb0ELi256ELi4ElPKDF16_ffEviiT4_lPKT3_lilS5_lilPT5_i.has_recursion, 0
	.set _ZL23rocblas_gemvt_sn_kernelILb0ELi256ELi4ElPKDF16_ffEviiT4_lPKT3_lilS5_lilPT5_i.has_indirect_call, 0
	.section	.AMDGPU.csdata,"",@progbits
; Kernel info:
; codeLenInByte = 4268
; TotalNumSgprs: 48
; NumVgprs: 49
; ScratchSize: 0
; MemoryBound: 0
; FloatMode: 240
; IeeeMode: 1
; LDSByteSize: 128 bytes/workgroup (compile time only)
; SGPRBlocks: 0
; VGPRBlocks: 6
; NumSGPRsForWavesPerEU: 48
; NumVGPRsForWavesPerEU: 49
; Occupancy: 16
; WaveLimiterHint : 0
; COMPUTE_PGM_RSRC2:SCRATCH_EN: 0
; COMPUTE_PGM_RSRC2:USER_SGPR: 6
; COMPUTE_PGM_RSRC2:TRAP_HANDLER: 0
; COMPUTE_PGM_RSRC2:TGID_X_EN: 1
; COMPUTE_PGM_RSRC2:TGID_Y_EN: 0
; COMPUTE_PGM_RSRC2:TGID_Z_EN: 1
; COMPUTE_PGM_RSRC2:TIDIG_COMP_CNT: 0
	.section	.text._ZL23rocblas_gemvt_sn_reduceILi256ELi8EffKPDF16_EviT2_lPT3_lilPT1_i,"axG",@progbits,_ZL23rocblas_gemvt_sn_reduceILi256ELi8EffKPDF16_EviT2_lPT3_lilPT1_i,comdat
	.globl	_ZL23rocblas_gemvt_sn_reduceILi256ELi8EffKPDF16_EviT2_lPT3_lilPT1_i ; -- Begin function _ZL23rocblas_gemvt_sn_reduceILi256ELi8EffKPDF16_EviT2_lPT3_lilPT1_i
	.p2align	8
	.type	_ZL23rocblas_gemvt_sn_reduceILi256ELi8EffKPDF16_EviT2_lPT3_lilPT1_i,@function
_ZL23rocblas_gemvt_sn_reduceILi256ELi8EffKPDF16_EviT2_lPT3_lilPT1_i: ; @_ZL23rocblas_gemvt_sn_reduceILi256ELi8EffKPDF16_EviT2_lPT3_lilPT1_i
; %bb.0:
	s_clause 0x2
	s_load_dwordx4 s[0:3], s[4:5], 0x10
	s_load_dwordx2 s[10:11], s[4:5], 0x0
	s_load_dword s6, s[4:5], 0x44
	s_mov_b32 s9, 0
	v_lshlrev_b32_e32 v4, 3, v0
	s_lshl_b64 s[12:13], s[8:9], 3
	v_mov_b32_e32 v3, 0
	s_waitcnt lgkmcnt(0)
	s_add_u32 s0, s0, s12
	s_addc_u32 s1, s1, s13
	s_load_dwordx2 s[14:15], s[4:5], 0x30
	s_load_dwordx2 s[12:13], s[0:1], 0x0
	s_ashr_i32 s16, s10, 31
	s_mul_i32 s6, s6, s8
	s_add_u32 s0, s4, 64
	s_addc_u32 s1, s5, 0
	s_add_i32 s8, s6, s7
	s_lshr_b32 s6, s16, 29
	s_mul_i32 s16, s8, s16
	s_add_i32 s6, s10, s6
	s_mul_hi_u32 s17, s8, s10
	s_and_b32 s6, s6, -8
	s_add_i32 s17, s17, s16
	s_mul_i32 s16, s8, s10
	s_mov_b32 s8, exec_lo
	v_cmpx_gt_i32_e64 s6, v4
	s_cbranch_execz .LBB445_4
; %bb.1:
	s_load_dword s0, s[0:1], 0xc
	v_lshlrev_b32_e32 v1, 5, v0
	s_lshl_b64 s[18:19], s[16:17], 2
	v_mov_b32_e32 v3, 0
	s_waitcnt lgkmcnt(0)
	s_and_b32 s0, s0, 0xffff
	s_lshl_b32 s1, s0, 3
	s_add_u32 s18, s14, s18
	s_addc_u32 s19, s15, s19
	v_add_co_u32 v1, s18, s18, v1
	v_add_co_ci_u32_e64 v2, null, s19, 0, s18
	s_lshl_b32 s18, s0, 5
	v_add_co_u32 v1, vcc_lo, v1, 28
	v_add_co_ci_u32_e64 v2, null, 0, v2, vcc_lo
	.p2align	6
.LBB445_2:                              ; =>This Inner Loop Header: Depth=1
	s_clause 0x1
	global_load_dwordx4 v[5:8], v[1:2], off offset:-28
	global_load_dwordx4 v[9:12], v[1:2], off offset:-12
	v_add_nc_u32_e32 v4, s1, v4
	v_add_co_u32 v1, vcc_lo, v1, s18
	v_add_co_ci_u32_e64 v2, null, 0, v2, vcc_lo
	v_cmp_le_i32_e64 s0, s6, v4
	s_or_b32 s9, s0, s9
	s_waitcnt vmcnt(1)
	v_add_f32_e32 v3, v3, v5
	v_add_f32_e32 v3, v3, v6
	;; [unrolled: 1-line block ×4, first 2 shown]
	s_waitcnt vmcnt(0)
	v_add_f32_e32 v3, v3, v9
	v_add_f32_e32 v3, v3, v10
	;; [unrolled: 1-line block ×4, first 2 shown]
	s_andn2_b32 exec_lo, exec_lo, s9
	s_cbranch_execnz .LBB445_2
; %bb.3:
	s_or_b32 exec_lo, exec_lo, s9
.LBB445_4:
	s_or_b32 exec_lo, exec_lo, s8
	s_sub_i32 s0, s10, s6
	v_cmp_gt_u32_e32 vcc_lo, s0, v0
	s_and_saveexec_b32 s0, vcc_lo
	s_cbranch_execz .LBB445_6
; %bb.5:
	v_xad_u32 v1, v0, -1, s10
	v_mov_b32_e32 v2, 0
	s_lshl_b64 s[8:9], s[16:17], 2
	s_waitcnt lgkmcnt(0)
	s_add_u32 s1, s14, s8
	s_addc_u32 s6, s15, s9
	v_lshlrev_b64 v[1:2], 2, v[1:2]
	v_add_co_u32 v1, vcc_lo, s1, v1
	v_add_co_ci_u32_e64 v2, null, s6, v2, vcc_lo
	global_load_dword v1, v[1:2], off
	s_waitcnt vmcnt(0)
	v_add_f32_e32 v3, v3, v1
.LBB445_6:
	s_or_b32 exec_lo, exec_lo, s0
	v_and_b32_e32 v1, 31, v0
	v_cmp_gt_u32_e32 vcc_lo, 32, v0
	v_lshlrev_b32_e32 v2, 2, v1
	s_and_saveexec_b32 s0, vcc_lo
; %bb.7:
	v_mov_b32_e32 v4, 0
	ds_write_b32 v2, v4
; %bb.8:
	s_or_b32 exec_lo, exec_lo, s0
	v_mbcnt_lo_u32_b32 v5, -1, 0
	s_mov_b32 s1, exec_lo
	s_waitcnt lgkmcnt(0)
	s_barrier
	buffer_gl0_inv
	v_lshl_or_b32 v4, v5, 2, 64
	v_cmp_gt_u32_e64 s0, 24, v5
	ds_bpermute_b32 v4, v4, v3
	v_cndmask_b32_e64 v6, 0, 8, s0
	v_cmp_gt_u32_e64 s0, 28, v5
	v_add_lshl_u32 v6, v6, v5, 2
	s_waitcnt lgkmcnt(0)
	v_add_f32_e32 v4, v3, v4
	v_cndmask_b32_e64 v3, 0, 4, s0
	v_cmp_gt_u32_e64 s0, 30, v5
	ds_bpermute_b32 v6, v6, v4
	v_add_lshl_u32 v3, v3, v5, 2
	s_waitcnt lgkmcnt(0)
	v_add_f32_e32 v6, v4, v6
	v_cndmask_b32_e64 v4, 0, 2, s0
	v_cmp_ne_u32_e64 s0, 31, v5
	ds_bpermute_b32 v7, v3, v6
	v_add_lshl_u32 v4, v4, v5, 2
	v_add_co_ci_u32_e64 v5, null, 0, v5, s0
	v_lshlrev_b32_e32 v5, 2, v5
	s_waitcnt lgkmcnt(0)
	v_add_f32_e32 v6, v6, v7
	ds_bpermute_b32 v7, v4, v6
	s_waitcnt lgkmcnt(0)
	v_add_f32_e32 v6, v6, v7
	ds_bpermute_b32 v7, v5, v6
	v_cmpx_eq_u32_e32 0, v1
	s_cbranch_execz .LBB445_10
; %bb.9:
	v_lshrrev_b32_e32 v1, 3, v0
	s_waitcnt lgkmcnt(0)
	v_add_f32_e32 v6, v6, v7
	v_and_b32_e32 v1, 28, v1
	ds_write_b32 v1, v6
.LBB445_10:
	s_or_b32 exec_lo, exec_lo, s1
	v_mov_b32_e32 v1, 0
	s_mov_b32 s1, exec_lo
	s_waitcnt lgkmcnt(0)
	s_barrier
	buffer_gl0_inv
	v_cmpx_gt_u32_e32 8, v0
; %bb.11:
	ds_read_b32 v1, v2
; %bb.12:
	s_or_b32 exec_lo, exec_lo, s1
	s_and_saveexec_b32 s0, vcc_lo
	s_cbranch_execz .LBB445_14
; %bb.13:
	s_waitcnt lgkmcnt(0)
	ds_bpermute_b32 v2, v3, v1
	s_waitcnt lgkmcnt(0)
	v_add_f32_e32 v1, v1, v2
	ds_bpermute_b32 v2, v4, v1
	s_waitcnt lgkmcnt(0)
	v_add_f32_e32 v1, v1, v2
	;; [unrolled: 3-line block ×3, first 2 shown]
.LBB445_14:
	s_or_b32 exec_lo, exec_lo, s0
	s_mov_b32 s0, exec_lo
	v_cmpx_eq_u32_e32 0, v0
	s_cbranch_execz .LBB445_18
; %bb.15:
	s_load_dword s0, s[4:5], 0x20
	v_cmp_eq_f32_e64 s1, s11, 0
	s_lshl_b64 s[2:3], s[2:3], 1
	s_waitcnt lgkmcnt(0)
	s_ashr_i32 s4, s0, 31
	s_mul_hi_u32 s5, s0, s7
	s_mul_i32 s4, s4, s7
	s_add_u32 s2, s12, s2
	s_mul_i32 s0, s0, s7
	s_addc_u32 s3, s13, s3
	s_and_b32 vcc_lo, exec_lo, s1
	s_add_i32 s1, s5, s4
	s_cbranch_vccnz .LBB445_17
; %bb.16:
	s_lshl_b64 s[4:5], s[0:1], 1
	s_add_u32 s4, s2, s4
	s_addc_u32 s5, s3, s5
	v_mov_b32_e32 v2, s4
	v_mov_b32_e32 v3, s5
	flat_load_ushort v0, v[2:3]
	s_waitcnt vmcnt(0) lgkmcnt(0)
	v_fma_mix_f32 v1, s11, v0, v1 op_sel_hi:[0,1,0]
.LBB445_17:
	s_lshl_b64 s[0:1], s[0:1], 1
	v_cvt_f16_f32_e32 v2, v1
	s_add_u32 s0, s2, s0
	s_addc_u32 s1, s3, s1
	v_mov_b32_e32 v0, s0
	v_mov_b32_e32 v1, s1
	flat_store_short v[0:1], v2
.LBB445_18:
	s_endpgm
	.section	.rodata,"a",@progbits
	.p2align	6, 0x0
	.amdhsa_kernel _ZL23rocblas_gemvt_sn_reduceILi256ELi8EffKPDF16_EviT2_lPT3_lilPT1_i
		.amdhsa_group_segment_fixed_size 128
		.amdhsa_private_segment_fixed_size 0
		.amdhsa_kernarg_size 320
		.amdhsa_user_sgpr_count 6
		.amdhsa_user_sgpr_private_segment_buffer 1
		.amdhsa_user_sgpr_dispatch_ptr 0
		.amdhsa_user_sgpr_queue_ptr 0
		.amdhsa_user_sgpr_kernarg_segment_ptr 1
		.amdhsa_user_sgpr_dispatch_id 0
		.amdhsa_user_sgpr_flat_scratch_init 0
		.amdhsa_user_sgpr_private_segment_size 0
		.amdhsa_wavefront_size32 1
		.amdhsa_uses_dynamic_stack 0
		.amdhsa_system_sgpr_private_segment_wavefront_offset 0
		.amdhsa_system_sgpr_workgroup_id_x 1
		.amdhsa_system_sgpr_workgroup_id_y 1
		.amdhsa_system_sgpr_workgroup_id_z 1
		.amdhsa_system_sgpr_workgroup_info 0
		.amdhsa_system_vgpr_workitem_id 0
		.amdhsa_next_free_vgpr 13
		.amdhsa_next_free_sgpr 20
		.amdhsa_reserve_vcc 1
		.amdhsa_reserve_flat_scratch 0
		.amdhsa_float_round_mode_32 0
		.amdhsa_float_round_mode_16_64 0
		.amdhsa_float_denorm_mode_32 3
		.amdhsa_float_denorm_mode_16_64 3
		.amdhsa_dx10_clamp 1
		.amdhsa_ieee_mode 1
		.amdhsa_fp16_overflow 0
		.amdhsa_workgroup_processor_mode 1
		.amdhsa_memory_ordered 1
		.amdhsa_forward_progress 1
		.amdhsa_shared_vgpr_count 0
		.amdhsa_exception_fp_ieee_invalid_op 0
		.amdhsa_exception_fp_denorm_src 0
		.amdhsa_exception_fp_ieee_div_zero 0
		.amdhsa_exception_fp_ieee_overflow 0
		.amdhsa_exception_fp_ieee_underflow 0
		.amdhsa_exception_fp_ieee_inexact 0
		.amdhsa_exception_int_div_zero 0
	.end_amdhsa_kernel
	.section	.text._ZL23rocblas_gemvt_sn_reduceILi256ELi8EffKPDF16_EviT2_lPT3_lilPT1_i,"axG",@progbits,_ZL23rocblas_gemvt_sn_reduceILi256ELi8EffKPDF16_EviT2_lPT3_lilPT1_i,comdat
.Lfunc_end445:
	.size	_ZL23rocblas_gemvt_sn_reduceILi256ELi8EffKPDF16_EviT2_lPT3_lilPT1_i, .Lfunc_end445-_ZL23rocblas_gemvt_sn_reduceILi256ELi8EffKPDF16_EviT2_lPT3_lilPT1_i
                                        ; -- End function
	.set _ZL23rocblas_gemvt_sn_reduceILi256ELi8EffKPDF16_EviT2_lPT3_lilPT1_i.num_vgpr, 13
	.set _ZL23rocblas_gemvt_sn_reduceILi256ELi8EffKPDF16_EviT2_lPT3_lilPT1_i.num_agpr, 0
	.set _ZL23rocblas_gemvt_sn_reduceILi256ELi8EffKPDF16_EviT2_lPT3_lilPT1_i.numbered_sgpr, 20
	.set _ZL23rocblas_gemvt_sn_reduceILi256ELi8EffKPDF16_EviT2_lPT3_lilPT1_i.num_named_barrier, 0
	.set _ZL23rocblas_gemvt_sn_reduceILi256ELi8EffKPDF16_EviT2_lPT3_lilPT1_i.private_seg_size, 0
	.set _ZL23rocblas_gemvt_sn_reduceILi256ELi8EffKPDF16_EviT2_lPT3_lilPT1_i.uses_vcc, 1
	.set _ZL23rocblas_gemvt_sn_reduceILi256ELi8EffKPDF16_EviT2_lPT3_lilPT1_i.uses_flat_scratch, 0
	.set _ZL23rocblas_gemvt_sn_reduceILi256ELi8EffKPDF16_EviT2_lPT3_lilPT1_i.has_dyn_sized_stack, 0
	.set _ZL23rocblas_gemvt_sn_reduceILi256ELi8EffKPDF16_EviT2_lPT3_lilPT1_i.has_recursion, 0
	.set _ZL23rocblas_gemvt_sn_reduceILi256ELi8EffKPDF16_EviT2_lPT3_lilPT1_i.has_indirect_call, 0
	.section	.AMDGPU.csdata,"",@progbits
; Kernel info:
; codeLenInByte = 972
; TotalNumSgprs: 22
; NumVgprs: 13
; ScratchSize: 0
; MemoryBound: 0
; FloatMode: 240
; IeeeMode: 1
; LDSByteSize: 128 bytes/workgroup (compile time only)
; SGPRBlocks: 0
; VGPRBlocks: 1
; NumSGPRsForWavesPerEU: 22
; NumVGPRsForWavesPerEU: 13
; Occupancy: 16
; WaveLimiterHint : 1
; COMPUTE_PGM_RSRC2:SCRATCH_EN: 0
; COMPUTE_PGM_RSRC2:USER_SGPR: 6
; COMPUTE_PGM_RSRC2:TRAP_HANDLER: 0
; COMPUTE_PGM_RSRC2:TGID_X_EN: 1
; COMPUTE_PGM_RSRC2:TGID_Y_EN: 1
; COMPUTE_PGM_RSRC2:TGID_Z_EN: 1
; COMPUTE_PGM_RSRC2:TIDIG_COMP_CNT: 0
	.section	.text._ZL32rocblas_gemvt_warp_reduce_kernelILb0ELi256EiPKDF16_PKfKPDF16_EviiT3_lPKT2_lT1_lS9_lSA_lS6_lPT4_lSA_li,"axG",@progbits,_ZL32rocblas_gemvt_warp_reduce_kernelILb0ELi256EiPKDF16_PKfKPDF16_EviiT3_lPKT2_lT1_lS9_lSA_lS6_lPT4_lSA_li,comdat
	.globl	_ZL32rocblas_gemvt_warp_reduce_kernelILb0ELi256EiPKDF16_PKfKPDF16_EviiT3_lPKT2_lT1_lS9_lSA_lS6_lPT4_lSA_li ; -- Begin function _ZL32rocblas_gemvt_warp_reduce_kernelILb0ELi256EiPKDF16_PKfKPDF16_EviiT3_lPKT2_lT1_lS9_lSA_lS6_lPT4_lSA_li
	.p2align	8
	.type	_ZL32rocblas_gemvt_warp_reduce_kernelILb0ELi256EiPKDF16_PKfKPDF16_EviiT3_lPKT2_lT1_lS9_lSA_lS6_lPT4_lSA_li,@function
_ZL32rocblas_gemvt_warp_reduce_kernelILb0ELi256EiPKDF16_PKfKPDF16_EviiT3_lPKT2_lT1_lS9_lSA_lS6_lPT4_lSA_li: ; @_ZL32rocblas_gemvt_warp_reduce_kernelILb0ELi256EiPKDF16_PKfKPDF16_EviiT3_lPKT2_lT1_lS9_lSA_lS6_lPT4_lSA_li
; %bb.0:
	s_clause 0x1
	s_load_dwordx8 s[16:23], s[4:5], 0x8
	s_load_dwordx8 s[8:15], s[4:5], 0x58
	s_mov_b32 s0, s7
	s_waitcnt lgkmcnt(0)
	s_mul_i32 s1, s19, s7
	s_mul_hi_u32 s3, s18, s7
	s_mul_i32 s2, s18, s7
	s_add_i32 s3, s3, s1
	s_mul_i32 s1, s11, s7
	s_lshl_b64 s[2:3], s[2:3], 2
	s_mul_hi_u32 s7, s10, s7
	s_add_u32 s2, s16, s2
	s_addc_u32 s3, s17, s3
	s_add_i32 s11, s7, s1
	s_mul_i32 s10, s10, s0
	s_lshl_b64 s[10:11], s[10:11], 2
	s_add_u32 s8, s8, s10
	s_addc_u32 s9, s9, s11
	s_load_dword s16, s[2:3], 0x0
	s_load_dword s7, s[8:9], 0x0
	s_waitcnt lgkmcnt(0)
	v_cmp_eq_f32_e64 s10, s16, 0
	v_cmp_eq_f32_e64 s1, s7, 1.0
	s_and_b32 s1, s10, s1
	s_and_b32 vcc_lo, exec_lo, s1
	s_mov_b32 s1, 0
	s_cbranch_vccnz .LBB446_34
; %bb.1:
	v_cmp_neq_f32_e64 s11, s16, 0
	s_mov_b64 s[2:3], 0
	s_and_b32 vcc_lo, exec_lo, s10
	s_mov_b64 s[8:9], 0
	s_cbranch_vccnz .LBB446_3
; %bb.2:
	s_lshl_b64 s[8:9], s[0:1], 3
	s_add_u32 s8, s20, s8
	s_addc_u32 s9, s21, s9
	s_lshl_b64 s[18:19], s[22:23], 1
	s_load_dwordx2 s[8:9], s[8:9], 0x0
	s_waitcnt lgkmcnt(0)
	s_add_u32 s8, s8, s18
	s_addc_u32 s9, s9, s19
.LBB446_3:
	s_andn2_b32 vcc_lo, exec_lo, s11
	s_cbranch_vccnz .LBB446_5
; %bb.4:
	s_load_dwordx4 s[20:23], s[4:5], 0x38
	s_lshl_b64 s[2:3], s[0:1], 3
	s_waitcnt lgkmcnt(0)
	s_add_u32 s2, s20, s2
	s_addc_u32 s3, s21, s3
	s_lshl_b64 s[18:19], s[22:23], 1
	s_load_dwordx2 s[2:3], s[2:3], 0x0
	s_waitcnt lgkmcnt(0)
	s_add_u32 s2, s2, s18
	s_addc_u32 s3, s3, s19
.LBB446_5:
	s_lshl_b64 s[0:1], s[0:1], 3
	s_add_u32 s0, s12, s0
	s_addc_u32 s1, s13, s1
	s_lshl_b64 s[14:15], s[14:15], 1
	s_load_dwordx2 s[12:13], s[0:1], 0x0
	s_load_dword s17, s[4:5], 0x78
	v_cmp_eq_u32_e64 s0, 0, v0
	s_waitcnt lgkmcnt(0)
	s_add_u32 s1, s12, s14
	s_addc_u32 s12, s13, s15
	s_andn2_b32 vcc_lo, exec_lo, s10
	s_cbranch_vccnz .LBB446_9
; %bb.6:
	s_mov_b32 s14, 0
	s_mov_b32 s13, 0
                                        ; implicit-def: $vgpr1
                                        ; implicit-def: $sgpr10_sgpr11
	s_and_saveexec_b32 s15, s0
	s_cbranch_execz .LBB446_10
; %bb.7:
	v_cmp_eq_f32_e64 s0, s7, 0
	s_mul_i32 s10, s17, s6
	s_ashr_i32 s11, s10, 31
	s_and_b32 vcc_lo, exec_lo, s0
	s_cbranch_vccnz .LBB446_11
; %bb.8:
	s_lshl_b64 s[18:19], s[10:11], 1
	s_add_u32 s18, s1, s18
	s_addc_u32 s19, s12, s19
	v_mov_b32_e32 v1, s18
	v_mov_b32_e32 v2, s19
	flat_load_ushort v1, v[1:2]
	s_waitcnt vmcnt(0) lgkmcnt(0)
	v_fma_mixlo_f16 v1, s7, v1, 0 op_sel_hi:[0,1,0]
	s_branch .LBB446_12
.LBB446_9:
	s_mov_b32 s13, 0
                                        ; implicit-def: $vgpr1
                                        ; implicit-def: $sgpr10_sgpr11
	s_cbranch_execnz .LBB446_13
	s_branch .LBB446_32
.LBB446_10:
	s_or_b32 exec_lo, exec_lo, s15
	s_and_b32 vcc_lo, exec_lo, s14
	s_cbranch_vccnz .LBB446_13
	s_branch .LBB446_32
.LBB446_11:
	v_mov_b32_e32 v1, 0
.LBB446_12:
	s_mov_b32 s13, exec_lo
	s_or_b32 exec_lo, exec_lo, s15
	s_and_b32 vcc_lo, exec_lo, s14
	s_cbranch_vccz .LBB446_32
.LBB446_13:
	s_clause 0x2
	s_load_dword s10, s[4:5], 0x0
	s_load_dword s0, s[4:5], 0x28
	;; [unrolled: 1-line block ×3, first 2 shown]
	v_mov_b32_e32 v7, 0
	s_waitcnt lgkmcnt(0)
	v_cmp_gt_i32_e32 vcc_lo, s10, v0
	s_mul_i32 s14, s0, s6
	s_ashr_i32 s0, s10, 31
	s_ashr_i32 s15, s14, 31
	s_lshr_b32 s0, s0, 24
	v_cndmask_b32_e32 v1, 0, v0, vcc_lo
	s_lshl_b64 s[14:15], s[14:15], 1
	s_add_i32 s0, s10, s0
	v_lshlrev_b32_e32 v1, 1, v1
	v_add_co_u32 v1, s4, s8, v1
	v_add_co_ci_u32_e64 v2, null, s9, 0, s4
	s_and_b32 s4, s0, 0xffffff00
	v_add_co_u32 v1, vcc_lo, v1, s14
	v_add_co_ci_u32_e64 v2, null, s15, v2, vcc_lo
	s_mov_b32 s9, 0
	s_mov_b32 s8, exec_lo
	v_cmpx_gt_i32_e64 s4, v0
	s_cbranch_execz .LBB446_17
; %bb.14:
	v_mul_lo_u32 v3, v0, s5
	v_mov_b32_e32 v6, v2
	v_mov_b32_e32 v7, 0
	;; [unrolled: 1-line block ×4, first 2 shown]
	s_lshl_b32 s11, s5, 8
	.p2align	6
.LBB446_15:                             ; =>This Inner Loop Header: Depth=1
	v_ashrrev_i32_e32 v4, 31, v3
	v_add_nc_u32_e32 v8, 0x100, v8
	v_lshlrev_b64 v[9:10], 1, v[3:4]
	v_cmp_le_i32_e64 s0, s4, v8
	v_add_nc_u32_e32 v3, s11, v3
	s_or_b32 s9, s0, s9
	v_add_co_u32 v9, vcc_lo, s2, v9
	v_add_co_ci_u32_e64 v10, null, s3, v10, vcc_lo
	flat_load_ushort v4, v[5:6]
	flat_load_ushort v9, v[9:10]
	v_add_co_u32 v5, vcc_lo, 0x200, v5
	v_add_co_ci_u32_e64 v6, null, 0, v6, vcc_lo
	s_waitcnt vmcnt(0) lgkmcnt(0)
	v_mul_f16_e32 v4, v4, v9
	v_cvt_f32_f16_e32 v4, v4
	v_add_f32_e32 v7, v7, v4
	s_andn2_b32 exec_lo, exec_lo, s9
	s_cbranch_execnz .LBB446_15
; %bb.16:
	s_or_b32 exec_lo, exec_lo, s9
.LBB446_17:
	s_or_b32 exec_lo, exec_lo, s8
	v_add_nc_u32_e32 v3, s4, v0
	s_mov_b32 s0, exec_lo
	v_cmpx_gt_i32_e64 s10, v3
	s_cbranch_execz .LBB446_19
; %bb.18:
	v_mul_lo_u32 v3, s5, v3
	s_ashr_i32 s5, s4, 31
	s_lshl_b64 s[4:5], s[4:5], 1
	v_add_co_u32 v1, vcc_lo, v1, s4
	v_add_co_ci_u32_e64 v2, null, s5, v2, vcc_lo
	v_ashrrev_i32_e32 v4, 31, v3
	v_lshlrev_b64 v[3:4], 1, v[3:4]
	v_add_co_u32 v3, vcc_lo, s2, v3
	v_add_co_ci_u32_e64 v4, null, s3, v4, vcc_lo
	flat_load_ushort v1, v[1:2]
	flat_load_ushort v2, v[3:4]
	s_waitcnt vmcnt(0) lgkmcnt(0)
	v_mul_f16_e32 v1, v1, v2
	v_cvt_f32_f16_e32 v1, v1
	v_add_f32_e32 v7, v7, v1
.LBB446_19:
	s_or_b32 exec_lo, exec_lo, s0
	v_and_b32_e32 v5, 31, v0
	v_cmp_gt_u32_e32 vcc_lo, 32, v0
	v_lshlrev_b32_e32 v1, 2, v5
	s_and_saveexec_b32 s0, vcc_lo
; %bb.20:
	v_mov_b32_e32 v2, 0
	ds_write_b32 v1, v2
; %bb.21:
	s_or_b32 exec_lo, exec_lo, s0
	v_mbcnt_lo_u32_b32 v4, -1, 0
	s_mov_b32 s2, exec_lo
	s_waitcnt lgkmcnt(0)
	s_barrier
	buffer_gl0_inv
	v_lshl_or_b32 v2, v4, 2, 64
	v_cmp_gt_u32_e64 s0, 24, v4
	ds_bpermute_b32 v2, v2, v7
	v_cndmask_b32_e64 v3, 0, 8, s0
	v_cmp_gt_u32_e64 s0, 28, v4
	v_add_lshl_u32 v3, v3, v4, 2
	s_waitcnt lgkmcnt(0)
	v_add_f32_e32 v6, v7, v2
	v_cndmask_b32_e64 v2, 0, 4, s0
	v_cmp_gt_u32_e64 s0, 30, v4
	ds_bpermute_b32 v3, v3, v6
	v_add_lshl_u32 v2, v2, v4, 2
	s_waitcnt lgkmcnt(0)
	v_add_f32_e32 v6, v6, v3
	v_cndmask_b32_e64 v3, 0, 2, s0
	v_cmp_ne_u32_e64 s0, 31, v4
	ds_bpermute_b32 v7, v2, v6
	v_add_lshl_u32 v3, v3, v4, 2
	v_add_co_ci_u32_e64 v4, null, 0, v4, s0
	v_lshlrev_b32_e32 v4, 2, v4
	s_waitcnt lgkmcnt(0)
	v_add_f32_e32 v6, v6, v7
	ds_bpermute_b32 v7, v3, v6
	s_waitcnt lgkmcnt(0)
	v_add_f32_e32 v6, v6, v7
	ds_bpermute_b32 v7, v4, v6
	v_cmpx_eq_u32_e32 0, v5
	s_cbranch_execz .LBB446_23
; %bb.22:
	v_lshrrev_b32_e32 v5, 3, v0
	s_waitcnt lgkmcnt(0)
	v_add_f32_e32 v6, v6, v7
	v_and_b32_e32 v5, 28, v5
	ds_write_b32 v5, v6
.LBB446_23:
	s_or_b32 exec_lo, exec_lo, s2
	v_mov_b32_e32 v5, 0
	s_mov_b32 s2, exec_lo
	s_waitcnt lgkmcnt(0)
	s_barrier
	buffer_gl0_inv
	v_cmpx_gt_u32_e32 8, v0
; %bb.24:
	ds_read_b32 v5, v1
; %bb.25:
	s_or_b32 exec_lo, exec_lo, s2
	s_and_saveexec_b32 s0, vcc_lo
	s_cbranch_execz .LBB446_27
; %bb.26:
	s_waitcnt lgkmcnt(0)
	ds_bpermute_b32 v1, v2, v5
	s_waitcnt lgkmcnt(0)
	v_add_f32_e32 v1, v5, v1
	ds_bpermute_b32 v2, v3, v1
	s_waitcnt lgkmcnt(0)
	v_add_f32_e32 v1, v1, v2
	;; [unrolled: 3-line block ×3, first 2 shown]
.LBB446_27:
	s_or_b32 exec_lo, exec_lo, s0
	s_mov_b32 s0, exec_lo
                                        ; implicit-def: $vgpr1
                                        ; implicit-def: $sgpr10_sgpr11
	v_cmpx_eq_u32_e32 0, v0
	s_cbranch_execz .LBB446_31
; %bb.28:
	v_cmp_eq_f32_e64 s2, s7, 0
	s_waitcnt lgkmcnt(0)
	v_mul_f32_e32 v0, s16, v5
	s_mul_i32 s10, s17, s6
	s_ashr_i32 s11, s10, 31
	s_and_b32 vcc_lo, exec_lo, s2
	s_cbranch_vccnz .LBB446_30
; %bb.29:
	s_lshl_b64 s[2:3], s[10:11], 1
	s_add_u32 s2, s1, s2
	s_addc_u32 s3, s12, s3
	v_mov_b32_e32 v1, s2
	v_mov_b32_e32 v2, s3
	flat_load_ushort v1, v[1:2]
	s_waitcnt vmcnt(0) lgkmcnt(0)
	v_fma_mix_f32 v0, s7, v1, v0 op_sel_hi:[0,1,0]
.LBB446_30:
	v_cvt_f16_f32_e32 v1, v0
	s_or_b32 s13, s13, exec_lo
.LBB446_31:
	s_or_b32 exec_lo, exec_lo, s0
.LBB446_32:
	s_and_saveexec_b32 s0, s13
	s_cbranch_execz .LBB446_34
; %bb.33:
	s_lshl_b64 s[2:3], s[10:11], 1
	s_add_u32 s0, s1, s2
	s_addc_u32 s1, s12, s3
	v_mov_b32_e32 v3, s1
	v_mov_b32_e32 v2, s0
	flat_store_short v[2:3], v1
.LBB446_34:
	s_endpgm
	.section	.rodata,"a",@progbits
	.p2align	6, 0x0
	.amdhsa_kernel _ZL32rocblas_gemvt_warp_reduce_kernelILb0ELi256EiPKDF16_PKfKPDF16_EviiT3_lPKT2_lT1_lS9_lSA_lS6_lPT4_lSA_li
		.amdhsa_group_segment_fixed_size 128
		.amdhsa_private_segment_fixed_size 0
		.amdhsa_kernarg_size 140
		.amdhsa_user_sgpr_count 6
		.amdhsa_user_sgpr_private_segment_buffer 1
		.amdhsa_user_sgpr_dispatch_ptr 0
		.amdhsa_user_sgpr_queue_ptr 0
		.amdhsa_user_sgpr_kernarg_segment_ptr 1
		.amdhsa_user_sgpr_dispatch_id 0
		.amdhsa_user_sgpr_flat_scratch_init 0
		.amdhsa_user_sgpr_private_segment_size 0
		.amdhsa_wavefront_size32 1
		.amdhsa_uses_dynamic_stack 0
		.amdhsa_system_sgpr_private_segment_wavefront_offset 0
		.amdhsa_system_sgpr_workgroup_id_x 1
		.amdhsa_system_sgpr_workgroup_id_y 0
		.amdhsa_system_sgpr_workgroup_id_z 1
		.amdhsa_system_sgpr_workgroup_info 0
		.amdhsa_system_vgpr_workitem_id 0
		.amdhsa_next_free_vgpr 11
		.amdhsa_next_free_sgpr 24
		.amdhsa_reserve_vcc 1
		.amdhsa_reserve_flat_scratch 0
		.amdhsa_float_round_mode_32 0
		.amdhsa_float_round_mode_16_64 0
		.amdhsa_float_denorm_mode_32 3
		.amdhsa_float_denorm_mode_16_64 3
		.amdhsa_dx10_clamp 1
		.amdhsa_ieee_mode 1
		.amdhsa_fp16_overflow 0
		.amdhsa_workgroup_processor_mode 1
		.amdhsa_memory_ordered 1
		.amdhsa_forward_progress 1
		.amdhsa_shared_vgpr_count 0
		.amdhsa_exception_fp_ieee_invalid_op 0
		.amdhsa_exception_fp_denorm_src 0
		.amdhsa_exception_fp_ieee_div_zero 0
		.amdhsa_exception_fp_ieee_overflow 0
		.amdhsa_exception_fp_ieee_underflow 0
		.amdhsa_exception_fp_ieee_inexact 0
		.amdhsa_exception_int_div_zero 0
	.end_amdhsa_kernel
	.section	.text._ZL32rocblas_gemvt_warp_reduce_kernelILb0ELi256EiPKDF16_PKfKPDF16_EviiT3_lPKT2_lT1_lS9_lSA_lS6_lPT4_lSA_li,"axG",@progbits,_ZL32rocblas_gemvt_warp_reduce_kernelILb0ELi256EiPKDF16_PKfKPDF16_EviiT3_lPKT2_lT1_lS9_lSA_lS6_lPT4_lSA_li,comdat
.Lfunc_end446:
	.size	_ZL32rocblas_gemvt_warp_reduce_kernelILb0ELi256EiPKDF16_PKfKPDF16_EviiT3_lPKT2_lT1_lS9_lSA_lS6_lPT4_lSA_li, .Lfunc_end446-_ZL32rocblas_gemvt_warp_reduce_kernelILb0ELi256EiPKDF16_PKfKPDF16_EviiT3_lPKT2_lT1_lS9_lSA_lS6_lPT4_lSA_li
                                        ; -- End function
	.set _ZL32rocblas_gemvt_warp_reduce_kernelILb0ELi256EiPKDF16_PKfKPDF16_EviiT3_lPKT2_lT1_lS9_lSA_lS6_lPT4_lSA_li.num_vgpr, 11
	.set _ZL32rocblas_gemvt_warp_reduce_kernelILb0ELi256EiPKDF16_PKfKPDF16_EviiT3_lPKT2_lT1_lS9_lSA_lS6_lPT4_lSA_li.num_agpr, 0
	.set _ZL32rocblas_gemvt_warp_reduce_kernelILb0ELi256EiPKDF16_PKfKPDF16_EviiT3_lPKT2_lT1_lS9_lSA_lS6_lPT4_lSA_li.numbered_sgpr, 24
	.set _ZL32rocblas_gemvt_warp_reduce_kernelILb0ELi256EiPKDF16_PKfKPDF16_EviiT3_lPKT2_lT1_lS9_lSA_lS6_lPT4_lSA_li.num_named_barrier, 0
	.set _ZL32rocblas_gemvt_warp_reduce_kernelILb0ELi256EiPKDF16_PKfKPDF16_EviiT3_lPKT2_lT1_lS9_lSA_lS6_lPT4_lSA_li.private_seg_size, 0
	.set _ZL32rocblas_gemvt_warp_reduce_kernelILb0ELi256EiPKDF16_PKfKPDF16_EviiT3_lPKT2_lT1_lS9_lSA_lS6_lPT4_lSA_li.uses_vcc, 1
	.set _ZL32rocblas_gemvt_warp_reduce_kernelILb0ELi256EiPKDF16_PKfKPDF16_EviiT3_lPKT2_lT1_lS9_lSA_lS6_lPT4_lSA_li.uses_flat_scratch, 0
	.set _ZL32rocblas_gemvt_warp_reduce_kernelILb0ELi256EiPKDF16_PKfKPDF16_EviiT3_lPKT2_lT1_lS9_lSA_lS6_lPT4_lSA_li.has_dyn_sized_stack, 0
	.set _ZL32rocblas_gemvt_warp_reduce_kernelILb0ELi256EiPKDF16_PKfKPDF16_EviiT3_lPKT2_lT1_lS9_lSA_lS6_lPT4_lSA_li.has_recursion, 0
	.set _ZL32rocblas_gemvt_warp_reduce_kernelILb0ELi256EiPKDF16_PKfKPDF16_EviiT3_lPKT2_lT1_lS9_lSA_lS6_lPT4_lSA_li.has_indirect_call, 0
	.section	.AMDGPU.csdata,"",@progbits
; Kernel info:
; codeLenInByte = 1384
; TotalNumSgprs: 26
; NumVgprs: 11
; ScratchSize: 0
; MemoryBound: 0
; FloatMode: 240
; IeeeMode: 1
; LDSByteSize: 128 bytes/workgroup (compile time only)
; SGPRBlocks: 0
; VGPRBlocks: 1
; NumSGPRsForWavesPerEU: 26
; NumVGPRsForWavesPerEU: 11
; Occupancy: 16
; WaveLimiterHint : 1
; COMPUTE_PGM_RSRC2:SCRATCH_EN: 0
; COMPUTE_PGM_RSRC2:USER_SGPR: 6
; COMPUTE_PGM_RSRC2:TRAP_HANDLER: 0
; COMPUTE_PGM_RSRC2:TGID_X_EN: 1
; COMPUTE_PGM_RSRC2:TGID_Y_EN: 0
; COMPUTE_PGM_RSRC2:TGID_Z_EN: 1
; COMPUTE_PGM_RSRC2:TIDIG_COMP_CNT: 0
	.section	.text._ZL32rocblas_gemvt_warp_reduce_kernelILb0ELi256ElPKDF16_PKfKPDF16_EviiT3_lPKT2_lT1_lS9_lSA_lS6_lPT4_lSA_li,"axG",@progbits,_ZL32rocblas_gemvt_warp_reduce_kernelILb0ELi256ElPKDF16_PKfKPDF16_EviiT3_lPKT2_lT1_lS9_lSA_lS6_lPT4_lSA_li,comdat
	.globl	_ZL32rocblas_gemvt_warp_reduce_kernelILb0ELi256ElPKDF16_PKfKPDF16_EviiT3_lPKT2_lT1_lS9_lSA_lS6_lPT4_lSA_li ; -- Begin function _ZL32rocblas_gemvt_warp_reduce_kernelILb0ELi256ElPKDF16_PKfKPDF16_EviiT3_lPKT2_lT1_lS9_lSA_lS6_lPT4_lSA_li
	.p2align	8
	.type	_ZL32rocblas_gemvt_warp_reduce_kernelILb0ELi256ElPKDF16_PKfKPDF16_EviiT3_lPKT2_lT1_lS9_lSA_lS6_lPT4_lSA_li,@function
_ZL32rocblas_gemvt_warp_reduce_kernelILb0ELi256ElPKDF16_PKfKPDF16_EviiT3_lPKT2_lT1_lS9_lSA_lS6_lPT4_lSA_li: ; @_ZL32rocblas_gemvt_warp_reduce_kernelILb0ELi256ElPKDF16_PKfKPDF16_EviiT3_lPKT2_lT1_lS9_lSA_lS6_lPT4_lSA_li
; %bb.0:
	s_clause 0x1
	s_load_dwordx8 s[16:23], s[4:5], 0x8
	s_load_dwordx8 s[8:15], s[4:5], 0x58
	s_mov_b32 s26, s7
	s_mov_b32 s27, 0
	s_waitcnt lgkmcnt(0)
	s_mul_i32 s1, s19, s7
	s_mul_hi_u32 s2, s18, s7
	s_mul_i32 s0, s18, s7
	s_add_i32 s1, s2, s1
	s_mul_i32 s2, s11, s7
	s_lshl_b64 s[0:1], s[0:1], 2
	s_mul_hi_u32 s3, s10, s7
	s_add_u32 s0, s16, s0
	s_addc_u32 s1, s17, s1
	s_add_i32 s3, s3, s2
	s_mul_i32 s2, s10, s7
	s_lshl_b64 s[2:3], s[2:3], 2
	s_add_u32 s2, s8, s2
	s_addc_u32 s3, s9, s3
	s_load_dword s28, s[0:1], 0x0
	s_load_dword s7, s[2:3], 0x0
	s_waitcnt lgkmcnt(0)
	v_cmp_eq_f32_e64 s29, s28, 0
	v_cmp_eq_f32_e64 s0, s7, 1.0
	s_and_b32 s0, s29, s0
	s_and_b32 vcc_lo, exec_lo, s0
	s_cbranch_vccnz .LBB447_34
; %bb.1:
	s_clause 0x1
	s_load_dwordx2 s[18:19], s[4:5], 0x28
	s_load_dwordx2 s[8:9], s[4:5], 0x78
	v_cmp_neq_f32_e64 s30, s28, 0
	s_mov_b64 s[10:11], 0
	s_and_b32 vcc_lo, exec_lo, s29
	s_mov_b64 s[24:25], 0
	s_cbranch_vccnz .LBB447_3
; %bb.2:
	s_lshl_b64 s[0:1], s[26:27], 3
	s_add_u32 s0, s20, s0
	s_addc_u32 s1, s21, s1
	s_lshl_b64 s[2:3], s[22:23], 1
	s_load_dwordx2 s[0:1], s[0:1], 0x0
	s_waitcnt lgkmcnt(0)
	s_add_u32 s24, s0, s2
	s_addc_u32 s25, s1, s3
.LBB447_3:
	s_clause 0x1
	s_load_dwordx4 s[0:3], s[4:5], 0x38
	s_load_dwordx2 s[16:17], s[4:5], 0x48
	s_andn2_b32 vcc_lo, exec_lo, s30
	s_cbranch_vccnz .LBB447_5
; %bb.4:
	s_lshl_b64 s[10:11], s[26:27], 3
	s_waitcnt lgkmcnt(0)
	s_add_u32 s0, s0, s10
	s_addc_u32 s1, s1, s11
	s_lshl_b64 s[2:3], s[2:3], 1
	s_load_dwordx2 s[0:1], s[0:1], 0x0
	s_waitcnt lgkmcnt(0)
	s_add_u32 s10, s0, s2
	s_addc_u32 s11, s1, s3
.LBB447_5:
	s_waitcnt lgkmcnt(0)
	s_lshl_b64 s[0:1], s[26:27], 3
	s_add_u32 s0, s12, s0
	s_addc_u32 s1, s13, s1
	s_lshl_b64 s[12:13], s[14:15], 1
	s_load_dwordx2 s[2:3], s[0:1], 0x0
	v_cmp_eq_u32_e64 s0, 0, v0
	s_waitcnt lgkmcnt(0)
	s_add_u32 s1, s2, s12
	s_addc_u32 s12, s3, s13
	s_andn2_b32 vcc_lo, exec_lo, s29
	s_cbranch_vccnz .LBB447_9
; %bb.6:
	s_mov_b32 s14, 0
	s_mov_b32 s13, 0
                                        ; implicit-def: $vgpr1
                                        ; implicit-def: $sgpr2_sgpr3
	s_and_saveexec_b32 s15, s0
	s_cbranch_execz .LBB447_10
; %bb.7:
	s_ashr_i32 s2, s6, 31
	v_cmp_eq_f32_e64 s0, s7, 0
	s_mul_hi_u32 s3, s8, s6
	s_mul_i32 s2, s8, s2
	s_mul_i32 s13, s9, s6
	s_add_i32 s2, s3, s2
	s_and_b32 vcc_lo, exec_lo, s0
	s_add_i32 s3, s2, s13
	s_mul_i32 s2, s8, s6
	s_cbranch_vccnz .LBB447_11
; %bb.8:
	s_lshl_b64 s[20:21], s[2:3], 1
	s_add_u32 s20, s1, s20
	s_addc_u32 s21, s12, s21
	v_mov_b32_e32 v1, s20
	v_mov_b32_e32 v2, s21
	flat_load_ushort v1, v[1:2]
	s_waitcnt vmcnt(0) lgkmcnt(0)
	v_fma_mixlo_f16 v1, s7, v1, 0 op_sel_hi:[0,1,0]
	s_branch .LBB447_12
.LBB447_9:
	s_mov_b32 s13, 0
                                        ; implicit-def: $vgpr1
                                        ; implicit-def: $sgpr2_sgpr3
	s_cbranch_execnz .LBB447_13
	s_branch .LBB447_32
.LBB447_10:
	s_or_b32 exec_lo, exec_lo, s15
	s_and_b32 vcc_lo, exec_lo, s14
	s_cbranch_vccnz .LBB447_13
	s_branch .LBB447_32
.LBB447_11:
	v_mov_b32_e32 v1, 0
.LBB447_12:
	s_mov_b32 s13, exec_lo
	s_or_b32 exec_lo, exec_lo, s15
	s_and_b32 vcc_lo, exec_lo, s14
	s_cbranch_vccz .LBB447_32
.LBB447_13:
	s_load_dword s3, s[4:5], 0x0
	s_ashr_i32 s14, s6, 31
	s_mul_hi_u32 s0, s18, s6
	s_mul_i32 s4, s18, s14
	s_mul_i32 s2, s19, s6
	s_add_i32 s0, s0, s4
	s_mul_i32 s4, s18, s6
	s_add_i32 s5, s0, s2
	v_mov_b32_e32 v7, 0
	s_lshl_b64 s[4:5], s[4:5], 1
	s_mov_b32 s18, 0
	s_mov_b32 s15, exec_lo
	s_waitcnt lgkmcnt(0)
	v_cmp_gt_i32_e32 vcc_lo, s3, v0
	s_ashr_i32 s0, s3, 31
	s_lshr_b32 s0, s0, 24
	s_add_i32 s0, s3, s0
	v_cndmask_b32_e32 v1, 0, v0, vcc_lo
	v_lshlrev_b32_e32 v1, 1, v1
	v_add_co_u32 v1, s2, s24, v1
	v_add_co_ci_u32_e64 v2, null, s25, 0, s2
	s_and_b32 s2, s0, 0xffffff00
	v_add_co_u32 v1, vcc_lo, v1, s4
	v_add_co_ci_u32_e64 v2, null, s5, v2, vcc_lo
	v_cmpx_gt_i32_e64 s2, v0
	s_cbranch_execz .LBB447_17
; %bb.14:
	v_mad_u64_u32 v[3:4], null, s16, v0, 0
	v_mov_b32_e32 v7, 0
	v_mov_b32_e32 v8, v0
	s_lshl_b64 s[4:5], s[16:17], 9
	v_mad_u64_u32 v[4:5], null, s17, v0, v[4:5]
	v_lshlrev_b64 v[5:6], 1, v[3:4]
	v_mov_b32_e32 v4, v2
	v_mov_b32_e32 v3, v1
	v_add_co_u32 v5, vcc_lo, s10, v5
	v_add_co_ci_u32_e64 v6, null, s11, v6, vcc_lo
	.p2align	6
.LBB447_15:                             ; =>This Inner Loop Header: Depth=1
	flat_load_ushort v9, v[3:4]
	flat_load_ushort v10, v[5:6]
	v_add_nc_u32_e32 v8, 0x100, v8
	v_add_co_u32 v3, vcc_lo, 0x200, v3
	v_add_co_ci_u32_e64 v4, null, 0, v4, vcc_lo
	v_add_co_u32 v5, vcc_lo, v5, s4
	v_cmp_le_i32_e64 s0, s2, v8
	v_add_co_ci_u32_e64 v6, null, s5, v6, vcc_lo
	s_or_b32 s18, s0, s18
	s_waitcnt vmcnt(0) lgkmcnt(0)
	v_mul_f16_e32 v9, v9, v10
	v_cvt_f32_f16_e32 v9, v9
	v_add_f32_e32 v7, v7, v9
	s_andn2_b32 exec_lo, exec_lo, s18
	s_cbranch_execnz .LBB447_15
; %bb.16:
	s_or_b32 exec_lo, exec_lo, s18
.LBB447_17:
	s_or_b32 exec_lo, exec_lo, s15
	v_add_nc_u32_e32 v3, s2, v0
	s_mov_b32 s0, exec_lo
	v_cmpx_gt_i32_e64 s3, v3
	s_cbranch_execz .LBB447_19
; %bb.18:
	v_ashrrev_i32_e32 v5, 31, v3
	v_mul_lo_u32 v6, s17, v3
	v_mad_u64_u32 v[3:4], null, s16, v3, 0
	s_ashr_i32 s3, s2, 31
	v_mul_lo_u32 v5, s16, v5
	s_lshl_b64 s[2:3], s[2:3], 1
	v_add_co_u32 v1, vcc_lo, v1, s2
	v_add_co_ci_u32_e64 v2, null, s3, v2, vcc_lo
	v_add3_u32 v4, v4, v5, v6
	v_lshlrev_b64 v[3:4], 1, v[3:4]
	v_add_co_u32 v3, vcc_lo, s10, v3
	v_add_co_ci_u32_e64 v4, null, s11, v4, vcc_lo
	flat_load_ushort v1, v[1:2]
	flat_load_ushort v2, v[3:4]
	s_waitcnt vmcnt(0) lgkmcnt(0)
	v_mul_f16_e32 v1, v1, v2
	v_cvt_f32_f16_e32 v1, v1
	v_add_f32_e32 v7, v7, v1
.LBB447_19:
	s_or_b32 exec_lo, exec_lo, s0
	v_and_b32_e32 v5, 31, v0
	v_cmp_gt_u32_e32 vcc_lo, 32, v0
	v_lshlrev_b32_e32 v1, 2, v5
	s_and_saveexec_b32 s0, vcc_lo
; %bb.20:
	v_mov_b32_e32 v2, 0
	ds_write_b32 v1, v2
; %bb.21:
	s_or_b32 exec_lo, exec_lo, s0
	v_mbcnt_lo_u32_b32 v4, -1, 0
	s_mov_b32 s2, exec_lo
	s_waitcnt lgkmcnt(0)
	s_barrier
	buffer_gl0_inv
	v_lshl_or_b32 v2, v4, 2, 64
	v_cmp_gt_u32_e64 s0, 24, v4
	ds_bpermute_b32 v2, v2, v7
	v_cndmask_b32_e64 v3, 0, 8, s0
	v_cmp_gt_u32_e64 s0, 28, v4
	v_add_lshl_u32 v3, v3, v4, 2
	s_waitcnt lgkmcnt(0)
	v_add_f32_e32 v6, v7, v2
	v_cndmask_b32_e64 v2, 0, 4, s0
	v_cmp_gt_u32_e64 s0, 30, v4
	ds_bpermute_b32 v3, v3, v6
	v_add_lshl_u32 v2, v2, v4, 2
	s_waitcnt lgkmcnt(0)
	v_add_f32_e32 v6, v6, v3
	v_cndmask_b32_e64 v3, 0, 2, s0
	v_cmp_ne_u32_e64 s0, 31, v4
	ds_bpermute_b32 v7, v2, v6
	v_add_lshl_u32 v3, v3, v4, 2
	v_add_co_ci_u32_e64 v4, null, 0, v4, s0
	v_lshlrev_b32_e32 v4, 2, v4
	s_waitcnt lgkmcnt(0)
	v_add_f32_e32 v6, v6, v7
	ds_bpermute_b32 v7, v3, v6
	s_waitcnt lgkmcnt(0)
	v_add_f32_e32 v6, v6, v7
	ds_bpermute_b32 v7, v4, v6
	v_cmpx_eq_u32_e32 0, v5
	s_cbranch_execz .LBB447_23
; %bb.22:
	v_lshrrev_b32_e32 v5, 3, v0
	s_waitcnt lgkmcnt(0)
	v_add_f32_e32 v6, v6, v7
	v_and_b32_e32 v5, 28, v5
	ds_write_b32 v5, v6
.LBB447_23:
	s_or_b32 exec_lo, exec_lo, s2
	v_mov_b32_e32 v5, 0
	s_mov_b32 s2, exec_lo
	s_waitcnt lgkmcnt(0)
	s_barrier
	buffer_gl0_inv
	v_cmpx_gt_u32_e32 8, v0
; %bb.24:
	ds_read_b32 v5, v1
; %bb.25:
	s_or_b32 exec_lo, exec_lo, s2
	s_and_saveexec_b32 s0, vcc_lo
	s_cbranch_execz .LBB447_27
; %bb.26:
	s_waitcnt lgkmcnt(0)
	ds_bpermute_b32 v1, v2, v5
	s_waitcnt lgkmcnt(0)
	v_add_f32_e32 v1, v5, v1
	ds_bpermute_b32 v2, v3, v1
	s_waitcnt lgkmcnt(0)
	v_add_f32_e32 v1, v1, v2
	;; [unrolled: 3-line block ×3, first 2 shown]
.LBB447_27:
	s_or_b32 exec_lo, exec_lo, s0
	s_mov_b32 s0, exec_lo
                                        ; implicit-def: $vgpr1
                                        ; implicit-def: $sgpr2_sgpr3
	v_cmpx_eq_u32_e32 0, v0
	s_cbranch_execz .LBB447_31
; %bb.28:
	v_cmp_eq_f32_e64 s4, s7, 0
	s_mul_i32 s2, s8, s14
	s_mul_hi_u32 s3, s8, s6
	s_waitcnt lgkmcnt(0)
	v_mul_f32_e32 v0, s28, v5
	s_add_i32 s2, s3, s2
	s_mul_i32 s3, s9, s6
	s_and_b32 vcc_lo, exec_lo, s4
	s_add_i32 s3, s2, s3
	s_mul_i32 s2, s8, s6
	s_cbranch_vccnz .LBB447_30
; %bb.29:
	s_lshl_b64 s[4:5], s[2:3], 1
	s_add_u32 s4, s1, s4
	s_addc_u32 s5, s12, s5
	v_mov_b32_e32 v1, s4
	v_mov_b32_e32 v2, s5
	flat_load_ushort v1, v[1:2]
	s_waitcnt vmcnt(0) lgkmcnt(0)
	v_fma_mix_f32 v0, s7, v1, v0 op_sel_hi:[0,1,0]
.LBB447_30:
	v_cvt_f16_f32_e32 v1, v0
	s_or_b32 s13, s13, exec_lo
.LBB447_31:
	s_or_b32 exec_lo, exec_lo, s0
.LBB447_32:
	s_and_saveexec_b32 s0, s13
	s_cbranch_execz .LBB447_34
; %bb.33:
	s_lshl_b64 s[2:3], s[2:3], 1
	s_add_u32 s0, s1, s2
	s_addc_u32 s1, s12, s3
	v_mov_b32_e32 v3, s1
	v_mov_b32_e32 v2, s0
	flat_store_short v[2:3], v1
.LBB447_34:
	s_endpgm
	.section	.rodata,"a",@progbits
	.p2align	6, 0x0
	.amdhsa_kernel _ZL32rocblas_gemvt_warp_reduce_kernelILb0ELi256ElPKDF16_PKfKPDF16_EviiT3_lPKT2_lT1_lS9_lSA_lS6_lPT4_lSA_li
		.amdhsa_group_segment_fixed_size 128
		.amdhsa_private_segment_fixed_size 0
		.amdhsa_kernarg_size 140
		.amdhsa_user_sgpr_count 6
		.amdhsa_user_sgpr_private_segment_buffer 1
		.amdhsa_user_sgpr_dispatch_ptr 0
		.amdhsa_user_sgpr_queue_ptr 0
		.amdhsa_user_sgpr_kernarg_segment_ptr 1
		.amdhsa_user_sgpr_dispatch_id 0
		.amdhsa_user_sgpr_flat_scratch_init 0
		.amdhsa_user_sgpr_private_segment_size 0
		.amdhsa_wavefront_size32 1
		.amdhsa_uses_dynamic_stack 0
		.amdhsa_system_sgpr_private_segment_wavefront_offset 0
		.amdhsa_system_sgpr_workgroup_id_x 1
		.amdhsa_system_sgpr_workgroup_id_y 0
		.amdhsa_system_sgpr_workgroup_id_z 1
		.amdhsa_system_sgpr_workgroup_info 0
		.amdhsa_system_vgpr_workitem_id 0
		.amdhsa_next_free_vgpr 11
		.amdhsa_next_free_sgpr 31
		.amdhsa_reserve_vcc 1
		.amdhsa_reserve_flat_scratch 0
		.amdhsa_float_round_mode_32 0
		.amdhsa_float_round_mode_16_64 0
		.amdhsa_float_denorm_mode_32 3
		.amdhsa_float_denorm_mode_16_64 3
		.amdhsa_dx10_clamp 1
		.amdhsa_ieee_mode 1
		.amdhsa_fp16_overflow 0
		.amdhsa_workgroup_processor_mode 1
		.amdhsa_memory_ordered 1
		.amdhsa_forward_progress 1
		.amdhsa_shared_vgpr_count 0
		.amdhsa_exception_fp_ieee_invalid_op 0
		.amdhsa_exception_fp_denorm_src 0
		.amdhsa_exception_fp_ieee_div_zero 0
		.amdhsa_exception_fp_ieee_overflow 0
		.amdhsa_exception_fp_ieee_underflow 0
		.amdhsa_exception_fp_ieee_inexact 0
		.amdhsa_exception_int_div_zero 0
	.end_amdhsa_kernel
	.section	.text._ZL32rocblas_gemvt_warp_reduce_kernelILb0ELi256ElPKDF16_PKfKPDF16_EviiT3_lPKT2_lT1_lS9_lSA_lS6_lPT4_lSA_li,"axG",@progbits,_ZL32rocblas_gemvt_warp_reduce_kernelILb0ELi256ElPKDF16_PKfKPDF16_EviiT3_lPKT2_lT1_lS9_lSA_lS6_lPT4_lSA_li,comdat
.Lfunc_end447:
	.size	_ZL32rocblas_gemvt_warp_reduce_kernelILb0ELi256ElPKDF16_PKfKPDF16_EviiT3_lPKT2_lT1_lS9_lSA_lS6_lPT4_lSA_li, .Lfunc_end447-_ZL32rocblas_gemvt_warp_reduce_kernelILb0ELi256ElPKDF16_PKfKPDF16_EviiT3_lPKT2_lT1_lS9_lSA_lS6_lPT4_lSA_li
                                        ; -- End function
	.set _ZL32rocblas_gemvt_warp_reduce_kernelILb0ELi256ElPKDF16_PKfKPDF16_EviiT3_lPKT2_lT1_lS9_lSA_lS6_lPT4_lSA_li.num_vgpr, 11
	.set _ZL32rocblas_gemvt_warp_reduce_kernelILb0ELi256ElPKDF16_PKfKPDF16_EviiT3_lPKT2_lT1_lS9_lSA_lS6_lPT4_lSA_li.num_agpr, 0
	.set _ZL32rocblas_gemvt_warp_reduce_kernelILb0ELi256ElPKDF16_PKfKPDF16_EviiT3_lPKT2_lT1_lS9_lSA_lS6_lPT4_lSA_li.numbered_sgpr, 31
	.set _ZL32rocblas_gemvt_warp_reduce_kernelILb0ELi256ElPKDF16_PKfKPDF16_EviiT3_lPKT2_lT1_lS9_lSA_lS6_lPT4_lSA_li.num_named_barrier, 0
	.set _ZL32rocblas_gemvt_warp_reduce_kernelILb0ELi256ElPKDF16_PKfKPDF16_EviiT3_lPKT2_lT1_lS9_lSA_lS6_lPT4_lSA_li.private_seg_size, 0
	.set _ZL32rocblas_gemvt_warp_reduce_kernelILb0ELi256ElPKDF16_PKfKPDF16_EviiT3_lPKT2_lT1_lS9_lSA_lS6_lPT4_lSA_li.uses_vcc, 1
	.set _ZL32rocblas_gemvt_warp_reduce_kernelILb0ELi256ElPKDF16_PKfKPDF16_EviiT3_lPKT2_lT1_lS9_lSA_lS6_lPT4_lSA_li.uses_flat_scratch, 0
	.set _ZL32rocblas_gemvt_warp_reduce_kernelILb0ELi256ElPKDF16_PKfKPDF16_EviiT3_lPKT2_lT1_lS9_lSA_lS6_lPT4_lSA_li.has_dyn_sized_stack, 0
	.set _ZL32rocblas_gemvt_warp_reduce_kernelILb0ELi256ElPKDF16_PKfKPDF16_EviiT3_lPKT2_lT1_lS9_lSA_lS6_lPT4_lSA_li.has_recursion, 0
	.set _ZL32rocblas_gemvt_warp_reduce_kernelILb0ELi256ElPKDF16_PKfKPDF16_EviiT3_lPKT2_lT1_lS9_lSA_lS6_lPT4_lSA_li.has_indirect_call, 0
	.section	.AMDGPU.csdata,"",@progbits
; Kernel info:
; codeLenInByte = 1472
; TotalNumSgprs: 33
; NumVgprs: 11
; ScratchSize: 0
; MemoryBound: 0
; FloatMode: 240
; IeeeMode: 1
; LDSByteSize: 128 bytes/workgroup (compile time only)
; SGPRBlocks: 0
; VGPRBlocks: 1
; NumSGPRsForWavesPerEU: 33
; NumVGPRsForWavesPerEU: 11
; Occupancy: 16
; WaveLimiterHint : 1
; COMPUTE_PGM_RSRC2:SCRATCH_EN: 0
; COMPUTE_PGM_RSRC2:USER_SGPR: 6
; COMPUTE_PGM_RSRC2:TRAP_HANDLER: 0
; COMPUTE_PGM_RSRC2:TGID_X_EN: 1
; COMPUTE_PGM_RSRC2:TGID_Y_EN: 0
; COMPUTE_PGM_RSRC2:TGID_Z_EN: 1
; COMPUTE_PGM_RSRC2:TIDIG_COMP_CNT: 0
	.section	.text._ZL32rocblas_gemvt_warp_reduce_kernelILb0ELi256EiPKDF16_fKPDF16_EviiT3_lPKT2_lT1_lS7_lS8_lS4_lPT4_lS8_li,"axG",@progbits,_ZL32rocblas_gemvt_warp_reduce_kernelILb0ELi256EiPKDF16_fKPDF16_EviiT3_lPKT2_lT1_lS7_lS8_lS4_lPT4_lS8_li,comdat
	.globl	_ZL32rocblas_gemvt_warp_reduce_kernelILb0ELi256EiPKDF16_fKPDF16_EviiT3_lPKT2_lT1_lS7_lS8_lS4_lPT4_lS8_li ; -- Begin function _ZL32rocblas_gemvt_warp_reduce_kernelILb0ELi256EiPKDF16_fKPDF16_EviiT3_lPKT2_lT1_lS7_lS8_lS4_lPT4_lS8_li
	.p2align	8
	.type	_ZL32rocblas_gemvt_warp_reduce_kernelILb0ELi256EiPKDF16_fKPDF16_EviiT3_lPKT2_lT1_lS7_lS8_lS4_lPT4_lS8_li,@function
_ZL32rocblas_gemvt_warp_reduce_kernelILb0ELi256EiPKDF16_fKPDF16_EviiT3_lPKT2_lT1_lS7_lS8_lS4_lPT4_lS8_li: ; @_ZL32rocblas_gemvt_warp_reduce_kernelILb0ELi256EiPKDF16_fKPDF16_EviiT3_lPKT2_lT1_lS7_lS8_lS4_lPT4_lS8_li
; %bb.0:
	s_mov_b32 s10, s7
	s_clause 0x1
	s_load_dword s12, s[4:5], 0x8
	s_load_dword s7, s[4:5], 0x58
	s_mov_b32 s11, 0
	s_waitcnt lgkmcnt(0)
	v_cmp_eq_f32_e64 s15, s12, 0
	v_cmp_eq_f32_e64 s0, s7, 1.0
	s_and_b32 s0, s15, s0
	s_and_b32 vcc_lo, exec_lo, s0
	s_cbranch_vccnz .LBB448_36
; %bb.1:
	v_cmp_neq_f32_e64 s13, s12, 0
	s_and_b32 vcc_lo, exec_lo, s13
	s_cbranch_vccnz .LBB448_3
; %bb.2:
	s_mov_b32 s1, 0
	s_mov_b32 s0, s10
	;; [unrolled: 1-line block ×3, first 2 shown]
	s_mov_b64 s[2:3], 0
	s_andn2_b32 vcc_lo, exec_lo, s8
	s_mov_b64 s[8:9], 0
	s_cbranch_vccz .LBB448_4
	s_branch .LBB448_5
.LBB448_3:
	s_mov_b64 s[0:1], s[10:11]
	s_mov_b64 s[2:3], 0
	;; [unrolled: 1-line block ×3, first 2 shown]
.LBB448_4:
	s_load_dwordx4 s[16:19], s[4:5], 0x18
	s_lshl_b64 s[8:9], s[10:11], 3
	s_waitcnt lgkmcnt(0)
	s_add_u32 s8, s16, s8
	s_addc_u32 s9, s17, s9
	s_lshl_b64 s[10:11], s[18:19], 1
	s_load_dwordx2 s[8:9], s[8:9], 0x0
	s_waitcnt lgkmcnt(0)
	s_add_u32 s8, s8, s10
	s_addc_u32 s9, s9, s11
.LBB448_5:
	s_andn2_b32 vcc_lo, exec_lo, s13
	s_cbranch_vccnz .LBB448_7
; %bb.6:
	s_load_dwordx4 s[16:19], s[4:5], 0x38
	s_lshl_b64 s[2:3], s[0:1], 3
	s_waitcnt lgkmcnt(0)
	s_add_u32 s2, s16, s2
	s_addc_u32 s3, s17, s3
	s_lshl_b64 s[10:11], s[18:19], 1
	s_load_dwordx2 s[2:3], s[2:3], 0x0
	s_waitcnt lgkmcnt(0)
	s_add_u32 s2, s2, s10
	s_addc_u32 s3, s3, s11
.LBB448_7:
	s_clause 0x1
	s_load_dwordx4 s[16:19], s[4:5], 0x68
	s_load_dword s14, s[4:5], 0x78
	s_lshl_b64 s[0:1], s[0:1], 3
	s_waitcnt lgkmcnt(0)
	s_add_u32 s0, s16, s0
	s_addc_u32 s1, s17, s1
	s_lshl_b64 s[16:17], s[18:19], 1
	s_load_dwordx2 s[10:11], s[0:1], 0x0
	v_cmp_eq_u32_e64 s0, 0, v0
	s_waitcnt lgkmcnt(0)
	s_add_u32 s1, s10, s16
	s_addc_u32 s13, s11, s17
	s_andn2_b32 vcc_lo, exec_lo, s15
	s_cbranch_vccnz .LBB448_11
; %bb.8:
	s_mov_b32 s16, 0
	s_mov_b32 s15, 0
                                        ; implicit-def: $vgpr1
                                        ; implicit-def: $sgpr10_sgpr11
	s_and_saveexec_b32 s17, s0
	s_cbranch_execz .LBB448_12
; %bb.9:
	v_cmp_eq_f32_e64 s0, s7, 0
	s_mul_i32 s10, s14, s6
	s_ashr_i32 s11, s10, 31
	s_and_b32 vcc_lo, exec_lo, s0
	s_cbranch_vccnz .LBB448_13
; %bb.10:
	s_lshl_b64 s[18:19], s[10:11], 1
	s_add_u32 s18, s1, s18
	s_addc_u32 s19, s13, s19
	v_mov_b32_e32 v1, s18
	v_mov_b32_e32 v2, s19
	flat_load_ushort v1, v[1:2]
	s_waitcnt vmcnt(0) lgkmcnt(0)
	v_fma_mixlo_f16 v1, s7, v1, 0 op_sel_hi:[0,1,0]
	s_branch .LBB448_14
.LBB448_11:
	s_mov_b32 s15, 0
                                        ; implicit-def: $vgpr1
                                        ; implicit-def: $sgpr10_sgpr11
	s_cbranch_execnz .LBB448_15
	s_branch .LBB448_34
.LBB448_12:
	s_or_b32 exec_lo, exec_lo, s17
	s_and_b32 vcc_lo, exec_lo, s16
	s_cbranch_vccnz .LBB448_15
	s_branch .LBB448_34
.LBB448_13:
	v_mov_b32_e32 v1, 0
.LBB448_14:
	s_mov_b32 s15, exec_lo
	s_or_b32 exec_lo, exec_lo, s17
	s_and_b32 vcc_lo, exec_lo, s16
	s_cbranch_vccz .LBB448_34
.LBB448_15:
	s_clause 0x2
	s_load_dword s10, s[4:5], 0x0
	s_load_dword s0, s[4:5], 0x28
	;; [unrolled: 1-line block ×3, first 2 shown]
	v_mov_b32_e32 v7, 0
	s_waitcnt lgkmcnt(0)
	v_cmp_gt_i32_e32 vcc_lo, s10, v0
	s_mul_i32 s16, s0, s6
	s_ashr_i32 s0, s10, 31
	s_ashr_i32 s17, s16, 31
	s_lshr_b32 s0, s0, 24
	v_cndmask_b32_e32 v1, 0, v0, vcc_lo
	s_lshl_b64 s[16:17], s[16:17], 1
	s_add_i32 s0, s10, s0
	v_lshlrev_b32_e32 v1, 1, v1
	v_add_co_u32 v1, s4, s8, v1
	v_add_co_ci_u32_e64 v2, null, s9, 0, s4
	s_and_b32 s4, s0, 0xffffff00
	v_add_co_u32 v1, vcc_lo, v1, s16
	v_add_co_ci_u32_e64 v2, null, s17, v2, vcc_lo
	s_mov_b32 s9, 0
	s_mov_b32 s8, exec_lo
	v_cmpx_gt_i32_e64 s4, v0
	s_cbranch_execz .LBB448_19
; %bb.16:
	v_mul_lo_u32 v3, v0, s5
	v_mov_b32_e32 v6, v2
	v_mov_b32_e32 v7, 0
	;; [unrolled: 1-line block ×4, first 2 shown]
	s_lshl_b32 s11, s5, 8
	.p2align	6
.LBB448_17:                             ; =>This Inner Loop Header: Depth=1
	v_ashrrev_i32_e32 v4, 31, v3
	v_add_nc_u32_e32 v8, 0x100, v8
	v_lshlrev_b64 v[9:10], 1, v[3:4]
	v_cmp_le_i32_e64 s0, s4, v8
	v_add_nc_u32_e32 v3, s11, v3
	s_or_b32 s9, s0, s9
	v_add_co_u32 v9, vcc_lo, s2, v9
	v_add_co_ci_u32_e64 v10, null, s3, v10, vcc_lo
	flat_load_ushort v4, v[5:6]
	flat_load_ushort v9, v[9:10]
	v_add_co_u32 v5, vcc_lo, 0x200, v5
	v_add_co_ci_u32_e64 v6, null, 0, v6, vcc_lo
	s_waitcnt vmcnt(0) lgkmcnt(0)
	v_mul_f16_e32 v4, v4, v9
	v_cvt_f32_f16_e32 v4, v4
	v_add_f32_e32 v7, v7, v4
	s_andn2_b32 exec_lo, exec_lo, s9
	s_cbranch_execnz .LBB448_17
; %bb.18:
	s_or_b32 exec_lo, exec_lo, s9
.LBB448_19:
	s_or_b32 exec_lo, exec_lo, s8
	v_add_nc_u32_e32 v3, s4, v0
	s_mov_b32 s0, exec_lo
	v_cmpx_gt_i32_e64 s10, v3
	s_cbranch_execz .LBB448_21
; %bb.20:
	v_mul_lo_u32 v3, s5, v3
	s_ashr_i32 s5, s4, 31
	s_lshl_b64 s[4:5], s[4:5], 1
	v_add_co_u32 v1, vcc_lo, v1, s4
	v_add_co_ci_u32_e64 v2, null, s5, v2, vcc_lo
	v_ashrrev_i32_e32 v4, 31, v3
	v_lshlrev_b64 v[3:4], 1, v[3:4]
	v_add_co_u32 v3, vcc_lo, s2, v3
	v_add_co_ci_u32_e64 v4, null, s3, v4, vcc_lo
	flat_load_ushort v1, v[1:2]
	flat_load_ushort v2, v[3:4]
	s_waitcnt vmcnt(0) lgkmcnt(0)
	v_mul_f16_e32 v1, v1, v2
	v_cvt_f32_f16_e32 v1, v1
	v_add_f32_e32 v7, v7, v1
.LBB448_21:
	s_or_b32 exec_lo, exec_lo, s0
	v_and_b32_e32 v5, 31, v0
	v_cmp_gt_u32_e32 vcc_lo, 32, v0
	v_lshlrev_b32_e32 v1, 2, v5
	s_and_saveexec_b32 s0, vcc_lo
; %bb.22:
	v_mov_b32_e32 v2, 0
	ds_write_b32 v1, v2
; %bb.23:
	s_or_b32 exec_lo, exec_lo, s0
	v_mbcnt_lo_u32_b32 v4, -1, 0
	s_mov_b32 s2, exec_lo
	s_waitcnt lgkmcnt(0)
	s_barrier
	buffer_gl0_inv
	v_lshl_or_b32 v2, v4, 2, 64
	v_cmp_gt_u32_e64 s0, 24, v4
	ds_bpermute_b32 v2, v2, v7
	v_cndmask_b32_e64 v3, 0, 8, s0
	v_cmp_gt_u32_e64 s0, 28, v4
	v_add_lshl_u32 v3, v3, v4, 2
	s_waitcnt lgkmcnt(0)
	v_add_f32_e32 v6, v7, v2
	v_cndmask_b32_e64 v2, 0, 4, s0
	v_cmp_gt_u32_e64 s0, 30, v4
	ds_bpermute_b32 v3, v3, v6
	v_add_lshl_u32 v2, v2, v4, 2
	s_waitcnt lgkmcnt(0)
	v_add_f32_e32 v6, v6, v3
	v_cndmask_b32_e64 v3, 0, 2, s0
	v_cmp_ne_u32_e64 s0, 31, v4
	ds_bpermute_b32 v7, v2, v6
	v_add_lshl_u32 v3, v3, v4, 2
	v_add_co_ci_u32_e64 v4, null, 0, v4, s0
	v_lshlrev_b32_e32 v4, 2, v4
	s_waitcnt lgkmcnt(0)
	v_add_f32_e32 v6, v6, v7
	ds_bpermute_b32 v7, v3, v6
	s_waitcnt lgkmcnt(0)
	v_add_f32_e32 v6, v6, v7
	ds_bpermute_b32 v7, v4, v6
	v_cmpx_eq_u32_e32 0, v5
	s_cbranch_execz .LBB448_25
; %bb.24:
	v_lshrrev_b32_e32 v5, 3, v0
	s_waitcnt lgkmcnt(0)
	v_add_f32_e32 v6, v6, v7
	v_and_b32_e32 v5, 28, v5
	ds_write_b32 v5, v6
.LBB448_25:
	s_or_b32 exec_lo, exec_lo, s2
	v_mov_b32_e32 v5, 0
	s_mov_b32 s2, exec_lo
	s_waitcnt lgkmcnt(0)
	s_barrier
	buffer_gl0_inv
	v_cmpx_gt_u32_e32 8, v0
; %bb.26:
	ds_read_b32 v5, v1
; %bb.27:
	s_or_b32 exec_lo, exec_lo, s2
	s_and_saveexec_b32 s0, vcc_lo
	s_cbranch_execz .LBB448_29
; %bb.28:
	s_waitcnt lgkmcnt(0)
	ds_bpermute_b32 v1, v2, v5
	s_waitcnt lgkmcnt(0)
	v_add_f32_e32 v1, v5, v1
	ds_bpermute_b32 v2, v3, v1
	s_waitcnt lgkmcnt(0)
	v_add_f32_e32 v1, v1, v2
	ds_bpermute_b32 v2, v4, v1
	s_waitcnt lgkmcnt(0)
	v_add_f32_e32 v5, v1, v2
.LBB448_29:
	s_or_b32 exec_lo, exec_lo, s0
	s_mov_b32 s0, exec_lo
                                        ; implicit-def: $vgpr1
                                        ; implicit-def: $sgpr10_sgpr11
	v_cmpx_eq_u32_e32 0, v0
	s_cbranch_execz .LBB448_33
; %bb.30:
	v_cmp_eq_f32_e64 s2, s7, 0
	s_waitcnt lgkmcnt(0)
	v_mul_f32_e32 v0, s12, v5
	s_mul_i32 s10, s14, s6
	s_ashr_i32 s11, s10, 31
	s_and_b32 vcc_lo, exec_lo, s2
	s_cbranch_vccnz .LBB448_32
; %bb.31:
	s_lshl_b64 s[2:3], s[10:11], 1
	s_add_u32 s2, s1, s2
	s_addc_u32 s3, s13, s3
	v_mov_b32_e32 v1, s2
	v_mov_b32_e32 v2, s3
	flat_load_ushort v1, v[1:2]
	s_waitcnt vmcnt(0) lgkmcnt(0)
	v_fma_mix_f32 v0, s7, v1, v0 op_sel_hi:[0,1,0]
.LBB448_32:
	v_cvt_f16_f32_e32 v1, v0
	s_or_b32 s15, s15, exec_lo
.LBB448_33:
	s_or_b32 exec_lo, exec_lo, s0
.LBB448_34:
	s_and_saveexec_b32 s0, s15
	s_cbranch_execz .LBB448_36
; %bb.35:
	s_lshl_b64 s[2:3], s[10:11], 1
	s_add_u32 s0, s1, s2
	s_addc_u32 s1, s13, s3
	v_mov_b32_e32 v3, s1
	v_mov_b32_e32 v2, s0
	flat_store_short v[2:3], v1
.LBB448_36:
	s_endpgm
	.section	.rodata,"a",@progbits
	.p2align	6, 0x0
	.amdhsa_kernel _ZL32rocblas_gemvt_warp_reduce_kernelILb0ELi256EiPKDF16_fKPDF16_EviiT3_lPKT2_lT1_lS7_lS8_lS4_lPT4_lS8_li
		.amdhsa_group_segment_fixed_size 128
		.amdhsa_private_segment_fixed_size 0
		.amdhsa_kernarg_size 140
		.amdhsa_user_sgpr_count 6
		.amdhsa_user_sgpr_private_segment_buffer 1
		.amdhsa_user_sgpr_dispatch_ptr 0
		.amdhsa_user_sgpr_queue_ptr 0
		.amdhsa_user_sgpr_kernarg_segment_ptr 1
		.amdhsa_user_sgpr_dispatch_id 0
		.amdhsa_user_sgpr_flat_scratch_init 0
		.amdhsa_user_sgpr_private_segment_size 0
		.amdhsa_wavefront_size32 1
		.amdhsa_uses_dynamic_stack 0
		.amdhsa_system_sgpr_private_segment_wavefront_offset 0
		.amdhsa_system_sgpr_workgroup_id_x 1
		.amdhsa_system_sgpr_workgroup_id_y 0
		.amdhsa_system_sgpr_workgroup_id_z 1
		.amdhsa_system_sgpr_workgroup_info 0
		.amdhsa_system_vgpr_workitem_id 0
		.amdhsa_next_free_vgpr 11
		.amdhsa_next_free_sgpr 20
		.amdhsa_reserve_vcc 1
		.amdhsa_reserve_flat_scratch 0
		.amdhsa_float_round_mode_32 0
		.amdhsa_float_round_mode_16_64 0
		.amdhsa_float_denorm_mode_32 3
		.amdhsa_float_denorm_mode_16_64 3
		.amdhsa_dx10_clamp 1
		.amdhsa_ieee_mode 1
		.amdhsa_fp16_overflow 0
		.amdhsa_workgroup_processor_mode 1
		.amdhsa_memory_ordered 1
		.amdhsa_forward_progress 1
		.amdhsa_shared_vgpr_count 0
		.amdhsa_exception_fp_ieee_invalid_op 0
		.amdhsa_exception_fp_denorm_src 0
		.amdhsa_exception_fp_ieee_div_zero 0
		.amdhsa_exception_fp_ieee_overflow 0
		.amdhsa_exception_fp_ieee_underflow 0
		.amdhsa_exception_fp_ieee_inexact 0
		.amdhsa_exception_int_div_zero 0
	.end_amdhsa_kernel
	.section	.text._ZL32rocblas_gemvt_warp_reduce_kernelILb0ELi256EiPKDF16_fKPDF16_EviiT3_lPKT2_lT1_lS7_lS8_lS4_lPT4_lS8_li,"axG",@progbits,_ZL32rocblas_gemvt_warp_reduce_kernelILb0ELi256EiPKDF16_fKPDF16_EviiT3_lPKT2_lT1_lS7_lS8_lS4_lPT4_lS8_li,comdat
.Lfunc_end448:
	.size	_ZL32rocblas_gemvt_warp_reduce_kernelILb0ELi256EiPKDF16_fKPDF16_EviiT3_lPKT2_lT1_lS7_lS8_lS4_lPT4_lS8_li, .Lfunc_end448-_ZL32rocblas_gemvt_warp_reduce_kernelILb0ELi256EiPKDF16_fKPDF16_EviiT3_lPKT2_lT1_lS7_lS8_lS4_lPT4_lS8_li
                                        ; -- End function
	.set _ZL32rocblas_gemvt_warp_reduce_kernelILb0ELi256EiPKDF16_fKPDF16_EviiT3_lPKT2_lT1_lS7_lS8_lS4_lPT4_lS8_li.num_vgpr, 11
	.set _ZL32rocblas_gemvt_warp_reduce_kernelILb0ELi256EiPKDF16_fKPDF16_EviiT3_lPKT2_lT1_lS7_lS8_lS4_lPT4_lS8_li.num_agpr, 0
	.set _ZL32rocblas_gemvt_warp_reduce_kernelILb0ELi256EiPKDF16_fKPDF16_EviiT3_lPKT2_lT1_lS7_lS8_lS4_lPT4_lS8_li.numbered_sgpr, 20
	.set _ZL32rocblas_gemvt_warp_reduce_kernelILb0ELi256EiPKDF16_fKPDF16_EviiT3_lPKT2_lT1_lS7_lS8_lS4_lPT4_lS8_li.num_named_barrier, 0
	.set _ZL32rocblas_gemvt_warp_reduce_kernelILb0ELi256EiPKDF16_fKPDF16_EviiT3_lPKT2_lT1_lS7_lS8_lS4_lPT4_lS8_li.private_seg_size, 0
	.set _ZL32rocblas_gemvt_warp_reduce_kernelILb0ELi256EiPKDF16_fKPDF16_EviiT3_lPKT2_lT1_lS7_lS8_lS4_lPT4_lS8_li.uses_vcc, 1
	.set _ZL32rocblas_gemvt_warp_reduce_kernelILb0ELi256EiPKDF16_fKPDF16_EviiT3_lPKT2_lT1_lS7_lS8_lS4_lPT4_lS8_li.uses_flat_scratch, 0
	.set _ZL32rocblas_gemvt_warp_reduce_kernelILb0ELi256EiPKDF16_fKPDF16_EviiT3_lPKT2_lT1_lS7_lS8_lS4_lPT4_lS8_li.has_dyn_sized_stack, 0
	.set _ZL32rocblas_gemvt_warp_reduce_kernelILb0ELi256EiPKDF16_fKPDF16_EviiT3_lPKT2_lT1_lS7_lS8_lS4_lPT4_lS8_li.has_recursion, 0
	.set _ZL32rocblas_gemvt_warp_reduce_kernelILb0ELi256EiPKDF16_fKPDF16_EviiT3_lPKT2_lT1_lS7_lS8_lS4_lPT4_lS8_li.has_indirect_call, 0
	.section	.AMDGPU.csdata,"",@progbits
; Kernel info:
; codeLenInByte = 1384
; TotalNumSgprs: 22
; NumVgprs: 11
; ScratchSize: 0
; MemoryBound: 0
; FloatMode: 240
; IeeeMode: 1
; LDSByteSize: 128 bytes/workgroup (compile time only)
; SGPRBlocks: 0
; VGPRBlocks: 1
; NumSGPRsForWavesPerEU: 22
; NumVGPRsForWavesPerEU: 11
; Occupancy: 16
; WaveLimiterHint : 1
; COMPUTE_PGM_RSRC2:SCRATCH_EN: 0
; COMPUTE_PGM_RSRC2:USER_SGPR: 6
; COMPUTE_PGM_RSRC2:TRAP_HANDLER: 0
; COMPUTE_PGM_RSRC2:TGID_X_EN: 1
; COMPUTE_PGM_RSRC2:TGID_Y_EN: 0
; COMPUTE_PGM_RSRC2:TGID_Z_EN: 1
; COMPUTE_PGM_RSRC2:TIDIG_COMP_CNT: 0
	.section	.text._ZL32rocblas_gemvt_warp_reduce_kernelILb0ELi256ElPKDF16_fKPDF16_EviiT3_lPKT2_lT1_lS7_lS8_lS4_lPT4_lS8_li,"axG",@progbits,_ZL32rocblas_gemvt_warp_reduce_kernelILb0ELi256ElPKDF16_fKPDF16_EviiT3_lPKT2_lT1_lS7_lS8_lS4_lPT4_lS8_li,comdat
	.globl	_ZL32rocblas_gemvt_warp_reduce_kernelILb0ELi256ElPKDF16_fKPDF16_EviiT3_lPKT2_lT1_lS7_lS8_lS4_lPT4_lS8_li ; -- Begin function _ZL32rocblas_gemvt_warp_reduce_kernelILb0ELi256ElPKDF16_fKPDF16_EviiT3_lPKT2_lT1_lS7_lS8_lS4_lPT4_lS8_li
	.p2align	8
	.type	_ZL32rocblas_gemvt_warp_reduce_kernelILb0ELi256ElPKDF16_fKPDF16_EviiT3_lPKT2_lT1_lS7_lS8_lS4_lPT4_lS8_li,@function
_ZL32rocblas_gemvt_warp_reduce_kernelILb0ELi256ElPKDF16_fKPDF16_EviiT3_lPKT2_lT1_lS7_lS8_lS4_lPT4_lS8_li: ; @_ZL32rocblas_gemvt_warp_reduce_kernelILb0ELi256ElPKDF16_fKPDF16_EviiT3_lPKT2_lT1_lS7_lS8_lS4_lPT4_lS8_li
; %bb.0:
	s_mov_b32 s10, s7
	s_clause 0x1
	s_load_dword s18, s[4:5], 0x8
	s_load_dword s7, s[4:5], 0x58
	s_mov_b32 s11, 0
	s_waitcnt lgkmcnt(0)
	v_cmp_eq_f32_e64 s20, s18, 0
	v_cmp_eq_f32_e64 s0, s7, 1.0
	s_and_b32 s0, s20, s0
	s_and_b32 vcc_lo, exec_lo, s0
	s_cbranch_vccnz .LBB449_36
; %bb.1:
	s_clause 0x1
	s_load_dwordx4 s[0:3], s[4:5], 0x18
	s_load_dwordx2 s[12:13], s[4:5], 0x28
	v_cmp_neq_f32_e64 s19, s18, 0
	s_and_b32 vcc_lo, exec_lo, s19
	s_cbranch_vccnz .LBB449_3
; %bb.2:
	s_mov_b32 s17, 0
	s_mov_b32 s16, s10
	;; [unrolled: 1-line block ×3, first 2 shown]
	s_mov_b64 s[8:9], 0
	s_andn2_b32 vcc_lo, exec_lo, s14
	s_mov_b64 s[14:15], 0
	s_cbranch_vccz .LBB449_4
	s_branch .LBB449_5
.LBB449_3:
	s_mov_b64 s[16:17], s[10:11]
	s_mov_b64 s[8:9], 0
	;; [unrolled: 1-line block ×3, first 2 shown]
.LBB449_4:
	s_lshl_b64 s[10:11], s[10:11], 3
	s_waitcnt lgkmcnt(0)
	s_add_u32 s0, s0, s10
	s_addc_u32 s1, s1, s11
	s_lshl_b64 s[2:3], s[2:3], 1
	s_load_dwordx2 s[0:1], s[0:1], 0x0
	s_waitcnt lgkmcnt(0)
	s_add_u32 s14, s0, s2
	s_addc_u32 s15, s1, s3
.LBB449_5:
	s_waitcnt lgkmcnt(0)
	s_clause 0x1
	s_load_dwordx4 s[0:3], s[4:5], 0x38
	s_load_dwordx2 s[10:11], s[4:5], 0x48
	s_andn2_b32 vcc_lo, exec_lo, s19
	s_cbranch_vccnz .LBB449_7
; %bb.6:
	s_lshl_b64 s[8:9], s[16:17], 3
	s_waitcnt lgkmcnt(0)
	s_add_u32 s0, s0, s8
	s_addc_u32 s1, s1, s9
	s_lshl_b64 s[2:3], s[2:3], 1
	s_load_dwordx2 s[0:1], s[0:1], 0x0
	s_waitcnt lgkmcnt(0)
	s_add_u32 s8, s0, s2
	s_addc_u32 s9, s1, s3
.LBB449_7:
	s_load_dwordx4 s[24:27], s[4:5], 0x68
	s_waitcnt lgkmcnt(0)
	s_load_dwordx2 s[2:3], s[4:5], 0x78
	s_lshl_b64 s[0:1], s[16:17], 3
	s_add_u32 s0, s24, s0
	s_addc_u32 s1, s25, s1
	s_lshl_b64 s[22:23], s[26:27], 1
	s_load_dwordx2 s[16:17], s[0:1], 0x0
	v_cmp_eq_u32_e64 s0, 0, v0
	s_waitcnt lgkmcnt(0)
	s_add_u32 s1, s16, s22
	s_addc_u32 s19, s17, s23
	s_andn2_b32 vcc_lo, exec_lo, s20
	s_cbranch_vccnz .LBB449_11
; %bb.8:
	s_mov_b32 s21, 0
	s_mov_b32 s20, 0
                                        ; implicit-def: $vgpr1
                                        ; implicit-def: $sgpr16_sgpr17
	s_and_saveexec_b32 s22, s0
	s_cbranch_execz .LBB449_12
; %bb.9:
	s_ashr_i32 s16, s6, 31
	v_cmp_eq_f32_e64 s0, s7, 0
	s_mul_hi_u32 s17, s2, s6
	s_mul_i32 s16, s2, s16
	s_mul_i32 s20, s3, s6
	s_add_i32 s16, s17, s16
	s_and_b32 vcc_lo, exec_lo, s0
	s_add_i32 s17, s16, s20
	s_mul_i32 s16, s2, s6
	s_cbranch_vccnz .LBB449_13
; %bb.10:
	s_lshl_b64 s[24:25], s[16:17], 1
	s_add_u32 s24, s1, s24
	s_addc_u32 s25, s19, s25
	v_mov_b32_e32 v1, s24
	v_mov_b32_e32 v2, s25
	flat_load_ushort v1, v[1:2]
	s_waitcnt vmcnt(0) lgkmcnt(0)
	v_fma_mixlo_f16 v1, s7, v1, 0 op_sel_hi:[0,1,0]
	s_branch .LBB449_14
.LBB449_11:
	s_mov_b32 s20, 0
                                        ; implicit-def: $vgpr1
                                        ; implicit-def: $sgpr16_sgpr17
	s_cbranch_execnz .LBB449_15
	s_branch .LBB449_34
.LBB449_12:
	s_or_b32 exec_lo, exec_lo, s22
	s_and_b32 vcc_lo, exec_lo, s21
	s_cbranch_vccnz .LBB449_15
	s_branch .LBB449_34
.LBB449_13:
	v_mov_b32_e32 v1, 0
.LBB449_14:
	s_mov_b32 s20, exec_lo
	s_or_b32 exec_lo, exec_lo, s22
	s_and_b32 vcc_lo, exec_lo, s21
	s_cbranch_vccz .LBB449_34
.LBB449_15:
	s_load_dword s5, s[4:5], 0x0
	s_ashr_i32 s21, s6, 31
	s_mul_hi_u32 s0, s12, s6
	s_mul_i32 s4, s13, s6
	s_mul_i32 s13, s12, s21
	s_mul_i32 s12, s12, s6
	s_add_i32 s0, s0, s13
	v_mov_b32_e32 v7, 0
	s_add_i32 s13, s0, s4
	s_lshl_b64 s[12:13], s[12:13], 1
	s_waitcnt lgkmcnt(0)
	v_cmp_gt_i32_e32 vcc_lo, s5, v0
	s_ashr_i32 s0, s5, 31
	s_lshr_b32 s0, s0, 24
	s_add_i32 s0, s5, s0
	v_cndmask_b32_e32 v1, 0, v0, vcc_lo
	v_lshlrev_b32_e32 v1, 1, v1
	v_add_co_u32 v1, s4, s14, v1
	v_add_co_ci_u32_e64 v2, null, s15, 0, s4
	s_and_b32 s4, s0, 0xffffff00
	v_add_co_u32 v1, vcc_lo, v1, s12
	v_add_co_ci_u32_e64 v2, null, s13, v2, vcc_lo
	s_mov_b32 s15, 0
	s_mov_b32 s14, exec_lo
	v_cmpx_gt_i32_e64 s4, v0
	s_cbranch_execz .LBB449_19
; %bb.16:
	v_mad_u64_u32 v[3:4], null, s10, v0, 0
	v_mov_b32_e32 v7, 0
	v_mov_b32_e32 v8, v0
	s_lshl_b64 s[12:13], s[10:11], 9
	v_mad_u64_u32 v[4:5], null, s11, v0, v[4:5]
	v_lshlrev_b64 v[5:6], 1, v[3:4]
	v_mov_b32_e32 v4, v2
	v_mov_b32_e32 v3, v1
	v_add_co_u32 v5, vcc_lo, s8, v5
	v_add_co_ci_u32_e64 v6, null, s9, v6, vcc_lo
	.p2align	6
.LBB449_17:                             ; =>This Inner Loop Header: Depth=1
	flat_load_ushort v9, v[3:4]
	flat_load_ushort v10, v[5:6]
	v_add_nc_u32_e32 v8, 0x100, v8
	v_add_co_u32 v3, vcc_lo, 0x200, v3
	v_add_co_ci_u32_e64 v4, null, 0, v4, vcc_lo
	v_add_co_u32 v5, vcc_lo, v5, s12
	v_cmp_le_i32_e64 s0, s4, v8
	v_add_co_ci_u32_e64 v6, null, s13, v6, vcc_lo
	s_or_b32 s15, s0, s15
	s_waitcnt vmcnt(0) lgkmcnt(0)
	v_mul_f16_e32 v9, v9, v10
	v_cvt_f32_f16_e32 v9, v9
	v_add_f32_e32 v7, v7, v9
	s_andn2_b32 exec_lo, exec_lo, s15
	s_cbranch_execnz .LBB449_17
; %bb.18:
	s_or_b32 exec_lo, exec_lo, s15
.LBB449_19:
	s_or_b32 exec_lo, exec_lo, s14
	v_add_nc_u32_e32 v3, s4, v0
	s_mov_b32 s0, exec_lo
	v_cmpx_gt_i32_e64 s5, v3
	s_cbranch_execz .LBB449_21
; %bb.20:
	v_ashrrev_i32_e32 v5, 31, v3
	v_mul_lo_u32 v6, s11, v3
	v_mad_u64_u32 v[3:4], null, s10, v3, 0
	s_ashr_i32 s5, s4, 31
	v_mul_lo_u32 v5, s10, v5
	s_lshl_b64 s[4:5], s[4:5], 1
	v_add_co_u32 v1, vcc_lo, v1, s4
	v_add_co_ci_u32_e64 v2, null, s5, v2, vcc_lo
	v_add3_u32 v4, v4, v5, v6
	v_lshlrev_b64 v[3:4], 1, v[3:4]
	v_add_co_u32 v3, vcc_lo, s8, v3
	v_add_co_ci_u32_e64 v4, null, s9, v4, vcc_lo
	flat_load_ushort v1, v[1:2]
	flat_load_ushort v2, v[3:4]
	s_waitcnt vmcnt(0) lgkmcnt(0)
	v_mul_f16_e32 v1, v1, v2
	v_cvt_f32_f16_e32 v1, v1
	v_add_f32_e32 v7, v7, v1
.LBB449_21:
	s_or_b32 exec_lo, exec_lo, s0
	v_and_b32_e32 v5, 31, v0
	v_cmp_gt_u32_e32 vcc_lo, 32, v0
	v_lshlrev_b32_e32 v1, 2, v5
	s_and_saveexec_b32 s0, vcc_lo
; %bb.22:
	v_mov_b32_e32 v2, 0
	ds_write_b32 v1, v2
; %bb.23:
	s_or_b32 exec_lo, exec_lo, s0
	v_mbcnt_lo_u32_b32 v4, -1, 0
	s_mov_b32 s4, exec_lo
	s_waitcnt lgkmcnt(0)
	s_barrier
	buffer_gl0_inv
	v_lshl_or_b32 v2, v4, 2, 64
	v_cmp_gt_u32_e64 s0, 24, v4
	ds_bpermute_b32 v2, v2, v7
	v_cndmask_b32_e64 v3, 0, 8, s0
	v_cmp_gt_u32_e64 s0, 28, v4
	v_add_lshl_u32 v3, v3, v4, 2
	s_waitcnt lgkmcnt(0)
	v_add_f32_e32 v6, v7, v2
	v_cndmask_b32_e64 v2, 0, 4, s0
	v_cmp_gt_u32_e64 s0, 30, v4
	ds_bpermute_b32 v3, v3, v6
	v_add_lshl_u32 v2, v2, v4, 2
	s_waitcnt lgkmcnt(0)
	v_add_f32_e32 v6, v6, v3
	v_cndmask_b32_e64 v3, 0, 2, s0
	v_cmp_ne_u32_e64 s0, 31, v4
	ds_bpermute_b32 v7, v2, v6
	v_add_lshl_u32 v3, v3, v4, 2
	v_add_co_ci_u32_e64 v4, null, 0, v4, s0
	v_lshlrev_b32_e32 v4, 2, v4
	s_waitcnt lgkmcnt(0)
	v_add_f32_e32 v6, v6, v7
	ds_bpermute_b32 v7, v3, v6
	s_waitcnt lgkmcnt(0)
	v_add_f32_e32 v6, v6, v7
	ds_bpermute_b32 v7, v4, v6
	v_cmpx_eq_u32_e32 0, v5
	s_cbranch_execz .LBB449_25
; %bb.24:
	v_lshrrev_b32_e32 v5, 3, v0
	s_waitcnt lgkmcnt(0)
	v_add_f32_e32 v6, v6, v7
	v_and_b32_e32 v5, 28, v5
	ds_write_b32 v5, v6
.LBB449_25:
	s_or_b32 exec_lo, exec_lo, s4
	v_mov_b32_e32 v5, 0
	s_mov_b32 s4, exec_lo
	s_waitcnt lgkmcnt(0)
	s_barrier
	buffer_gl0_inv
	v_cmpx_gt_u32_e32 8, v0
; %bb.26:
	ds_read_b32 v5, v1
; %bb.27:
	s_or_b32 exec_lo, exec_lo, s4
	s_and_saveexec_b32 s0, vcc_lo
	s_cbranch_execz .LBB449_29
; %bb.28:
	s_waitcnt lgkmcnt(0)
	ds_bpermute_b32 v1, v2, v5
	s_waitcnt lgkmcnt(0)
	v_add_f32_e32 v1, v5, v1
	ds_bpermute_b32 v2, v3, v1
	s_waitcnt lgkmcnt(0)
	v_add_f32_e32 v1, v1, v2
	;; [unrolled: 3-line block ×3, first 2 shown]
.LBB449_29:
	s_or_b32 exec_lo, exec_lo, s0
	s_mov_b32 s0, exec_lo
                                        ; implicit-def: $vgpr1
                                        ; implicit-def: $sgpr16_sgpr17
	v_cmpx_eq_u32_e32 0, v0
	s_cbranch_execz .LBB449_33
; %bb.30:
	v_cmp_eq_f32_e64 s8, s7, 0
	s_mul_i32 s4, s2, s21
	s_mul_hi_u32 s5, s2, s6
	s_waitcnt lgkmcnt(0)
	v_mul_f32_e32 v0, s18, v5
	s_add_i32 s4, s5, s4
	s_mul_i32 s3, s3, s6
	s_and_b32 vcc_lo, exec_lo, s8
	s_add_i32 s17, s4, s3
	s_mul_i32 s16, s2, s6
	s_cbranch_vccnz .LBB449_32
; %bb.31:
	s_lshl_b64 s[2:3], s[16:17], 1
	s_add_u32 s2, s1, s2
	s_addc_u32 s3, s19, s3
	v_mov_b32_e32 v1, s2
	v_mov_b32_e32 v2, s3
	flat_load_ushort v1, v[1:2]
	s_waitcnt vmcnt(0) lgkmcnt(0)
	v_fma_mix_f32 v0, s7, v1, v0 op_sel_hi:[0,1,0]
.LBB449_32:
	v_cvt_f16_f32_e32 v1, v0
	s_or_b32 s20, s20, exec_lo
.LBB449_33:
	s_or_b32 exec_lo, exec_lo, s0
.LBB449_34:
	s_and_saveexec_b32 s0, s20
	s_cbranch_execz .LBB449_36
; %bb.35:
	s_lshl_b64 s[2:3], s[16:17], 1
	s_add_u32 s0, s1, s2
	s_addc_u32 s1, s19, s3
	v_mov_b32_e32 v3, s1
	v_mov_b32_e32 v2, s0
	flat_store_short v[2:3], v1
.LBB449_36:
	s_endpgm
	.section	.rodata,"a",@progbits
	.p2align	6, 0x0
	.amdhsa_kernel _ZL32rocblas_gemvt_warp_reduce_kernelILb0ELi256ElPKDF16_fKPDF16_EviiT3_lPKT2_lT1_lS7_lS8_lS4_lPT4_lS8_li
		.amdhsa_group_segment_fixed_size 128
		.amdhsa_private_segment_fixed_size 0
		.amdhsa_kernarg_size 140
		.amdhsa_user_sgpr_count 6
		.amdhsa_user_sgpr_private_segment_buffer 1
		.amdhsa_user_sgpr_dispatch_ptr 0
		.amdhsa_user_sgpr_queue_ptr 0
		.amdhsa_user_sgpr_kernarg_segment_ptr 1
		.amdhsa_user_sgpr_dispatch_id 0
		.amdhsa_user_sgpr_flat_scratch_init 0
		.amdhsa_user_sgpr_private_segment_size 0
		.amdhsa_wavefront_size32 1
		.amdhsa_uses_dynamic_stack 0
		.amdhsa_system_sgpr_private_segment_wavefront_offset 0
		.amdhsa_system_sgpr_workgroup_id_x 1
		.amdhsa_system_sgpr_workgroup_id_y 0
		.amdhsa_system_sgpr_workgroup_id_z 1
		.amdhsa_system_sgpr_workgroup_info 0
		.amdhsa_system_vgpr_workitem_id 0
		.amdhsa_next_free_vgpr 11
		.amdhsa_next_free_sgpr 28
		.amdhsa_reserve_vcc 1
		.amdhsa_reserve_flat_scratch 0
		.amdhsa_float_round_mode_32 0
		.amdhsa_float_round_mode_16_64 0
		.amdhsa_float_denorm_mode_32 3
		.amdhsa_float_denorm_mode_16_64 3
		.amdhsa_dx10_clamp 1
		.amdhsa_ieee_mode 1
		.amdhsa_fp16_overflow 0
		.amdhsa_workgroup_processor_mode 1
		.amdhsa_memory_ordered 1
		.amdhsa_forward_progress 1
		.amdhsa_shared_vgpr_count 0
		.amdhsa_exception_fp_ieee_invalid_op 0
		.amdhsa_exception_fp_denorm_src 0
		.amdhsa_exception_fp_ieee_div_zero 0
		.amdhsa_exception_fp_ieee_overflow 0
		.amdhsa_exception_fp_ieee_underflow 0
		.amdhsa_exception_fp_ieee_inexact 0
		.amdhsa_exception_int_div_zero 0
	.end_amdhsa_kernel
	.section	.text._ZL32rocblas_gemvt_warp_reduce_kernelILb0ELi256ElPKDF16_fKPDF16_EviiT3_lPKT2_lT1_lS7_lS8_lS4_lPT4_lS8_li,"axG",@progbits,_ZL32rocblas_gemvt_warp_reduce_kernelILb0ELi256ElPKDF16_fKPDF16_EviiT3_lPKT2_lT1_lS7_lS8_lS4_lPT4_lS8_li,comdat
.Lfunc_end449:
	.size	_ZL32rocblas_gemvt_warp_reduce_kernelILb0ELi256ElPKDF16_fKPDF16_EviiT3_lPKT2_lT1_lS7_lS8_lS4_lPT4_lS8_li, .Lfunc_end449-_ZL32rocblas_gemvt_warp_reduce_kernelILb0ELi256ElPKDF16_fKPDF16_EviiT3_lPKT2_lT1_lS7_lS8_lS4_lPT4_lS8_li
                                        ; -- End function
	.set _ZL32rocblas_gemvt_warp_reduce_kernelILb0ELi256ElPKDF16_fKPDF16_EviiT3_lPKT2_lT1_lS7_lS8_lS4_lPT4_lS8_li.num_vgpr, 11
	.set _ZL32rocblas_gemvt_warp_reduce_kernelILb0ELi256ElPKDF16_fKPDF16_EviiT3_lPKT2_lT1_lS7_lS8_lS4_lPT4_lS8_li.num_agpr, 0
	.set _ZL32rocblas_gemvt_warp_reduce_kernelILb0ELi256ElPKDF16_fKPDF16_EviiT3_lPKT2_lT1_lS7_lS8_lS4_lPT4_lS8_li.numbered_sgpr, 28
	.set _ZL32rocblas_gemvt_warp_reduce_kernelILb0ELi256ElPKDF16_fKPDF16_EviiT3_lPKT2_lT1_lS7_lS8_lS4_lPT4_lS8_li.num_named_barrier, 0
	.set _ZL32rocblas_gemvt_warp_reduce_kernelILb0ELi256ElPKDF16_fKPDF16_EviiT3_lPKT2_lT1_lS7_lS8_lS4_lPT4_lS8_li.private_seg_size, 0
	.set _ZL32rocblas_gemvt_warp_reduce_kernelILb0ELi256ElPKDF16_fKPDF16_EviiT3_lPKT2_lT1_lS7_lS8_lS4_lPT4_lS8_li.uses_vcc, 1
	.set _ZL32rocblas_gemvt_warp_reduce_kernelILb0ELi256ElPKDF16_fKPDF16_EviiT3_lPKT2_lT1_lS7_lS8_lS4_lPT4_lS8_li.uses_flat_scratch, 0
	.set _ZL32rocblas_gemvt_warp_reduce_kernelILb0ELi256ElPKDF16_fKPDF16_EviiT3_lPKT2_lT1_lS7_lS8_lS4_lPT4_lS8_li.has_dyn_sized_stack, 0
	.set _ZL32rocblas_gemvt_warp_reduce_kernelILb0ELi256ElPKDF16_fKPDF16_EviiT3_lPKT2_lT1_lS7_lS8_lS4_lPT4_lS8_li.has_recursion, 0
	.set _ZL32rocblas_gemvt_warp_reduce_kernelILb0ELi256ElPKDF16_fKPDF16_EviiT3_lPKT2_lT1_lS7_lS8_lS4_lPT4_lS8_li.has_indirect_call, 0
	.section	.AMDGPU.csdata,"",@progbits
; Kernel info:
; codeLenInByte = 1472
; TotalNumSgprs: 30
; NumVgprs: 11
; ScratchSize: 0
; MemoryBound: 0
; FloatMode: 240
; IeeeMode: 1
; LDSByteSize: 128 bytes/workgroup (compile time only)
; SGPRBlocks: 0
; VGPRBlocks: 1
; NumSGPRsForWavesPerEU: 30
; NumVGPRsForWavesPerEU: 11
; Occupancy: 16
; WaveLimiterHint : 1
; COMPUTE_PGM_RSRC2:SCRATCH_EN: 0
; COMPUTE_PGM_RSRC2:USER_SGPR: 6
; COMPUTE_PGM_RSRC2:TRAP_HANDLER: 0
; COMPUTE_PGM_RSRC2:TGID_X_EN: 1
; COMPUTE_PGM_RSRC2:TGID_Y_EN: 0
; COMPUTE_PGM_RSRC2:TGID_Z_EN: 1
; COMPUTE_PGM_RSRC2:TIDIG_COMP_CNT: 0
	.section	.text._ZL20rocblas_gemvt_kernelILb0ELi256EPKDF16_PKfKPDF16_EviiT2_lPKT1_lilS9_lilS6_lPT3_lili,"axG",@progbits,_ZL20rocblas_gemvt_kernelILb0ELi256EPKDF16_PKfKPDF16_EviiT2_lPKT1_lilS9_lilS6_lPT3_lili,comdat
	.globl	_ZL20rocblas_gemvt_kernelILb0ELi256EPKDF16_PKfKPDF16_EviiT2_lPKT1_lilS9_lilS6_lPT3_lili ; -- Begin function _ZL20rocblas_gemvt_kernelILb0ELi256EPKDF16_PKfKPDF16_EviiT2_lPKT1_lilS9_lilS6_lPT3_lili
	.p2align	8
	.type	_ZL20rocblas_gemvt_kernelILb0ELi256EPKDF16_PKfKPDF16_EviiT2_lPKT1_lilS9_lilS6_lPT3_lili,@function
_ZL20rocblas_gemvt_kernelILb0ELi256EPKDF16_PKfKPDF16_EviiT2_lPKT1_lilS9_lilS6_lPT3_lili: ; @_ZL20rocblas_gemvt_kernelILb0ELi256EPKDF16_PKfKPDF16_EviiT2_lPKT1_lilS9_lilS6_lPT3_lili
; %bb.0:
	s_clause 0x1
	s_load_dwordx8 s[16:23], s[4:5], 0x8
	s_load_dwordx8 s[8:15], s[4:5], 0x58
	s_mov_b32 s0, s7
	s_waitcnt lgkmcnt(0)
	s_mul_i32 s1, s19, s7
	s_mul_hi_u32 s3, s18, s7
	s_mul_i32 s2, s18, s7
	s_add_i32 s3, s3, s1
	s_mul_i32 s1, s11, s7
	s_lshl_b64 s[2:3], s[2:3], 2
	s_mul_hi_u32 s7, s10, s7
	s_add_u32 s2, s16, s2
	s_addc_u32 s3, s17, s3
	s_add_i32 s11, s7, s1
	s_mul_i32 s10, s10, s0
	s_lshl_b64 s[10:11], s[10:11], 2
	s_add_u32 s8, s8, s10
	s_addc_u32 s9, s9, s11
	s_load_dword s16, s[2:3], 0x0
	s_load_dword s7, s[8:9], 0x0
	s_waitcnt lgkmcnt(0)
	v_cmp_eq_f32_e64 s10, s16, 0
	v_cmp_eq_f32_e64 s1, s7, 1.0
	s_and_b32 s1, s10, s1
	s_and_b32 vcc_lo, exec_lo, s1
	s_mov_b32 s1, 0
	s_cbranch_vccnz .LBB450_41
; %bb.1:
	v_cmp_neq_f32_e64 s11, s16, 0
	s_mov_b64 s[2:3], 0
	s_and_b32 vcc_lo, exec_lo, s10
	s_mov_b64 s[8:9], 0
	s_cbranch_vccnz .LBB450_3
; %bb.2:
	s_lshl_b64 s[8:9], s[0:1], 3
	s_add_u32 s8, s20, s8
	s_addc_u32 s9, s21, s9
	s_lshl_b64 s[18:19], s[22:23], 1
	s_load_dwordx2 s[8:9], s[8:9], 0x0
	s_waitcnt lgkmcnt(0)
	s_add_u32 s8, s8, s18
	s_addc_u32 s9, s9, s19
.LBB450_3:
	s_andn2_b32 vcc_lo, exec_lo, s11
	s_cbranch_vccnz .LBB450_5
; %bb.4:
	s_load_dwordx4 s[20:23], s[4:5], 0x38
	s_lshl_b64 s[2:3], s[0:1], 3
	s_waitcnt lgkmcnt(0)
	s_add_u32 s2, s20, s2
	s_addc_u32 s3, s21, s3
	s_lshl_b64 s[18:19], s[22:23], 1
	s_load_dwordx2 s[2:3], s[2:3], 0x0
	s_waitcnt lgkmcnt(0)
	s_add_u32 s2, s2, s18
	s_addc_u32 s3, s3, s19
.LBB450_5:
	s_lshl_b64 s[0:1], s[0:1], 3
	s_add_u32 s0, s12, s0
	s_addc_u32 s1, s13, s1
	s_lshl_b64 s[14:15], s[14:15], 1
	s_load_dwordx2 s[12:13], s[0:1], 0x0
	s_load_dword s17, s[4:5], 0x78
	v_cmp_eq_u32_e64 s0, 0, v0
	s_waitcnt lgkmcnt(0)
	s_add_u32 s12, s12, s14
	s_addc_u32 s13, s13, s15
	s_andn2_b32 vcc_lo, exec_lo, s10
	s_cbranch_vccnz .LBB450_9
; %bb.6:
	s_mov_b32 s1, 0
	s_mov_b32 s14, 0
                                        ; implicit-def: $vgpr1
                                        ; implicit-def: $sgpr10_sgpr11
	s_and_saveexec_b32 s15, s0
	s_cbranch_execz .LBB450_10
; %bb.7:
	v_cmp_eq_f32_e64 s0, s7, 0
	s_mul_hi_i32 s11, s17, s6
	s_mul_i32 s10, s17, s6
	s_and_b32 vcc_lo, exec_lo, s0
	s_cbranch_vccnz .LBB450_11
; %bb.8:
	s_lshl_b64 s[18:19], s[10:11], 1
	s_add_u32 s18, s12, s18
	s_addc_u32 s19, s13, s19
	v_mov_b32_e32 v1, s18
	v_mov_b32_e32 v2, s19
	flat_load_ushort v1, v[1:2]
	s_waitcnt vmcnt(0) lgkmcnt(0)
	v_fma_mixlo_f16 v1, s7, v1, 0 op_sel_hi:[0,1,0]
	s_branch .LBB450_12
.LBB450_9:
	s_mov_b32 s14, 0
                                        ; implicit-def: $vgpr1
                                        ; implicit-def: $sgpr10_sgpr11
	s_cbranch_execnz .LBB450_13
	s_branch .LBB450_39
.LBB450_10:
	s_or_b32 exec_lo, exec_lo, s15
	s_and_b32 vcc_lo, exec_lo, s1
	s_cbranch_vccnz .LBB450_13
	s_branch .LBB450_39
.LBB450_11:
	v_mov_b32_e32 v1, 0
.LBB450_12:
	s_mov_b32 s14, exec_lo
	s_or_b32 exec_lo, exec_lo, s15
	s_and_b32 vcc_lo, exec_lo, s1
	s_cbranch_vccz .LBB450_39
.LBB450_13:
	s_clause 0x2
	s_load_dword s10, s[4:5], 0x0
	s_load_dword s1, s[4:5], 0x28
	;; [unrolled: 1-line block ×3, first 2 shown]
	v_mov_b32_e32 v7, 0
	s_waitcnt lgkmcnt(0)
	v_cmp_gt_i32_e32 vcc_lo, s10, v0
	s_mul_hi_i32 s5, s1, s6
	s_mul_i32 s4, s1, s6
	s_ashr_i32 s1, s10, 31
	s_lshl_b64 s[4:5], s[4:5], 1
	v_cndmask_b32_e32 v1, 0, v0, vcc_lo
	s_lshr_b32 s1, s1, 24
	s_add_i32 s1, s10, s1
	v_lshlrev_b32_e32 v1, 1, v1
	v_add_co_u32 v1, s8, s8, v1
	v_add_co_ci_u32_e64 v2, null, s9, 0, s8
	v_add_co_u32 v1, vcc_lo, v1, s4
	v_add_co_ci_u32_e64 v2, null, s5, v2, vcc_lo
	s_and_b32 s4, s1, 0xffffff00
	s_cmpk_lt_i32 s10, 0x100
	s_mov_b32 s5, 0
	s_cbranch_scc1 .LBB450_16
; %bb.14:
	v_mad_i64_i32 v[3:4], null, s0, v0, 0
	v_mov_b32_e32 v6, v2
	v_mov_b32_e32 v7, 0
	;; [unrolled: 1-line block ×3, first 2 shown]
	s_ashr_i32 s1, s0, 31
	s_lshl_b64 s[8:9], s[0:1], 9
	v_lshlrev_b64 v[3:4], 1, v[3:4]
	v_add_co_u32 v3, vcc_lo, s2, v3
	v_add_co_ci_u32_e64 v4, null, s3, v4, vcc_lo
	.p2align	6
.LBB450_15:                             ; =>This Inner Loop Header: Depth=1
	flat_load_ushort v8, v[5:6]
	flat_load_ushort v9, v[3:4]
	v_add_co_u32 v3, vcc_lo, v3, s8
	v_add_co_ci_u32_e64 v4, null, s9, v4, vcc_lo
	v_add_co_u32 v5, vcc_lo, 0x200, v5
	v_add_co_ci_u32_e64 v6, null, 0, v6, vcc_lo
	s_addk_i32 s5, 0x100
	s_cmp_ge_i32 s5, s4
	s_waitcnt vmcnt(0) lgkmcnt(0)
	v_mul_f16_e32 v8, v8, v9
	v_cvt_f32_f16_e32 v8, v8
	v_add_f32_e32 v7, v7, v8
	s_cbranch_scc0 .LBB450_15
.LBB450_16:
	v_add_nc_u32_e32 v3, s4, v0
	s_mov_b32 s1, exec_lo
	v_cmpx_gt_i32_e64 s10, v3
	s_cbranch_execz .LBB450_18
; %bb.17:
	v_mad_i64_i32 v[3:4], null, s0, v3, 0
	s_ashr_i32 s5, s4, 31
	s_lshl_b64 s[4:5], s[4:5], 1
	v_add_co_u32 v1, vcc_lo, v1, s4
	v_lshlrev_b64 v[3:4], 1, v[3:4]
	v_add_co_ci_u32_e64 v2, null, s5, v2, vcc_lo
	v_add_co_u32 v3, vcc_lo, s2, v3
	v_add_co_ci_u32_e64 v4, null, s3, v4, vcc_lo
	flat_load_ushort v1, v[1:2]
	flat_load_ushort v2, v[3:4]
	s_waitcnt vmcnt(0) lgkmcnt(0)
	v_mul_f16_e32 v1, v1, v2
	v_cvt_f32_f16_e32 v1, v1
	v_add_f32_e32 v7, v7, v1
.LBB450_18:
	s_or_b32 exec_lo, exec_lo, s1
	v_lshlrev_b32_e32 v1, 2, v0
	s_mov_b32 s0, exec_lo
	ds_write_b32 v1, v7
	s_waitcnt lgkmcnt(0)
	s_barrier
	buffer_gl0_inv
	v_cmpx_gt_u32_e32 0x80, v0
	s_cbranch_execz .LBB450_20
; %bb.19:
	ds_read2st64_b32 v[2:3], v1 offset1:2
	s_waitcnt lgkmcnt(0)
	v_add_f32_e32 v2, v3, v2
	ds_write_b32 v1, v2
.LBB450_20:
	s_or_b32 exec_lo, exec_lo, s0
	s_mov_b32 s0, exec_lo
	s_waitcnt lgkmcnt(0)
	s_barrier
	buffer_gl0_inv
	v_cmpx_gt_u32_e32 64, v0
	s_cbranch_execz .LBB450_22
; %bb.21:
	ds_read2st64_b32 v[2:3], v1 offset1:1
	s_waitcnt lgkmcnt(0)
	v_add_f32_e32 v2, v3, v2
	ds_write_b32 v1, v2
.LBB450_22:
	s_or_b32 exec_lo, exec_lo, s0
	s_mov_b32 s0, exec_lo
	s_waitcnt lgkmcnt(0)
	s_barrier
	buffer_gl0_inv
	v_cmpx_gt_u32_e32 32, v0
	s_cbranch_execz .LBB450_24
; %bb.23:
	ds_read2_b32 v[2:3], v1 offset1:32
	s_waitcnt lgkmcnt(0)
	v_add_f32_e32 v2, v3, v2
	ds_write_b32 v1, v2
.LBB450_24:
	s_or_b32 exec_lo, exec_lo, s0
	s_mov_b32 s0, exec_lo
	s_waitcnt lgkmcnt(0)
	s_barrier
	buffer_gl0_inv
	v_cmpx_gt_u32_e32 16, v0
	s_cbranch_execz .LBB450_26
; %bb.25:
	ds_read2_b32 v[2:3], v1 offset1:16
	s_waitcnt lgkmcnt(0)
	v_add_f32_e32 v2, v3, v2
	ds_write_b32 v1, v2
.LBB450_26:
	;; [unrolled: 13-line block ×5, first 2 shown]
	s_or_b32 exec_lo, exec_lo, s0
	v_cmp_eq_u32_e32 vcc_lo, 0, v0
	s_waitcnt lgkmcnt(0)
	s_barrier
	buffer_gl0_inv
	s_and_saveexec_b32 s0, vcc_lo
	s_cbranch_execz .LBB450_34
; %bb.33:
	v_mov_b32_e32 v2, 0
	ds_read_b64 v[0:1], v2
	s_waitcnt lgkmcnt(0)
	v_add_f32_e32 v0, v1, v0
	ds_write_b32 v2, v0
.LBB450_34:
	s_or_b32 exec_lo, exec_lo, s0
	s_waitcnt lgkmcnt(0)
	s_barrier
	buffer_gl0_inv
                                        ; implicit-def: $vgpr1
                                        ; implicit-def: $sgpr10_sgpr11
	s_and_saveexec_b32 s0, vcc_lo
	s_cbranch_execz .LBB450_38
; %bb.35:
	v_mov_b32_e32 v0, 0
	v_cmp_eq_f32_e64 s1, s7, 0
	s_mul_hi_i32 s11, s17, s6
	s_mul_i32 s10, s17, s6
	ds_read_b32 v0, v0
	s_and_b32 vcc_lo, exec_lo, s1
	s_waitcnt lgkmcnt(0)
	v_mul_f32_e32 v0, s16, v0
	s_cbranch_vccnz .LBB450_37
; %bb.36:
	s_lshl_b64 s[2:3], s[10:11], 1
	s_add_u32 s2, s12, s2
	s_addc_u32 s3, s13, s3
	v_mov_b32_e32 v1, s2
	v_mov_b32_e32 v2, s3
	flat_load_ushort v1, v[1:2]
	s_waitcnt vmcnt(0) lgkmcnt(0)
	v_fma_mix_f32 v0, s7, v1, v0 op_sel_hi:[0,1,0]
.LBB450_37:
	v_cvt_f16_f32_e32 v1, v0
	s_or_b32 s14, s14, exec_lo
.LBB450_38:
	s_or_b32 exec_lo, exec_lo, s0
.LBB450_39:
	s_and_saveexec_b32 s0, s14
	s_cbranch_execz .LBB450_41
; %bb.40:
	s_lshl_b64 s[0:1], s[10:11], 1
	s_add_u32 s0, s12, s0
	s_addc_u32 s1, s13, s1
	v_mov_b32_e32 v3, s1
	v_mov_b32_e32 v2, s0
	flat_store_short v[2:3], v1
.LBB450_41:
	s_endpgm
	.section	.rodata,"a",@progbits
	.p2align	6, 0x0
	.amdhsa_kernel _ZL20rocblas_gemvt_kernelILb0ELi256EPKDF16_PKfKPDF16_EviiT2_lPKT1_lilS9_lilS6_lPT3_lili
		.amdhsa_group_segment_fixed_size 1024
		.amdhsa_private_segment_fixed_size 0
		.amdhsa_kernarg_size 140
		.amdhsa_user_sgpr_count 6
		.amdhsa_user_sgpr_private_segment_buffer 1
		.amdhsa_user_sgpr_dispatch_ptr 0
		.amdhsa_user_sgpr_queue_ptr 0
		.amdhsa_user_sgpr_kernarg_segment_ptr 1
		.amdhsa_user_sgpr_dispatch_id 0
		.amdhsa_user_sgpr_flat_scratch_init 0
		.amdhsa_user_sgpr_private_segment_size 0
		.amdhsa_wavefront_size32 1
		.amdhsa_uses_dynamic_stack 0
		.amdhsa_system_sgpr_private_segment_wavefront_offset 0
		.amdhsa_system_sgpr_workgroup_id_x 1
		.amdhsa_system_sgpr_workgroup_id_y 0
		.amdhsa_system_sgpr_workgroup_id_z 1
		.amdhsa_system_sgpr_workgroup_info 0
		.amdhsa_system_vgpr_workitem_id 0
		.amdhsa_next_free_vgpr 10
		.amdhsa_next_free_sgpr 24
		.amdhsa_reserve_vcc 1
		.amdhsa_reserve_flat_scratch 0
		.amdhsa_float_round_mode_32 0
		.amdhsa_float_round_mode_16_64 0
		.amdhsa_float_denorm_mode_32 3
		.amdhsa_float_denorm_mode_16_64 3
		.amdhsa_dx10_clamp 1
		.amdhsa_ieee_mode 1
		.amdhsa_fp16_overflow 0
		.amdhsa_workgroup_processor_mode 1
		.amdhsa_memory_ordered 1
		.amdhsa_forward_progress 1
		.amdhsa_shared_vgpr_count 0
		.amdhsa_exception_fp_ieee_invalid_op 0
		.amdhsa_exception_fp_denorm_src 0
		.amdhsa_exception_fp_ieee_div_zero 0
		.amdhsa_exception_fp_ieee_overflow 0
		.amdhsa_exception_fp_ieee_underflow 0
		.amdhsa_exception_fp_ieee_inexact 0
		.amdhsa_exception_int_div_zero 0
	.end_amdhsa_kernel
	.section	.text._ZL20rocblas_gemvt_kernelILb0ELi256EPKDF16_PKfKPDF16_EviiT2_lPKT1_lilS9_lilS6_lPT3_lili,"axG",@progbits,_ZL20rocblas_gemvt_kernelILb0ELi256EPKDF16_PKfKPDF16_EviiT2_lPKT1_lilS9_lilS6_lPT3_lili,comdat
.Lfunc_end450:
	.size	_ZL20rocblas_gemvt_kernelILb0ELi256EPKDF16_PKfKPDF16_EviiT2_lPKT1_lilS9_lilS6_lPT3_lili, .Lfunc_end450-_ZL20rocblas_gemvt_kernelILb0ELi256EPKDF16_PKfKPDF16_EviiT2_lPKT1_lilS9_lilS6_lPT3_lili
                                        ; -- End function
	.set _ZL20rocblas_gemvt_kernelILb0ELi256EPKDF16_PKfKPDF16_EviiT2_lPKT1_lilS9_lilS6_lPT3_lili.num_vgpr, 10
	.set _ZL20rocblas_gemvt_kernelILb0ELi256EPKDF16_PKfKPDF16_EviiT2_lPKT1_lilS9_lilS6_lPT3_lili.num_agpr, 0
	.set _ZL20rocblas_gemvt_kernelILb0ELi256EPKDF16_PKfKPDF16_EviiT2_lPKT1_lilS9_lilS6_lPT3_lili.numbered_sgpr, 24
	.set _ZL20rocblas_gemvt_kernelILb0ELi256EPKDF16_PKfKPDF16_EviiT2_lPKT1_lilS9_lilS6_lPT3_lili.num_named_barrier, 0
	.set _ZL20rocblas_gemvt_kernelILb0ELi256EPKDF16_PKfKPDF16_EviiT2_lPKT1_lilS9_lilS6_lPT3_lili.private_seg_size, 0
	.set _ZL20rocblas_gemvt_kernelILb0ELi256EPKDF16_PKfKPDF16_EviiT2_lPKT1_lilS9_lilS6_lPT3_lili.uses_vcc, 1
	.set _ZL20rocblas_gemvt_kernelILb0ELi256EPKDF16_PKfKPDF16_EviiT2_lPKT1_lilS9_lilS6_lPT3_lili.uses_flat_scratch, 0
	.set _ZL20rocblas_gemvt_kernelILb0ELi256EPKDF16_PKfKPDF16_EviiT2_lPKT1_lilS9_lilS6_lPT3_lili.has_dyn_sized_stack, 0
	.set _ZL20rocblas_gemvt_kernelILb0ELi256EPKDF16_PKfKPDF16_EviiT2_lPKT1_lilS9_lilS6_lPT3_lili.has_recursion, 0
	.set _ZL20rocblas_gemvt_kernelILb0ELi256EPKDF16_PKfKPDF16_EviiT2_lPKT1_lilS9_lilS6_lPT3_lili.has_indirect_call, 0
	.section	.AMDGPU.csdata,"",@progbits
; Kernel info:
; codeLenInByte = 1460
; TotalNumSgprs: 26
; NumVgprs: 10
; ScratchSize: 0
; MemoryBound: 0
; FloatMode: 240
; IeeeMode: 1
; LDSByteSize: 1024 bytes/workgroup (compile time only)
; SGPRBlocks: 0
; VGPRBlocks: 1
; NumSGPRsForWavesPerEU: 26
; NumVGPRsForWavesPerEU: 10
; Occupancy: 16
; WaveLimiterHint : 1
; COMPUTE_PGM_RSRC2:SCRATCH_EN: 0
; COMPUTE_PGM_RSRC2:USER_SGPR: 6
; COMPUTE_PGM_RSRC2:TRAP_HANDLER: 0
; COMPUTE_PGM_RSRC2:TGID_X_EN: 1
; COMPUTE_PGM_RSRC2:TGID_Y_EN: 0
; COMPUTE_PGM_RSRC2:TGID_Z_EN: 1
; COMPUTE_PGM_RSRC2:TIDIG_COMP_CNT: 0
	.section	.text._ZL20rocblas_gemvt_kernelILb0ELi256EPKDF16_fKPDF16_EviiT2_lPKT1_lilS7_lilS4_lPT3_lili,"axG",@progbits,_ZL20rocblas_gemvt_kernelILb0ELi256EPKDF16_fKPDF16_EviiT2_lPKT1_lilS7_lilS4_lPT3_lili,comdat
	.globl	_ZL20rocblas_gemvt_kernelILb0ELi256EPKDF16_fKPDF16_EviiT2_lPKT1_lilS7_lilS4_lPT3_lili ; -- Begin function _ZL20rocblas_gemvt_kernelILb0ELi256EPKDF16_fKPDF16_EviiT2_lPKT1_lilS7_lilS4_lPT3_lili
	.p2align	8
	.type	_ZL20rocblas_gemvt_kernelILb0ELi256EPKDF16_fKPDF16_EviiT2_lPKT1_lilS7_lilS4_lPT3_lili,@function
_ZL20rocblas_gemvt_kernelILb0ELi256EPKDF16_fKPDF16_EviiT2_lPKT1_lilS7_lilS4_lPT3_lili: ; @_ZL20rocblas_gemvt_kernelILb0ELi256EPKDF16_fKPDF16_EviiT2_lPKT1_lilS7_lilS4_lPT3_lili
; %bb.0:
	s_mov_b32 s10, s7
	s_clause 0x1
	s_load_dword s12, s[4:5], 0x8
	s_load_dword s7, s[4:5], 0x58
	s_mov_b32 s11, 0
	s_waitcnt lgkmcnt(0)
	v_cmp_eq_f32_e64 s16, s12, 0
	v_cmp_eq_f32_e64 s0, s7, 1.0
	s_and_b32 s0, s16, s0
	s_and_b32 vcc_lo, exec_lo, s0
	s_cbranch_vccnz .LBB451_43
; %bb.1:
	v_cmp_neq_f32_e64 s13, s12, 0
	s_and_b32 vcc_lo, exec_lo, s13
	s_cbranch_vccnz .LBB451_3
; %bb.2:
	s_mov_b32 s1, 0
	s_mov_b32 s0, s10
	;; [unrolled: 1-line block ×3, first 2 shown]
	s_mov_b64 s[2:3], 0
	s_andn2_b32 vcc_lo, exec_lo, s8
	s_mov_b64 s[8:9], 0
	s_cbranch_vccz .LBB451_4
	s_branch .LBB451_5
.LBB451_3:
	s_mov_b64 s[0:1], s[10:11]
	s_mov_b64 s[2:3], 0
	;; [unrolled: 1-line block ×3, first 2 shown]
.LBB451_4:
	s_load_dwordx4 s[20:23], s[4:5], 0x18
	s_lshl_b64 s[8:9], s[10:11], 3
	s_waitcnt lgkmcnt(0)
	s_add_u32 s8, s20, s8
	s_addc_u32 s9, s21, s9
	s_lshl_b64 s[10:11], s[22:23], 1
	s_load_dwordx2 s[8:9], s[8:9], 0x0
	s_waitcnt lgkmcnt(0)
	s_add_u32 s8, s8, s10
	s_addc_u32 s9, s9, s11
.LBB451_5:
	s_andn2_b32 vcc_lo, exec_lo, s13
	s_cbranch_vccnz .LBB451_7
; %bb.6:
	s_load_dwordx4 s[20:23], s[4:5], 0x38
	s_lshl_b64 s[2:3], s[0:1], 3
	s_waitcnt lgkmcnt(0)
	s_add_u32 s2, s20, s2
	s_addc_u32 s3, s21, s3
	s_lshl_b64 s[10:11], s[22:23], 1
	s_load_dwordx2 s[2:3], s[2:3], 0x0
	s_waitcnt lgkmcnt(0)
	s_add_u32 s2, s2, s10
	s_addc_u32 s3, s3, s11
.LBB451_7:
	s_clause 0x1
	s_load_dwordx4 s[20:23], s[4:5], 0x68
	s_load_dword s15, s[4:5], 0x78
	s_lshl_b64 s[0:1], s[0:1], 3
	s_waitcnt lgkmcnt(0)
	s_add_u32 s0, s20, s0
	s_addc_u32 s1, s21, s1
	s_lshl_b64 s[18:19], s[22:23], 1
	s_load_dwordx2 s[10:11], s[0:1], 0x0
	v_cmp_eq_u32_e64 s0, 0, v0
	s_waitcnt lgkmcnt(0)
	s_add_u32 s13, s10, s18
	s_addc_u32 s14, s11, s19
	s_andn2_b32 vcc_lo, exec_lo, s16
	s_cbranch_vccnz .LBB451_11
; %bb.8:
	s_mov_b32 s1, 0
	s_mov_b32 s16, 0
                                        ; implicit-def: $vgpr1
                                        ; implicit-def: $sgpr10_sgpr11
	s_and_saveexec_b32 s17, s0
	s_cbranch_execz .LBB451_12
; %bb.9:
	v_cmp_eq_f32_e64 s0, s7, 0
	s_mul_hi_i32 s11, s15, s6
	s_mul_i32 s10, s15, s6
	s_and_b32 vcc_lo, exec_lo, s0
	s_cbranch_vccnz .LBB451_13
; %bb.10:
	s_lshl_b64 s[18:19], s[10:11], 1
	s_add_u32 s18, s13, s18
	s_addc_u32 s19, s14, s19
	v_mov_b32_e32 v1, s18
	v_mov_b32_e32 v2, s19
	flat_load_ushort v1, v[1:2]
	s_waitcnt vmcnt(0) lgkmcnt(0)
	v_fma_mixlo_f16 v1, s7, v1, 0 op_sel_hi:[0,1,0]
	s_branch .LBB451_14
.LBB451_11:
	s_mov_b32 s16, 0
                                        ; implicit-def: $vgpr1
                                        ; implicit-def: $sgpr10_sgpr11
	s_cbranch_execnz .LBB451_15
	s_branch .LBB451_41
.LBB451_12:
	s_or_b32 exec_lo, exec_lo, s17
	s_and_b32 vcc_lo, exec_lo, s1
	s_cbranch_vccnz .LBB451_15
	s_branch .LBB451_41
.LBB451_13:
	v_mov_b32_e32 v1, 0
.LBB451_14:
	s_mov_b32 s16, exec_lo
	s_or_b32 exec_lo, exec_lo, s17
	s_and_b32 vcc_lo, exec_lo, s1
	s_cbranch_vccz .LBB451_41
.LBB451_15:
	s_clause 0x2
	s_load_dword s10, s[4:5], 0x0
	s_load_dword s1, s[4:5], 0x28
	;; [unrolled: 1-line block ×3, first 2 shown]
	v_mov_b32_e32 v7, 0
	s_waitcnt lgkmcnt(0)
	v_cmp_gt_i32_e32 vcc_lo, s10, v0
	s_mul_hi_i32 s5, s1, s6
	s_mul_i32 s4, s1, s6
	s_ashr_i32 s1, s10, 31
	s_lshl_b64 s[4:5], s[4:5], 1
	v_cndmask_b32_e32 v1, 0, v0, vcc_lo
	s_lshr_b32 s1, s1, 24
	s_add_i32 s1, s10, s1
	v_lshlrev_b32_e32 v1, 1, v1
	v_add_co_u32 v1, s8, s8, v1
	v_add_co_ci_u32_e64 v2, null, s9, 0, s8
	v_add_co_u32 v1, vcc_lo, v1, s4
	v_add_co_ci_u32_e64 v2, null, s5, v2, vcc_lo
	s_and_b32 s4, s1, 0xffffff00
	s_cmpk_lt_i32 s10, 0x100
	s_mov_b32 s5, 0
	s_cbranch_scc1 .LBB451_18
; %bb.16:
	v_mad_i64_i32 v[3:4], null, s0, v0, 0
	v_mov_b32_e32 v6, v2
	v_mov_b32_e32 v7, 0
	;; [unrolled: 1-line block ×3, first 2 shown]
	s_ashr_i32 s1, s0, 31
	s_lshl_b64 s[8:9], s[0:1], 9
	v_lshlrev_b64 v[3:4], 1, v[3:4]
	v_add_co_u32 v3, vcc_lo, s2, v3
	v_add_co_ci_u32_e64 v4, null, s3, v4, vcc_lo
	.p2align	6
.LBB451_17:                             ; =>This Inner Loop Header: Depth=1
	flat_load_ushort v8, v[5:6]
	flat_load_ushort v9, v[3:4]
	v_add_co_u32 v3, vcc_lo, v3, s8
	v_add_co_ci_u32_e64 v4, null, s9, v4, vcc_lo
	v_add_co_u32 v5, vcc_lo, 0x200, v5
	v_add_co_ci_u32_e64 v6, null, 0, v6, vcc_lo
	s_addk_i32 s5, 0x100
	s_cmp_ge_i32 s5, s4
	s_waitcnt vmcnt(0) lgkmcnt(0)
	v_mul_f16_e32 v8, v8, v9
	v_cvt_f32_f16_e32 v8, v8
	v_add_f32_e32 v7, v7, v8
	s_cbranch_scc0 .LBB451_17
.LBB451_18:
	v_add_nc_u32_e32 v3, s4, v0
	s_mov_b32 s1, exec_lo
	v_cmpx_gt_i32_e64 s10, v3
	s_cbranch_execz .LBB451_20
; %bb.19:
	v_mad_i64_i32 v[3:4], null, s0, v3, 0
	s_ashr_i32 s5, s4, 31
	s_lshl_b64 s[4:5], s[4:5], 1
	v_add_co_u32 v1, vcc_lo, v1, s4
	v_lshlrev_b64 v[3:4], 1, v[3:4]
	v_add_co_ci_u32_e64 v2, null, s5, v2, vcc_lo
	v_add_co_u32 v3, vcc_lo, s2, v3
	v_add_co_ci_u32_e64 v4, null, s3, v4, vcc_lo
	flat_load_ushort v1, v[1:2]
	flat_load_ushort v2, v[3:4]
	s_waitcnt vmcnt(0) lgkmcnt(0)
	v_mul_f16_e32 v1, v1, v2
	v_cvt_f32_f16_e32 v1, v1
	v_add_f32_e32 v7, v7, v1
.LBB451_20:
	s_or_b32 exec_lo, exec_lo, s1
	v_lshlrev_b32_e32 v1, 2, v0
	s_mov_b32 s0, exec_lo
	ds_write_b32 v1, v7
	s_waitcnt lgkmcnt(0)
	s_barrier
	buffer_gl0_inv
	v_cmpx_gt_u32_e32 0x80, v0
	s_cbranch_execz .LBB451_22
; %bb.21:
	ds_read2st64_b32 v[2:3], v1 offset1:2
	s_waitcnt lgkmcnt(0)
	v_add_f32_e32 v2, v3, v2
	ds_write_b32 v1, v2
.LBB451_22:
	s_or_b32 exec_lo, exec_lo, s0
	s_mov_b32 s0, exec_lo
	s_waitcnt lgkmcnt(0)
	s_barrier
	buffer_gl0_inv
	v_cmpx_gt_u32_e32 64, v0
	s_cbranch_execz .LBB451_24
; %bb.23:
	ds_read2st64_b32 v[2:3], v1 offset1:1
	s_waitcnt lgkmcnt(0)
	v_add_f32_e32 v2, v3, v2
	ds_write_b32 v1, v2
.LBB451_24:
	s_or_b32 exec_lo, exec_lo, s0
	s_mov_b32 s0, exec_lo
	s_waitcnt lgkmcnt(0)
	s_barrier
	buffer_gl0_inv
	v_cmpx_gt_u32_e32 32, v0
	s_cbranch_execz .LBB451_26
; %bb.25:
	ds_read2_b32 v[2:3], v1 offset1:32
	s_waitcnt lgkmcnt(0)
	v_add_f32_e32 v2, v3, v2
	ds_write_b32 v1, v2
.LBB451_26:
	s_or_b32 exec_lo, exec_lo, s0
	s_mov_b32 s0, exec_lo
	s_waitcnt lgkmcnt(0)
	s_barrier
	buffer_gl0_inv
	v_cmpx_gt_u32_e32 16, v0
	s_cbranch_execz .LBB451_28
; %bb.27:
	ds_read2_b32 v[2:3], v1 offset1:16
	s_waitcnt lgkmcnt(0)
	v_add_f32_e32 v2, v3, v2
	ds_write_b32 v1, v2
.LBB451_28:
	;; [unrolled: 13-line block ×5, first 2 shown]
	s_or_b32 exec_lo, exec_lo, s0
	v_cmp_eq_u32_e32 vcc_lo, 0, v0
	s_waitcnt lgkmcnt(0)
	s_barrier
	buffer_gl0_inv
	s_and_saveexec_b32 s0, vcc_lo
	s_cbranch_execz .LBB451_36
; %bb.35:
	v_mov_b32_e32 v2, 0
	ds_read_b64 v[0:1], v2
	s_waitcnt lgkmcnt(0)
	v_add_f32_e32 v0, v1, v0
	ds_write_b32 v2, v0
.LBB451_36:
	s_or_b32 exec_lo, exec_lo, s0
	s_waitcnt lgkmcnt(0)
	s_barrier
	buffer_gl0_inv
                                        ; implicit-def: $vgpr1
                                        ; implicit-def: $sgpr10_sgpr11
	s_and_saveexec_b32 s0, vcc_lo
	s_cbranch_execz .LBB451_40
; %bb.37:
	v_mov_b32_e32 v0, 0
	v_cmp_eq_f32_e64 s1, s7, 0
	s_mul_hi_i32 s11, s15, s6
	s_mul_i32 s10, s15, s6
	ds_read_b32 v0, v0
	s_and_b32 vcc_lo, exec_lo, s1
	s_waitcnt lgkmcnt(0)
	v_mul_f32_e32 v0, s12, v0
	s_cbranch_vccnz .LBB451_39
; %bb.38:
	s_lshl_b64 s[2:3], s[10:11], 1
	s_add_u32 s2, s13, s2
	s_addc_u32 s3, s14, s3
	v_mov_b32_e32 v1, s2
	v_mov_b32_e32 v2, s3
	flat_load_ushort v1, v[1:2]
	s_waitcnt vmcnt(0) lgkmcnt(0)
	v_fma_mix_f32 v0, s7, v1, v0 op_sel_hi:[0,1,0]
.LBB451_39:
	v_cvt_f16_f32_e32 v1, v0
	s_or_b32 s16, s16, exec_lo
.LBB451_40:
	s_or_b32 exec_lo, exec_lo, s0
.LBB451_41:
	s_and_saveexec_b32 s0, s16
	s_cbranch_execz .LBB451_43
; %bb.42:
	s_lshl_b64 s[0:1], s[10:11], 1
	s_add_u32 s0, s13, s0
	s_addc_u32 s1, s14, s1
	v_mov_b32_e32 v3, s1
	v_mov_b32_e32 v2, s0
	flat_store_short v[2:3], v1
.LBB451_43:
	s_endpgm
	.section	.rodata,"a",@progbits
	.p2align	6, 0x0
	.amdhsa_kernel _ZL20rocblas_gemvt_kernelILb0ELi256EPKDF16_fKPDF16_EviiT2_lPKT1_lilS7_lilS4_lPT3_lili
		.amdhsa_group_segment_fixed_size 1024
		.amdhsa_private_segment_fixed_size 0
		.amdhsa_kernarg_size 140
		.amdhsa_user_sgpr_count 6
		.amdhsa_user_sgpr_private_segment_buffer 1
		.amdhsa_user_sgpr_dispatch_ptr 0
		.amdhsa_user_sgpr_queue_ptr 0
		.amdhsa_user_sgpr_kernarg_segment_ptr 1
		.amdhsa_user_sgpr_dispatch_id 0
		.amdhsa_user_sgpr_flat_scratch_init 0
		.amdhsa_user_sgpr_private_segment_size 0
		.amdhsa_wavefront_size32 1
		.amdhsa_uses_dynamic_stack 0
		.amdhsa_system_sgpr_private_segment_wavefront_offset 0
		.amdhsa_system_sgpr_workgroup_id_x 1
		.amdhsa_system_sgpr_workgroup_id_y 0
		.amdhsa_system_sgpr_workgroup_id_z 1
		.amdhsa_system_sgpr_workgroup_info 0
		.amdhsa_system_vgpr_workitem_id 0
		.amdhsa_next_free_vgpr 10
		.amdhsa_next_free_sgpr 24
		.amdhsa_reserve_vcc 1
		.amdhsa_reserve_flat_scratch 0
		.amdhsa_float_round_mode_32 0
		.amdhsa_float_round_mode_16_64 0
		.amdhsa_float_denorm_mode_32 3
		.amdhsa_float_denorm_mode_16_64 3
		.amdhsa_dx10_clamp 1
		.amdhsa_ieee_mode 1
		.amdhsa_fp16_overflow 0
		.amdhsa_workgroup_processor_mode 1
		.amdhsa_memory_ordered 1
		.amdhsa_forward_progress 1
		.amdhsa_shared_vgpr_count 0
		.amdhsa_exception_fp_ieee_invalid_op 0
		.amdhsa_exception_fp_denorm_src 0
		.amdhsa_exception_fp_ieee_div_zero 0
		.amdhsa_exception_fp_ieee_overflow 0
		.amdhsa_exception_fp_ieee_underflow 0
		.amdhsa_exception_fp_ieee_inexact 0
		.amdhsa_exception_int_div_zero 0
	.end_amdhsa_kernel
	.section	.text._ZL20rocblas_gemvt_kernelILb0ELi256EPKDF16_fKPDF16_EviiT2_lPKT1_lilS7_lilS4_lPT3_lili,"axG",@progbits,_ZL20rocblas_gemvt_kernelILb0ELi256EPKDF16_fKPDF16_EviiT2_lPKT1_lilS7_lilS4_lPT3_lili,comdat
.Lfunc_end451:
	.size	_ZL20rocblas_gemvt_kernelILb0ELi256EPKDF16_fKPDF16_EviiT2_lPKT1_lilS7_lilS4_lPT3_lili, .Lfunc_end451-_ZL20rocblas_gemvt_kernelILb0ELi256EPKDF16_fKPDF16_EviiT2_lPKT1_lilS7_lilS4_lPT3_lili
                                        ; -- End function
	.set _ZL20rocblas_gemvt_kernelILb0ELi256EPKDF16_fKPDF16_EviiT2_lPKT1_lilS7_lilS4_lPT3_lili.num_vgpr, 10
	.set _ZL20rocblas_gemvt_kernelILb0ELi256EPKDF16_fKPDF16_EviiT2_lPKT1_lilS7_lilS4_lPT3_lili.num_agpr, 0
	.set _ZL20rocblas_gemvt_kernelILb0ELi256EPKDF16_fKPDF16_EviiT2_lPKT1_lilS7_lilS4_lPT3_lili.numbered_sgpr, 24
	.set _ZL20rocblas_gemvt_kernelILb0ELi256EPKDF16_fKPDF16_EviiT2_lPKT1_lilS7_lilS4_lPT3_lili.num_named_barrier, 0
	.set _ZL20rocblas_gemvt_kernelILb0ELi256EPKDF16_fKPDF16_EviiT2_lPKT1_lilS7_lilS4_lPT3_lili.private_seg_size, 0
	.set _ZL20rocblas_gemvt_kernelILb0ELi256EPKDF16_fKPDF16_EviiT2_lPKT1_lilS7_lilS4_lPT3_lili.uses_vcc, 1
	.set _ZL20rocblas_gemvt_kernelILb0ELi256EPKDF16_fKPDF16_EviiT2_lPKT1_lilS7_lilS4_lPT3_lili.uses_flat_scratch, 0
	.set _ZL20rocblas_gemvt_kernelILb0ELi256EPKDF16_fKPDF16_EviiT2_lPKT1_lilS7_lilS4_lPT3_lili.has_dyn_sized_stack, 0
	.set _ZL20rocblas_gemvt_kernelILb0ELi256EPKDF16_fKPDF16_EviiT2_lPKT1_lilS7_lilS4_lPT3_lili.has_recursion, 0
	.set _ZL20rocblas_gemvt_kernelILb0ELi256EPKDF16_fKPDF16_EviiT2_lPKT1_lilS7_lilS4_lPT3_lili.has_indirect_call, 0
	.section	.AMDGPU.csdata,"",@progbits
; Kernel info:
; codeLenInByte = 1460
; TotalNumSgprs: 26
; NumVgprs: 10
; ScratchSize: 0
; MemoryBound: 0
; FloatMode: 240
; IeeeMode: 1
; LDSByteSize: 1024 bytes/workgroup (compile time only)
; SGPRBlocks: 0
; VGPRBlocks: 1
; NumSGPRsForWavesPerEU: 26
; NumVGPRsForWavesPerEU: 10
; Occupancy: 16
; WaveLimiterHint : 1
; COMPUTE_PGM_RSRC2:SCRATCH_EN: 0
; COMPUTE_PGM_RSRC2:USER_SGPR: 6
; COMPUTE_PGM_RSRC2:TRAP_HANDLER: 0
; COMPUTE_PGM_RSRC2:TGID_X_EN: 1
; COMPUTE_PGM_RSRC2:TGID_Y_EN: 0
; COMPUTE_PGM_RSRC2:TGID_Z_EN: 1
; COMPUTE_PGM_RSRC2:TIDIG_COMP_CNT: 0
	.section	.text._ZL32rocblas_gemvt_warp_reduce_kernelILb0ELi1024EiPKDF16_PKfKPDF16_EviiT3_lPKT2_lT1_lS9_lSA_lS6_lPT4_lSA_li,"axG",@progbits,_ZL32rocblas_gemvt_warp_reduce_kernelILb0ELi1024EiPKDF16_PKfKPDF16_EviiT3_lPKT2_lT1_lS9_lSA_lS6_lPT4_lSA_li,comdat
	.globl	_ZL32rocblas_gemvt_warp_reduce_kernelILb0ELi1024EiPKDF16_PKfKPDF16_EviiT3_lPKT2_lT1_lS9_lSA_lS6_lPT4_lSA_li ; -- Begin function _ZL32rocblas_gemvt_warp_reduce_kernelILb0ELi1024EiPKDF16_PKfKPDF16_EviiT3_lPKT2_lT1_lS9_lSA_lS6_lPT4_lSA_li
	.p2align	8
	.type	_ZL32rocblas_gemvt_warp_reduce_kernelILb0ELi1024EiPKDF16_PKfKPDF16_EviiT3_lPKT2_lT1_lS9_lSA_lS6_lPT4_lSA_li,@function
_ZL32rocblas_gemvt_warp_reduce_kernelILb0ELi1024EiPKDF16_PKfKPDF16_EviiT3_lPKT2_lT1_lS9_lSA_lS6_lPT4_lSA_li: ; @_ZL32rocblas_gemvt_warp_reduce_kernelILb0ELi1024EiPKDF16_PKfKPDF16_EviiT3_lPKT2_lT1_lS9_lSA_lS6_lPT4_lSA_li
; %bb.0:
	s_clause 0x1
	s_load_dwordx8 s[16:23], s[4:5], 0x8
	s_load_dwordx8 s[8:15], s[4:5], 0x58
	s_mov_b32 s0, s7
	s_waitcnt lgkmcnt(0)
	s_mul_i32 s1, s19, s7
	s_mul_hi_u32 s3, s18, s7
	s_mul_i32 s2, s18, s7
	s_add_i32 s3, s3, s1
	s_mul_i32 s1, s11, s7
	s_lshl_b64 s[2:3], s[2:3], 2
	s_mul_hi_u32 s7, s10, s7
	s_add_u32 s2, s16, s2
	s_addc_u32 s3, s17, s3
	s_add_i32 s11, s7, s1
	s_mul_i32 s10, s10, s0
	s_lshl_b64 s[10:11], s[10:11], 2
	s_add_u32 s8, s8, s10
	s_addc_u32 s9, s9, s11
	s_load_dword s16, s[2:3], 0x0
	s_load_dword s7, s[8:9], 0x0
	s_waitcnt lgkmcnt(0)
	v_cmp_eq_f32_e64 s10, s16, 0
	v_cmp_eq_f32_e64 s1, s7, 1.0
	s_and_b32 s1, s10, s1
	s_and_b32 vcc_lo, exec_lo, s1
	s_mov_b32 s1, 0
	s_cbranch_vccnz .LBB452_34
; %bb.1:
	v_cmp_neq_f32_e64 s11, s16, 0
	s_mov_b64 s[2:3], 0
	s_and_b32 vcc_lo, exec_lo, s10
	s_mov_b64 s[8:9], 0
	s_cbranch_vccnz .LBB452_3
; %bb.2:
	s_lshl_b64 s[8:9], s[0:1], 3
	s_add_u32 s8, s20, s8
	s_addc_u32 s9, s21, s9
	s_lshl_b64 s[18:19], s[22:23], 1
	s_load_dwordx2 s[8:9], s[8:9], 0x0
	s_waitcnt lgkmcnt(0)
	s_add_u32 s8, s8, s18
	s_addc_u32 s9, s9, s19
.LBB452_3:
	s_andn2_b32 vcc_lo, exec_lo, s11
	s_cbranch_vccnz .LBB452_5
; %bb.4:
	s_load_dwordx4 s[20:23], s[4:5], 0x38
	s_lshl_b64 s[2:3], s[0:1], 3
	s_waitcnt lgkmcnt(0)
	s_add_u32 s2, s20, s2
	s_addc_u32 s3, s21, s3
	s_lshl_b64 s[18:19], s[22:23], 1
	s_load_dwordx2 s[2:3], s[2:3], 0x0
	s_waitcnt lgkmcnt(0)
	s_add_u32 s2, s2, s18
	s_addc_u32 s3, s3, s19
.LBB452_5:
	s_lshl_b64 s[0:1], s[0:1], 3
	s_add_u32 s0, s12, s0
	s_addc_u32 s1, s13, s1
	s_lshl_b64 s[14:15], s[14:15], 1
	s_load_dwordx2 s[12:13], s[0:1], 0x0
	s_load_dword s17, s[4:5], 0x78
	v_cmp_eq_u32_e64 s0, 0, v0
	s_waitcnt lgkmcnt(0)
	s_add_u32 s1, s12, s14
	s_addc_u32 s12, s13, s15
	s_andn2_b32 vcc_lo, exec_lo, s10
	s_cbranch_vccnz .LBB452_9
; %bb.6:
	s_mov_b32 s14, 0
	s_mov_b32 s13, 0
                                        ; implicit-def: $vgpr1
                                        ; implicit-def: $sgpr10_sgpr11
	s_and_saveexec_b32 s15, s0
	s_cbranch_execz .LBB452_10
; %bb.7:
	v_cmp_eq_f32_e64 s0, s7, 0
	s_mul_i32 s10, s17, s6
	s_ashr_i32 s11, s10, 31
	s_and_b32 vcc_lo, exec_lo, s0
	s_cbranch_vccnz .LBB452_11
; %bb.8:
	s_lshl_b64 s[18:19], s[10:11], 1
	s_add_u32 s18, s1, s18
	s_addc_u32 s19, s12, s19
	v_mov_b32_e32 v1, s18
	v_mov_b32_e32 v2, s19
	flat_load_ushort v1, v[1:2]
	s_waitcnt vmcnt(0) lgkmcnt(0)
	v_fma_mixlo_f16 v1, s7, v1, 0 op_sel_hi:[0,1,0]
	s_branch .LBB452_12
.LBB452_9:
	s_mov_b32 s13, 0
                                        ; implicit-def: $vgpr1
                                        ; implicit-def: $sgpr10_sgpr11
	s_cbranch_execnz .LBB452_13
	s_branch .LBB452_32
.LBB452_10:
	s_or_b32 exec_lo, exec_lo, s15
	s_and_b32 vcc_lo, exec_lo, s14
	s_cbranch_vccnz .LBB452_13
	s_branch .LBB452_32
.LBB452_11:
	v_mov_b32_e32 v1, 0
.LBB452_12:
	s_mov_b32 s13, exec_lo
	s_or_b32 exec_lo, exec_lo, s15
	s_and_b32 vcc_lo, exec_lo, s14
	s_cbranch_vccz .LBB452_32
.LBB452_13:
	s_clause 0x2
	s_load_dword s10, s[4:5], 0x0
	s_load_dword s0, s[4:5], 0x28
	;; [unrolled: 1-line block ×3, first 2 shown]
	v_mov_b32_e32 v7, 0
	s_waitcnt lgkmcnt(0)
	v_cmp_gt_i32_e32 vcc_lo, s10, v0
	s_mul_i32 s14, s0, s6
	s_ashr_i32 s0, s10, 31
	s_ashr_i32 s15, s14, 31
	s_lshr_b32 s0, s0, 22
	v_cndmask_b32_e32 v1, 0, v0, vcc_lo
	s_lshl_b64 s[14:15], s[14:15], 1
	s_add_i32 s0, s10, s0
	v_lshlrev_b32_e32 v1, 1, v1
	v_add_co_u32 v1, s4, s8, v1
	v_add_co_ci_u32_e64 v2, null, s9, 0, s4
	s_and_b32 s4, s0, 0xfffffc00
	v_add_co_u32 v1, vcc_lo, v1, s14
	v_add_co_ci_u32_e64 v2, null, s15, v2, vcc_lo
	s_mov_b32 s9, 0
	s_mov_b32 s8, exec_lo
	v_cmpx_gt_i32_e64 s4, v0
	s_cbranch_execz .LBB452_17
; %bb.14:
	v_mul_lo_u32 v3, v0, s5
	v_mov_b32_e32 v6, v2
	v_mov_b32_e32 v7, 0
	;; [unrolled: 1-line block ×4, first 2 shown]
	s_lshl_b32 s11, s5, 10
	.p2align	6
.LBB452_15:                             ; =>This Inner Loop Header: Depth=1
	v_ashrrev_i32_e32 v4, 31, v3
	v_add_nc_u32_e32 v8, 0x400, v8
	v_lshlrev_b64 v[9:10], 1, v[3:4]
	v_cmp_le_i32_e64 s0, s4, v8
	v_add_nc_u32_e32 v3, s11, v3
	s_or_b32 s9, s0, s9
	v_add_co_u32 v9, vcc_lo, s2, v9
	v_add_co_ci_u32_e64 v10, null, s3, v10, vcc_lo
	flat_load_ushort v4, v[5:6]
	flat_load_ushort v9, v[9:10]
	v_add_co_u32 v5, vcc_lo, 0x800, v5
	v_add_co_ci_u32_e64 v6, null, 0, v6, vcc_lo
	s_waitcnt vmcnt(0) lgkmcnt(0)
	v_mul_f16_e32 v4, v4, v9
	v_cvt_f32_f16_e32 v4, v4
	v_add_f32_e32 v7, v7, v4
	s_andn2_b32 exec_lo, exec_lo, s9
	s_cbranch_execnz .LBB452_15
; %bb.16:
	s_or_b32 exec_lo, exec_lo, s9
.LBB452_17:
	s_or_b32 exec_lo, exec_lo, s8
	v_or_b32_e32 v3, s4, v0
	s_mov_b32 s0, exec_lo
	v_cmpx_gt_i32_e64 s10, v3
	s_cbranch_execz .LBB452_19
; %bb.18:
	v_mul_lo_u32 v3, s5, v3
	s_ashr_i32 s5, s4, 31
	s_lshl_b64 s[4:5], s[4:5], 1
	v_add_co_u32 v1, vcc_lo, v1, s4
	v_add_co_ci_u32_e64 v2, null, s5, v2, vcc_lo
	v_ashrrev_i32_e32 v4, 31, v3
	v_lshlrev_b64 v[3:4], 1, v[3:4]
	v_add_co_u32 v3, vcc_lo, s2, v3
	v_add_co_ci_u32_e64 v4, null, s3, v4, vcc_lo
	flat_load_ushort v1, v[1:2]
	flat_load_ushort v2, v[3:4]
	s_waitcnt vmcnt(0) lgkmcnt(0)
	v_mul_f16_e32 v1, v1, v2
	v_cvt_f32_f16_e32 v1, v1
	v_add_f32_e32 v7, v7, v1
.LBB452_19:
	s_or_b32 exec_lo, exec_lo, s0
	v_and_b32_e32 v8, 31, v0
	v_cmp_gt_u32_e32 vcc_lo, 32, v0
	v_lshlrev_b32_e32 v1, 2, v8
	s_and_saveexec_b32 s0, vcc_lo
; %bb.20:
	v_mov_b32_e32 v2, 0
	ds_write_b32 v1, v2
; %bb.21:
	s_or_b32 exec_lo, exec_lo, s0
	v_mbcnt_lo_u32_b32 v6, -1, 0
	s_mov_b32 s2, exec_lo
	s_waitcnt lgkmcnt(0)
	s_barrier
	buffer_gl0_inv
	v_lshl_or_b32 v2, v6, 2, 64
	v_cmp_gt_u32_e64 s0, 24, v6
	ds_bpermute_b32 v4, v2, v7
	v_cndmask_b32_e64 v3, 0, 8, s0
	v_cmp_gt_u32_e64 s0, 28, v6
	v_add_lshl_u32 v3, v3, v6, 2
	s_waitcnt lgkmcnt(0)
	v_add_f32_e32 v5, v7, v4
	v_cndmask_b32_e64 v4, 0, 4, s0
	v_cmp_gt_u32_e64 s0, 30, v6
	ds_bpermute_b32 v7, v3, v5
	v_add_lshl_u32 v4, v4, v6, 2
	s_waitcnt lgkmcnt(0)
	v_add_f32_e32 v7, v5, v7
	v_cndmask_b32_e64 v5, 0, 2, s0
	v_cmp_ne_u32_e64 s0, 31, v6
	ds_bpermute_b32 v9, v4, v7
	v_add_lshl_u32 v5, v5, v6, 2
	v_add_co_ci_u32_e64 v6, null, 0, v6, s0
	v_lshlrev_b32_e32 v6, 2, v6
	s_waitcnt lgkmcnt(0)
	v_add_f32_e32 v7, v7, v9
	ds_bpermute_b32 v9, v5, v7
	s_waitcnt lgkmcnt(0)
	v_add_f32_e32 v7, v7, v9
	ds_bpermute_b32 v9, v6, v7
	v_cmpx_eq_u32_e32 0, v8
	s_cbranch_execz .LBB452_23
; %bb.22:
	v_lshrrev_b32_e32 v8, 3, v0
	s_waitcnt lgkmcnt(0)
	v_add_f32_e32 v7, v7, v9
	v_and_b32_e32 v8, 0x7c, v8
	ds_write_b32 v8, v7
.LBB452_23:
	s_or_b32 exec_lo, exec_lo, s2
	v_mov_b32_e32 v7, 0
	s_waitcnt lgkmcnt(0)
	s_barrier
	buffer_gl0_inv
	s_and_saveexec_b32 s0, vcc_lo
; %bb.24:
	ds_read_b32 v7, v1
; %bb.25:
	s_or_b32 exec_lo, exec_lo, s0
	s_and_saveexec_b32 s0, vcc_lo
	s_cbranch_execz .LBB452_27
; %bb.26:
	s_waitcnt lgkmcnt(0)
	ds_bpermute_b32 v1, v2, v7
	s_waitcnt lgkmcnt(0)
	v_add_f32_e32 v1, v7, v1
	ds_bpermute_b32 v2, v3, v1
	s_waitcnt lgkmcnt(0)
	v_add_f32_e32 v1, v1, v2
	;; [unrolled: 3-line block ×5, first 2 shown]
.LBB452_27:
	s_or_b32 exec_lo, exec_lo, s0
	s_mov_b32 s0, exec_lo
                                        ; implicit-def: $vgpr1
                                        ; implicit-def: $sgpr10_sgpr11
	v_cmpx_eq_u32_e32 0, v0
	s_cbranch_execz .LBB452_31
; %bb.28:
	v_cmp_eq_f32_e64 s2, s7, 0
	s_waitcnt lgkmcnt(0)
	v_mul_f32_e32 v0, s16, v7
	s_mul_i32 s10, s17, s6
	s_ashr_i32 s11, s10, 31
	s_and_b32 vcc_lo, exec_lo, s2
	s_cbranch_vccnz .LBB452_30
; %bb.29:
	s_lshl_b64 s[2:3], s[10:11], 1
	s_add_u32 s2, s1, s2
	s_addc_u32 s3, s12, s3
	v_mov_b32_e32 v1, s2
	v_mov_b32_e32 v2, s3
	flat_load_ushort v1, v[1:2]
	s_waitcnt vmcnt(0) lgkmcnt(0)
	v_fma_mix_f32 v0, s7, v1, v0 op_sel_hi:[0,1,0]
.LBB452_30:
	v_cvt_f16_f32_e32 v1, v0
	s_or_b32 s13, s13, exec_lo
.LBB452_31:
	s_or_b32 exec_lo, exec_lo, s0
.LBB452_32:
	s_and_saveexec_b32 s0, s13
	s_cbranch_execz .LBB452_34
; %bb.33:
	s_lshl_b64 s[2:3], s[10:11], 1
	s_add_u32 s0, s1, s2
	s_addc_u32 s1, s12, s3
	v_mov_b32_e32 v3, s1
	v_mov_b32_e32 v2, s0
	flat_store_short v[2:3], v1
.LBB452_34:
	s_endpgm
	.section	.rodata,"a",@progbits
	.p2align	6, 0x0
	.amdhsa_kernel _ZL32rocblas_gemvt_warp_reduce_kernelILb0ELi1024EiPKDF16_PKfKPDF16_EviiT3_lPKT2_lT1_lS9_lSA_lS6_lPT4_lSA_li
		.amdhsa_group_segment_fixed_size 128
		.amdhsa_private_segment_fixed_size 0
		.amdhsa_kernarg_size 140
		.amdhsa_user_sgpr_count 6
		.amdhsa_user_sgpr_private_segment_buffer 1
		.amdhsa_user_sgpr_dispatch_ptr 0
		.amdhsa_user_sgpr_queue_ptr 0
		.amdhsa_user_sgpr_kernarg_segment_ptr 1
		.amdhsa_user_sgpr_dispatch_id 0
		.amdhsa_user_sgpr_flat_scratch_init 0
		.amdhsa_user_sgpr_private_segment_size 0
		.amdhsa_wavefront_size32 1
		.amdhsa_uses_dynamic_stack 0
		.amdhsa_system_sgpr_private_segment_wavefront_offset 0
		.amdhsa_system_sgpr_workgroup_id_x 1
		.amdhsa_system_sgpr_workgroup_id_y 0
		.amdhsa_system_sgpr_workgroup_id_z 1
		.amdhsa_system_sgpr_workgroup_info 0
		.amdhsa_system_vgpr_workitem_id 0
		.amdhsa_next_free_vgpr 11
		.amdhsa_next_free_sgpr 24
		.amdhsa_reserve_vcc 1
		.amdhsa_reserve_flat_scratch 0
		.amdhsa_float_round_mode_32 0
		.amdhsa_float_round_mode_16_64 0
		.amdhsa_float_denorm_mode_32 3
		.amdhsa_float_denorm_mode_16_64 3
		.amdhsa_dx10_clamp 1
		.amdhsa_ieee_mode 1
		.amdhsa_fp16_overflow 0
		.amdhsa_workgroup_processor_mode 1
		.amdhsa_memory_ordered 1
		.amdhsa_forward_progress 1
		.amdhsa_shared_vgpr_count 0
		.amdhsa_exception_fp_ieee_invalid_op 0
		.amdhsa_exception_fp_denorm_src 0
		.amdhsa_exception_fp_ieee_div_zero 0
		.amdhsa_exception_fp_ieee_overflow 0
		.amdhsa_exception_fp_ieee_underflow 0
		.amdhsa_exception_fp_ieee_inexact 0
		.amdhsa_exception_int_div_zero 0
	.end_amdhsa_kernel
	.section	.text._ZL32rocblas_gemvt_warp_reduce_kernelILb0ELi1024EiPKDF16_PKfKPDF16_EviiT3_lPKT2_lT1_lS9_lSA_lS6_lPT4_lSA_li,"axG",@progbits,_ZL32rocblas_gemvt_warp_reduce_kernelILb0ELi1024EiPKDF16_PKfKPDF16_EviiT3_lPKT2_lT1_lS9_lSA_lS6_lPT4_lSA_li,comdat
.Lfunc_end452:
	.size	_ZL32rocblas_gemvt_warp_reduce_kernelILb0ELi1024EiPKDF16_PKfKPDF16_EviiT3_lPKT2_lT1_lS9_lSA_lS6_lPT4_lSA_li, .Lfunc_end452-_ZL32rocblas_gemvt_warp_reduce_kernelILb0ELi1024EiPKDF16_PKfKPDF16_EviiT3_lPKT2_lT1_lS9_lSA_lS6_lPT4_lSA_li
                                        ; -- End function
	.set _ZL32rocblas_gemvt_warp_reduce_kernelILb0ELi1024EiPKDF16_PKfKPDF16_EviiT3_lPKT2_lT1_lS9_lSA_lS6_lPT4_lSA_li.num_vgpr, 11
	.set _ZL32rocblas_gemvt_warp_reduce_kernelILb0ELi1024EiPKDF16_PKfKPDF16_EviiT3_lPKT2_lT1_lS9_lSA_lS6_lPT4_lSA_li.num_agpr, 0
	.set _ZL32rocblas_gemvt_warp_reduce_kernelILb0ELi1024EiPKDF16_PKfKPDF16_EviiT3_lPKT2_lT1_lS9_lSA_lS6_lPT4_lSA_li.numbered_sgpr, 24
	.set _ZL32rocblas_gemvt_warp_reduce_kernelILb0ELi1024EiPKDF16_PKfKPDF16_EviiT3_lPKT2_lT1_lS9_lSA_lS6_lPT4_lSA_li.num_named_barrier, 0
	.set _ZL32rocblas_gemvt_warp_reduce_kernelILb0ELi1024EiPKDF16_PKfKPDF16_EviiT3_lPKT2_lT1_lS9_lSA_lS6_lPT4_lSA_li.private_seg_size, 0
	.set _ZL32rocblas_gemvt_warp_reduce_kernelILb0ELi1024EiPKDF16_PKfKPDF16_EviiT3_lPKT2_lT1_lS9_lSA_lS6_lPT4_lSA_li.uses_vcc, 1
	.set _ZL32rocblas_gemvt_warp_reduce_kernelILb0ELi1024EiPKDF16_PKfKPDF16_EviiT3_lPKT2_lT1_lS9_lSA_lS6_lPT4_lSA_li.uses_flat_scratch, 0
	.set _ZL32rocblas_gemvt_warp_reduce_kernelILb0ELi1024EiPKDF16_PKfKPDF16_EviiT3_lPKT2_lT1_lS9_lSA_lS6_lPT4_lSA_li.has_dyn_sized_stack, 0
	.set _ZL32rocblas_gemvt_warp_reduce_kernelILb0ELi1024EiPKDF16_PKfKPDF16_EviiT3_lPKT2_lT1_lS9_lSA_lS6_lPT4_lSA_li.has_recursion, 0
	.set _ZL32rocblas_gemvt_warp_reduce_kernelILb0ELi1024EiPKDF16_PKfKPDF16_EviiT3_lPKT2_lT1_lS9_lSA_lS6_lPT4_lSA_li.has_indirect_call, 0
	.section	.AMDGPU.csdata,"",@progbits
; Kernel info:
; codeLenInByte = 1416
; TotalNumSgprs: 26
; NumVgprs: 11
; ScratchSize: 0
; MemoryBound: 0
; FloatMode: 240
; IeeeMode: 1
; LDSByteSize: 128 bytes/workgroup (compile time only)
; SGPRBlocks: 0
; VGPRBlocks: 1
; NumSGPRsForWavesPerEU: 26
; NumVGPRsForWavesPerEU: 11
; Occupancy: 16
; WaveLimiterHint : 1
; COMPUTE_PGM_RSRC2:SCRATCH_EN: 0
; COMPUTE_PGM_RSRC2:USER_SGPR: 6
; COMPUTE_PGM_RSRC2:TRAP_HANDLER: 0
; COMPUTE_PGM_RSRC2:TGID_X_EN: 1
; COMPUTE_PGM_RSRC2:TGID_Y_EN: 0
; COMPUTE_PGM_RSRC2:TGID_Z_EN: 1
; COMPUTE_PGM_RSRC2:TIDIG_COMP_CNT: 0
	.section	.text._ZL32rocblas_gemvt_warp_reduce_kernelILb0ELi1024ElPKDF16_PKfKPDF16_EviiT3_lPKT2_lT1_lS9_lSA_lS6_lPT4_lSA_li,"axG",@progbits,_ZL32rocblas_gemvt_warp_reduce_kernelILb0ELi1024ElPKDF16_PKfKPDF16_EviiT3_lPKT2_lT1_lS9_lSA_lS6_lPT4_lSA_li,comdat
	.globl	_ZL32rocblas_gemvt_warp_reduce_kernelILb0ELi1024ElPKDF16_PKfKPDF16_EviiT3_lPKT2_lT1_lS9_lSA_lS6_lPT4_lSA_li ; -- Begin function _ZL32rocblas_gemvt_warp_reduce_kernelILb0ELi1024ElPKDF16_PKfKPDF16_EviiT3_lPKT2_lT1_lS9_lSA_lS6_lPT4_lSA_li
	.p2align	8
	.type	_ZL32rocblas_gemvt_warp_reduce_kernelILb0ELi1024ElPKDF16_PKfKPDF16_EviiT3_lPKT2_lT1_lS9_lSA_lS6_lPT4_lSA_li,@function
_ZL32rocblas_gemvt_warp_reduce_kernelILb0ELi1024ElPKDF16_PKfKPDF16_EviiT3_lPKT2_lT1_lS9_lSA_lS6_lPT4_lSA_li: ; @_ZL32rocblas_gemvt_warp_reduce_kernelILb0ELi1024ElPKDF16_PKfKPDF16_EviiT3_lPKT2_lT1_lS9_lSA_lS6_lPT4_lSA_li
; %bb.0:
	s_clause 0x1
	s_load_dwordx8 s[16:23], s[4:5], 0x8
	s_load_dwordx8 s[8:15], s[4:5], 0x58
	s_mov_b32 s26, s7
	s_mov_b32 s27, 0
	s_waitcnt lgkmcnt(0)
	s_mul_i32 s1, s19, s7
	s_mul_hi_u32 s2, s18, s7
	s_mul_i32 s0, s18, s7
	s_add_i32 s1, s2, s1
	s_mul_i32 s2, s11, s7
	s_lshl_b64 s[0:1], s[0:1], 2
	s_mul_hi_u32 s3, s10, s7
	s_add_u32 s0, s16, s0
	s_addc_u32 s1, s17, s1
	s_add_i32 s3, s3, s2
	s_mul_i32 s2, s10, s7
	s_lshl_b64 s[2:3], s[2:3], 2
	s_add_u32 s2, s8, s2
	s_addc_u32 s3, s9, s3
	s_load_dword s28, s[0:1], 0x0
	s_load_dword s7, s[2:3], 0x0
	s_waitcnt lgkmcnt(0)
	v_cmp_eq_f32_e64 s29, s28, 0
	v_cmp_eq_f32_e64 s0, s7, 1.0
	s_and_b32 s0, s29, s0
	s_and_b32 vcc_lo, exec_lo, s0
	s_cbranch_vccnz .LBB453_34
; %bb.1:
	s_clause 0x1
	s_load_dwordx2 s[18:19], s[4:5], 0x28
	s_load_dwordx2 s[8:9], s[4:5], 0x78
	v_cmp_neq_f32_e64 s30, s28, 0
	s_mov_b64 s[10:11], 0
	s_and_b32 vcc_lo, exec_lo, s29
	s_mov_b64 s[24:25], 0
	s_cbranch_vccnz .LBB453_3
; %bb.2:
	s_lshl_b64 s[0:1], s[26:27], 3
	s_add_u32 s0, s20, s0
	s_addc_u32 s1, s21, s1
	s_lshl_b64 s[2:3], s[22:23], 1
	s_load_dwordx2 s[0:1], s[0:1], 0x0
	s_waitcnt lgkmcnt(0)
	s_add_u32 s24, s0, s2
	s_addc_u32 s25, s1, s3
.LBB453_3:
	s_clause 0x1
	s_load_dwordx4 s[0:3], s[4:5], 0x38
	s_load_dwordx2 s[16:17], s[4:5], 0x48
	s_andn2_b32 vcc_lo, exec_lo, s30
	s_cbranch_vccnz .LBB453_5
; %bb.4:
	s_lshl_b64 s[10:11], s[26:27], 3
	s_waitcnt lgkmcnt(0)
	s_add_u32 s0, s0, s10
	s_addc_u32 s1, s1, s11
	s_lshl_b64 s[2:3], s[2:3], 1
	s_load_dwordx2 s[0:1], s[0:1], 0x0
	s_waitcnt lgkmcnt(0)
	s_add_u32 s10, s0, s2
	s_addc_u32 s11, s1, s3
.LBB453_5:
	s_waitcnt lgkmcnt(0)
	s_lshl_b64 s[0:1], s[26:27], 3
	s_add_u32 s0, s12, s0
	s_addc_u32 s1, s13, s1
	s_lshl_b64 s[12:13], s[14:15], 1
	s_load_dwordx2 s[2:3], s[0:1], 0x0
	v_cmp_eq_u32_e64 s0, 0, v0
	s_waitcnt lgkmcnt(0)
	s_add_u32 s1, s2, s12
	s_addc_u32 s12, s3, s13
	s_andn2_b32 vcc_lo, exec_lo, s29
	s_cbranch_vccnz .LBB453_9
; %bb.6:
	s_mov_b32 s14, 0
	s_mov_b32 s13, 0
                                        ; implicit-def: $vgpr1
                                        ; implicit-def: $sgpr2_sgpr3
	s_and_saveexec_b32 s15, s0
	s_cbranch_execz .LBB453_10
; %bb.7:
	s_ashr_i32 s2, s6, 31
	v_cmp_eq_f32_e64 s0, s7, 0
	s_mul_hi_u32 s3, s8, s6
	s_mul_i32 s2, s8, s2
	s_mul_i32 s13, s9, s6
	s_add_i32 s2, s3, s2
	s_and_b32 vcc_lo, exec_lo, s0
	s_add_i32 s3, s2, s13
	s_mul_i32 s2, s8, s6
	s_cbranch_vccnz .LBB453_11
; %bb.8:
	s_lshl_b64 s[20:21], s[2:3], 1
	s_add_u32 s20, s1, s20
	s_addc_u32 s21, s12, s21
	v_mov_b32_e32 v1, s20
	v_mov_b32_e32 v2, s21
	flat_load_ushort v1, v[1:2]
	s_waitcnt vmcnt(0) lgkmcnt(0)
	v_fma_mixlo_f16 v1, s7, v1, 0 op_sel_hi:[0,1,0]
	s_branch .LBB453_12
.LBB453_9:
	s_mov_b32 s13, 0
                                        ; implicit-def: $vgpr1
                                        ; implicit-def: $sgpr2_sgpr3
	s_cbranch_execnz .LBB453_13
	s_branch .LBB453_32
.LBB453_10:
	s_or_b32 exec_lo, exec_lo, s15
	s_and_b32 vcc_lo, exec_lo, s14
	s_cbranch_vccnz .LBB453_13
	s_branch .LBB453_32
.LBB453_11:
	v_mov_b32_e32 v1, 0
.LBB453_12:
	s_mov_b32 s13, exec_lo
	s_or_b32 exec_lo, exec_lo, s15
	s_and_b32 vcc_lo, exec_lo, s14
	s_cbranch_vccz .LBB453_32
.LBB453_13:
	s_load_dword s3, s[4:5], 0x0
	s_ashr_i32 s14, s6, 31
	s_mul_hi_u32 s0, s18, s6
	s_mul_i32 s4, s18, s14
	s_mul_i32 s2, s19, s6
	s_add_i32 s0, s0, s4
	s_mul_i32 s4, s18, s6
	s_add_i32 s5, s0, s2
	v_mov_b32_e32 v7, 0
	s_lshl_b64 s[4:5], s[4:5], 1
	s_mov_b32 s18, 0
	s_mov_b32 s15, exec_lo
	s_waitcnt lgkmcnt(0)
	v_cmp_gt_i32_e32 vcc_lo, s3, v0
	s_ashr_i32 s0, s3, 31
	s_lshr_b32 s0, s0, 22
	s_add_i32 s0, s3, s0
	v_cndmask_b32_e32 v1, 0, v0, vcc_lo
	v_lshlrev_b32_e32 v1, 1, v1
	v_add_co_u32 v1, s2, s24, v1
	v_add_co_ci_u32_e64 v2, null, s25, 0, s2
	s_and_b32 s2, s0, 0xfffffc00
	v_add_co_u32 v1, vcc_lo, v1, s4
	v_add_co_ci_u32_e64 v2, null, s5, v2, vcc_lo
	v_cmpx_gt_i32_e64 s2, v0
	s_cbranch_execz .LBB453_17
; %bb.14:
	v_mad_u64_u32 v[3:4], null, s16, v0, 0
	v_mov_b32_e32 v7, 0
	v_mov_b32_e32 v8, v0
	s_lshl_b64 s[4:5], s[16:17], 11
	v_mad_u64_u32 v[4:5], null, s17, v0, v[4:5]
	v_lshlrev_b64 v[5:6], 1, v[3:4]
	v_mov_b32_e32 v4, v2
	v_mov_b32_e32 v3, v1
	v_add_co_u32 v5, vcc_lo, s10, v5
	v_add_co_ci_u32_e64 v6, null, s11, v6, vcc_lo
	.p2align	6
.LBB453_15:                             ; =>This Inner Loop Header: Depth=1
	flat_load_ushort v9, v[3:4]
	flat_load_ushort v10, v[5:6]
	v_add_nc_u32_e32 v8, 0x400, v8
	v_add_co_u32 v3, vcc_lo, 0x800, v3
	v_add_co_ci_u32_e64 v4, null, 0, v4, vcc_lo
	v_add_co_u32 v5, vcc_lo, v5, s4
	v_cmp_le_i32_e64 s0, s2, v8
	v_add_co_ci_u32_e64 v6, null, s5, v6, vcc_lo
	s_or_b32 s18, s0, s18
	s_waitcnt vmcnt(0) lgkmcnt(0)
	v_mul_f16_e32 v9, v9, v10
	v_cvt_f32_f16_e32 v9, v9
	v_add_f32_e32 v7, v7, v9
	s_andn2_b32 exec_lo, exec_lo, s18
	s_cbranch_execnz .LBB453_15
; %bb.16:
	s_or_b32 exec_lo, exec_lo, s18
.LBB453_17:
	s_or_b32 exec_lo, exec_lo, s15
	v_or_b32_e32 v3, s2, v0
	s_mov_b32 s0, exec_lo
	v_cmpx_gt_i32_e64 s3, v3
	s_cbranch_execz .LBB453_19
; %bb.18:
	v_ashrrev_i32_e32 v5, 31, v3
	v_mul_lo_u32 v6, s17, v3
	v_mad_u64_u32 v[3:4], null, s16, v3, 0
	s_ashr_i32 s3, s2, 31
	v_mul_lo_u32 v5, s16, v5
	s_lshl_b64 s[2:3], s[2:3], 1
	v_add_co_u32 v1, vcc_lo, v1, s2
	v_add_co_ci_u32_e64 v2, null, s3, v2, vcc_lo
	v_add3_u32 v4, v4, v5, v6
	v_lshlrev_b64 v[3:4], 1, v[3:4]
	v_add_co_u32 v3, vcc_lo, s10, v3
	v_add_co_ci_u32_e64 v4, null, s11, v4, vcc_lo
	flat_load_ushort v1, v[1:2]
	flat_load_ushort v2, v[3:4]
	s_waitcnt vmcnt(0) lgkmcnt(0)
	v_mul_f16_e32 v1, v1, v2
	v_cvt_f32_f16_e32 v1, v1
	v_add_f32_e32 v7, v7, v1
.LBB453_19:
	s_or_b32 exec_lo, exec_lo, s0
	v_and_b32_e32 v8, 31, v0
	v_cmp_gt_u32_e32 vcc_lo, 32, v0
	v_lshlrev_b32_e32 v1, 2, v8
	s_and_saveexec_b32 s0, vcc_lo
; %bb.20:
	v_mov_b32_e32 v2, 0
	ds_write_b32 v1, v2
; %bb.21:
	s_or_b32 exec_lo, exec_lo, s0
	v_mbcnt_lo_u32_b32 v6, -1, 0
	s_mov_b32 s2, exec_lo
	s_waitcnt lgkmcnt(0)
	s_barrier
	buffer_gl0_inv
	v_lshl_or_b32 v2, v6, 2, 64
	v_cmp_gt_u32_e64 s0, 24, v6
	ds_bpermute_b32 v4, v2, v7
	v_cndmask_b32_e64 v3, 0, 8, s0
	v_cmp_gt_u32_e64 s0, 28, v6
	v_add_lshl_u32 v3, v3, v6, 2
	s_waitcnt lgkmcnt(0)
	v_add_f32_e32 v5, v7, v4
	v_cndmask_b32_e64 v4, 0, 4, s0
	v_cmp_gt_u32_e64 s0, 30, v6
	ds_bpermute_b32 v7, v3, v5
	v_add_lshl_u32 v4, v4, v6, 2
	s_waitcnt lgkmcnt(0)
	v_add_f32_e32 v7, v5, v7
	v_cndmask_b32_e64 v5, 0, 2, s0
	v_cmp_ne_u32_e64 s0, 31, v6
	ds_bpermute_b32 v9, v4, v7
	v_add_lshl_u32 v5, v5, v6, 2
	v_add_co_ci_u32_e64 v6, null, 0, v6, s0
	v_lshlrev_b32_e32 v6, 2, v6
	s_waitcnt lgkmcnt(0)
	v_add_f32_e32 v7, v7, v9
	ds_bpermute_b32 v9, v5, v7
	s_waitcnt lgkmcnt(0)
	v_add_f32_e32 v7, v7, v9
	ds_bpermute_b32 v9, v6, v7
	v_cmpx_eq_u32_e32 0, v8
	s_cbranch_execz .LBB453_23
; %bb.22:
	v_lshrrev_b32_e32 v8, 3, v0
	s_waitcnt lgkmcnt(0)
	v_add_f32_e32 v7, v7, v9
	v_and_b32_e32 v8, 0x7c, v8
	ds_write_b32 v8, v7
.LBB453_23:
	s_or_b32 exec_lo, exec_lo, s2
	v_mov_b32_e32 v7, 0
	s_waitcnt lgkmcnt(0)
	s_barrier
	buffer_gl0_inv
	s_and_saveexec_b32 s0, vcc_lo
; %bb.24:
	ds_read_b32 v7, v1
; %bb.25:
	s_or_b32 exec_lo, exec_lo, s0
	s_and_saveexec_b32 s0, vcc_lo
	s_cbranch_execz .LBB453_27
; %bb.26:
	s_waitcnt lgkmcnt(0)
	ds_bpermute_b32 v1, v2, v7
	s_waitcnt lgkmcnt(0)
	v_add_f32_e32 v1, v7, v1
	ds_bpermute_b32 v2, v3, v1
	s_waitcnt lgkmcnt(0)
	v_add_f32_e32 v1, v1, v2
	;; [unrolled: 3-line block ×5, first 2 shown]
.LBB453_27:
	s_or_b32 exec_lo, exec_lo, s0
	s_mov_b32 s0, exec_lo
                                        ; implicit-def: $vgpr1
                                        ; implicit-def: $sgpr2_sgpr3
	v_cmpx_eq_u32_e32 0, v0
	s_cbranch_execz .LBB453_31
; %bb.28:
	v_cmp_eq_f32_e64 s4, s7, 0
	s_mul_i32 s2, s8, s14
	s_mul_hi_u32 s3, s8, s6
	s_waitcnt lgkmcnt(0)
	v_mul_f32_e32 v0, s28, v7
	s_add_i32 s2, s3, s2
	s_mul_i32 s3, s9, s6
	s_and_b32 vcc_lo, exec_lo, s4
	s_add_i32 s3, s2, s3
	s_mul_i32 s2, s8, s6
	s_cbranch_vccnz .LBB453_30
; %bb.29:
	s_lshl_b64 s[4:5], s[2:3], 1
	s_add_u32 s4, s1, s4
	s_addc_u32 s5, s12, s5
	v_mov_b32_e32 v1, s4
	v_mov_b32_e32 v2, s5
	flat_load_ushort v1, v[1:2]
	s_waitcnt vmcnt(0) lgkmcnt(0)
	v_fma_mix_f32 v0, s7, v1, v0 op_sel_hi:[0,1,0]
.LBB453_30:
	v_cvt_f16_f32_e32 v1, v0
	s_or_b32 s13, s13, exec_lo
.LBB453_31:
	s_or_b32 exec_lo, exec_lo, s0
.LBB453_32:
	s_and_saveexec_b32 s0, s13
	s_cbranch_execz .LBB453_34
; %bb.33:
	s_lshl_b64 s[2:3], s[2:3], 1
	s_add_u32 s0, s1, s2
	s_addc_u32 s1, s12, s3
	v_mov_b32_e32 v3, s1
	v_mov_b32_e32 v2, s0
	flat_store_short v[2:3], v1
.LBB453_34:
	s_endpgm
	.section	.rodata,"a",@progbits
	.p2align	6, 0x0
	.amdhsa_kernel _ZL32rocblas_gemvt_warp_reduce_kernelILb0ELi1024ElPKDF16_PKfKPDF16_EviiT3_lPKT2_lT1_lS9_lSA_lS6_lPT4_lSA_li
		.amdhsa_group_segment_fixed_size 128
		.amdhsa_private_segment_fixed_size 0
		.amdhsa_kernarg_size 140
		.amdhsa_user_sgpr_count 6
		.amdhsa_user_sgpr_private_segment_buffer 1
		.amdhsa_user_sgpr_dispatch_ptr 0
		.amdhsa_user_sgpr_queue_ptr 0
		.amdhsa_user_sgpr_kernarg_segment_ptr 1
		.amdhsa_user_sgpr_dispatch_id 0
		.amdhsa_user_sgpr_flat_scratch_init 0
		.amdhsa_user_sgpr_private_segment_size 0
		.amdhsa_wavefront_size32 1
		.amdhsa_uses_dynamic_stack 0
		.amdhsa_system_sgpr_private_segment_wavefront_offset 0
		.amdhsa_system_sgpr_workgroup_id_x 1
		.amdhsa_system_sgpr_workgroup_id_y 0
		.amdhsa_system_sgpr_workgroup_id_z 1
		.amdhsa_system_sgpr_workgroup_info 0
		.amdhsa_system_vgpr_workitem_id 0
		.amdhsa_next_free_vgpr 11
		.amdhsa_next_free_sgpr 31
		.amdhsa_reserve_vcc 1
		.amdhsa_reserve_flat_scratch 0
		.amdhsa_float_round_mode_32 0
		.amdhsa_float_round_mode_16_64 0
		.amdhsa_float_denorm_mode_32 3
		.amdhsa_float_denorm_mode_16_64 3
		.amdhsa_dx10_clamp 1
		.amdhsa_ieee_mode 1
		.amdhsa_fp16_overflow 0
		.amdhsa_workgroup_processor_mode 1
		.amdhsa_memory_ordered 1
		.amdhsa_forward_progress 1
		.amdhsa_shared_vgpr_count 0
		.amdhsa_exception_fp_ieee_invalid_op 0
		.amdhsa_exception_fp_denorm_src 0
		.amdhsa_exception_fp_ieee_div_zero 0
		.amdhsa_exception_fp_ieee_overflow 0
		.amdhsa_exception_fp_ieee_underflow 0
		.amdhsa_exception_fp_ieee_inexact 0
		.amdhsa_exception_int_div_zero 0
	.end_amdhsa_kernel
	.section	.text._ZL32rocblas_gemvt_warp_reduce_kernelILb0ELi1024ElPKDF16_PKfKPDF16_EviiT3_lPKT2_lT1_lS9_lSA_lS6_lPT4_lSA_li,"axG",@progbits,_ZL32rocblas_gemvt_warp_reduce_kernelILb0ELi1024ElPKDF16_PKfKPDF16_EviiT3_lPKT2_lT1_lS9_lSA_lS6_lPT4_lSA_li,comdat
.Lfunc_end453:
	.size	_ZL32rocblas_gemvt_warp_reduce_kernelILb0ELi1024ElPKDF16_PKfKPDF16_EviiT3_lPKT2_lT1_lS9_lSA_lS6_lPT4_lSA_li, .Lfunc_end453-_ZL32rocblas_gemvt_warp_reduce_kernelILb0ELi1024ElPKDF16_PKfKPDF16_EviiT3_lPKT2_lT1_lS9_lSA_lS6_lPT4_lSA_li
                                        ; -- End function
	.set _ZL32rocblas_gemvt_warp_reduce_kernelILb0ELi1024ElPKDF16_PKfKPDF16_EviiT3_lPKT2_lT1_lS9_lSA_lS6_lPT4_lSA_li.num_vgpr, 11
	.set _ZL32rocblas_gemvt_warp_reduce_kernelILb0ELi1024ElPKDF16_PKfKPDF16_EviiT3_lPKT2_lT1_lS9_lSA_lS6_lPT4_lSA_li.num_agpr, 0
	.set _ZL32rocblas_gemvt_warp_reduce_kernelILb0ELi1024ElPKDF16_PKfKPDF16_EviiT3_lPKT2_lT1_lS9_lSA_lS6_lPT4_lSA_li.numbered_sgpr, 31
	.set _ZL32rocblas_gemvt_warp_reduce_kernelILb0ELi1024ElPKDF16_PKfKPDF16_EviiT3_lPKT2_lT1_lS9_lSA_lS6_lPT4_lSA_li.num_named_barrier, 0
	.set _ZL32rocblas_gemvt_warp_reduce_kernelILb0ELi1024ElPKDF16_PKfKPDF16_EviiT3_lPKT2_lT1_lS9_lSA_lS6_lPT4_lSA_li.private_seg_size, 0
	.set _ZL32rocblas_gemvt_warp_reduce_kernelILb0ELi1024ElPKDF16_PKfKPDF16_EviiT3_lPKT2_lT1_lS9_lSA_lS6_lPT4_lSA_li.uses_vcc, 1
	.set _ZL32rocblas_gemvt_warp_reduce_kernelILb0ELi1024ElPKDF16_PKfKPDF16_EviiT3_lPKT2_lT1_lS9_lSA_lS6_lPT4_lSA_li.uses_flat_scratch, 0
	.set _ZL32rocblas_gemvt_warp_reduce_kernelILb0ELi1024ElPKDF16_PKfKPDF16_EviiT3_lPKT2_lT1_lS9_lSA_lS6_lPT4_lSA_li.has_dyn_sized_stack, 0
	.set _ZL32rocblas_gemvt_warp_reduce_kernelILb0ELi1024ElPKDF16_PKfKPDF16_EviiT3_lPKT2_lT1_lS9_lSA_lS6_lPT4_lSA_li.has_recursion, 0
	.set _ZL32rocblas_gemvt_warp_reduce_kernelILb0ELi1024ElPKDF16_PKfKPDF16_EviiT3_lPKT2_lT1_lS9_lSA_lS6_lPT4_lSA_li.has_indirect_call, 0
	.section	.AMDGPU.csdata,"",@progbits
; Kernel info:
; codeLenInByte = 1504
; TotalNumSgprs: 33
; NumVgprs: 11
; ScratchSize: 0
; MemoryBound: 0
; FloatMode: 240
; IeeeMode: 1
; LDSByteSize: 128 bytes/workgroup (compile time only)
; SGPRBlocks: 0
; VGPRBlocks: 1
; NumSGPRsForWavesPerEU: 33
; NumVGPRsForWavesPerEU: 11
; Occupancy: 16
; WaveLimiterHint : 1
; COMPUTE_PGM_RSRC2:SCRATCH_EN: 0
; COMPUTE_PGM_RSRC2:USER_SGPR: 6
; COMPUTE_PGM_RSRC2:TRAP_HANDLER: 0
; COMPUTE_PGM_RSRC2:TGID_X_EN: 1
; COMPUTE_PGM_RSRC2:TGID_Y_EN: 0
; COMPUTE_PGM_RSRC2:TGID_Z_EN: 1
; COMPUTE_PGM_RSRC2:TIDIG_COMP_CNT: 0
	.section	.text._ZL32rocblas_gemvt_warp_reduce_kernelILb0ELi1024EiPKDF16_fKPDF16_EviiT3_lPKT2_lT1_lS7_lS8_lS4_lPT4_lS8_li,"axG",@progbits,_ZL32rocblas_gemvt_warp_reduce_kernelILb0ELi1024EiPKDF16_fKPDF16_EviiT3_lPKT2_lT1_lS7_lS8_lS4_lPT4_lS8_li,comdat
	.globl	_ZL32rocblas_gemvt_warp_reduce_kernelILb0ELi1024EiPKDF16_fKPDF16_EviiT3_lPKT2_lT1_lS7_lS8_lS4_lPT4_lS8_li ; -- Begin function _ZL32rocblas_gemvt_warp_reduce_kernelILb0ELi1024EiPKDF16_fKPDF16_EviiT3_lPKT2_lT1_lS7_lS8_lS4_lPT4_lS8_li
	.p2align	8
	.type	_ZL32rocblas_gemvt_warp_reduce_kernelILb0ELi1024EiPKDF16_fKPDF16_EviiT3_lPKT2_lT1_lS7_lS8_lS4_lPT4_lS8_li,@function
_ZL32rocblas_gemvt_warp_reduce_kernelILb0ELi1024EiPKDF16_fKPDF16_EviiT3_lPKT2_lT1_lS7_lS8_lS4_lPT4_lS8_li: ; @_ZL32rocblas_gemvt_warp_reduce_kernelILb0ELi1024EiPKDF16_fKPDF16_EviiT3_lPKT2_lT1_lS7_lS8_lS4_lPT4_lS8_li
; %bb.0:
	s_mov_b32 s10, s7
	s_clause 0x1
	s_load_dword s12, s[4:5], 0x8
	s_load_dword s7, s[4:5], 0x58
	s_mov_b32 s11, 0
	s_waitcnt lgkmcnt(0)
	v_cmp_eq_f32_e64 s15, s12, 0
	v_cmp_eq_f32_e64 s0, s7, 1.0
	s_and_b32 s0, s15, s0
	s_and_b32 vcc_lo, exec_lo, s0
	s_cbranch_vccnz .LBB454_36
; %bb.1:
	v_cmp_neq_f32_e64 s13, s12, 0
	s_and_b32 vcc_lo, exec_lo, s13
	s_cbranch_vccnz .LBB454_3
; %bb.2:
	s_mov_b32 s1, 0
	s_mov_b32 s0, s10
	;; [unrolled: 1-line block ×3, first 2 shown]
	s_mov_b64 s[2:3], 0
	s_andn2_b32 vcc_lo, exec_lo, s8
	s_mov_b64 s[8:9], 0
	s_cbranch_vccz .LBB454_4
	s_branch .LBB454_5
.LBB454_3:
	s_mov_b64 s[0:1], s[10:11]
	s_mov_b64 s[2:3], 0
	;; [unrolled: 1-line block ×3, first 2 shown]
.LBB454_4:
	s_load_dwordx4 s[16:19], s[4:5], 0x18
	s_lshl_b64 s[8:9], s[10:11], 3
	s_waitcnt lgkmcnt(0)
	s_add_u32 s8, s16, s8
	s_addc_u32 s9, s17, s9
	s_lshl_b64 s[10:11], s[18:19], 1
	s_load_dwordx2 s[8:9], s[8:9], 0x0
	s_waitcnt lgkmcnt(0)
	s_add_u32 s8, s8, s10
	s_addc_u32 s9, s9, s11
.LBB454_5:
	s_andn2_b32 vcc_lo, exec_lo, s13
	s_cbranch_vccnz .LBB454_7
; %bb.6:
	s_load_dwordx4 s[16:19], s[4:5], 0x38
	s_lshl_b64 s[2:3], s[0:1], 3
	s_waitcnt lgkmcnt(0)
	s_add_u32 s2, s16, s2
	s_addc_u32 s3, s17, s3
	s_lshl_b64 s[10:11], s[18:19], 1
	s_load_dwordx2 s[2:3], s[2:3], 0x0
	s_waitcnt lgkmcnt(0)
	s_add_u32 s2, s2, s10
	s_addc_u32 s3, s3, s11
.LBB454_7:
	s_clause 0x1
	s_load_dwordx4 s[16:19], s[4:5], 0x68
	s_load_dword s14, s[4:5], 0x78
	s_lshl_b64 s[0:1], s[0:1], 3
	s_waitcnt lgkmcnt(0)
	s_add_u32 s0, s16, s0
	s_addc_u32 s1, s17, s1
	s_lshl_b64 s[16:17], s[18:19], 1
	s_load_dwordx2 s[10:11], s[0:1], 0x0
	v_cmp_eq_u32_e64 s0, 0, v0
	s_waitcnt lgkmcnt(0)
	s_add_u32 s1, s10, s16
	s_addc_u32 s13, s11, s17
	s_andn2_b32 vcc_lo, exec_lo, s15
	s_cbranch_vccnz .LBB454_11
; %bb.8:
	s_mov_b32 s16, 0
	s_mov_b32 s15, 0
                                        ; implicit-def: $vgpr1
                                        ; implicit-def: $sgpr10_sgpr11
	s_and_saveexec_b32 s17, s0
	s_cbranch_execz .LBB454_12
; %bb.9:
	v_cmp_eq_f32_e64 s0, s7, 0
	s_mul_i32 s10, s14, s6
	s_ashr_i32 s11, s10, 31
	s_and_b32 vcc_lo, exec_lo, s0
	s_cbranch_vccnz .LBB454_13
; %bb.10:
	s_lshl_b64 s[18:19], s[10:11], 1
	s_add_u32 s18, s1, s18
	s_addc_u32 s19, s13, s19
	v_mov_b32_e32 v1, s18
	v_mov_b32_e32 v2, s19
	flat_load_ushort v1, v[1:2]
	s_waitcnt vmcnt(0) lgkmcnt(0)
	v_fma_mixlo_f16 v1, s7, v1, 0 op_sel_hi:[0,1,0]
	s_branch .LBB454_14
.LBB454_11:
	s_mov_b32 s15, 0
                                        ; implicit-def: $vgpr1
                                        ; implicit-def: $sgpr10_sgpr11
	s_cbranch_execnz .LBB454_15
	s_branch .LBB454_34
.LBB454_12:
	s_or_b32 exec_lo, exec_lo, s17
	s_and_b32 vcc_lo, exec_lo, s16
	s_cbranch_vccnz .LBB454_15
	s_branch .LBB454_34
.LBB454_13:
	v_mov_b32_e32 v1, 0
.LBB454_14:
	s_mov_b32 s15, exec_lo
	s_or_b32 exec_lo, exec_lo, s17
	s_and_b32 vcc_lo, exec_lo, s16
	s_cbranch_vccz .LBB454_34
.LBB454_15:
	s_clause 0x2
	s_load_dword s10, s[4:5], 0x0
	s_load_dword s0, s[4:5], 0x28
	;; [unrolled: 1-line block ×3, first 2 shown]
	v_mov_b32_e32 v7, 0
	s_waitcnt lgkmcnt(0)
	v_cmp_gt_i32_e32 vcc_lo, s10, v0
	s_mul_i32 s16, s0, s6
	s_ashr_i32 s0, s10, 31
	s_ashr_i32 s17, s16, 31
	s_lshr_b32 s0, s0, 22
	v_cndmask_b32_e32 v1, 0, v0, vcc_lo
	s_lshl_b64 s[16:17], s[16:17], 1
	s_add_i32 s0, s10, s0
	v_lshlrev_b32_e32 v1, 1, v1
	v_add_co_u32 v1, s4, s8, v1
	v_add_co_ci_u32_e64 v2, null, s9, 0, s4
	s_and_b32 s4, s0, 0xfffffc00
	v_add_co_u32 v1, vcc_lo, v1, s16
	v_add_co_ci_u32_e64 v2, null, s17, v2, vcc_lo
	s_mov_b32 s9, 0
	s_mov_b32 s8, exec_lo
	v_cmpx_gt_i32_e64 s4, v0
	s_cbranch_execz .LBB454_19
; %bb.16:
	v_mul_lo_u32 v3, v0, s5
	v_mov_b32_e32 v6, v2
	v_mov_b32_e32 v7, 0
	;; [unrolled: 1-line block ×4, first 2 shown]
	s_lshl_b32 s11, s5, 10
	.p2align	6
.LBB454_17:                             ; =>This Inner Loop Header: Depth=1
	v_ashrrev_i32_e32 v4, 31, v3
	v_add_nc_u32_e32 v8, 0x400, v8
	v_lshlrev_b64 v[9:10], 1, v[3:4]
	v_cmp_le_i32_e64 s0, s4, v8
	v_add_nc_u32_e32 v3, s11, v3
	s_or_b32 s9, s0, s9
	v_add_co_u32 v9, vcc_lo, s2, v9
	v_add_co_ci_u32_e64 v10, null, s3, v10, vcc_lo
	flat_load_ushort v4, v[5:6]
	flat_load_ushort v9, v[9:10]
	v_add_co_u32 v5, vcc_lo, 0x800, v5
	v_add_co_ci_u32_e64 v6, null, 0, v6, vcc_lo
	s_waitcnt vmcnt(0) lgkmcnt(0)
	v_mul_f16_e32 v4, v4, v9
	v_cvt_f32_f16_e32 v4, v4
	v_add_f32_e32 v7, v7, v4
	s_andn2_b32 exec_lo, exec_lo, s9
	s_cbranch_execnz .LBB454_17
; %bb.18:
	s_or_b32 exec_lo, exec_lo, s9
.LBB454_19:
	s_or_b32 exec_lo, exec_lo, s8
	v_or_b32_e32 v3, s4, v0
	s_mov_b32 s0, exec_lo
	v_cmpx_gt_i32_e64 s10, v3
	s_cbranch_execz .LBB454_21
; %bb.20:
	v_mul_lo_u32 v3, s5, v3
	s_ashr_i32 s5, s4, 31
	s_lshl_b64 s[4:5], s[4:5], 1
	v_add_co_u32 v1, vcc_lo, v1, s4
	v_add_co_ci_u32_e64 v2, null, s5, v2, vcc_lo
	v_ashrrev_i32_e32 v4, 31, v3
	v_lshlrev_b64 v[3:4], 1, v[3:4]
	v_add_co_u32 v3, vcc_lo, s2, v3
	v_add_co_ci_u32_e64 v4, null, s3, v4, vcc_lo
	flat_load_ushort v1, v[1:2]
	flat_load_ushort v2, v[3:4]
	s_waitcnt vmcnt(0) lgkmcnt(0)
	v_mul_f16_e32 v1, v1, v2
	v_cvt_f32_f16_e32 v1, v1
	v_add_f32_e32 v7, v7, v1
.LBB454_21:
	s_or_b32 exec_lo, exec_lo, s0
	v_and_b32_e32 v8, 31, v0
	v_cmp_gt_u32_e32 vcc_lo, 32, v0
	v_lshlrev_b32_e32 v1, 2, v8
	s_and_saveexec_b32 s0, vcc_lo
; %bb.22:
	v_mov_b32_e32 v2, 0
	ds_write_b32 v1, v2
; %bb.23:
	s_or_b32 exec_lo, exec_lo, s0
	v_mbcnt_lo_u32_b32 v6, -1, 0
	s_mov_b32 s2, exec_lo
	s_waitcnt lgkmcnt(0)
	s_barrier
	buffer_gl0_inv
	v_lshl_or_b32 v2, v6, 2, 64
	v_cmp_gt_u32_e64 s0, 24, v6
	ds_bpermute_b32 v4, v2, v7
	v_cndmask_b32_e64 v3, 0, 8, s0
	v_cmp_gt_u32_e64 s0, 28, v6
	v_add_lshl_u32 v3, v3, v6, 2
	s_waitcnt lgkmcnt(0)
	v_add_f32_e32 v5, v7, v4
	v_cndmask_b32_e64 v4, 0, 4, s0
	v_cmp_gt_u32_e64 s0, 30, v6
	ds_bpermute_b32 v7, v3, v5
	v_add_lshl_u32 v4, v4, v6, 2
	s_waitcnt lgkmcnt(0)
	v_add_f32_e32 v7, v5, v7
	v_cndmask_b32_e64 v5, 0, 2, s0
	v_cmp_ne_u32_e64 s0, 31, v6
	ds_bpermute_b32 v9, v4, v7
	v_add_lshl_u32 v5, v5, v6, 2
	v_add_co_ci_u32_e64 v6, null, 0, v6, s0
	v_lshlrev_b32_e32 v6, 2, v6
	s_waitcnt lgkmcnt(0)
	v_add_f32_e32 v7, v7, v9
	ds_bpermute_b32 v9, v5, v7
	s_waitcnt lgkmcnt(0)
	v_add_f32_e32 v7, v7, v9
	ds_bpermute_b32 v9, v6, v7
	v_cmpx_eq_u32_e32 0, v8
	s_cbranch_execz .LBB454_25
; %bb.24:
	v_lshrrev_b32_e32 v8, 3, v0
	s_waitcnt lgkmcnt(0)
	v_add_f32_e32 v7, v7, v9
	v_and_b32_e32 v8, 0x7c, v8
	ds_write_b32 v8, v7
.LBB454_25:
	s_or_b32 exec_lo, exec_lo, s2
	v_mov_b32_e32 v7, 0
	s_waitcnt lgkmcnt(0)
	s_barrier
	buffer_gl0_inv
	s_and_saveexec_b32 s0, vcc_lo
; %bb.26:
	ds_read_b32 v7, v1
; %bb.27:
	s_or_b32 exec_lo, exec_lo, s0
	s_and_saveexec_b32 s0, vcc_lo
	s_cbranch_execz .LBB454_29
; %bb.28:
	s_waitcnt lgkmcnt(0)
	ds_bpermute_b32 v1, v2, v7
	s_waitcnt lgkmcnt(0)
	v_add_f32_e32 v1, v7, v1
	ds_bpermute_b32 v2, v3, v1
	s_waitcnt lgkmcnt(0)
	v_add_f32_e32 v1, v1, v2
	;; [unrolled: 3-line block ×5, first 2 shown]
.LBB454_29:
	s_or_b32 exec_lo, exec_lo, s0
	s_mov_b32 s0, exec_lo
                                        ; implicit-def: $vgpr1
                                        ; implicit-def: $sgpr10_sgpr11
	v_cmpx_eq_u32_e32 0, v0
	s_cbranch_execz .LBB454_33
; %bb.30:
	v_cmp_eq_f32_e64 s2, s7, 0
	s_waitcnt lgkmcnt(0)
	v_mul_f32_e32 v0, s12, v7
	s_mul_i32 s10, s14, s6
	s_ashr_i32 s11, s10, 31
	s_and_b32 vcc_lo, exec_lo, s2
	s_cbranch_vccnz .LBB454_32
; %bb.31:
	s_lshl_b64 s[2:3], s[10:11], 1
	s_add_u32 s2, s1, s2
	s_addc_u32 s3, s13, s3
	v_mov_b32_e32 v1, s2
	v_mov_b32_e32 v2, s3
	flat_load_ushort v1, v[1:2]
	s_waitcnt vmcnt(0) lgkmcnt(0)
	v_fma_mix_f32 v0, s7, v1, v0 op_sel_hi:[0,1,0]
.LBB454_32:
	v_cvt_f16_f32_e32 v1, v0
	s_or_b32 s15, s15, exec_lo
.LBB454_33:
	s_or_b32 exec_lo, exec_lo, s0
.LBB454_34:
	s_and_saveexec_b32 s0, s15
	s_cbranch_execz .LBB454_36
; %bb.35:
	s_lshl_b64 s[2:3], s[10:11], 1
	s_add_u32 s0, s1, s2
	s_addc_u32 s1, s13, s3
	v_mov_b32_e32 v3, s1
	v_mov_b32_e32 v2, s0
	flat_store_short v[2:3], v1
.LBB454_36:
	s_endpgm
	.section	.rodata,"a",@progbits
	.p2align	6, 0x0
	.amdhsa_kernel _ZL32rocblas_gemvt_warp_reduce_kernelILb0ELi1024EiPKDF16_fKPDF16_EviiT3_lPKT2_lT1_lS7_lS8_lS4_lPT4_lS8_li
		.amdhsa_group_segment_fixed_size 128
		.amdhsa_private_segment_fixed_size 0
		.amdhsa_kernarg_size 140
		.amdhsa_user_sgpr_count 6
		.amdhsa_user_sgpr_private_segment_buffer 1
		.amdhsa_user_sgpr_dispatch_ptr 0
		.amdhsa_user_sgpr_queue_ptr 0
		.amdhsa_user_sgpr_kernarg_segment_ptr 1
		.amdhsa_user_sgpr_dispatch_id 0
		.amdhsa_user_sgpr_flat_scratch_init 0
		.amdhsa_user_sgpr_private_segment_size 0
		.amdhsa_wavefront_size32 1
		.amdhsa_uses_dynamic_stack 0
		.amdhsa_system_sgpr_private_segment_wavefront_offset 0
		.amdhsa_system_sgpr_workgroup_id_x 1
		.amdhsa_system_sgpr_workgroup_id_y 0
		.amdhsa_system_sgpr_workgroup_id_z 1
		.amdhsa_system_sgpr_workgroup_info 0
		.amdhsa_system_vgpr_workitem_id 0
		.amdhsa_next_free_vgpr 11
		.amdhsa_next_free_sgpr 20
		.amdhsa_reserve_vcc 1
		.amdhsa_reserve_flat_scratch 0
		.amdhsa_float_round_mode_32 0
		.amdhsa_float_round_mode_16_64 0
		.amdhsa_float_denorm_mode_32 3
		.amdhsa_float_denorm_mode_16_64 3
		.amdhsa_dx10_clamp 1
		.amdhsa_ieee_mode 1
		.amdhsa_fp16_overflow 0
		.amdhsa_workgroup_processor_mode 1
		.amdhsa_memory_ordered 1
		.amdhsa_forward_progress 1
		.amdhsa_shared_vgpr_count 0
		.amdhsa_exception_fp_ieee_invalid_op 0
		.amdhsa_exception_fp_denorm_src 0
		.amdhsa_exception_fp_ieee_div_zero 0
		.amdhsa_exception_fp_ieee_overflow 0
		.amdhsa_exception_fp_ieee_underflow 0
		.amdhsa_exception_fp_ieee_inexact 0
		.amdhsa_exception_int_div_zero 0
	.end_amdhsa_kernel
	.section	.text._ZL32rocblas_gemvt_warp_reduce_kernelILb0ELi1024EiPKDF16_fKPDF16_EviiT3_lPKT2_lT1_lS7_lS8_lS4_lPT4_lS8_li,"axG",@progbits,_ZL32rocblas_gemvt_warp_reduce_kernelILb0ELi1024EiPKDF16_fKPDF16_EviiT3_lPKT2_lT1_lS7_lS8_lS4_lPT4_lS8_li,comdat
.Lfunc_end454:
	.size	_ZL32rocblas_gemvt_warp_reduce_kernelILb0ELi1024EiPKDF16_fKPDF16_EviiT3_lPKT2_lT1_lS7_lS8_lS4_lPT4_lS8_li, .Lfunc_end454-_ZL32rocblas_gemvt_warp_reduce_kernelILb0ELi1024EiPKDF16_fKPDF16_EviiT3_lPKT2_lT1_lS7_lS8_lS4_lPT4_lS8_li
                                        ; -- End function
	.set _ZL32rocblas_gemvt_warp_reduce_kernelILb0ELi1024EiPKDF16_fKPDF16_EviiT3_lPKT2_lT1_lS7_lS8_lS4_lPT4_lS8_li.num_vgpr, 11
	.set _ZL32rocblas_gemvt_warp_reduce_kernelILb0ELi1024EiPKDF16_fKPDF16_EviiT3_lPKT2_lT1_lS7_lS8_lS4_lPT4_lS8_li.num_agpr, 0
	.set _ZL32rocblas_gemvt_warp_reduce_kernelILb0ELi1024EiPKDF16_fKPDF16_EviiT3_lPKT2_lT1_lS7_lS8_lS4_lPT4_lS8_li.numbered_sgpr, 20
	.set _ZL32rocblas_gemvt_warp_reduce_kernelILb0ELi1024EiPKDF16_fKPDF16_EviiT3_lPKT2_lT1_lS7_lS8_lS4_lPT4_lS8_li.num_named_barrier, 0
	.set _ZL32rocblas_gemvt_warp_reduce_kernelILb0ELi1024EiPKDF16_fKPDF16_EviiT3_lPKT2_lT1_lS7_lS8_lS4_lPT4_lS8_li.private_seg_size, 0
	.set _ZL32rocblas_gemvt_warp_reduce_kernelILb0ELi1024EiPKDF16_fKPDF16_EviiT3_lPKT2_lT1_lS7_lS8_lS4_lPT4_lS8_li.uses_vcc, 1
	.set _ZL32rocblas_gemvt_warp_reduce_kernelILb0ELi1024EiPKDF16_fKPDF16_EviiT3_lPKT2_lT1_lS7_lS8_lS4_lPT4_lS8_li.uses_flat_scratch, 0
	.set _ZL32rocblas_gemvt_warp_reduce_kernelILb0ELi1024EiPKDF16_fKPDF16_EviiT3_lPKT2_lT1_lS7_lS8_lS4_lPT4_lS8_li.has_dyn_sized_stack, 0
	.set _ZL32rocblas_gemvt_warp_reduce_kernelILb0ELi1024EiPKDF16_fKPDF16_EviiT3_lPKT2_lT1_lS7_lS8_lS4_lPT4_lS8_li.has_recursion, 0
	.set _ZL32rocblas_gemvt_warp_reduce_kernelILb0ELi1024EiPKDF16_fKPDF16_EviiT3_lPKT2_lT1_lS7_lS8_lS4_lPT4_lS8_li.has_indirect_call, 0
	.section	.AMDGPU.csdata,"",@progbits
; Kernel info:
; codeLenInByte = 1416
; TotalNumSgprs: 22
; NumVgprs: 11
; ScratchSize: 0
; MemoryBound: 0
; FloatMode: 240
; IeeeMode: 1
; LDSByteSize: 128 bytes/workgroup (compile time only)
; SGPRBlocks: 0
; VGPRBlocks: 1
; NumSGPRsForWavesPerEU: 22
; NumVGPRsForWavesPerEU: 11
; Occupancy: 16
; WaveLimiterHint : 1
; COMPUTE_PGM_RSRC2:SCRATCH_EN: 0
; COMPUTE_PGM_RSRC2:USER_SGPR: 6
; COMPUTE_PGM_RSRC2:TRAP_HANDLER: 0
; COMPUTE_PGM_RSRC2:TGID_X_EN: 1
; COMPUTE_PGM_RSRC2:TGID_Y_EN: 0
; COMPUTE_PGM_RSRC2:TGID_Z_EN: 1
; COMPUTE_PGM_RSRC2:TIDIG_COMP_CNT: 0
	.section	.text._ZL32rocblas_gemvt_warp_reduce_kernelILb0ELi1024ElPKDF16_fKPDF16_EviiT3_lPKT2_lT1_lS7_lS8_lS4_lPT4_lS8_li,"axG",@progbits,_ZL32rocblas_gemvt_warp_reduce_kernelILb0ELi1024ElPKDF16_fKPDF16_EviiT3_lPKT2_lT1_lS7_lS8_lS4_lPT4_lS8_li,comdat
	.globl	_ZL32rocblas_gemvt_warp_reduce_kernelILb0ELi1024ElPKDF16_fKPDF16_EviiT3_lPKT2_lT1_lS7_lS8_lS4_lPT4_lS8_li ; -- Begin function _ZL32rocblas_gemvt_warp_reduce_kernelILb0ELi1024ElPKDF16_fKPDF16_EviiT3_lPKT2_lT1_lS7_lS8_lS4_lPT4_lS8_li
	.p2align	8
	.type	_ZL32rocblas_gemvt_warp_reduce_kernelILb0ELi1024ElPKDF16_fKPDF16_EviiT3_lPKT2_lT1_lS7_lS8_lS4_lPT4_lS8_li,@function
_ZL32rocblas_gemvt_warp_reduce_kernelILb0ELi1024ElPKDF16_fKPDF16_EviiT3_lPKT2_lT1_lS7_lS8_lS4_lPT4_lS8_li: ; @_ZL32rocblas_gemvt_warp_reduce_kernelILb0ELi1024ElPKDF16_fKPDF16_EviiT3_lPKT2_lT1_lS7_lS8_lS4_lPT4_lS8_li
; %bb.0:
	s_mov_b32 s10, s7
	s_clause 0x1
	s_load_dword s18, s[4:5], 0x8
	s_load_dword s7, s[4:5], 0x58
	s_mov_b32 s11, 0
	s_waitcnt lgkmcnt(0)
	v_cmp_eq_f32_e64 s20, s18, 0
	v_cmp_eq_f32_e64 s0, s7, 1.0
	s_and_b32 s0, s20, s0
	s_and_b32 vcc_lo, exec_lo, s0
	s_cbranch_vccnz .LBB455_36
; %bb.1:
	s_clause 0x1
	s_load_dwordx4 s[0:3], s[4:5], 0x18
	s_load_dwordx2 s[12:13], s[4:5], 0x28
	v_cmp_neq_f32_e64 s19, s18, 0
	s_and_b32 vcc_lo, exec_lo, s19
	s_cbranch_vccnz .LBB455_3
; %bb.2:
	s_mov_b32 s17, 0
	s_mov_b32 s16, s10
	;; [unrolled: 1-line block ×3, first 2 shown]
	s_mov_b64 s[8:9], 0
	s_andn2_b32 vcc_lo, exec_lo, s14
	s_mov_b64 s[14:15], 0
	s_cbranch_vccz .LBB455_4
	s_branch .LBB455_5
.LBB455_3:
	s_mov_b64 s[16:17], s[10:11]
	s_mov_b64 s[8:9], 0
	;; [unrolled: 1-line block ×3, first 2 shown]
.LBB455_4:
	s_lshl_b64 s[10:11], s[10:11], 3
	s_waitcnt lgkmcnt(0)
	s_add_u32 s0, s0, s10
	s_addc_u32 s1, s1, s11
	s_lshl_b64 s[2:3], s[2:3], 1
	s_load_dwordx2 s[0:1], s[0:1], 0x0
	s_waitcnt lgkmcnt(0)
	s_add_u32 s14, s0, s2
	s_addc_u32 s15, s1, s3
.LBB455_5:
	s_waitcnt lgkmcnt(0)
	s_clause 0x1
	s_load_dwordx4 s[0:3], s[4:5], 0x38
	s_load_dwordx2 s[10:11], s[4:5], 0x48
	s_andn2_b32 vcc_lo, exec_lo, s19
	s_cbranch_vccnz .LBB455_7
; %bb.6:
	s_lshl_b64 s[8:9], s[16:17], 3
	s_waitcnt lgkmcnt(0)
	s_add_u32 s0, s0, s8
	s_addc_u32 s1, s1, s9
	s_lshl_b64 s[2:3], s[2:3], 1
	s_load_dwordx2 s[0:1], s[0:1], 0x0
	s_waitcnt lgkmcnt(0)
	s_add_u32 s8, s0, s2
	s_addc_u32 s9, s1, s3
.LBB455_7:
	s_load_dwordx4 s[24:27], s[4:5], 0x68
	s_waitcnt lgkmcnt(0)
	s_load_dwordx2 s[2:3], s[4:5], 0x78
	s_lshl_b64 s[0:1], s[16:17], 3
	s_add_u32 s0, s24, s0
	s_addc_u32 s1, s25, s1
	s_lshl_b64 s[22:23], s[26:27], 1
	s_load_dwordx2 s[16:17], s[0:1], 0x0
	v_cmp_eq_u32_e64 s0, 0, v0
	s_waitcnt lgkmcnt(0)
	s_add_u32 s1, s16, s22
	s_addc_u32 s19, s17, s23
	s_andn2_b32 vcc_lo, exec_lo, s20
	s_cbranch_vccnz .LBB455_11
; %bb.8:
	s_mov_b32 s21, 0
	s_mov_b32 s20, 0
                                        ; implicit-def: $vgpr1
                                        ; implicit-def: $sgpr16_sgpr17
	s_and_saveexec_b32 s22, s0
	s_cbranch_execz .LBB455_12
; %bb.9:
	s_ashr_i32 s16, s6, 31
	v_cmp_eq_f32_e64 s0, s7, 0
	s_mul_hi_u32 s17, s2, s6
	s_mul_i32 s16, s2, s16
	s_mul_i32 s20, s3, s6
	s_add_i32 s16, s17, s16
	s_and_b32 vcc_lo, exec_lo, s0
	s_add_i32 s17, s16, s20
	s_mul_i32 s16, s2, s6
	s_cbranch_vccnz .LBB455_13
; %bb.10:
	s_lshl_b64 s[24:25], s[16:17], 1
	s_add_u32 s24, s1, s24
	s_addc_u32 s25, s19, s25
	v_mov_b32_e32 v1, s24
	v_mov_b32_e32 v2, s25
	flat_load_ushort v1, v[1:2]
	s_waitcnt vmcnt(0) lgkmcnt(0)
	v_fma_mixlo_f16 v1, s7, v1, 0 op_sel_hi:[0,1,0]
	s_branch .LBB455_14
.LBB455_11:
	s_mov_b32 s20, 0
                                        ; implicit-def: $vgpr1
                                        ; implicit-def: $sgpr16_sgpr17
	s_cbranch_execnz .LBB455_15
	s_branch .LBB455_34
.LBB455_12:
	s_or_b32 exec_lo, exec_lo, s22
	s_and_b32 vcc_lo, exec_lo, s21
	s_cbranch_vccnz .LBB455_15
	s_branch .LBB455_34
.LBB455_13:
	v_mov_b32_e32 v1, 0
.LBB455_14:
	s_mov_b32 s20, exec_lo
	s_or_b32 exec_lo, exec_lo, s22
	s_and_b32 vcc_lo, exec_lo, s21
	s_cbranch_vccz .LBB455_34
.LBB455_15:
	s_load_dword s5, s[4:5], 0x0
	s_ashr_i32 s21, s6, 31
	s_mul_hi_u32 s0, s12, s6
	s_mul_i32 s4, s13, s6
	s_mul_i32 s13, s12, s21
	;; [unrolled: 1-line block ×3, first 2 shown]
	s_add_i32 s0, s0, s13
	v_mov_b32_e32 v7, 0
	s_add_i32 s13, s0, s4
	s_lshl_b64 s[12:13], s[12:13], 1
	s_waitcnt lgkmcnt(0)
	v_cmp_gt_i32_e32 vcc_lo, s5, v0
	s_ashr_i32 s0, s5, 31
	s_lshr_b32 s0, s0, 22
	s_add_i32 s0, s5, s0
	v_cndmask_b32_e32 v1, 0, v0, vcc_lo
	v_lshlrev_b32_e32 v1, 1, v1
	v_add_co_u32 v1, s4, s14, v1
	v_add_co_ci_u32_e64 v2, null, s15, 0, s4
	s_and_b32 s4, s0, 0xfffffc00
	v_add_co_u32 v1, vcc_lo, v1, s12
	v_add_co_ci_u32_e64 v2, null, s13, v2, vcc_lo
	s_mov_b32 s15, 0
	s_mov_b32 s14, exec_lo
	v_cmpx_gt_i32_e64 s4, v0
	s_cbranch_execz .LBB455_19
; %bb.16:
	v_mad_u64_u32 v[3:4], null, s10, v0, 0
	v_mov_b32_e32 v7, 0
	v_mov_b32_e32 v8, v0
	s_lshl_b64 s[12:13], s[10:11], 11
	v_mad_u64_u32 v[4:5], null, s11, v0, v[4:5]
	v_lshlrev_b64 v[5:6], 1, v[3:4]
	v_mov_b32_e32 v4, v2
	v_mov_b32_e32 v3, v1
	v_add_co_u32 v5, vcc_lo, s8, v5
	v_add_co_ci_u32_e64 v6, null, s9, v6, vcc_lo
	.p2align	6
.LBB455_17:                             ; =>This Inner Loop Header: Depth=1
	flat_load_ushort v9, v[3:4]
	flat_load_ushort v10, v[5:6]
	v_add_nc_u32_e32 v8, 0x400, v8
	v_add_co_u32 v3, vcc_lo, 0x800, v3
	v_add_co_ci_u32_e64 v4, null, 0, v4, vcc_lo
	v_add_co_u32 v5, vcc_lo, v5, s12
	v_cmp_le_i32_e64 s0, s4, v8
	v_add_co_ci_u32_e64 v6, null, s13, v6, vcc_lo
	s_or_b32 s15, s0, s15
	s_waitcnt vmcnt(0) lgkmcnt(0)
	v_mul_f16_e32 v9, v9, v10
	v_cvt_f32_f16_e32 v9, v9
	v_add_f32_e32 v7, v7, v9
	s_andn2_b32 exec_lo, exec_lo, s15
	s_cbranch_execnz .LBB455_17
; %bb.18:
	s_or_b32 exec_lo, exec_lo, s15
.LBB455_19:
	s_or_b32 exec_lo, exec_lo, s14
	v_or_b32_e32 v3, s4, v0
	s_mov_b32 s0, exec_lo
	v_cmpx_gt_i32_e64 s5, v3
	s_cbranch_execz .LBB455_21
; %bb.20:
	v_ashrrev_i32_e32 v5, 31, v3
	v_mul_lo_u32 v6, s11, v3
	v_mad_u64_u32 v[3:4], null, s10, v3, 0
	s_ashr_i32 s5, s4, 31
	v_mul_lo_u32 v5, s10, v5
	s_lshl_b64 s[4:5], s[4:5], 1
	v_add_co_u32 v1, vcc_lo, v1, s4
	v_add_co_ci_u32_e64 v2, null, s5, v2, vcc_lo
	v_add3_u32 v4, v4, v5, v6
	v_lshlrev_b64 v[3:4], 1, v[3:4]
	v_add_co_u32 v3, vcc_lo, s8, v3
	v_add_co_ci_u32_e64 v4, null, s9, v4, vcc_lo
	flat_load_ushort v1, v[1:2]
	flat_load_ushort v2, v[3:4]
	s_waitcnt vmcnt(0) lgkmcnt(0)
	v_mul_f16_e32 v1, v1, v2
	v_cvt_f32_f16_e32 v1, v1
	v_add_f32_e32 v7, v7, v1
.LBB455_21:
	s_or_b32 exec_lo, exec_lo, s0
	v_and_b32_e32 v8, 31, v0
	v_cmp_gt_u32_e32 vcc_lo, 32, v0
	v_lshlrev_b32_e32 v1, 2, v8
	s_and_saveexec_b32 s0, vcc_lo
; %bb.22:
	v_mov_b32_e32 v2, 0
	ds_write_b32 v1, v2
; %bb.23:
	s_or_b32 exec_lo, exec_lo, s0
	v_mbcnt_lo_u32_b32 v6, -1, 0
	s_mov_b32 s4, exec_lo
	s_waitcnt lgkmcnt(0)
	s_barrier
	buffer_gl0_inv
	v_lshl_or_b32 v2, v6, 2, 64
	v_cmp_gt_u32_e64 s0, 24, v6
	ds_bpermute_b32 v4, v2, v7
	v_cndmask_b32_e64 v3, 0, 8, s0
	v_cmp_gt_u32_e64 s0, 28, v6
	v_add_lshl_u32 v3, v3, v6, 2
	s_waitcnt lgkmcnt(0)
	v_add_f32_e32 v5, v7, v4
	v_cndmask_b32_e64 v4, 0, 4, s0
	v_cmp_gt_u32_e64 s0, 30, v6
	ds_bpermute_b32 v7, v3, v5
	v_add_lshl_u32 v4, v4, v6, 2
	s_waitcnt lgkmcnt(0)
	v_add_f32_e32 v7, v5, v7
	v_cndmask_b32_e64 v5, 0, 2, s0
	v_cmp_ne_u32_e64 s0, 31, v6
	ds_bpermute_b32 v9, v4, v7
	v_add_lshl_u32 v5, v5, v6, 2
	v_add_co_ci_u32_e64 v6, null, 0, v6, s0
	v_lshlrev_b32_e32 v6, 2, v6
	s_waitcnt lgkmcnt(0)
	v_add_f32_e32 v7, v7, v9
	ds_bpermute_b32 v9, v5, v7
	s_waitcnt lgkmcnt(0)
	v_add_f32_e32 v7, v7, v9
	ds_bpermute_b32 v9, v6, v7
	v_cmpx_eq_u32_e32 0, v8
	s_cbranch_execz .LBB455_25
; %bb.24:
	v_lshrrev_b32_e32 v8, 3, v0
	s_waitcnt lgkmcnt(0)
	v_add_f32_e32 v7, v7, v9
	v_and_b32_e32 v8, 0x7c, v8
	ds_write_b32 v8, v7
.LBB455_25:
	s_or_b32 exec_lo, exec_lo, s4
	v_mov_b32_e32 v7, 0
	s_waitcnt lgkmcnt(0)
	s_barrier
	buffer_gl0_inv
	s_and_saveexec_b32 s0, vcc_lo
; %bb.26:
	ds_read_b32 v7, v1
; %bb.27:
	s_or_b32 exec_lo, exec_lo, s0
	s_and_saveexec_b32 s0, vcc_lo
	s_cbranch_execz .LBB455_29
; %bb.28:
	s_waitcnt lgkmcnt(0)
	ds_bpermute_b32 v1, v2, v7
	s_waitcnt lgkmcnt(0)
	v_add_f32_e32 v1, v7, v1
	ds_bpermute_b32 v2, v3, v1
	s_waitcnt lgkmcnt(0)
	v_add_f32_e32 v1, v1, v2
	;; [unrolled: 3-line block ×5, first 2 shown]
.LBB455_29:
	s_or_b32 exec_lo, exec_lo, s0
	s_mov_b32 s0, exec_lo
                                        ; implicit-def: $vgpr1
                                        ; implicit-def: $sgpr16_sgpr17
	v_cmpx_eq_u32_e32 0, v0
	s_cbranch_execz .LBB455_33
; %bb.30:
	v_cmp_eq_f32_e64 s8, s7, 0
	s_mul_i32 s4, s2, s21
	s_mul_hi_u32 s5, s2, s6
	s_waitcnt lgkmcnt(0)
	v_mul_f32_e32 v0, s18, v7
	s_add_i32 s4, s5, s4
	s_mul_i32 s3, s3, s6
	s_and_b32 vcc_lo, exec_lo, s8
	s_add_i32 s17, s4, s3
	s_mul_i32 s16, s2, s6
	s_cbranch_vccnz .LBB455_32
; %bb.31:
	s_lshl_b64 s[2:3], s[16:17], 1
	s_add_u32 s2, s1, s2
	s_addc_u32 s3, s19, s3
	v_mov_b32_e32 v1, s2
	v_mov_b32_e32 v2, s3
	flat_load_ushort v1, v[1:2]
	s_waitcnt vmcnt(0) lgkmcnt(0)
	v_fma_mix_f32 v0, s7, v1, v0 op_sel_hi:[0,1,0]
.LBB455_32:
	v_cvt_f16_f32_e32 v1, v0
	s_or_b32 s20, s20, exec_lo
.LBB455_33:
	s_or_b32 exec_lo, exec_lo, s0
.LBB455_34:
	s_and_saveexec_b32 s0, s20
	s_cbranch_execz .LBB455_36
; %bb.35:
	s_lshl_b64 s[2:3], s[16:17], 1
	s_add_u32 s0, s1, s2
	s_addc_u32 s1, s19, s3
	v_mov_b32_e32 v3, s1
	v_mov_b32_e32 v2, s0
	flat_store_short v[2:3], v1
.LBB455_36:
	s_endpgm
	.section	.rodata,"a",@progbits
	.p2align	6, 0x0
	.amdhsa_kernel _ZL32rocblas_gemvt_warp_reduce_kernelILb0ELi1024ElPKDF16_fKPDF16_EviiT3_lPKT2_lT1_lS7_lS8_lS4_lPT4_lS8_li
		.amdhsa_group_segment_fixed_size 128
		.amdhsa_private_segment_fixed_size 0
		.amdhsa_kernarg_size 140
		.amdhsa_user_sgpr_count 6
		.amdhsa_user_sgpr_private_segment_buffer 1
		.amdhsa_user_sgpr_dispatch_ptr 0
		.amdhsa_user_sgpr_queue_ptr 0
		.amdhsa_user_sgpr_kernarg_segment_ptr 1
		.amdhsa_user_sgpr_dispatch_id 0
		.amdhsa_user_sgpr_flat_scratch_init 0
		.amdhsa_user_sgpr_private_segment_size 0
		.amdhsa_wavefront_size32 1
		.amdhsa_uses_dynamic_stack 0
		.amdhsa_system_sgpr_private_segment_wavefront_offset 0
		.amdhsa_system_sgpr_workgroup_id_x 1
		.amdhsa_system_sgpr_workgroup_id_y 0
		.amdhsa_system_sgpr_workgroup_id_z 1
		.amdhsa_system_sgpr_workgroup_info 0
		.amdhsa_system_vgpr_workitem_id 0
		.amdhsa_next_free_vgpr 11
		.amdhsa_next_free_sgpr 28
		.amdhsa_reserve_vcc 1
		.amdhsa_reserve_flat_scratch 0
		.amdhsa_float_round_mode_32 0
		.amdhsa_float_round_mode_16_64 0
		.amdhsa_float_denorm_mode_32 3
		.amdhsa_float_denorm_mode_16_64 3
		.amdhsa_dx10_clamp 1
		.amdhsa_ieee_mode 1
		.amdhsa_fp16_overflow 0
		.amdhsa_workgroup_processor_mode 1
		.amdhsa_memory_ordered 1
		.amdhsa_forward_progress 1
		.amdhsa_shared_vgpr_count 0
		.amdhsa_exception_fp_ieee_invalid_op 0
		.amdhsa_exception_fp_denorm_src 0
		.amdhsa_exception_fp_ieee_div_zero 0
		.amdhsa_exception_fp_ieee_overflow 0
		.amdhsa_exception_fp_ieee_underflow 0
		.amdhsa_exception_fp_ieee_inexact 0
		.amdhsa_exception_int_div_zero 0
	.end_amdhsa_kernel
	.section	.text._ZL32rocblas_gemvt_warp_reduce_kernelILb0ELi1024ElPKDF16_fKPDF16_EviiT3_lPKT2_lT1_lS7_lS8_lS4_lPT4_lS8_li,"axG",@progbits,_ZL32rocblas_gemvt_warp_reduce_kernelILb0ELi1024ElPKDF16_fKPDF16_EviiT3_lPKT2_lT1_lS7_lS8_lS4_lPT4_lS8_li,comdat
.Lfunc_end455:
	.size	_ZL32rocblas_gemvt_warp_reduce_kernelILb0ELi1024ElPKDF16_fKPDF16_EviiT3_lPKT2_lT1_lS7_lS8_lS4_lPT4_lS8_li, .Lfunc_end455-_ZL32rocblas_gemvt_warp_reduce_kernelILb0ELi1024ElPKDF16_fKPDF16_EviiT3_lPKT2_lT1_lS7_lS8_lS4_lPT4_lS8_li
                                        ; -- End function
	.set _ZL32rocblas_gemvt_warp_reduce_kernelILb0ELi1024ElPKDF16_fKPDF16_EviiT3_lPKT2_lT1_lS7_lS8_lS4_lPT4_lS8_li.num_vgpr, 11
	.set _ZL32rocblas_gemvt_warp_reduce_kernelILb0ELi1024ElPKDF16_fKPDF16_EviiT3_lPKT2_lT1_lS7_lS8_lS4_lPT4_lS8_li.num_agpr, 0
	.set _ZL32rocblas_gemvt_warp_reduce_kernelILb0ELi1024ElPKDF16_fKPDF16_EviiT3_lPKT2_lT1_lS7_lS8_lS4_lPT4_lS8_li.numbered_sgpr, 28
	.set _ZL32rocblas_gemvt_warp_reduce_kernelILb0ELi1024ElPKDF16_fKPDF16_EviiT3_lPKT2_lT1_lS7_lS8_lS4_lPT4_lS8_li.num_named_barrier, 0
	.set _ZL32rocblas_gemvt_warp_reduce_kernelILb0ELi1024ElPKDF16_fKPDF16_EviiT3_lPKT2_lT1_lS7_lS8_lS4_lPT4_lS8_li.private_seg_size, 0
	.set _ZL32rocblas_gemvt_warp_reduce_kernelILb0ELi1024ElPKDF16_fKPDF16_EviiT3_lPKT2_lT1_lS7_lS8_lS4_lPT4_lS8_li.uses_vcc, 1
	.set _ZL32rocblas_gemvt_warp_reduce_kernelILb0ELi1024ElPKDF16_fKPDF16_EviiT3_lPKT2_lT1_lS7_lS8_lS4_lPT4_lS8_li.uses_flat_scratch, 0
	.set _ZL32rocblas_gemvt_warp_reduce_kernelILb0ELi1024ElPKDF16_fKPDF16_EviiT3_lPKT2_lT1_lS7_lS8_lS4_lPT4_lS8_li.has_dyn_sized_stack, 0
	.set _ZL32rocblas_gemvt_warp_reduce_kernelILb0ELi1024ElPKDF16_fKPDF16_EviiT3_lPKT2_lT1_lS7_lS8_lS4_lPT4_lS8_li.has_recursion, 0
	.set _ZL32rocblas_gemvt_warp_reduce_kernelILb0ELi1024ElPKDF16_fKPDF16_EviiT3_lPKT2_lT1_lS7_lS8_lS4_lPT4_lS8_li.has_indirect_call, 0
	.section	.AMDGPU.csdata,"",@progbits
; Kernel info:
; codeLenInByte = 1504
; TotalNumSgprs: 30
; NumVgprs: 11
; ScratchSize: 0
; MemoryBound: 0
; FloatMode: 240
; IeeeMode: 1
; LDSByteSize: 128 bytes/workgroup (compile time only)
; SGPRBlocks: 0
; VGPRBlocks: 1
; NumSGPRsForWavesPerEU: 30
; NumVGPRsForWavesPerEU: 11
; Occupancy: 16
; WaveLimiterHint : 1
; COMPUTE_PGM_RSRC2:SCRATCH_EN: 0
; COMPUTE_PGM_RSRC2:USER_SGPR: 6
; COMPUTE_PGM_RSRC2:TRAP_HANDLER: 0
; COMPUTE_PGM_RSRC2:TGID_X_EN: 1
; COMPUTE_PGM_RSRC2:TGID_Y_EN: 0
; COMPUTE_PGM_RSRC2:TGID_Z_EN: 1
; COMPUTE_PGM_RSRC2:TIDIG_COMP_CNT: 0
	.section	.text._ZL22rocblas_gemvtsm_kernelILb1ELi256EPKDF16_PKfKPDF16_EviiT2_lPKT1_lilS9_lilS6_lPT3_lil,"axG",@progbits,_ZL22rocblas_gemvtsm_kernelILb1ELi256EPKDF16_PKfKPDF16_EviiT2_lPKT1_lilS9_lilS6_lPT3_lil,comdat
	.globl	_ZL22rocblas_gemvtsm_kernelILb1ELi256EPKDF16_PKfKPDF16_EviiT2_lPKT1_lilS9_lilS6_lPT3_lil ; -- Begin function _ZL22rocblas_gemvtsm_kernelILb1ELi256EPKDF16_PKfKPDF16_EviiT2_lPKT1_lilS9_lilS6_lPT3_lil
	.p2align	8
	.type	_ZL22rocblas_gemvtsm_kernelILb1ELi256EPKDF16_PKfKPDF16_EviiT2_lPKT1_lilS9_lilS6_lPT3_lil,@function
_ZL22rocblas_gemvtsm_kernelILb1ELi256EPKDF16_PKfKPDF16_EviiT2_lPKT1_lilS9_lilS6_lPT3_lil: ; @_ZL22rocblas_gemvtsm_kernelILb1ELi256EPKDF16_PKfKPDF16_EviiT2_lPKT1_lilS9_lilS6_lPT3_lil
; %bb.0:
	s_clause 0x1
	s_load_dwordx8 s[16:23], s[4:5], 0x8
	s_load_dwordx8 s[8:15], s[4:5], 0x58
	s_mov_b32 s7, 0
	s_waitcnt lgkmcnt(0)
	s_mul_i32 s1, s19, s6
	s_mul_hi_u32 s2, s18, s6
	s_mul_i32 s0, s18, s6
	s_add_i32 s1, s2, s1
	s_mul_i32 s2, s11, s6
	s_lshl_b64 s[0:1], s[0:1], 2
	s_mul_hi_u32 s3, s10, s6
	s_add_u32 s0, s16, s0
	s_addc_u32 s1, s17, s1
	s_add_i32 s3, s3, s2
	s_mul_i32 s2, s10, s6
	s_lshl_b64 s[2:3], s[2:3], 2
	s_add_u32 s2, s8, s2
	s_addc_u32 s3, s9, s3
	s_load_dword s17, s[0:1], 0x0
	s_load_dword s16, s[2:3], 0x0
	s_waitcnt lgkmcnt(0)
	v_cmp_eq_f32_e64 s0, s17, 0
	v_cmp_eq_f32_e64 s1, s16, 1.0
	s_and_b32 s1, s0, s1
	s_and_b32 vcc_lo, exec_lo, s1
	s_cbranch_vccnz .LBB456_38
; %bb.1:
	v_cmp_neq_f32_e64 s1, s17, 0
	s_mov_b64 s[10:11], 0
	s_and_b32 vcc_lo, exec_lo, s0
	s_mov_b64 s[8:9], 0
	s_cbranch_vccnz .LBB456_3
; %bb.2:
	s_lshl_b64 s[2:3], s[6:7], 3
	s_add_u32 s2, s20, s2
	s_addc_u32 s3, s21, s3
	s_lshl_b64 s[8:9], s[22:23], 1
	s_load_dwordx2 s[2:3], s[2:3], 0x0
	s_waitcnt lgkmcnt(0)
	s_add_u32 s8, s2, s8
	s_addc_u32 s9, s3, s9
.LBB456_3:
	s_andn2_b32 vcc_lo, exec_lo, s1
	s_cbranch_vccnz .LBB456_5
; %bb.4:
	s_load_dwordx4 s[20:23], s[4:5], 0x38
	s_lshl_b64 s[2:3], s[6:7], 3
	s_waitcnt lgkmcnt(0)
	s_add_u32 s2, s20, s2
	s_addc_u32 s3, s21, s3
	s_lshl_b64 s[10:11], s[22:23], 1
	s_load_dwordx2 s[2:3], s[2:3], 0x0
	s_waitcnt lgkmcnt(0)
	s_add_u32 s10, s2, s10
	s_addc_u32 s11, s3, s11
.LBB456_5:
	s_lshl_b64 s[2:3], s[6:7], 3
	s_add_u32 s12, s12, s2
	s_addc_u32 s13, s13, s3
	s_clause 0x1
	s_load_dwordx2 s[2:3], s[4:5], 0x0
	s_load_dword s6, s[4:5], 0x78
	s_load_dwordx2 s[12:13], s[12:13], 0x0
	s_andn2_b32 vcc_lo, exec_lo, s0
	s_mov_b32 s0, -1
	s_cbranch_vccnz .LBB456_20
; %bb.6:
	s_waitcnt lgkmcnt(0)
	s_cmp_gt_i32 s3, 0
	v_cmp_neq_f32_e64 s0, s16, 0
	s_cselect_b32 s18, -1, 0
	v_cndmask_b32_e64 v1, 0, 1, s18
	s_and_b32 vcc_lo, exec_lo, s0
	v_cmp_ne_u32_e64 s0, 1, v1
	s_cbranch_vccnz .LBB456_13
; %bb.7:
	s_and_b32 vcc_lo, exec_lo, s0
	s_cbranch_vccnz .LBB456_12
; %bb.8:
	v_mad_i64_i32 v[1:2], null, s6, v0, 0
	s_lshl_b64 s[0:1], s[14:15], 1
	s_ashr_i32 s7, s6, 31
	s_add_u32 s0, s12, s0
	s_addc_u32 s1, s13, s1
	v_mov_b32_e32 v3, 0
	v_lshlrev_b64 v[1:2], 1, v[1:2]
	v_add_co_u32 v1, vcc_lo, s0, v1
	v_add_co_ci_u32_e64 v2, null, s1, v2, vcc_lo
	s_lshl_b64 s[0:1], s[6:7], 9
	s_mov_b32 s7, 0
	s_branch .LBB456_10
.LBB456_9:                              ;   in Loop: Header=BB456_10 Depth=1
	s_or_b32 exec_lo, exec_lo, s19
	v_add_co_u32 v1, vcc_lo, v1, s0
	v_add_co_ci_u32_e64 v2, null, s1, v2, vcc_lo
	s_addk_i32 s7, 0x100
	s_cmp_ge_i32 s7, s3
	s_cbranch_scc1 .LBB456_12
.LBB456_10:                             ; =>This Inner Loop Header: Depth=1
	v_add_nc_u32_e32 v4, s7, v0
	s_mov_b32 s19, exec_lo
	v_cmpx_gt_i32_e64 s3, v4
	s_cbranch_execz .LBB456_9
; %bb.11:                               ;   in Loop: Header=BB456_10 Depth=1
	flat_store_short v[1:2], v3
	s_branch .LBB456_9
.LBB456_12:
	s_cbranch_execz .LBB456_14
	s_branch .LBB456_19
.LBB456_13:
.LBB456_14:
	s_andn2_b32 vcc_lo, exec_lo, s18
	s_cbranch_vccnz .LBB456_19
; %bb.15:
	v_mad_i64_i32 v[1:2], null, s6, v0, 0
	s_lshl_b64 s[0:1], s[14:15], 1
	s_ashr_i32 s7, s6, 31
	s_add_u32 s0, s12, s0
	s_addc_u32 s1, s13, s1
	v_lshlrev_b64 v[1:2], 1, v[1:2]
	v_add_co_u32 v1, vcc_lo, s0, v1
	v_add_co_ci_u32_e64 v2, null, s1, v2, vcc_lo
	s_lshl_b64 s[0:1], s[6:7], 9
	s_mov_b32 s7, 0
	s_branch .LBB456_17
	.p2align	6
.LBB456_16:                             ;   in Loop: Header=BB456_17 Depth=1
	s_or_b32 exec_lo, exec_lo, s18
	v_add_co_u32 v1, vcc_lo, v1, s0
	v_add_co_ci_u32_e64 v2, null, s1, v2, vcc_lo
	s_addk_i32 s7, 0x100
	s_cmp_ge_i32 s7, s3
	s_cbranch_scc1 .LBB456_19
.LBB456_17:                             ; =>This Inner Loop Header: Depth=1
	v_add_nc_u32_e32 v3, s7, v0
	s_mov_b32 s18, exec_lo
	v_cmpx_gt_i32_e64 s3, v3
	s_cbranch_execz .LBB456_16
; %bb.18:                               ;   in Loop: Header=BB456_17 Depth=1
	flat_load_ushort v3, v[1:2]
	s_waitcnt vmcnt(0) lgkmcnt(0)
	v_fma_mixlo_f16 v3, s16, v3, 0 op_sel_hi:[0,1,0]
	flat_store_short v[1:2], v3
	s_branch .LBB456_16
.LBB456_19:
	s_mov_b32 s0, 0
.LBB456_20:
	s_andn2_b32 vcc_lo, exec_lo, s0
	s_cbranch_vccnz .LBB456_38
; %bb.21:
	s_mov_b32 s0, exec_lo
	s_waitcnt lgkmcnt(0)
	v_cmpx_gt_i32_e64 s2, v0
	s_cbranch_execz .LBB456_23
; %bb.22:
	s_load_dword s1, s[4:5], 0x48
	s_waitcnt lgkmcnt(0)
	v_mad_i64_i32 v[1:2], null, s1, v0, 0
	v_lshlrev_b64 v[1:2], 1, v[1:2]
	v_add_co_u32 v1, vcc_lo, s10, v1
	v_add_co_ci_u32_e64 v2, null, s11, v2, vcc_lo
	flat_load_ushort v1, v[1:2]
	v_lshlrev_b32_e32 v2, 2, v0
	s_waitcnt vmcnt(0) lgkmcnt(0)
	v_cvt_f32_f16_e32 v1, v1
	v_mul_f32_e32 v1, s17, v1
	ds_write_b32 v2, v1
.LBB456_23:
	s_or_b32 exec_lo, exec_lo, s0
	s_cmp_lt_i32 s3, 1
	s_waitcnt lgkmcnt(0)
	s_waitcnt_vscnt null, 0x0
	s_barrier
	buffer_gl0_inv
	s_cbranch_scc1 .LBB456_38
; %bb.24:
	s_load_dword s0, s[4:5], 0x28
	s_lshl_b64 s[4:5], s[14:15], 1
	v_cmp_neq_f32_e64 s10, s16, 0
	s_add_u32 s4, s12, s4
	s_addc_u32 s5, s13, s5
	s_ashr_i32 s7, s6, 31
	s_waitcnt lgkmcnt(0)
	v_mad_i64_i32 v[1:2], null, s0, v0, 0
	s_ashr_i32 s1, s0, 31
	s_cmp_gt_i32 s2, 0
	s_cselect_b32 s11, -1, 0
	s_and_b32 s12, s2, 7
	s_cmp_gt_u32 s2, 7
	v_lshlrev_b64 v[1:2], 1, v[1:2]
	s_cselect_b32 s13, -1, 0
	s_and_b32 s2, s2, 0x7ffffff8
	s_cmp_lg_u32 s12, 0
	v_add_co_u32 v1, vcc_lo, s8, v1
	v_add_co_ci_u32_e64 v2, null, s9, v2, vcc_lo
	s_cselect_b32 s8, -1, 0
	s_mov_b32 s9, 0
	s_lshl_b64 s[0:1], s[0:1], 9
	s_branch .LBB456_27
.LBB456_25:                             ;   in Loop: Header=BB456_27 Depth=1
	v_add_co_u32 v3, vcc_lo, s4, v3
	v_cvt_f16_f32_e32 v5, v7
	v_add_co_ci_u32_e64 v4, null, s5, v4, vcc_lo
	flat_store_short v[3:4], v5
.LBB456_26:                             ;   in Loop: Header=BB456_27 Depth=1
	s_or_b32 exec_lo, exec_lo, s14
	v_add_co_u32 v1, vcc_lo, v1, s0
	v_add_co_ci_u32_e64 v2, null, s1, v2, vcc_lo
	s_addk_i32 s9, 0x100
	s_cmp_ge_i32 s9, s3
	s_cbranch_scc1 .LBB456_38
.LBB456_27:                             ; =>This Loop Header: Depth=1
                                        ;     Child Loop BB456_33 Depth 2
                                        ;     Child Loop BB456_37 Depth 2
	v_add_nc_u32_e32 v3, s9, v0
	s_mov_b32 s14, exec_lo
	v_cmpx_gt_i32_e64 s3, v3
	s_cbranch_execz .LBB456_26
; %bb.28:                               ;   in Loop: Header=BB456_27 Depth=1
	v_mad_u64_u32 v[4:5], null, v3, s6, 0
	s_andn2_b32 vcc_lo, exec_lo, s10
	v_mad_u64_u32 v[5:6], null, v3, s7, v[5:6]
	v_lshlrev_b64 v[3:4], 1, v[4:5]
	s_cbranch_vccnz .LBB456_30
; %bb.29:                               ;   in Loop: Header=BB456_27 Depth=1
	v_add_co_u32 v5, vcc_lo, s4, v3
	v_add_co_ci_u32_e64 v6, null, s5, v4, vcc_lo
	flat_load_ushort v5, v[5:6]
	s_waitcnt vmcnt(0) lgkmcnt(0)
	v_cvt_f32_f16_e32 v5, v5
	v_mul_f32_e32 v7, s16, v5
	s_andn2_b32 vcc_lo, exec_lo, s11
	s_cbranch_vccz .LBB456_31
	s_branch .LBB456_25
.LBB456_30:                             ;   in Loop: Header=BB456_27 Depth=1
	v_mov_b32_e32 v7, 0
	s_andn2_b32 vcc_lo, exec_lo, s11
	s_cbranch_vccnz .LBB456_25
.LBB456_31:                             ;   in Loop: Header=BB456_27 Depth=1
	s_andn2_b32 vcc_lo, exec_lo, s13
	s_mov_b32 s15, 0
	s_cbranch_vccnz .LBB456_35
; %bb.32:                               ;   in Loop: Header=BB456_27 Depth=1
	v_mov_b32_e32 v6, v2
	v_mov_b32_e32 v5, v1
	s_mov_b32 s17, 0
	.p2align	6
.LBB456_33:                             ;   Parent Loop BB456_27 Depth=1
                                        ; =>  This Inner Loop Header: Depth=2
	flat_load_dwordx4 v[8:11], v[5:6]
	v_mov_b32_e32 v16, s15
	v_add_co_u32 v5, vcc_lo, v5, 16
	v_add_co_ci_u32_e64 v6, null, 0, v6, vcc_lo
	ds_read_b128 v[12:15], v16
	ds_read_b128 v[16:19], v16 offset:16
	s_add_i32 s17, s17, 8
	s_add_i32 s15, s15, 32
	s_cmp_eq_u32 s2, s17
	s_waitcnt vmcnt(0) lgkmcnt(1)
	v_fma_mix_f32 v7, v12, v8, v7 op_sel_hi:[0,1,0]
	v_fma_mix_f32 v7, v13, v8, v7 op_sel:[0,1,0] op_sel_hi:[0,1,0]
	v_fma_mix_f32 v7, v14, v9, v7 op_sel_hi:[0,1,0]
	v_fma_mix_f32 v7, v15, v9, v7 op_sel:[0,1,0] op_sel_hi:[0,1,0]
	s_waitcnt lgkmcnt(0)
	v_fma_mix_f32 v7, v16, v10, v7 op_sel_hi:[0,1,0]
	v_fma_mix_f32 v7, v17, v10, v7 op_sel:[0,1,0] op_sel_hi:[0,1,0]
	v_fma_mix_f32 v7, v18, v11, v7 op_sel_hi:[0,1,0]
	v_fma_mix_f32 v7, v19, v11, v7 op_sel:[0,1,0] op_sel_hi:[0,1,0]
	s_cbranch_scc0 .LBB456_33
; %bb.34:                               ;   in Loop: Header=BB456_27 Depth=1
	s_mov_b32 s15, s2
.LBB456_35:                             ;   in Loop: Header=BB456_27 Depth=1
	s_andn2_b32 vcc_lo, exec_lo, s8
	s_cbranch_vccnz .LBB456_25
; %bb.36:                               ;   in Loop: Header=BB456_27 Depth=1
	s_lshl_b32 s17, s15, 1
	s_lshl_b32 s15, s15, 2
	v_add_co_u32 v5, vcc_lo, v1, s17
	v_add_co_ci_u32_e64 v6, null, 0, v2, vcc_lo
	s_mov_b32 s17, s12
.LBB456_37:                             ;   Parent Loop BB456_27 Depth=1
                                        ; =>  This Inner Loop Header: Depth=2
	flat_load_ushort v8, v[5:6]
	v_mov_b32_e32 v9, s15
	v_add_co_u32 v5, vcc_lo, v5, 2
	v_add_co_ci_u32_e64 v6, null, 0, v6, vcc_lo
	ds_read_b32 v9, v9
	s_add_i32 s17, s17, -1
	s_add_i32 s15, s15, 4
	s_cmp_lg_u32 s17, 0
	s_waitcnt vmcnt(0) lgkmcnt(0)
	v_fma_mix_f32 v7, v9, v8, v7 op_sel_hi:[0,1,0]
	s_cbranch_scc1 .LBB456_37
	s_branch .LBB456_25
.LBB456_38:
	s_endpgm
	.section	.rodata,"a",@progbits
	.p2align	6, 0x0
	.amdhsa_kernel _ZL22rocblas_gemvtsm_kernelILb1ELi256EPKDF16_PKfKPDF16_EviiT2_lPKT1_lilS9_lilS6_lPT3_lil
		.amdhsa_group_segment_fixed_size 256
		.amdhsa_private_segment_fixed_size 0
		.amdhsa_kernarg_size 136
		.amdhsa_user_sgpr_count 6
		.amdhsa_user_sgpr_private_segment_buffer 1
		.amdhsa_user_sgpr_dispatch_ptr 0
		.amdhsa_user_sgpr_queue_ptr 0
		.amdhsa_user_sgpr_kernarg_segment_ptr 1
		.amdhsa_user_sgpr_dispatch_id 0
		.amdhsa_user_sgpr_flat_scratch_init 0
		.amdhsa_user_sgpr_private_segment_size 0
		.amdhsa_wavefront_size32 1
		.amdhsa_uses_dynamic_stack 0
		.amdhsa_system_sgpr_private_segment_wavefront_offset 0
		.amdhsa_system_sgpr_workgroup_id_x 1
		.amdhsa_system_sgpr_workgroup_id_y 0
		.amdhsa_system_sgpr_workgroup_id_z 0
		.amdhsa_system_sgpr_workgroup_info 0
		.amdhsa_system_vgpr_workitem_id 0
		.amdhsa_next_free_vgpr 20
		.amdhsa_next_free_sgpr 24
		.amdhsa_reserve_vcc 1
		.amdhsa_reserve_flat_scratch 0
		.amdhsa_float_round_mode_32 0
		.amdhsa_float_round_mode_16_64 0
		.amdhsa_float_denorm_mode_32 3
		.amdhsa_float_denorm_mode_16_64 3
		.amdhsa_dx10_clamp 1
		.amdhsa_ieee_mode 1
		.amdhsa_fp16_overflow 0
		.amdhsa_workgroup_processor_mode 1
		.amdhsa_memory_ordered 1
		.amdhsa_forward_progress 1
		.amdhsa_shared_vgpr_count 0
		.amdhsa_exception_fp_ieee_invalid_op 0
		.amdhsa_exception_fp_denorm_src 0
		.amdhsa_exception_fp_ieee_div_zero 0
		.amdhsa_exception_fp_ieee_overflow 0
		.amdhsa_exception_fp_ieee_underflow 0
		.amdhsa_exception_fp_ieee_inexact 0
		.amdhsa_exception_int_div_zero 0
	.end_amdhsa_kernel
	.section	.text._ZL22rocblas_gemvtsm_kernelILb1ELi256EPKDF16_PKfKPDF16_EviiT2_lPKT1_lilS9_lilS6_lPT3_lil,"axG",@progbits,_ZL22rocblas_gemvtsm_kernelILb1ELi256EPKDF16_PKfKPDF16_EviiT2_lPKT1_lilS9_lilS6_lPT3_lil,comdat
.Lfunc_end456:
	.size	_ZL22rocblas_gemvtsm_kernelILb1ELi256EPKDF16_PKfKPDF16_EviiT2_lPKT1_lilS9_lilS6_lPT3_lil, .Lfunc_end456-_ZL22rocblas_gemvtsm_kernelILb1ELi256EPKDF16_PKfKPDF16_EviiT2_lPKT1_lilS9_lilS6_lPT3_lil
                                        ; -- End function
	.set _ZL22rocblas_gemvtsm_kernelILb1ELi256EPKDF16_PKfKPDF16_EviiT2_lPKT1_lilS9_lilS6_lPT3_lil.num_vgpr, 20
	.set _ZL22rocblas_gemvtsm_kernelILb1ELi256EPKDF16_PKfKPDF16_EviiT2_lPKT1_lilS9_lilS6_lPT3_lil.num_agpr, 0
	.set _ZL22rocblas_gemvtsm_kernelILb1ELi256EPKDF16_PKfKPDF16_EviiT2_lPKT1_lilS9_lilS6_lPT3_lil.numbered_sgpr, 24
	.set _ZL22rocblas_gemvtsm_kernelILb1ELi256EPKDF16_PKfKPDF16_EviiT2_lPKT1_lilS9_lilS6_lPT3_lil.num_named_barrier, 0
	.set _ZL22rocblas_gemvtsm_kernelILb1ELi256EPKDF16_PKfKPDF16_EviiT2_lPKT1_lilS9_lilS6_lPT3_lil.private_seg_size, 0
	.set _ZL22rocblas_gemvtsm_kernelILb1ELi256EPKDF16_PKfKPDF16_EviiT2_lPKT1_lilS9_lilS6_lPT3_lil.uses_vcc, 1
	.set _ZL22rocblas_gemvtsm_kernelILb1ELi256EPKDF16_PKfKPDF16_EviiT2_lPKT1_lilS9_lilS6_lPT3_lil.uses_flat_scratch, 0
	.set _ZL22rocblas_gemvtsm_kernelILb1ELi256EPKDF16_PKfKPDF16_EviiT2_lPKT1_lilS9_lilS6_lPT3_lil.has_dyn_sized_stack, 0
	.set _ZL22rocblas_gemvtsm_kernelILb1ELi256EPKDF16_PKfKPDF16_EviiT2_lPKT1_lilS9_lilS6_lPT3_lil.has_recursion, 0
	.set _ZL22rocblas_gemvtsm_kernelILb1ELi256EPKDF16_PKfKPDF16_EviiT2_lPKT1_lilS9_lilS6_lPT3_lil.has_indirect_call, 0
	.section	.AMDGPU.csdata,"",@progbits
; Kernel info:
; codeLenInByte = 1396
; TotalNumSgprs: 26
; NumVgprs: 20
; ScratchSize: 0
; MemoryBound: 0
; FloatMode: 240
; IeeeMode: 1
; LDSByteSize: 256 bytes/workgroup (compile time only)
; SGPRBlocks: 0
; VGPRBlocks: 2
; NumSGPRsForWavesPerEU: 26
; NumVGPRsForWavesPerEU: 20
; Occupancy: 16
; WaveLimiterHint : 1
; COMPUTE_PGM_RSRC2:SCRATCH_EN: 0
; COMPUTE_PGM_RSRC2:USER_SGPR: 6
; COMPUTE_PGM_RSRC2:TRAP_HANDLER: 0
; COMPUTE_PGM_RSRC2:TGID_X_EN: 1
; COMPUTE_PGM_RSRC2:TGID_Y_EN: 0
; COMPUTE_PGM_RSRC2:TGID_Z_EN: 0
; COMPUTE_PGM_RSRC2:TIDIG_COMP_CNT: 0
	.section	.text._ZL22rocblas_gemvtsm_kernelILb1ELi256EPKDF16_fKPDF16_EviiT2_lPKT1_lilS7_lilS4_lPT3_lil,"axG",@progbits,_ZL22rocblas_gemvtsm_kernelILb1ELi256EPKDF16_fKPDF16_EviiT2_lPKT1_lilS7_lilS4_lPT3_lil,comdat
	.globl	_ZL22rocblas_gemvtsm_kernelILb1ELi256EPKDF16_fKPDF16_EviiT2_lPKT1_lilS7_lilS4_lPT3_lil ; -- Begin function _ZL22rocblas_gemvtsm_kernelILb1ELi256EPKDF16_fKPDF16_EviiT2_lPKT1_lilS7_lilS4_lPT3_lil
	.p2align	8
	.type	_ZL22rocblas_gemvtsm_kernelILb1ELi256EPKDF16_fKPDF16_EviiT2_lPKT1_lilS7_lilS4_lPT3_lil,@function
_ZL22rocblas_gemvtsm_kernelILb1ELi256EPKDF16_fKPDF16_EviiT2_lPKT1_lilS7_lilS4_lPT3_lil: ; @_ZL22rocblas_gemvtsm_kernelILb1ELi256EPKDF16_fKPDF16_EviiT2_lPKT1_lilS7_lilS4_lPT3_lil
; %bb.0:
	s_load_dwordx4 s[8:11], s[4:5], 0x0
	s_waitcnt lgkmcnt(0)
	s_load_dword s11, s[4:5], 0x58
	s_mov_b32 s7, 0
	v_cmp_eq_f32_e64 s18, s10, 0
	s_waitcnt lgkmcnt(0)
	v_cmp_eq_f32_e64 s0, s11, 1.0
	s_and_b32 s0, s18, s0
	s_and_b32 vcc_lo, exec_lo, s0
	s_cbranch_vccnz .LBB457_40
; %bb.1:
	v_cmp_neq_f32_e64 s0, s10, 0
	s_and_b32 vcc_lo, exec_lo, s0
	s_cbranch_vccnz .LBB457_3
; %bb.2:
	s_mov_b32 s17, 0
	s_mov_b32 s16, s6
	;; [unrolled: 1-line block ×3, first 2 shown]
	s_mov_b64 s[14:15], 0
	s_andn2_b32 vcc_lo, exec_lo, s1
	s_mov_b64 s[12:13], 0
	s_cbranch_vccz .LBB457_4
	s_branch .LBB457_5
.LBB457_3:
	s_mov_b64 s[16:17], s[6:7]
	s_mov_b64 s[14:15], 0
	;; [unrolled: 1-line block ×3, first 2 shown]
.LBB457_4:
	s_load_dwordx4 s[20:23], s[4:5], 0x18
	s_lshl_b64 s[2:3], s[6:7], 3
	s_waitcnt lgkmcnt(0)
	s_add_u32 s2, s20, s2
	s_addc_u32 s3, s21, s3
	s_lshl_b64 s[6:7], s[22:23], 1
	s_load_dwordx2 s[2:3], s[2:3], 0x0
	s_waitcnt lgkmcnt(0)
	s_add_u32 s12, s2, s6
	s_addc_u32 s13, s3, s7
.LBB457_5:
	s_andn2_b32 vcc_lo, exec_lo, s0
	s_cbranch_vccnz .LBB457_7
; %bb.6:
	s_load_dwordx4 s[0:3], s[4:5], 0x38
	s_lshl_b64 s[6:7], s[16:17], 3
	s_waitcnt lgkmcnt(0)
	s_add_u32 s0, s0, s6
	s_addc_u32 s1, s1, s7
	s_lshl_b64 s[2:3], s[2:3], 1
	s_load_dwordx2 s[0:1], s[0:1], 0x0
	s_waitcnt lgkmcnt(0)
	s_add_u32 s14, s0, s2
	s_addc_u32 s15, s1, s3
.LBB457_7:
	s_clause 0x1
	s_load_dwordx4 s[0:3], s[4:5], 0x68
	s_load_dword s6, s[4:5], 0x78
	s_lshl_b64 s[16:17], s[16:17], 3
	s_waitcnt lgkmcnt(0)
	s_add_u32 s0, s0, s16
	s_addc_u32 s1, s1, s17
	s_andn2_b32 vcc_lo, exec_lo, s18
	s_load_dwordx2 s[16:17], s[0:1], 0x0
	s_mov_b32 s0, -1
	s_cbranch_vccnz .LBB457_22
; %bb.8:
	s_cmp_gt_i32 s9, 0
	v_cmp_neq_f32_e64 s0, s11, 0
	s_cselect_b32 s18, -1, 0
	v_cndmask_b32_e64 v1, 0, 1, s18
	s_and_b32 vcc_lo, exec_lo, s0
	v_cmp_ne_u32_e64 s0, 1, v1
	s_cbranch_vccnz .LBB457_15
; %bb.9:
	s_and_b32 vcc_lo, exec_lo, s0
	s_cbranch_vccnz .LBB457_14
; %bb.10:
	v_mad_i64_i32 v[1:2], null, s6, v0, 0
	s_lshl_b64 s[0:1], s[2:3], 1
	s_ashr_i32 s7, s6, 31
	s_waitcnt lgkmcnt(0)
	s_add_u32 s0, s16, s0
	s_addc_u32 s1, s17, s1
	v_mov_b32_e32 v3, 0
	v_lshlrev_b64 v[1:2], 1, v[1:2]
	v_add_co_u32 v1, vcc_lo, s0, v1
	v_add_co_ci_u32_e64 v2, null, s1, v2, vcc_lo
	s_lshl_b64 s[0:1], s[6:7], 9
	s_mov_b32 s7, 0
	s_branch .LBB457_12
.LBB457_11:                             ;   in Loop: Header=BB457_12 Depth=1
	s_or_b32 exec_lo, exec_lo, s19
	v_add_co_u32 v1, vcc_lo, v1, s0
	v_add_co_ci_u32_e64 v2, null, s1, v2, vcc_lo
	s_addk_i32 s7, 0x100
	s_cmp_ge_i32 s7, s9
	s_cbranch_scc1 .LBB457_14
.LBB457_12:                             ; =>This Inner Loop Header: Depth=1
	v_add_nc_u32_e32 v4, s7, v0
	s_mov_b32 s19, exec_lo
	v_cmpx_gt_i32_e64 s9, v4
	s_cbranch_execz .LBB457_11
; %bb.13:                               ;   in Loop: Header=BB457_12 Depth=1
	flat_store_short v[1:2], v3
	s_branch .LBB457_11
.LBB457_14:
	s_cbranch_execz .LBB457_16
	s_branch .LBB457_21
.LBB457_15:
.LBB457_16:
	s_andn2_b32 vcc_lo, exec_lo, s18
	s_cbranch_vccnz .LBB457_21
; %bb.17:
	v_mad_i64_i32 v[1:2], null, s6, v0, 0
	s_lshl_b64 s[0:1], s[2:3], 1
	s_ashr_i32 s7, s6, 31
	s_waitcnt lgkmcnt(0)
	s_add_u32 s0, s16, s0
	s_addc_u32 s1, s17, s1
	v_lshlrev_b64 v[1:2], 1, v[1:2]
	v_add_co_u32 v1, vcc_lo, s0, v1
	v_add_co_ci_u32_e64 v2, null, s1, v2, vcc_lo
	s_lshl_b64 s[0:1], s[6:7], 9
	s_mov_b32 s7, 0
	s_branch .LBB457_19
	.p2align	6
.LBB457_18:                             ;   in Loop: Header=BB457_19 Depth=1
	s_or_b32 exec_lo, exec_lo, s18
	v_add_co_u32 v1, vcc_lo, v1, s0
	v_add_co_ci_u32_e64 v2, null, s1, v2, vcc_lo
	s_addk_i32 s7, 0x100
	s_cmp_ge_i32 s7, s9
	s_cbranch_scc1 .LBB457_21
.LBB457_19:                             ; =>This Inner Loop Header: Depth=1
	v_add_nc_u32_e32 v3, s7, v0
	s_mov_b32 s18, exec_lo
	v_cmpx_gt_i32_e64 s9, v3
	s_cbranch_execz .LBB457_18
; %bb.20:                               ;   in Loop: Header=BB457_19 Depth=1
	flat_load_ushort v3, v[1:2]
	s_waitcnt vmcnt(0) lgkmcnt(0)
	v_fma_mixlo_f16 v3, s11, v3, 0 op_sel_hi:[0,1,0]
	flat_store_short v[1:2], v3
	s_branch .LBB457_18
.LBB457_21:
	s_mov_b32 s0, 0
.LBB457_22:
	s_andn2_b32 vcc_lo, exec_lo, s0
	s_cbranch_vccnz .LBB457_40
; %bb.23:
	s_mov_b32 s0, exec_lo
	v_cmpx_gt_i32_e64 s8, v0
	s_cbranch_execz .LBB457_25
; %bb.24:
	s_load_dword s1, s[4:5], 0x48
	s_waitcnt lgkmcnt(0)
	v_mad_i64_i32 v[1:2], null, s1, v0, 0
	v_lshlrev_b64 v[1:2], 1, v[1:2]
	v_add_co_u32 v1, vcc_lo, s14, v1
	v_add_co_ci_u32_e64 v2, null, s15, v2, vcc_lo
	flat_load_ushort v1, v[1:2]
	v_lshlrev_b32_e32 v2, 2, v0
	s_waitcnt vmcnt(0) lgkmcnt(0)
	v_cvt_f32_f16_e32 v1, v1
	v_mul_f32_e32 v1, s10, v1
	ds_write_b32 v2, v1
.LBB457_25:
	s_or_b32 exec_lo, exec_lo, s0
	s_cmp_lt_i32 s9, 1
	s_waitcnt lgkmcnt(0)
	s_waitcnt_vscnt null, 0x0
	s_barrier
	buffer_gl0_inv
	s_cbranch_scc1 .LBB457_40
; %bb.26:
	s_load_dword s0, s[4:5], 0x28
	s_lshl_b64 s[2:3], s[2:3], 1
	v_cmp_neq_f32_e64 s5, s11, 0
	s_add_u32 s2, s16, s2
	s_addc_u32 s3, s17, s3
	s_ashr_i32 s4, s6, 31
	s_waitcnt lgkmcnt(0)
	v_mad_i64_i32 v[1:2], null, s0, v0, 0
	s_ashr_i32 s1, s0, 31
	s_cmp_gt_i32 s8, 0
	s_cselect_b32 s7, -1, 0
	s_and_b32 s10, s8, 7
	s_cmp_gt_u32 s8, 7
	v_lshlrev_b64 v[1:2], 1, v[1:2]
	s_cselect_b32 s14, -1, 0
	s_and_b32 s8, s8, 0x7ffffff8
	s_cmp_lg_u32 s10, 0
	v_add_co_u32 v1, vcc_lo, s12, v1
	v_add_co_ci_u32_e64 v2, null, s13, v2, vcc_lo
	s_cselect_b32 s12, -1, 0
	s_mov_b32 s13, 0
	s_lshl_b64 s[0:1], s[0:1], 9
	s_branch .LBB457_29
.LBB457_27:                             ;   in Loop: Header=BB457_29 Depth=1
	v_add_co_u32 v3, vcc_lo, s2, v3
	v_cvt_f16_f32_e32 v5, v7
	v_add_co_ci_u32_e64 v4, null, s3, v4, vcc_lo
	flat_store_short v[3:4], v5
.LBB457_28:                             ;   in Loop: Header=BB457_29 Depth=1
	s_or_b32 exec_lo, exec_lo, s15
	v_add_co_u32 v1, vcc_lo, v1, s0
	v_add_co_ci_u32_e64 v2, null, s1, v2, vcc_lo
	s_addk_i32 s13, 0x100
	s_cmp_ge_i32 s13, s9
	s_cbranch_scc1 .LBB457_40
.LBB457_29:                             ; =>This Loop Header: Depth=1
                                        ;     Child Loop BB457_35 Depth 2
                                        ;     Child Loop BB457_39 Depth 2
	v_add_nc_u32_e32 v3, s13, v0
	s_mov_b32 s15, exec_lo
	v_cmpx_gt_i32_e64 s9, v3
	s_cbranch_execz .LBB457_28
; %bb.30:                               ;   in Loop: Header=BB457_29 Depth=1
	v_mad_u64_u32 v[4:5], null, v3, s6, 0
	s_andn2_b32 vcc_lo, exec_lo, s5
	v_mad_u64_u32 v[5:6], null, v3, s4, v[5:6]
	v_lshlrev_b64 v[3:4], 1, v[4:5]
	s_cbranch_vccnz .LBB457_32
; %bb.31:                               ;   in Loop: Header=BB457_29 Depth=1
	v_add_co_u32 v5, vcc_lo, s2, v3
	v_add_co_ci_u32_e64 v6, null, s3, v4, vcc_lo
	flat_load_ushort v5, v[5:6]
	s_waitcnt vmcnt(0) lgkmcnt(0)
	v_cvt_f32_f16_e32 v5, v5
	v_mul_f32_e32 v7, s11, v5
	s_andn2_b32 vcc_lo, exec_lo, s7
	s_cbranch_vccz .LBB457_33
	s_branch .LBB457_27
.LBB457_32:                             ;   in Loop: Header=BB457_29 Depth=1
	v_mov_b32_e32 v7, 0
	s_andn2_b32 vcc_lo, exec_lo, s7
	s_cbranch_vccnz .LBB457_27
.LBB457_33:                             ;   in Loop: Header=BB457_29 Depth=1
	s_andn2_b32 vcc_lo, exec_lo, s14
	s_mov_b32 s16, 0
	s_cbranch_vccnz .LBB457_37
; %bb.34:                               ;   in Loop: Header=BB457_29 Depth=1
	v_mov_b32_e32 v6, v2
	v_mov_b32_e32 v5, v1
	s_mov_b32 s17, 0
	.p2align	6
.LBB457_35:                             ;   Parent Loop BB457_29 Depth=1
                                        ; =>  This Inner Loop Header: Depth=2
	flat_load_dwordx4 v[8:11], v[5:6]
	v_mov_b32_e32 v16, s16
	v_add_co_u32 v5, vcc_lo, v5, 16
	v_add_co_ci_u32_e64 v6, null, 0, v6, vcc_lo
	ds_read_b128 v[12:15], v16
	ds_read_b128 v[16:19], v16 offset:16
	s_add_i32 s17, s17, 8
	s_add_i32 s16, s16, 32
	s_cmp_eq_u32 s8, s17
	s_waitcnt vmcnt(0) lgkmcnt(1)
	v_fma_mix_f32 v7, v12, v8, v7 op_sel_hi:[0,1,0]
	v_fma_mix_f32 v7, v13, v8, v7 op_sel:[0,1,0] op_sel_hi:[0,1,0]
	v_fma_mix_f32 v7, v14, v9, v7 op_sel_hi:[0,1,0]
	v_fma_mix_f32 v7, v15, v9, v7 op_sel:[0,1,0] op_sel_hi:[0,1,0]
	s_waitcnt lgkmcnt(0)
	v_fma_mix_f32 v7, v16, v10, v7 op_sel_hi:[0,1,0]
	v_fma_mix_f32 v7, v17, v10, v7 op_sel:[0,1,0] op_sel_hi:[0,1,0]
	v_fma_mix_f32 v7, v18, v11, v7 op_sel_hi:[0,1,0]
	v_fma_mix_f32 v7, v19, v11, v7 op_sel:[0,1,0] op_sel_hi:[0,1,0]
	s_cbranch_scc0 .LBB457_35
; %bb.36:                               ;   in Loop: Header=BB457_29 Depth=1
	s_mov_b32 s16, s8
.LBB457_37:                             ;   in Loop: Header=BB457_29 Depth=1
	s_andn2_b32 vcc_lo, exec_lo, s12
	s_cbranch_vccnz .LBB457_27
; %bb.38:                               ;   in Loop: Header=BB457_29 Depth=1
	s_lshl_b32 s17, s16, 1
	s_lshl_b32 s16, s16, 2
	v_add_co_u32 v5, vcc_lo, v1, s17
	v_add_co_ci_u32_e64 v6, null, 0, v2, vcc_lo
	s_mov_b32 s17, s10
.LBB457_39:                             ;   Parent Loop BB457_29 Depth=1
                                        ; =>  This Inner Loop Header: Depth=2
	flat_load_ushort v8, v[5:6]
	v_mov_b32_e32 v9, s16
	v_add_co_u32 v5, vcc_lo, v5, 2
	v_add_co_ci_u32_e64 v6, null, 0, v6, vcc_lo
	ds_read_b32 v9, v9
	s_add_i32 s17, s17, -1
	s_add_i32 s16, s16, 4
	s_cmp_lg_u32 s17, 0
	s_waitcnt vmcnt(0) lgkmcnt(0)
	v_fma_mix_f32 v7, v9, v8, v7 op_sel_hi:[0,1,0]
	s_cbranch_scc1 .LBB457_39
	s_branch .LBB457_27
.LBB457_40:
	s_endpgm
	.section	.rodata,"a",@progbits
	.p2align	6, 0x0
	.amdhsa_kernel _ZL22rocblas_gemvtsm_kernelILb1ELi256EPKDF16_fKPDF16_EviiT2_lPKT1_lilS7_lilS4_lPT3_lil
		.amdhsa_group_segment_fixed_size 256
		.amdhsa_private_segment_fixed_size 0
		.amdhsa_kernarg_size 136
		.amdhsa_user_sgpr_count 6
		.amdhsa_user_sgpr_private_segment_buffer 1
		.amdhsa_user_sgpr_dispatch_ptr 0
		.amdhsa_user_sgpr_queue_ptr 0
		.amdhsa_user_sgpr_kernarg_segment_ptr 1
		.amdhsa_user_sgpr_dispatch_id 0
		.amdhsa_user_sgpr_flat_scratch_init 0
		.amdhsa_user_sgpr_private_segment_size 0
		.amdhsa_wavefront_size32 1
		.amdhsa_uses_dynamic_stack 0
		.amdhsa_system_sgpr_private_segment_wavefront_offset 0
		.amdhsa_system_sgpr_workgroup_id_x 1
		.amdhsa_system_sgpr_workgroup_id_y 0
		.amdhsa_system_sgpr_workgroup_id_z 0
		.amdhsa_system_sgpr_workgroup_info 0
		.amdhsa_system_vgpr_workitem_id 0
		.amdhsa_next_free_vgpr 20
		.amdhsa_next_free_sgpr 24
		.amdhsa_reserve_vcc 1
		.amdhsa_reserve_flat_scratch 0
		.amdhsa_float_round_mode_32 0
		.amdhsa_float_round_mode_16_64 0
		.amdhsa_float_denorm_mode_32 3
		.amdhsa_float_denorm_mode_16_64 3
		.amdhsa_dx10_clamp 1
		.amdhsa_ieee_mode 1
		.amdhsa_fp16_overflow 0
		.amdhsa_workgroup_processor_mode 1
		.amdhsa_memory_ordered 1
		.amdhsa_forward_progress 1
		.amdhsa_shared_vgpr_count 0
		.amdhsa_exception_fp_ieee_invalid_op 0
		.amdhsa_exception_fp_denorm_src 0
		.amdhsa_exception_fp_ieee_div_zero 0
		.amdhsa_exception_fp_ieee_overflow 0
		.amdhsa_exception_fp_ieee_underflow 0
		.amdhsa_exception_fp_ieee_inexact 0
		.amdhsa_exception_int_div_zero 0
	.end_amdhsa_kernel
	.section	.text._ZL22rocblas_gemvtsm_kernelILb1ELi256EPKDF16_fKPDF16_EviiT2_lPKT1_lilS7_lilS4_lPT3_lil,"axG",@progbits,_ZL22rocblas_gemvtsm_kernelILb1ELi256EPKDF16_fKPDF16_EviiT2_lPKT1_lilS7_lilS4_lPT3_lil,comdat
.Lfunc_end457:
	.size	_ZL22rocblas_gemvtsm_kernelILb1ELi256EPKDF16_fKPDF16_EviiT2_lPKT1_lilS7_lilS4_lPT3_lil, .Lfunc_end457-_ZL22rocblas_gemvtsm_kernelILb1ELi256EPKDF16_fKPDF16_EviiT2_lPKT1_lilS7_lilS4_lPT3_lil
                                        ; -- End function
	.set _ZL22rocblas_gemvtsm_kernelILb1ELi256EPKDF16_fKPDF16_EviiT2_lPKT1_lilS7_lilS4_lPT3_lil.num_vgpr, 20
	.set _ZL22rocblas_gemvtsm_kernelILb1ELi256EPKDF16_fKPDF16_EviiT2_lPKT1_lilS7_lilS4_lPT3_lil.num_agpr, 0
	.set _ZL22rocblas_gemvtsm_kernelILb1ELi256EPKDF16_fKPDF16_EviiT2_lPKT1_lilS7_lilS4_lPT3_lil.numbered_sgpr, 24
	.set _ZL22rocblas_gemvtsm_kernelILb1ELi256EPKDF16_fKPDF16_EviiT2_lPKT1_lilS7_lilS4_lPT3_lil.num_named_barrier, 0
	.set _ZL22rocblas_gemvtsm_kernelILb1ELi256EPKDF16_fKPDF16_EviiT2_lPKT1_lilS7_lilS4_lPT3_lil.private_seg_size, 0
	.set _ZL22rocblas_gemvtsm_kernelILb1ELi256EPKDF16_fKPDF16_EviiT2_lPKT1_lilS7_lilS4_lPT3_lil.uses_vcc, 1
	.set _ZL22rocblas_gemvtsm_kernelILb1ELi256EPKDF16_fKPDF16_EviiT2_lPKT1_lilS7_lilS4_lPT3_lil.uses_flat_scratch, 0
	.set _ZL22rocblas_gemvtsm_kernelILb1ELi256EPKDF16_fKPDF16_EviiT2_lPKT1_lilS7_lilS4_lPT3_lil.has_dyn_sized_stack, 0
	.set _ZL22rocblas_gemvtsm_kernelILb1ELi256EPKDF16_fKPDF16_EviiT2_lPKT1_lilS7_lilS4_lPT3_lil.has_recursion, 0
	.set _ZL22rocblas_gemvtsm_kernelILb1ELi256EPKDF16_fKPDF16_EviiT2_lPKT1_lilS7_lilS4_lPT3_lil.has_indirect_call, 0
	.section	.AMDGPU.csdata,"",@progbits
; Kernel info:
; codeLenInByte = 1396
; TotalNumSgprs: 26
; NumVgprs: 20
; ScratchSize: 0
; MemoryBound: 0
; FloatMode: 240
; IeeeMode: 1
; LDSByteSize: 256 bytes/workgroup (compile time only)
; SGPRBlocks: 0
; VGPRBlocks: 2
; NumSGPRsForWavesPerEU: 26
; NumVGPRsForWavesPerEU: 20
; Occupancy: 16
; WaveLimiterHint : 1
; COMPUTE_PGM_RSRC2:SCRATCH_EN: 0
; COMPUTE_PGM_RSRC2:USER_SGPR: 6
; COMPUTE_PGM_RSRC2:TRAP_HANDLER: 0
; COMPUTE_PGM_RSRC2:TGID_X_EN: 1
; COMPUTE_PGM_RSRC2:TGID_Y_EN: 0
; COMPUTE_PGM_RSRC2:TGID_Z_EN: 0
; COMPUTE_PGM_RSRC2:TIDIG_COMP_CNT: 0
	.section	.text._ZL23rocblas_gemvt_sn_kernelILb1ELi256ELi4EiPKDF16_PKffEviiT4_lPKT3_lilS7_lilPT5_i,"axG",@progbits,_ZL23rocblas_gemvt_sn_kernelILb1ELi256ELi4EiPKDF16_PKffEviiT4_lPKT3_lilS7_lilPT5_i,comdat
	.globl	_ZL23rocblas_gemvt_sn_kernelILb1ELi256ELi4EiPKDF16_PKffEviiT4_lPKT3_lilS7_lilPT5_i ; -- Begin function _ZL23rocblas_gemvt_sn_kernelILb1ELi256ELi4EiPKDF16_PKffEviiT4_lPKT3_lilS7_lilPT5_i
	.p2align	8
	.type	_ZL23rocblas_gemvt_sn_kernelILb1ELi256ELi4EiPKDF16_PKffEviiT4_lPKT3_lilS7_lilPT5_i,@function
_ZL23rocblas_gemvt_sn_kernelILb1ELi256ELi4EiPKDF16_PKffEviiT4_lPKT3_lilS7_lilPT5_i: ; @_ZL23rocblas_gemvt_sn_kernelILb1ELi256ELi4EiPKDF16_PKffEviiT4_lPKT3_lilS7_lilPT5_i
; %bb.0:
	s_load_dwordx8 s[8:15], s[4:5], 0x8
	s_mov_b32 s2, s7
	s_mov_b32 s3, 0
	s_waitcnt lgkmcnt(0)
	s_mul_i32 s0, s11, s7
	s_mul_hi_u32 s1, s10, s7
	s_add_i32 s1, s1, s0
	s_mul_i32 s0, s10, s7
	s_mov_b64 s[10:11], 0
	s_lshl_b64 s[0:1], s[0:1], 2
	s_add_u32 s0, s8, s0
	s_addc_u32 s1, s9, s1
	s_load_dword s26, s[0:1], 0x0
	s_mov_b64 s[0:1], 0
	s_waitcnt lgkmcnt(0)
	v_cmp_eq_f32_e64 s7, s26, 0
	v_cmp_neq_f32_e64 s8, s26, 0
	s_and_b32 vcc_lo, exec_lo, s7
	s_cbranch_vccnz .LBB458_2
; %bb.1:
	s_lshl_b64 s[0:1], s[2:3], 3
	s_add_u32 s0, s12, s0
	s_addc_u32 s1, s13, s1
	s_lshl_b64 s[12:13], s[14:15], 1
	s_load_dwordx2 s[0:1], s[0:1], 0x0
	s_waitcnt lgkmcnt(0)
	s_add_u32 s0, s0, s12
	s_addc_u32 s1, s1, s13
.LBB458_2:
	s_andn2_b32 vcc_lo, exec_lo, s8
	s_cbranch_vccnz .LBB458_4
; %bb.3:
	s_load_dwordx4 s[8:11], s[4:5], 0x38
	s_lshl_b64 s[12:13], s[2:3], 3
	s_waitcnt lgkmcnt(0)
	s_add_u32 s8, s8, s12
	s_addc_u32 s9, s9, s13
	s_lshl_b64 s[10:11], s[10:11], 1
	s_load_dwordx2 s[8:9], s[8:9], 0x0
	s_waitcnt lgkmcnt(0)
	s_add_u32 s10, s8, s10
	s_addc_u32 s11, s9, s11
.LBB458_4:
	s_clause 0x2
	s_load_dwordx2 s[12:13], s[4:5], 0x0
	s_load_dword s14, s[4:5], 0x68
	s_load_dwordx2 s[8:9], s[4:5], 0x58
	s_waitcnt lgkmcnt(0)
	s_ashr_i32 s17, s13, 31
	s_mul_hi_u32 s3, s13, s2
	s_mul_i32 s15, s17, s2
	s_mul_i32 s2, s13, s2
	s_add_i32 s3, s3, s15
	s_mul_hi_u32 s15, s2, s14
	s_mul_i32 s3, s3, s14
	s_mul_i32 s2, s2, s14
	s_add_i32 s3, s15, s3
	s_mov_b32 s15, 0
	s_lshl_b64 s[2:3], s[2:3], 2
	s_add_u32 s28, s8, s2
	s_addc_u32 s29, s9, s3
	s_andn2_b32 vcc_lo, exec_lo, s7
	s_mov_b32 s2, -1
	s_cbranch_vccnz .LBB458_9
; %bb.5:
	v_cmp_eq_u32_e32 vcc_lo, 0, v0
	s_cmp_gt_i32 s13, 0
	s_cselect_b32 s2, -1, 0
	s_and_b32 s2, vcc_lo, s2
	s_and_saveexec_b32 s16, s2
	s_cbranch_execz .LBB458_8
; %bb.6:
	s_mov_b32 s7, 0
	v_mov_b32_e32 v1, 0
	s_lshl_b64 s[2:3], s[6:7], 2
	s_mov_b32 s7, s13
	s_add_u32 s2, s28, s2
	s_addc_u32 s3, s29, s3
	s_lshl_b64 s[8:9], s[14:15], 2
.LBB458_7:                              ; =>This Inner Loop Header: Depth=1
	s_add_i32 s7, s7, -1
	global_store_dword v1, v1, s[2:3]
	s_add_u32 s2, s2, s8
	s_addc_u32 s3, s3, s9
	s_cmp_eq_u32 s7, 0
	s_cbranch_scc0 .LBB458_7
.LBB458_8:
	s_or_b32 exec_lo, exec_lo, s16
	s_mov_b32 s2, 0
.LBB458_9:
	s_andn2_b32 vcc_lo, exec_lo, s2
	s_cbranch_vccnz .LBB458_84
; %bb.10:
	s_clause 0x1
	s_load_dword s16, s[4:5], 0x28
	s_load_dword s15, s[4:5], 0x48
	s_lshl_b32 s2, s6, 10
	s_lshr_b32 s3, s17, 30
	v_lshl_or_b32 v1, v0, 2, s2
	s_ashr_i32 s2, s12, 31
	s_add_i32 s3, s13, s3
	s_lshr_b32 s2, s2, 30
	v_and_b32_e32 v21, 31, v0
	v_ashrrev_i32_e32 v2, 31, v1
	s_add_i32 s2, s12, s2
	v_add_nc_u32_e32 v24, 4, v1
	s_and_b32 s2, s2, -4
	v_mbcnt_lo_u32_b32 v23, -1, 0
	v_lshlrev_b64 v[2:3], 1, v[1:2]
	s_sub_i32 s27, s12, s2
	v_lshrrev_b32_e32 v22, 3, v0
	v_add_nc_u32_e32 v25, s27, v1
	v_cmp_eq_u32_e64 s2, 0, v0
	s_and_b32 s30, s3, -4
	v_add_co_u32 v19, vcc_lo, s0, v2
	s_waitcnt lgkmcnt(0)
	v_mul_lo_u32 v9, s15, v1
	v_add_co_ci_u32_e64 v20, null, s1, v3, vcc_lo
	v_cmp_gt_u32_e64 s0, 32, v0
	v_cmp_gt_u32_e64 s1, 8, v0
	s_cmp_lt_i32 s30, 1
	s_cbranch_scc1 .LBB458_59
; %bb.11:
	v_cmp_gt_u32_e32 vcc_lo, 24, v23
	v_mul_lo_u32 v10, s15, v1
	s_cmp_gt_i32 s27, 0
	s_mov_b32 s9, 0
	v_cmp_ge_i32_e64 s3, s12, v24
	v_cndmask_b32_e64 v2, 0, 8, vcc_lo
	v_cmp_gt_u32_e32 vcc_lo, 28, v23
	v_cmp_ge_i32_e64 s4, s12, v25
	v_lshl_or_b32 v26, v23, 2, 64
	v_add_nc_u32_e32 v1, s15, v10
	v_ashrrev_i32_e32 v11, 31, v10
	v_cndmask_b32_e64 v3, 0, 4, vcc_lo
	v_cmp_gt_u32_e32 vcc_lo, 30, v23
	v_add_lshl_u32 v27, v2, v23, 2
	v_ashrrev_i32_e32 v2, 31, v1
	v_cmp_eq_u32_e64 s5, 0, v21
	v_add_lshl_u32 v28, v3, v23, 2
	v_cndmask_b32_e64 v4, 0, 2, vcc_lo
	v_cmp_ne_u32_e32 vcc_lo, 31, v23
	v_add_nc_u32_e32 v3, s15, v1
	v_lshlrev_b64 v[1:2], 1, v[1:2]
	v_lshlrev_b32_e32 v31, 2, v21
	v_add_lshl_u32 v29, v4, v23, 2
	v_add_co_ci_u32_e64 v5, null, 0, v23, vcc_lo
	v_add_nc_u32_e32 v7, s15, v3
	v_ashrrev_i32_e32 v4, 31, v3
	v_and_b32_e32 v32, 28, v22
	v_lshlrev_b32_e32 v30, 2, v5
	v_lshlrev_b64 v[5:6], 1, v[10:11]
	v_ashrrev_i32_e32 v8, 31, v7
	v_lshlrev_b64 v[3:4], 1, v[3:4]
	s_cselect_b32 s31, -1, 0
	s_mov_b32 s17, s9
	s_lshl_b32 s8, s16, 1
	v_add_co_u32 v11, vcc_lo, s10, v5
	v_add_co_ci_u32_e64 v12, null, s11, v6, vcc_lo
	v_add_co_u32 v13, vcc_lo, s10, v1
	v_mov_b32_e32 v5, 0
	v_add_co_ci_u32_e64 v14, null, s11, v2, vcc_lo
	v_lshlrev_b64 v[1:2], 1, v[7:8]
	v_add_co_u32 v15, vcc_lo, s10, v3
	v_mov_b32_e32 v6, v5
	v_mov_b32_e32 v7, v5
	;; [unrolled: 1-line block ×3, first 2 shown]
	v_add_co_ci_u32_e64 v16, null, s11, v4, vcc_lo
	v_add_co_u32 v17, vcc_lo, s10, v1
	v_add_co_ci_u32_e64 v18, null, s11, v2, vcc_lo
	v_mov_b32_e32 v1, v5
	v_mov_b32_e32 v2, v6
	;; [unrolled: 1-line block ×4, first 2 shown]
	s_lshl_b32 s33, s16, 2
	s_mul_i32 s34, s16, 3
	s_mov_b32 s35, s9
	s_mov_b32 s18, s9
	s_mov_b64 s[20:21], s[8:9]
	s_mov_b64 s[22:23], s[16:17]
	s_mov_b32 s17, 0
	s_branch .LBB458_13
.LBB458_12:                             ;   in Loop: Header=BB458_13 Depth=1
	s_or_b32 exec_lo, exec_lo, s7
	s_add_i32 s17, s17, 4
	s_add_u32 s22, s22, s33
	s_addc_u32 s23, s23, 0
	s_add_u32 s20, s20, s33
	s_addc_u32 s21, s21, 0
	;; [unrolled: 2-line block ×3, first 2 shown]
	s_add_i32 s18, s18, s33
	s_cmp_ge_i32 s17, s30
	s_cbranch_scc1 .LBB458_60
.LBB458_13:                             ; =>This Loop Header: Depth=1
                                        ;     Child Loop BB458_44 Depth 2
                                        ;     Child Loop BB458_47 Depth 2
                                        ; implicit-def: $vgpr8
                                        ; implicit-def: $vgpr33
                                        ; implicit-def: $vgpr34
                                        ; implicit-def: $vgpr35
	s_and_saveexec_b32 s7, s3
	s_xor_b32 s7, exec_lo, s7
	s_cbranch_execnz .LBB458_40
; %bb.14:                               ;   in Loop: Header=BB458_13 Depth=1
	s_andn2_saveexec_b32 s36, s7
	s_cbranch_execnz .LBB458_41
.LBB458_15:                             ;   in Loop: Header=BB458_13 Depth=1
	s_or_b32 exec_lo, exec_lo, s36
	s_and_saveexec_b32 s7, s0
.LBB458_16:                             ;   in Loop: Header=BB458_13 Depth=1
	ds_write_b32 v31, v5
.LBB458_17:                             ;   in Loop: Header=BB458_13 Depth=1
	s_or_b32 exec_lo, exec_lo, s7
	ds_bpermute_b32 v6, v26, v35
	s_waitcnt lgkmcnt(0)
	s_waitcnt_vscnt null, 0x0
	s_barrier
	buffer_gl0_inv
	v_add_f32_e32 v6, v35, v6
	ds_bpermute_b32 v7, v27, v6
	s_waitcnt lgkmcnt(0)
	v_add_f32_e32 v6, v6, v7
	ds_bpermute_b32 v7, v28, v6
	s_waitcnt lgkmcnt(0)
	;; [unrolled: 3-line block ×3, first 2 shown]
	v_add_f32_e32 v6, v6, v7
	ds_bpermute_b32 v7, v30, v6
	s_and_saveexec_b32 s7, s5
	s_cbranch_execz .LBB458_19
; %bb.18:                               ;   in Loop: Header=BB458_13 Depth=1
	s_waitcnt lgkmcnt(0)
	v_add_f32_e32 v6, v6, v7
	ds_write_b32 v32, v6
.LBB458_19:                             ;   in Loop: Header=BB458_13 Depth=1
	s_or_b32 exec_lo, exec_lo, s7
	v_mov_b32_e32 v6, 0
	s_waitcnt lgkmcnt(0)
	s_barrier
	buffer_gl0_inv
	s_and_saveexec_b32 s7, s1
	s_cbranch_execnz .LBB458_48
; %bb.20:                               ;   in Loop: Header=BB458_13 Depth=1
	s_or_b32 exec_lo, exec_lo, s7
	s_and_saveexec_b32 s7, s0
	s_cbranch_execnz .LBB458_49
.LBB458_21:                             ;   in Loop: Header=BB458_13 Depth=1
	s_or_b32 exec_lo, exec_lo, s7
	s_and_saveexec_b32 s7, s0
.LBB458_22:                             ;   in Loop: Header=BB458_13 Depth=1
	ds_write_b32 v31, v5
.LBB458_23:                             ;   in Loop: Header=BB458_13 Depth=1
	s_or_b32 exec_lo, exec_lo, s7
	ds_bpermute_b32 v7, v26, v34
	s_waitcnt lgkmcnt(0)
	s_barrier
	buffer_gl0_inv
	v_add_f32_e32 v7, v34, v7
	ds_bpermute_b32 v34, v27, v7
	s_waitcnt lgkmcnt(0)
	v_add_f32_e32 v7, v7, v34
	ds_bpermute_b32 v34, v28, v7
	s_waitcnt lgkmcnt(0)
	;; [unrolled: 3-line block ×3, first 2 shown]
	v_add_f32_e32 v7, v7, v34
	ds_bpermute_b32 v34, v30, v7
	s_and_saveexec_b32 s7, s5
	s_cbranch_execz .LBB458_25
; %bb.24:                               ;   in Loop: Header=BB458_13 Depth=1
	s_waitcnt lgkmcnt(0)
	v_add_f32_e32 v7, v7, v34
	ds_write_b32 v32, v7
.LBB458_25:                             ;   in Loop: Header=BB458_13 Depth=1
	s_or_b32 exec_lo, exec_lo, s7
	v_mov_b32_e32 v7, 0
	s_waitcnt lgkmcnt(0)
	s_barrier
	buffer_gl0_inv
	s_and_saveexec_b32 s7, s1
	s_cbranch_execnz .LBB458_50
; %bb.26:                               ;   in Loop: Header=BB458_13 Depth=1
	s_or_b32 exec_lo, exec_lo, s7
	s_and_saveexec_b32 s7, s0
	s_cbranch_execnz .LBB458_51
.LBB458_27:                             ;   in Loop: Header=BB458_13 Depth=1
	s_or_b32 exec_lo, exec_lo, s7
	s_and_saveexec_b32 s7, s0
.LBB458_28:                             ;   in Loop: Header=BB458_13 Depth=1
	ds_write_b32 v31, v5
.LBB458_29:                             ;   in Loop: Header=BB458_13 Depth=1
	s_or_b32 exec_lo, exec_lo, s7
	ds_bpermute_b32 v34, v26, v33
	s_waitcnt lgkmcnt(0)
	s_barrier
	buffer_gl0_inv
	v_add_f32_e32 v33, v33, v34
	ds_bpermute_b32 v34, v27, v33
	s_waitcnt lgkmcnt(0)
	v_add_f32_e32 v33, v33, v34
	ds_bpermute_b32 v34, v28, v33
	s_waitcnt lgkmcnt(0)
	v_add_f32_e32 v33, v33, v34
	ds_bpermute_b32 v34, v29, v33
	s_waitcnt lgkmcnt(0)
	v_add_f32_e32 v33, v33, v34
	ds_bpermute_b32 v34, v30, v33
	s_and_saveexec_b32 s7, s5
	s_cbranch_execz .LBB458_31
; %bb.30:                               ;   in Loop: Header=BB458_13 Depth=1
	s_waitcnt lgkmcnt(0)
	v_add_f32_e32 v33, v33, v34
	ds_write_b32 v32, v33
.LBB458_31:                             ;   in Loop: Header=BB458_13 Depth=1
	s_or_b32 exec_lo, exec_lo, s7
	v_mov_b32_e32 v33, 0
	s_waitcnt lgkmcnt(0)
	s_barrier
	buffer_gl0_inv
	s_and_saveexec_b32 s7, s1
	s_cbranch_execnz .LBB458_52
; %bb.32:                               ;   in Loop: Header=BB458_13 Depth=1
	s_or_b32 exec_lo, exec_lo, s7
	s_and_saveexec_b32 s7, s0
	s_cbranch_execnz .LBB458_53
.LBB458_33:                             ;   in Loop: Header=BB458_13 Depth=1
	s_or_b32 exec_lo, exec_lo, s7
	s_and_saveexec_b32 s7, s0
.LBB458_34:                             ;   in Loop: Header=BB458_13 Depth=1
	ds_write_b32 v31, v5
.LBB458_35:                             ;   in Loop: Header=BB458_13 Depth=1
	s_or_b32 exec_lo, exec_lo, s7
	ds_bpermute_b32 v34, v26, v8
	s_waitcnt lgkmcnt(0)
	s_barrier
	buffer_gl0_inv
	v_add_f32_e32 v8, v8, v34
	ds_bpermute_b32 v34, v27, v8
	s_waitcnt lgkmcnt(0)
	v_add_f32_e32 v8, v8, v34
	ds_bpermute_b32 v34, v28, v8
	s_waitcnt lgkmcnt(0)
	v_add_f32_e32 v8, v8, v34
	ds_bpermute_b32 v34, v29, v8
	s_waitcnt lgkmcnt(0)
	v_add_f32_e32 v8, v8, v34
	ds_bpermute_b32 v34, v30, v8
	s_and_saveexec_b32 s7, s5
	s_cbranch_execz .LBB458_37
; %bb.36:                               ;   in Loop: Header=BB458_13 Depth=1
	s_waitcnt lgkmcnt(0)
	v_add_f32_e32 v8, v8, v34
	ds_write_b32 v32, v8
.LBB458_37:                             ;   in Loop: Header=BB458_13 Depth=1
	s_or_b32 exec_lo, exec_lo, s7
	v_mov_b32_e32 v8, 0
	s_waitcnt lgkmcnt(0)
	s_barrier
	buffer_gl0_inv
	s_and_saveexec_b32 s7, s1
	s_cbranch_execnz .LBB458_54
; %bb.38:                               ;   in Loop: Header=BB458_13 Depth=1
	s_or_b32 exec_lo, exec_lo, s7
	s_and_saveexec_b32 s7, s0
	s_cbranch_execnz .LBB458_55
.LBB458_39:                             ;   in Loop: Header=BB458_13 Depth=1
	s_or_b32 exec_lo, exec_lo, s7
	s_and_saveexec_b32 s7, s2
	s_cbranch_execz .LBB458_12
	s_branch .LBB458_56
.LBB458_40:                             ;   in Loop: Header=BB458_13 Depth=1
	s_mul_i32 s24, s17, s16
	s_ashr_i32 s25, s24, 31
	s_add_i32 s36, s24, s16
	s_lshl_b64 s[24:25], s[24:25], 1
	s_ashr_i32 s37, s36, 31
	v_add_co_u32 v1, vcc_lo, v19, s24
	v_add_co_ci_u32_e64 v2, null, s25, v20, vcc_lo
	s_lshl_b64 s[24:25], s[36:37], 1
	s_add_i32 s36, s36, s16
	v_add_co_u32 v3, vcc_lo, v19, s24
	s_ashr_i32 s37, s36, 31
	s_add_i32 s24, s36, s16
	v_add_co_ci_u32_e64 v4, null, s25, v20, vcc_lo
	s_lshl_b64 s[36:37], s[36:37], 1
	s_ashr_i32 s25, s24, 31
	v_add_co_u32 v6, vcc_lo, v19, s36
	s_lshl_b64 s[24:25], s[24:25], 1
	v_add_co_ci_u32_e64 v7, null, s37, v20, vcc_lo
	v_add_co_u32 v33, vcc_lo, v19, s24
	v_add_co_ci_u32_e64 v34, null, s25, v20, vcc_lo
	s_waitcnt lgkmcnt(0)
	flat_load_ushort v8, v[11:12]
	s_clause 0x3
	flat_load_dwordx2 v[35:36], v[1:2]
	flat_load_dwordx2 v[37:38], v[3:4]
	;; [unrolled: 1-line block ×4, first 2 shown]
	s_clause 0x2
	flat_load_ushort v3, v[13:14]
	flat_load_ushort v4, v[15:16]
	;; [unrolled: 1-line block ×3, first 2 shown]
	s_waitcnt vmcnt(7) lgkmcnt(7)
	v_cvt_f32_f16_e32 v1, v8
	s_waitcnt vmcnt(6) lgkmcnt(6)
	v_fma_mix_f32 v33, v8, v35, 0 op_sel_hi:[1,1,0]
	s_waitcnt vmcnt(5) lgkmcnt(5)
	v_fma_mix_f32 v34, v8, v37, 0 op_sel_hi:[1,1,0]
	;; [unrolled: 2-line block ×4, first 2 shown]
	s_waitcnt vmcnt(2) lgkmcnt(2)
	v_cvt_f32_f16_e32 v2, v3
	v_fma_mix_f32 v33, v3, v35, v33 op_sel:[0,1,0] op_sel_hi:[1,1,0]
	v_fma_mix_f32 v34, v3, v37, v34 op_sel:[0,1,0] op_sel_hi:[1,1,0]
	;; [unrolled: 1-line block ×4, first 2 shown]
	s_waitcnt vmcnt(1) lgkmcnt(1)
	v_cvt_f32_f16_e32 v3, v4
	v_fma_mix_f32 v33, v4, v36, v33 op_sel_hi:[1,1,0]
	v_fma_mix_f32 v34, v4, v38, v34 op_sel_hi:[1,1,0]
	;; [unrolled: 1-line block ×4, first 2 shown]
	s_waitcnt vmcnt(0) lgkmcnt(0)
	v_cvt_f32_f16_e32 v4, v41
	v_fma_mix_f32 v35, v41, v36, v33 op_sel:[0,1,0] op_sel_hi:[1,1,0]
	v_fma_mix_f32 v34, v41, v38, v34 op_sel:[0,1,0] op_sel_hi:[1,1,0]
	;; [unrolled: 1-line block ×4, first 2 shown]
	s_andn2_saveexec_b32 s36, s7
	s_cbranch_execz .LBB458_15
.LBB458_41:                             ;   in Loop: Header=BB458_13 Depth=1
	s_waitcnt lgkmcnt(0)
	v_mov_b32_e32 v8, 0
	v_mov_b32_e32 v33, 0
	;; [unrolled: 1-line block ×4, first 2 shown]
	s_and_saveexec_b32 s37, s4
	s_cbranch_execz .LBB458_58
; %bb.42:                               ;   in Loop: Header=BB458_13 Depth=1
	s_andn2_b32 vcc_lo, exec_lo, s31
	s_cbranch_vccnz .LBB458_45
; %bb.43:                               ;   in Loop: Header=BB458_13 Depth=1
	v_mov_b32_e32 v6, v10
	s_mov_b64 s[24:25], 0
	.p2align	6
.LBB458_44:                             ;   Parent Loop BB458_13 Depth=1
                                        ; =>  This Inner Loop Header: Depth=2
	v_ashrrev_i32_e32 v7, 31, v6
	s_cmp_eq_u32 s24, 3
	v_lshlrev_b64 v[7:8], 1, v[6:7]
	v_add_nc_u32_e32 v6, s15, v6
	v_add_co_u32 v7, vcc_lo, s10, v7
	v_add_co_ci_u32_e64 v8, null, s11, v8, vcc_lo
	s_cselect_b32 vcc_lo, -1, 0
	s_cmp_eq_u32 s24, 2
	s_cselect_b32 s7, -1, 0
	flat_load_ushort v7, v[7:8]
	s_cmp_eq_u32 s24, 1
	s_cselect_b32 s8, -1, 0
	s_cmp_eq_u32 s24, 0
	s_waitcnt vmcnt(0) lgkmcnt(0)
	v_cvt_f32_f16_e32 v7, v7
	v_cndmask_b32_e32 v4, v4, v7, vcc_lo
	s_cselect_b32 vcc_lo, -1, 0
	v_cndmask_b32_e64 v3, v3, v7, s7
	v_cndmask_b32_e64 v2, v2, v7, s8
	v_cndmask_b32_e32 v1, v1, v7, vcc_lo
	s_add_u32 s24, s24, 1
	s_addc_u32 s25, s25, 0
	s_cmp_eq_u32 s27, s24
	s_cbranch_scc0 .LBB458_44
.LBB458_45:                             ;   in Loop: Header=BB458_13 Depth=1
	s_andn2_b32 vcc_lo, exec_lo, s31
	s_cbranch_vccnz .LBB458_57
; %bb.46:                               ;   in Loop: Header=BB458_13 Depth=1
	s_ashr_i32 s19, s18, 31
	v_mov_b32_e32 v35, 0
	s_lshl_b64 s[24:25], s[18:19], 1
	v_mov_b32_e32 v34, 0
	v_add_co_u32 v6, vcc_lo, v19, s24
	v_add_co_ci_u32_e64 v7, null, s25, v20, vcc_lo
	v_mov_b32_e32 v33, 0
	v_mov_b32_e32 v8, 0
	s_mov_b64 s[24:25], 0
.LBB458_47:                             ;   Parent Loop BB458_13 Depth=1
                                        ; =>  This Inner Loop Header: Depth=2
	s_cmp_eq_u32 s24, 1
	s_cselect_b32 vcc_lo, -1, 0
	s_cmp_eq_u32 s24, 2
	v_cndmask_b32_e32 v36, v1, v2, vcc_lo
	s_cselect_b32 vcc_lo, -1, 0
	s_cmp_eq_u32 s24, 3
	v_cndmask_b32_e32 v42, v36, v3, vcc_lo
	s_cselect_b32 vcc_lo, -1, 0
	s_add_i32 s38, s22, s24
	s_add_i32 s40, s20, s24
	s_ashr_i32 s39, s38, 31
	s_add_i32 s42, s34, s24
	s_ashr_i32 s41, s40, 31
	s_lshl_b64 s[38:39], s[38:39], 1
	s_ashr_i32 s43, s42, 31
	s_lshl_b64 s[40:41], s[40:41], 1
	v_add_co_u32 v36, s7, v19, s38
	s_lshl_b64 s[42:43], s[42:43], 1
	v_add_co_ci_u32_e64 v37, null, s39, v20, s7
	v_add_co_u32 v38, s7, v19, s40
	v_add_co_ci_u32_e64 v39, null, s41, v20, s7
	v_add_co_u32 v40, s7, v19, s42
	v_add_co_ci_u32_e64 v41, null, s43, v20, s7
	flat_load_ushort v43, v[6:7]
	s_clause 0x2
	flat_load_ushort v36, v[36:37]
	flat_load_ushort v37, v[38:39]
	;; [unrolled: 1-line block ×3, first 2 shown]
	v_cndmask_b32_e32 v39, v42, v4, vcc_lo
	v_add_co_u32 v6, s7, v6, 2
	v_add_co_ci_u32_e64 v7, null, 0, v7, s7
	s_add_u32 s24, s24, 1
	s_addc_u32 s25, s25, 0
	s_cmp_lg_u32 s27, s24
	s_waitcnt vmcnt(3) lgkmcnt(3)
	v_fma_mix_f32 v35, v39, v43, v35 op_sel_hi:[0,1,0]
	s_waitcnt vmcnt(2) lgkmcnt(2)
	v_fma_mix_f32 v34, v39, v36, v34 op_sel_hi:[0,1,0]
	;; [unrolled: 2-line block ×4, first 2 shown]
	s_cbranch_scc1 .LBB458_47
	s_branch .LBB458_58
.LBB458_48:                             ;   in Loop: Header=BB458_13 Depth=1
	ds_read_b32 v6, v31
	s_or_b32 exec_lo, exec_lo, s7
	s_and_saveexec_b32 s7, s0
	s_cbranch_execz .LBB458_21
.LBB458_49:                             ;   in Loop: Header=BB458_13 Depth=1
	s_waitcnt lgkmcnt(0)
	ds_bpermute_b32 v7, v28, v6
	s_waitcnt lgkmcnt(0)
	v_add_f32_e32 v6, v6, v7
	ds_bpermute_b32 v7, v29, v6
	s_waitcnt lgkmcnt(0)
	v_add_f32_e32 v6, v6, v7
	;; [unrolled: 3-line block ×3, first 2 shown]
	s_or_b32 exec_lo, exec_lo, s7
	s_and_saveexec_b32 s7, s0
	s_cbranch_execnz .LBB458_22
	s_branch .LBB458_23
.LBB458_50:                             ;   in Loop: Header=BB458_13 Depth=1
	ds_read_b32 v7, v31
	s_or_b32 exec_lo, exec_lo, s7
	s_and_saveexec_b32 s7, s0
	s_cbranch_execz .LBB458_27
.LBB458_51:                             ;   in Loop: Header=BB458_13 Depth=1
	s_waitcnt lgkmcnt(0)
	ds_bpermute_b32 v34, v28, v7
	s_waitcnt lgkmcnt(0)
	v_add_f32_e32 v7, v7, v34
	ds_bpermute_b32 v34, v29, v7
	s_waitcnt lgkmcnt(0)
	v_add_f32_e32 v7, v7, v34
	;; [unrolled: 3-line block ×3, first 2 shown]
	s_or_b32 exec_lo, exec_lo, s7
	s_and_saveexec_b32 s7, s0
	s_cbranch_execnz .LBB458_28
	s_branch .LBB458_29
.LBB458_52:                             ;   in Loop: Header=BB458_13 Depth=1
	ds_read_b32 v33, v31
	s_or_b32 exec_lo, exec_lo, s7
	s_and_saveexec_b32 s7, s0
	s_cbranch_execz .LBB458_33
.LBB458_53:                             ;   in Loop: Header=BB458_13 Depth=1
	s_waitcnt lgkmcnt(0)
	ds_bpermute_b32 v34, v28, v33
	s_waitcnt lgkmcnt(0)
	v_add_f32_e32 v33, v33, v34
	ds_bpermute_b32 v34, v29, v33
	s_waitcnt lgkmcnt(0)
	v_add_f32_e32 v33, v33, v34
	;; [unrolled: 3-line block ×3, first 2 shown]
	s_or_b32 exec_lo, exec_lo, s7
	s_and_saveexec_b32 s7, s0
	s_cbranch_execnz .LBB458_34
	s_branch .LBB458_35
.LBB458_54:                             ;   in Loop: Header=BB458_13 Depth=1
	ds_read_b32 v8, v31
	s_or_b32 exec_lo, exec_lo, s7
	s_and_saveexec_b32 s7, s0
	s_cbranch_execz .LBB458_39
.LBB458_55:                             ;   in Loop: Header=BB458_13 Depth=1
	s_waitcnt lgkmcnt(0)
	ds_bpermute_b32 v34, v28, v8
	s_waitcnt lgkmcnt(0)
	v_add_f32_e32 v8, v8, v34
	ds_bpermute_b32 v34, v29, v8
	s_waitcnt lgkmcnt(0)
	v_add_f32_e32 v8, v8, v34
	;; [unrolled: 3-line block ×3, first 2 shown]
	s_or_b32 exec_lo, exec_lo, s7
	s_and_saveexec_b32 s7, s2
	s_cbranch_execz .LBB458_12
.LBB458_56:                             ;   in Loop: Header=BB458_13 Depth=1
	s_mul_i32 s8, s17, s14
	v_mul_f32_e32 v6, s26, v6
	s_add_i32 s8, s8, s6
	v_mul_f32_e32 v7, s26, v7
	s_lshl_b64 s[24:25], s[8:9], 2
	v_mul_f32_e32 v33, s26, v33
	s_add_u32 s24, s28, s24
	s_addc_u32 s25, s29, s25
	s_add_i32 s8, s8, s14
	global_store_dword v5, v6, s[24:25]
	s_lshl_b64 s[36:37], s[8:9], 2
	s_waitcnt lgkmcnt(0)
	v_mul_f32_e32 v6, s26, v8
	s_add_u32 s36, s28, s36
	s_addc_u32 s37, s29, s37
	s_add_i32 s8, s8, s14
	global_store_dword v5, v7, s[36:37]
	s_lshl_b64 s[38:39], s[8:9], 2
	s_add_u32 s24, s28, s38
	s_addc_u32 s25, s29, s39
	s_add_i32 s8, s8, s14
	s_lshl_b64 s[38:39], s[8:9], 2
	s_add_u32 s36, s28, s38
	s_addc_u32 s37, s29, s39
	global_store_dword v5, v33, s[24:25]
	global_store_dword v5, v6, s[36:37]
	s_branch .LBB458_12
.LBB458_57:                             ;   in Loop: Header=BB458_13 Depth=1
	v_mov_b32_e32 v8, 0
	v_mov_b32_e32 v33, 0
	;; [unrolled: 1-line block ×4, first 2 shown]
.LBB458_58:                             ;   in Loop: Header=BB458_13 Depth=1
	s_or_b32 exec_lo, exec_lo, s37
	s_or_b32 exec_lo, exec_lo, s36
	s_and_saveexec_b32 s7, s0
	s_cbranch_execnz .LBB458_16
	s_branch .LBB458_17
.LBB458_59:
	v_mov_b32_e32 v1, 0
	s_mov_b32 s17, 0
	v_mov_b32_e32 v2, v1
	v_mov_b32_e32 v3, v1
	;; [unrolled: 1-line block ×3, first 2 shown]
.LBB458_60:
	s_cmp_ge_i32 s17, s13
	s_cbranch_scc1 .LBB458_84
; %bb.61:
	v_cmp_gt_u32_e32 vcc_lo, 24, v23
	v_cmp_ge_i32_e64 s0, s12, v24
	v_lshl_or_b32 v17, v23, 2, 64
	v_ashrrev_i32_e32 v10, 31, v9
	v_cmp_ge_i32_e64 s1, s12, v25
	v_cndmask_b32_e64 v5, 0, 8, vcc_lo
	v_cmp_gt_u32_e32 vcc_lo, 28, v23
	s_cmp_gt_i32 s27, 0
	v_lshlrev_b64 v[10:11], 1, v[9:10]
	s_mov_b32 s7, 0
	v_add_lshl_u32 v18, v5, v23, 2
	v_cndmask_b32_e64 v6, 0, 4, vcc_lo
	v_cmp_gt_u32_e32 vcc_lo, 30, v23
	v_add_nc_u32_e32 v5, s15, v9
	s_cselect_b32 s12, -1, 0
	v_cmp_gt_u32_e64 s2, 32, v0
	v_add_lshl_u32 v24, v6, v23, 2
	v_cndmask_b32_e64 v7, 0, 2, vcc_lo
	v_cmp_ne_u32_e32 vcc_lo, 31, v23
	v_ashrrev_i32_e32 v6, 31, v5
	v_lshlrev_b32_e32 v16, 2, v21
	v_cmp_eq_u32_e64 s3, 0, v21
	v_and_b32_e32 v21, 28, v22
	s_waitcnt lgkmcnt(0)
	v_add_co_ci_u32_e64 v8, null, 0, v23, vcc_lo
	v_add_lshl_u32 v23, v7, v23, 2
	v_add_nc_u32_e32 v7, s15, v5
	v_lshlrev_b64 v[12:13], 1, v[5:6]
	v_lshlrev_b32_e32 v25, 2, v8
	v_add_co_u32 v5, vcc_lo, s10, v10
	v_add_nc_u32_e32 v14, s15, v7
	v_ashrrev_i32_e32 v8, 31, v7
	v_add_co_ci_u32_e64 v6, null, s11, v11, vcc_lo
	v_cmp_gt_u32_e64 s4, 8, v0
	v_ashrrev_i32_e32 v15, 31, v14
	v_lshlrev_b64 v[10:11], 1, v[7:8]
	v_add_co_u32 v7, vcc_lo, s10, v12
	v_add_co_ci_u32_e64 v8, null, s11, v13, vcc_lo
	v_lshlrev_b64 v[12:13], 1, v[14:15]
	v_add_co_u32 v10, vcc_lo, s10, v10
	v_add_co_ci_u32_e64 v11, null, s11, v11, vcc_lo
	v_cmp_eq_u32_e64 s5, 0, v0
	v_add_co_u32 v12, vcc_lo, s10, v12
	s_lshl_b64 s[8:9], s[6:7], 2
	v_add_co_ci_u32_e64 v13, null, s11, v13, vcc_lo
	v_mov_b32_e32 v0, 0
	s_add_u32 s22, s28, s8
	s_addc_u32 s23, s29, s9
	s_mul_i32 s18, s17, s16
	s_branch .LBB458_63
.LBB458_62:                             ;   in Loop: Header=BB458_63 Depth=1
	s_or_b32 exec_lo, exec_lo, s6
	s_add_i32 s17, s17, 1
	s_add_i32 s18, s18, s16
	s_cmp_ge_i32 s17, s13
	s_cbranch_scc1 .LBB458_84
.LBB458_63:                             ; =>This Loop Header: Depth=1
                                        ;     Child Loop BB458_76 Depth 2
                                        ;     Child Loop BB458_79 Depth 2
	v_mov_b32_e32 v22, s7
	s_and_saveexec_b32 s6, s0
	s_xor_b32 s6, exec_lo, s6
	s_cbranch_execnz .LBB458_72
; %bb.64:                               ;   in Loop: Header=BB458_63 Depth=1
	s_andn2_saveexec_b32 s24, s6
	s_cbranch_execnz .LBB458_73
.LBB458_65:                             ;   in Loop: Header=BB458_63 Depth=1
	s_or_b32 exec_lo, exec_lo, s24
	s_and_saveexec_b32 s6, s2
.LBB458_66:                             ;   in Loop: Header=BB458_63 Depth=1
	ds_write_b32 v16, v0
.LBB458_67:                             ;   in Loop: Header=BB458_63 Depth=1
	s_or_b32 exec_lo, exec_lo, s6
	s_waitcnt lgkmcnt(0)
	ds_bpermute_b32 v14, v17, v22
	s_waitcnt lgkmcnt(0)
	s_waitcnt_vscnt null, 0x0
	s_barrier
	buffer_gl0_inv
	v_add_f32_e32 v14, v22, v14
	ds_bpermute_b32 v15, v18, v14
	s_waitcnt lgkmcnt(0)
	v_add_f32_e32 v14, v14, v15
	ds_bpermute_b32 v15, v24, v14
	s_waitcnt lgkmcnt(0)
	;; [unrolled: 3-line block ×3, first 2 shown]
	v_add_f32_e32 v14, v14, v15
	ds_bpermute_b32 v15, v25, v14
	s_and_saveexec_b32 s6, s3
	s_cbranch_execz .LBB458_69
; %bb.68:                               ;   in Loop: Header=BB458_63 Depth=1
	s_waitcnt lgkmcnt(0)
	v_add_f32_e32 v14, v14, v15
	ds_write_b32 v21, v14
.LBB458_69:                             ;   in Loop: Header=BB458_63 Depth=1
	s_or_b32 exec_lo, exec_lo, s6
	v_mov_b32_e32 v14, 0
	s_waitcnt lgkmcnt(0)
	s_barrier
	buffer_gl0_inv
	s_and_saveexec_b32 s6, s4
	s_cbranch_execnz .LBB458_81
; %bb.70:                               ;   in Loop: Header=BB458_63 Depth=1
	s_or_b32 exec_lo, exec_lo, s6
	s_and_saveexec_b32 s6, s2
	s_cbranch_execnz .LBB458_82
.LBB458_71:                             ;   in Loop: Header=BB458_63 Depth=1
	s_or_b32 exec_lo, exec_lo, s6
	s_and_saveexec_b32 s6, s5
	s_cbranch_execz .LBB458_62
	s_branch .LBB458_83
.LBB458_72:                             ;   in Loop: Header=BB458_63 Depth=1
	s_mul_i32 s8, s17, s16
	s_ashr_i32 s9, s8, 31
	s_lshl_b64 s[8:9], s[8:9], 1
	v_add_co_u32 v1, vcc_lo, v19, s8
	v_add_co_ci_u32_e64 v2, null, s9, v20, vcc_lo
	s_waitcnt lgkmcnt(0)
	flat_load_dwordx2 v[14:15], v[1:2]
	s_clause 0x3
	flat_load_ushort v1, v[5:6]
	flat_load_ushort v2, v[7:8]
	flat_load_ushort v3, v[10:11]
	flat_load_ushort v22, v[12:13]
	s_waitcnt vmcnt(3) lgkmcnt(3)
	v_fma_mix_f32 v4, v1, v14, 0 op_sel_hi:[1,1,0]
	v_cvt_f32_f16_e32 v1, v1
	s_waitcnt vmcnt(2) lgkmcnt(2)
	v_fma_mix_f32 v4, v2, v14, v4 op_sel:[0,1,0] op_sel_hi:[1,1,0]
	v_cvt_f32_f16_e32 v2, v2
	s_waitcnt vmcnt(1) lgkmcnt(1)
	v_fma_mix_f32 v14, v3, v15, v4 op_sel_hi:[1,1,0]
	v_cvt_f32_f16_e32 v3, v3
	s_waitcnt vmcnt(0) lgkmcnt(0)
	v_cvt_f32_f16_e32 v4, v22
	v_fma_mix_f32 v22, v22, v15, v14 op_sel:[0,1,0] op_sel_hi:[1,1,0]
	s_andn2_saveexec_b32 s24, s6
	s_cbranch_execz .LBB458_65
.LBB458_73:                             ;   in Loop: Header=BB458_63 Depth=1
	s_and_saveexec_b32 s25, s1
	s_cbranch_execz .LBB458_80
; %bb.74:                               ;   in Loop: Header=BB458_63 Depth=1
	s_andn2_b32 vcc_lo, exec_lo, s12
	s_cbranch_vccnz .LBB458_77
; %bb.75:                               ;   in Loop: Header=BB458_63 Depth=1
	s_waitcnt lgkmcnt(0)
	v_mov_b32_e32 v14, v9
	s_mov_b64 s[20:21], 0
	.p2align	6
.LBB458_76:                             ;   Parent Loop BB458_63 Depth=1
                                        ; =>  This Inner Loop Header: Depth=2
	v_ashrrev_i32_e32 v15, 31, v14
	s_cmp_eq_u32 s20, 3
	v_lshlrev_b64 v[26:27], 1, v[14:15]
	v_add_nc_u32_e32 v14, s15, v14
	v_add_co_u32 v26, vcc_lo, s10, v26
	v_add_co_ci_u32_e64 v27, null, s11, v27, vcc_lo
	s_cselect_b32 vcc_lo, -1, 0
	s_cmp_eq_u32 s20, 2
	s_cselect_b32 s6, -1, 0
	flat_load_ushort v15, v[26:27]
	s_cmp_eq_u32 s20, 1
	s_cselect_b32 s8, -1, 0
	s_cmp_eq_u32 s20, 0
	s_waitcnt vmcnt(0) lgkmcnt(0)
	v_cvt_f32_f16_e32 v15, v15
	v_cndmask_b32_e32 v4, v4, v15, vcc_lo
	s_cselect_b32 vcc_lo, -1, 0
	v_cndmask_b32_e64 v3, v3, v15, s6
	v_cndmask_b32_e64 v2, v2, v15, s8
	v_cndmask_b32_e32 v1, v1, v15, vcc_lo
	s_add_u32 s20, s20, 1
	s_addc_u32 s21, s21, 0
	s_cmp_eq_u32 s27, s20
	s_cbranch_scc0 .LBB458_76
.LBB458_77:                             ;   in Loop: Header=BB458_63 Depth=1
	s_andn2_b32 vcc_lo, exec_lo, s12
	s_cbranch_vccnz .LBB458_80
; %bb.78:                               ;   in Loop: Header=BB458_63 Depth=1
	s_ashr_i32 s19, s18, 31
	s_lshl_b64 s[8:9], s[18:19], 1
	s_waitcnt lgkmcnt(0)
	v_add_co_u32 v14, vcc_lo, v19, s8
	v_add_co_ci_u32_e64 v15, null, s9, v20, vcc_lo
	s_mov_b64 s[8:9], 0
	.p2align	6
.LBB458_79:                             ;   Parent Loop BB458_63 Depth=1
                                        ; =>  This Inner Loop Header: Depth=2
	flat_load_ushort v26, v[14:15]
	s_cmp_eq_u32 s8, 1
	s_cselect_b32 vcc_lo, -1, 0
	s_cmp_eq_u32 s8, 2
	v_cndmask_b32_e32 v27, v1, v2, vcc_lo
	s_cselect_b32 vcc_lo, -1, 0
	s_cmp_eq_u32 s8, 3
	v_cndmask_b32_e32 v27, v27, v3, vcc_lo
	s_cselect_b32 vcc_lo, -1, 0
	s_add_u32 s8, s8, 1
	s_addc_u32 s9, s9, 0
	s_cmp_lg_u32 s27, s8
	v_cndmask_b32_e32 v27, v27, v4, vcc_lo
	v_add_co_u32 v14, vcc_lo, v14, 2
	v_add_co_ci_u32_e64 v15, null, 0, v15, vcc_lo
	s_waitcnt vmcnt(0) lgkmcnt(0)
	v_fma_mix_f32 v22, v27, v26, v22 op_sel_hi:[0,1,0]
	s_cbranch_scc1 .LBB458_79
.LBB458_80:                             ;   in Loop: Header=BB458_63 Depth=1
	s_or_b32 exec_lo, exec_lo, s25
	s_or_b32 exec_lo, exec_lo, s24
	s_and_saveexec_b32 s6, s2
	s_cbranch_execnz .LBB458_66
	s_branch .LBB458_67
.LBB458_81:                             ;   in Loop: Header=BB458_63 Depth=1
	ds_read_b32 v14, v16
	s_or_b32 exec_lo, exec_lo, s6
	s_and_saveexec_b32 s6, s2
	s_cbranch_execz .LBB458_71
.LBB458_82:                             ;   in Loop: Header=BB458_63 Depth=1
	s_waitcnt lgkmcnt(0)
	ds_bpermute_b32 v15, v24, v14
	s_waitcnt lgkmcnt(0)
	v_add_f32_e32 v14, v14, v15
	ds_bpermute_b32 v15, v23, v14
	s_waitcnt lgkmcnt(0)
	v_add_f32_e32 v14, v14, v15
	;; [unrolled: 3-line block ×3, first 2 shown]
	s_or_b32 exec_lo, exec_lo, s6
	s_and_saveexec_b32 s6, s5
	s_cbranch_execz .LBB458_62
.LBB458_83:                             ;   in Loop: Header=BB458_63 Depth=1
	s_mul_hi_u32 s9, s17, s14
	s_mul_i32 s8, s17, s14
	s_waitcnt lgkmcnt(0)
	v_mul_f32_e32 v14, s26, v14
	s_lshl_b64 s[8:9], s[8:9], 2
	s_add_u32 s8, s22, s8
	s_addc_u32 s9, s23, s9
	global_store_dword v0, v14, s[8:9]
	s_branch .LBB458_62
.LBB458_84:
	s_endpgm
	.section	.rodata,"a",@progbits
	.p2align	6, 0x0
	.amdhsa_kernel _ZL23rocblas_gemvt_sn_kernelILb1ELi256ELi4EiPKDF16_PKffEviiT4_lPKT3_lilS7_lilPT5_i
		.amdhsa_group_segment_fixed_size 128
		.amdhsa_private_segment_fixed_size 0
		.amdhsa_kernarg_size 360
		.amdhsa_user_sgpr_count 6
		.amdhsa_user_sgpr_private_segment_buffer 1
		.amdhsa_user_sgpr_dispatch_ptr 0
		.amdhsa_user_sgpr_queue_ptr 0
		.amdhsa_user_sgpr_kernarg_segment_ptr 1
		.amdhsa_user_sgpr_dispatch_id 0
		.amdhsa_user_sgpr_flat_scratch_init 0
		.amdhsa_user_sgpr_private_segment_size 0
		.amdhsa_wavefront_size32 1
		.amdhsa_uses_dynamic_stack 0
		.amdhsa_system_sgpr_private_segment_wavefront_offset 0
		.amdhsa_system_sgpr_workgroup_id_x 1
		.amdhsa_system_sgpr_workgroup_id_y 0
		.amdhsa_system_sgpr_workgroup_id_z 1
		.amdhsa_system_sgpr_workgroup_info 0
		.amdhsa_system_vgpr_workitem_id 0
		.amdhsa_next_free_vgpr 44
		.amdhsa_next_free_sgpr 44
		.amdhsa_reserve_vcc 1
		.amdhsa_reserve_flat_scratch 1
		.amdhsa_float_round_mode_32 0
		.amdhsa_float_round_mode_16_64 0
		.amdhsa_float_denorm_mode_32 3
		.amdhsa_float_denorm_mode_16_64 3
		.amdhsa_dx10_clamp 1
		.amdhsa_ieee_mode 1
		.amdhsa_fp16_overflow 0
		.amdhsa_workgroup_processor_mode 1
		.amdhsa_memory_ordered 1
		.amdhsa_forward_progress 1
		.amdhsa_shared_vgpr_count 0
		.amdhsa_exception_fp_ieee_invalid_op 0
		.amdhsa_exception_fp_denorm_src 0
		.amdhsa_exception_fp_ieee_div_zero 0
		.amdhsa_exception_fp_ieee_overflow 0
		.amdhsa_exception_fp_ieee_underflow 0
		.amdhsa_exception_fp_ieee_inexact 0
		.amdhsa_exception_int_div_zero 0
	.end_amdhsa_kernel
	.section	.text._ZL23rocblas_gemvt_sn_kernelILb1ELi256ELi4EiPKDF16_PKffEviiT4_lPKT3_lilS7_lilPT5_i,"axG",@progbits,_ZL23rocblas_gemvt_sn_kernelILb1ELi256ELi4EiPKDF16_PKffEviiT4_lPKT3_lilS7_lilPT5_i,comdat
.Lfunc_end458:
	.size	_ZL23rocblas_gemvt_sn_kernelILb1ELi256ELi4EiPKDF16_PKffEviiT4_lPKT3_lilS7_lilPT5_i, .Lfunc_end458-_ZL23rocblas_gemvt_sn_kernelILb1ELi256ELi4EiPKDF16_PKffEviiT4_lPKT3_lilS7_lilPT5_i
                                        ; -- End function
	.set _ZL23rocblas_gemvt_sn_kernelILb1ELi256ELi4EiPKDF16_PKffEviiT4_lPKT3_lilS7_lilPT5_i.num_vgpr, 44
	.set _ZL23rocblas_gemvt_sn_kernelILb1ELi256ELi4EiPKDF16_PKffEviiT4_lPKT3_lilS7_lilPT5_i.num_agpr, 0
	.set _ZL23rocblas_gemvt_sn_kernelILb1ELi256ELi4EiPKDF16_PKffEviiT4_lPKT3_lilS7_lilPT5_i.numbered_sgpr, 44
	.set _ZL23rocblas_gemvt_sn_kernelILb1ELi256ELi4EiPKDF16_PKffEviiT4_lPKT3_lilS7_lilPT5_i.num_named_barrier, 0
	.set _ZL23rocblas_gemvt_sn_kernelILb1ELi256ELi4EiPKDF16_PKffEviiT4_lPKT3_lilS7_lilPT5_i.private_seg_size, 0
	.set _ZL23rocblas_gemvt_sn_kernelILb1ELi256ELi4EiPKDF16_PKffEviiT4_lPKT3_lilS7_lilPT5_i.uses_vcc, 1
	.set _ZL23rocblas_gemvt_sn_kernelILb1ELi256ELi4EiPKDF16_PKffEviiT4_lPKT3_lilS7_lilPT5_i.uses_flat_scratch, 1
	.set _ZL23rocblas_gemvt_sn_kernelILb1ELi256ELi4EiPKDF16_PKffEviiT4_lPKT3_lilS7_lilPT5_i.has_dyn_sized_stack, 0
	.set _ZL23rocblas_gemvt_sn_kernelILb1ELi256ELi4EiPKDF16_PKffEviiT4_lPKT3_lilS7_lilPT5_i.has_recursion, 0
	.set _ZL23rocblas_gemvt_sn_kernelILb1ELi256ELi4EiPKDF16_PKffEviiT4_lPKT3_lilS7_lilPT5_i.has_indirect_call, 0
	.section	.AMDGPU.csdata,"",@progbits
; Kernel info:
; codeLenInByte = 4268
; TotalNumSgprs: 46
; NumVgprs: 44
; ScratchSize: 0
; MemoryBound: 0
; FloatMode: 240
; IeeeMode: 1
; LDSByteSize: 128 bytes/workgroup (compile time only)
; SGPRBlocks: 0
; VGPRBlocks: 5
; NumSGPRsForWavesPerEU: 46
; NumVGPRsForWavesPerEU: 44
; Occupancy: 16
; WaveLimiterHint : 0
; COMPUTE_PGM_RSRC2:SCRATCH_EN: 0
; COMPUTE_PGM_RSRC2:USER_SGPR: 6
; COMPUTE_PGM_RSRC2:TRAP_HANDLER: 0
; COMPUTE_PGM_RSRC2:TGID_X_EN: 1
; COMPUTE_PGM_RSRC2:TGID_Y_EN: 0
; COMPUTE_PGM_RSRC2:TGID_Z_EN: 1
; COMPUTE_PGM_RSRC2:TIDIG_COMP_CNT: 0
	.section	.text._ZL23rocblas_gemvt_sn_kernelILb1ELi256ELi4ElPKDF16_PKffEviiT4_lPKT3_lilS7_lilPT5_i,"axG",@progbits,_ZL23rocblas_gemvt_sn_kernelILb1ELi256ELi4ElPKDF16_PKffEviiT4_lPKT3_lilS7_lilPT5_i,comdat
	.globl	_ZL23rocblas_gemvt_sn_kernelILb1ELi256ELi4ElPKDF16_PKffEviiT4_lPKT3_lilS7_lilPT5_i ; -- Begin function _ZL23rocblas_gemvt_sn_kernelILb1ELi256ELi4ElPKDF16_PKffEviiT4_lPKT3_lilS7_lilPT5_i
	.p2align	8
	.type	_ZL23rocblas_gemvt_sn_kernelILb1ELi256ELi4ElPKDF16_PKffEviiT4_lPKT3_lilS7_lilPT5_i,@function
_ZL23rocblas_gemvt_sn_kernelILb1ELi256ELi4ElPKDF16_PKffEviiT4_lPKT3_lilS7_lilPT5_i: ; @_ZL23rocblas_gemvt_sn_kernelILb1ELi256ELi4ElPKDF16_PKffEviiT4_lPKT3_lilS7_lilPT5_i
; %bb.0:
	s_load_dwordx8 s[8:15], s[4:5], 0x8
	s_mov_b32 s0, s7
	s_mov_b64 s[18:19], 0
	s_mov_b64 s[16:17], 0
	s_waitcnt lgkmcnt(0)
	s_mul_i32 s1, s11, s7
	s_mul_hi_u32 s2, s10, s7
	s_add_i32 s3, s2, s1
	s_mul_i32 s2, s10, s7
	s_mov_b32 s1, 0
	s_lshl_b64 s[2:3], s[2:3], 2
	s_add_u32 s2, s8, s2
	s_addc_u32 s3, s9, s3
	s_load_dword s33, s[2:3], 0x0
	s_waitcnt lgkmcnt(0)
	v_cmp_eq_f32_e64 s2, s33, 0
	v_cmp_neq_f32_e64 s3, s33, 0
	s_and_b32 vcc_lo, exec_lo, s2
	s_cbranch_vccnz .LBB459_2
; %bb.1:
	s_lshl_b64 s[8:9], s[0:1], 3
	s_add_u32 s8, s12, s8
	s_addc_u32 s9, s13, s9
	s_lshl_b64 s[10:11], s[14:15], 1
	s_load_dwordx2 s[8:9], s[8:9], 0x0
	s_waitcnt lgkmcnt(0)
	s_add_u32 s16, s8, s10
	s_addc_u32 s17, s9, s11
.LBB459_2:
	s_andn2_b32 vcc_lo, exec_lo, s3
	s_cbranch_vccnz .LBB459_4
; %bb.3:
	s_load_dwordx4 s[8:11], s[4:5], 0x38
	s_lshl_b64 s[12:13], s[0:1], 3
	s_waitcnt lgkmcnt(0)
	s_add_u32 s8, s8, s12
	s_addc_u32 s9, s9, s13
	s_lshl_b64 s[10:11], s[10:11], 1
	s_load_dwordx2 s[8:9], s[8:9], 0x0
	s_waitcnt lgkmcnt(0)
	s_add_u32 s18, s8, s10
	s_addc_u32 s19, s9, s11
.LBB459_4:
	s_clause 0x2
	s_load_dwordx2 s[10:11], s[4:5], 0x0
	s_load_dword s12, s[4:5], 0x68
	s_load_dwordx2 s[14:15], s[4:5], 0x58
	s_mov_b32 s13, 0
	s_waitcnt lgkmcnt(0)
	s_ashr_i32 s8, s11, 31
	s_mul_hi_u32 s1, s11, s0
	s_mul_i32 s3, s8, s0
	s_mul_i32 s0, s11, s0
	s_add_i32 s1, s1, s3
	s_mul_hi_u32 s3, s0, s12
	s_mul_i32 s1, s1, s12
	s_mul_i32 s0, s0, s12
	s_add_i32 s1, s3, s1
	s_lshl_b64 s[0:1], s[0:1], 2
	s_add_u32 s34, s14, s0
	s_addc_u32 s35, s15, s1
	s_andn2_b32 vcc_lo, exec_lo, s2
	s_mov_b32 s0, -1
	s_cbranch_vccnz .LBB459_9
; %bb.5:
	v_cmp_eq_u32_e32 vcc_lo, 0, v0
	s_cmp_gt_i32 s11, 0
	s_cselect_b32 s0, -1, 0
	s_and_b32 s0, vcc_lo, s0
	s_and_saveexec_b32 s9, s0
	s_cbranch_execz .LBB459_8
; %bb.6:
	s_mov_b32 s7, 0
	v_mov_b32_e32 v1, 0
	s_lshl_b64 s[0:1], s[6:7], 2
	s_mov_b32 s7, s11
	s_add_u32 s0, s34, s0
	s_addc_u32 s1, s35, s1
	s_lshl_b64 s[2:3], s[12:13], 2
.LBB459_7:                              ; =>This Inner Loop Header: Depth=1
	s_add_i32 s7, s7, -1
	global_store_dword v1, v1, s[0:1]
	s_add_u32 s0, s0, s2
	s_addc_u32 s1, s1, s3
	s_cmp_eq_u32 s7, 0
	s_cbranch_scc0 .LBB459_7
.LBB459_8:
	s_or_b32 exec_lo, exec_lo, s9
	s_mov_b32 s0, 0
.LBB459_9:
	s_andn2_b32 vcc_lo, exec_lo, s0
	s_cbranch_vccnz .LBB459_84
; %bb.10:
	s_lshl_b32 s0, s6, 10
	s_clause 0x1
	s_load_dword s14, s[4:5], 0x28
	s_load_dword s20, s[4:5], 0x48
	v_lshl_or_b32 v13, v0, 2, s0
	s_ashr_i32 s0, s10, 31
	s_lshr_b32 s1, s8, 30
	s_lshr_b32 s0, s0, 30
	s_add_i32 s1, s11, s1
	v_ashrrev_i32_e32 v14, 31, v13
	s_add_i32 s0, s10, s0
	s_and_b32 s36, s1, -4
	s_and_b32 s0, s0, -4
	v_add_nc_u32_e32 v30, 4, v13
	v_lshlrev_b64 v[11:12], 1, v[13:14]
	s_sub_i32 s13, s10, s0
	v_and_b32_e32 v27, 31, v0
	v_add_nc_u32_e32 v31, s13, v13
	v_cmp_gt_u32_e64 s0, 32, v0
	v_mbcnt_lo_u32_b32 v29, -1, 0
	v_add_co_u32 v9, vcc_lo, s16, v11
	v_add_co_ci_u32_e64 v10, null, s17, v12, vcc_lo
	v_cmp_gt_u32_e64 s1, 8, v0
	v_lshrrev_b32_e32 v28, 3, v0
	v_cmp_eq_u32_e64 s2, 0, v0
	v_or_b32_e32 v26, 1, v13
	v_or_b32_e32 v25, 2, v13
	;; [unrolled: 1-line block ×3, first 2 shown]
	s_waitcnt lgkmcnt(0)
	s_ashr_i32 s15, s14, 31
	s_ashr_i32 s21, s20, 31
	s_cmp_lt_i32 s36, 1
	s_cbranch_scc1 .LBB459_59
; %bb.11:
	v_cmp_gt_u32_e32 vcc_lo, 24, v29
	v_mad_i64_i32 v[5:6], null, s20, v25, 0
	v_mad_i64_i32 v[7:8], null, s20, v24, 0
	v_cndmask_b32_e64 v1, 0, 8, vcc_lo
	v_cmp_gt_u32_e32 vcc_lo, 28, v29
	s_cmp_gt_i32 s13, 0
	s_mov_b32 s7, 0
	v_mov_b32_e32 v23, v10
	v_add_lshl_u32 v33, v1, v29, 2
	v_cndmask_b32_e64 v2, 0, 4, vcc_lo
	v_cmp_gt_u32_e32 vcc_lo, 30, v29
	v_cmp_ge_i32_e64 s3, s10, v30
	v_cmp_ge_i32_e64 s4, s10, v31
	s_cselect_b32 s37, -1, 0
	v_add_lshl_u32 v34, v2, v29, 2
	v_cndmask_b32_e64 v3, 0, 2, vcc_lo
	v_cmp_ne_u32_e32 vcc_lo, 31, v29
	v_mad_i64_i32 v[1:2], null, s20, v13, 0
	v_lshl_or_b32 v32, v29, 2, 64
	v_add_lshl_u32 v35, v3, v29, 2
	v_add_co_ci_u32_e64 v4, null, 0, v29, vcc_lo
	v_cmp_eq_u32_e64 s5, 0, v27
	v_lshlrev_b32_e32 v37, 2, v27
	v_lshlrev_b64 v[1:2], 1, v[1:2]
	v_lshlrev_b32_e32 v36, 2, v4
	v_mad_i64_i32 v[3:4], null, s20, v26, 0
	s_lshl_b64 s[8:9], s[6:7], 2
	v_and_b32_e32 v38, 28, v28
	v_add_co_u32 v14, vcc_lo, s18, v1
	v_add_co_ci_u32_e64 v15, null, s19, v2, vcc_lo
	v_lshlrev_b64 v[3:4], 1, v[3:4]
	v_lshlrev_b64 v[1:2], 1, v[5:6]
	v_mov_b32_e32 v5, 0
	v_mov_b32_e32 v22, v9
	s_add_u32 s38, s34, s8
	s_addc_u32 s39, s35, s9
	v_add_co_u32 v16, vcc_lo, s18, v3
	v_add_co_ci_u32_e64 v17, null, s19, v4, vcc_lo
	v_lshlrev_b64 v[3:4], 1, v[7:8]
	v_add_co_u32 v18, vcc_lo, s18, v1
	v_mov_b32_e32 v6, v5
	v_mov_b32_e32 v7, v5
	;; [unrolled: 1-line block ×3, first 2 shown]
	v_add_co_ci_u32_e64 v19, null, s19, v2, vcc_lo
	v_add_co_u32 v20, vcc_lo, s18, v3
	v_add_co_ci_u32_e64 v21, null, s19, v4, vcc_lo
	v_mov_b32_e32 v1, v5
	v_mov_b32_e32 v2, v6
	;; [unrolled: 1-line block ×4, first 2 shown]
	s_lshl_b64 s[22:23], s[20:21], 1
	s_mul_hi_i32 s40, s14, 6
	s_mul_i32 s41, s14, 6
	s_lshl_b64 s[24:25], s[14:15], 3
	s_lshl_b64 s[26:27], s[14:15], 2
	;; [unrolled: 1-line block ×3, first 2 shown]
	s_branch .LBB459_13
.LBB459_12:                             ;   in Loop: Header=BB459_13 Depth=1
	s_or_b32 exec_lo, exec_lo, s8
	v_add_co_u32 v22, vcc_lo, v22, s24
	v_add_co_ci_u32_e64 v23, null, s25, v23, vcc_lo
	s_add_i32 s7, s7, 4
	s_cmp_ge_i32 s7, s36
	s_cbranch_scc1 .LBB459_60
.LBB459_13:                             ; =>This Loop Header: Depth=1
                                        ;     Child Loop BB459_44 Depth 2
                                        ;     Child Loop BB459_47 Depth 2
                                        ; implicit-def: $vgpr8
                                        ; implicit-def: $vgpr39
                                        ; implicit-def: $vgpr40
                                        ; implicit-def: $vgpr41
	s_and_saveexec_b32 s8, s3
	s_xor_b32 s8, exec_lo, s8
	s_cbranch_execnz .LBB459_40
; %bb.14:                               ;   in Loop: Header=BB459_13 Depth=1
	s_andn2_saveexec_b32 s42, s8
	s_cbranch_execnz .LBB459_41
.LBB459_15:                             ;   in Loop: Header=BB459_13 Depth=1
	s_or_b32 exec_lo, exec_lo, s42
	s_and_saveexec_b32 s8, s0
.LBB459_16:                             ;   in Loop: Header=BB459_13 Depth=1
	ds_write_b32 v37, v5
.LBB459_17:                             ;   in Loop: Header=BB459_13 Depth=1
	s_or_b32 exec_lo, exec_lo, s8
	ds_bpermute_b32 v6, v32, v41
	s_waitcnt lgkmcnt(0)
	s_waitcnt_vscnt null, 0x0
	s_barrier
	buffer_gl0_inv
	v_add_f32_e32 v6, v41, v6
	ds_bpermute_b32 v7, v33, v6
	s_waitcnt lgkmcnt(0)
	v_add_f32_e32 v6, v6, v7
	ds_bpermute_b32 v7, v34, v6
	s_waitcnt lgkmcnt(0)
	;; [unrolled: 3-line block ×3, first 2 shown]
	v_add_f32_e32 v6, v6, v7
	ds_bpermute_b32 v7, v36, v6
	s_and_saveexec_b32 s8, s5
	s_cbranch_execz .LBB459_19
; %bb.18:                               ;   in Loop: Header=BB459_13 Depth=1
	s_waitcnt lgkmcnt(0)
	v_add_f32_e32 v6, v6, v7
	ds_write_b32 v38, v6
.LBB459_19:                             ;   in Loop: Header=BB459_13 Depth=1
	s_or_b32 exec_lo, exec_lo, s8
	v_mov_b32_e32 v6, 0
	s_waitcnt lgkmcnt(0)
	s_barrier
	buffer_gl0_inv
	s_and_saveexec_b32 s8, s1
	s_cbranch_execnz .LBB459_48
; %bb.20:                               ;   in Loop: Header=BB459_13 Depth=1
	s_or_b32 exec_lo, exec_lo, s8
	s_and_saveexec_b32 s8, s0
	s_cbranch_execnz .LBB459_49
.LBB459_21:                             ;   in Loop: Header=BB459_13 Depth=1
	s_or_b32 exec_lo, exec_lo, s8
	s_and_saveexec_b32 s8, s0
.LBB459_22:                             ;   in Loop: Header=BB459_13 Depth=1
	ds_write_b32 v37, v5
.LBB459_23:                             ;   in Loop: Header=BB459_13 Depth=1
	s_or_b32 exec_lo, exec_lo, s8
	ds_bpermute_b32 v7, v32, v40
	s_waitcnt lgkmcnt(0)
	s_barrier
	buffer_gl0_inv
	v_add_f32_e32 v7, v40, v7
	ds_bpermute_b32 v40, v33, v7
	s_waitcnt lgkmcnt(0)
	v_add_f32_e32 v7, v7, v40
	ds_bpermute_b32 v40, v34, v7
	s_waitcnt lgkmcnt(0)
	;; [unrolled: 3-line block ×3, first 2 shown]
	v_add_f32_e32 v7, v7, v40
	ds_bpermute_b32 v40, v36, v7
	s_and_saveexec_b32 s8, s5
	s_cbranch_execz .LBB459_25
; %bb.24:                               ;   in Loop: Header=BB459_13 Depth=1
	s_waitcnt lgkmcnt(0)
	v_add_f32_e32 v7, v7, v40
	ds_write_b32 v38, v7
.LBB459_25:                             ;   in Loop: Header=BB459_13 Depth=1
	s_or_b32 exec_lo, exec_lo, s8
	v_mov_b32_e32 v7, 0
	s_waitcnt lgkmcnt(0)
	s_barrier
	buffer_gl0_inv
	s_and_saveexec_b32 s8, s1
	s_cbranch_execnz .LBB459_50
; %bb.26:                               ;   in Loop: Header=BB459_13 Depth=1
	s_or_b32 exec_lo, exec_lo, s8
	s_and_saveexec_b32 s8, s0
	s_cbranch_execnz .LBB459_51
.LBB459_27:                             ;   in Loop: Header=BB459_13 Depth=1
	s_or_b32 exec_lo, exec_lo, s8
	s_and_saveexec_b32 s8, s0
.LBB459_28:                             ;   in Loop: Header=BB459_13 Depth=1
	ds_write_b32 v37, v5
.LBB459_29:                             ;   in Loop: Header=BB459_13 Depth=1
	s_or_b32 exec_lo, exec_lo, s8
	ds_bpermute_b32 v40, v32, v39
	s_waitcnt lgkmcnt(0)
	s_barrier
	buffer_gl0_inv
	v_add_f32_e32 v39, v39, v40
	ds_bpermute_b32 v40, v33, v39
	s_waitcnt lgkmcnt(0)
	v_add_f32_e32 v39, v39, v40
	ds_bpermute_b32 v40, v34, v39
	s_waitcnt lgkmcnt(0)
	;; [unrolled: 3-line block ×3, first 2 shown]
	v_add_f32_e32 v39, v39, v40
	ds_bpermute_b32 v40, v36, v39
	s_and_saveexec_b32 s8, s5
	s_cbranch_execz .LBB459_31
; %bb.30:                               ;   in Loop: Header=BB459_13 Depth=1
	s_waitcnt lgkmcnt(0)
	v_add_f32_e32 v39, v39, v40
	ds_write_b32 v38, v39
.LBB459_31:                             ;   in Loop: Header=BB459_13 Depth=1
	s_or_b32 exec_lo, exec_lo, s8
	v_mov_b32_e32 v39, 0
	s_waitcnt lgkmcnt(0)
	s_barrier
	buffer_gl0_inv
	s_and_saveexec_b32 s8, s1
	s_cbranch_execnz .LBB459_52
; %bb.32:                               ;   in Loop: Header=BB459_13 Depth=1
	s_or_b32 exec_lo, exec_lo, s8
	s_and_saveexec_b32 s8, s0
	s_cbranch_execnz .LBB459_53
.LBB459_33:                             ;   in Loop: Header=BB459_13 Depth=1
	s_or_b32 exec_lo, exec_lo, s8
	s_and_saveexec_b32 s8, s0
.LBB459_34:                             ;   in Loop: Header=BB459_13 Depth=1
	ds_write_b32 v37, v5
.LBB459_35:                             ;   in Loop: Header=BB459_13 Depth=1
	s_or_b32 exec_lo, exec_lo, s8
	ds_bpermute_b32 v40, v32, v8
	s_waitcnt lgkmcnt(0)
	s_barrier
	buffer_gl0_inv
	v_add_f32_e32 v8, v8, v40
	ds_bpermute_b32 v40, v33, v8
	s_waitcnt lgkmcnt(0)
	v_add_f32_e32 v8, v8, v40
	ds_bpermute_b32 v40, v34, v8
	s_waitcnt lgkmcnt(0)
	;; [unrolled: 3-line block ×3, first 2 shown]
	v_add_f32_e32 v8, v8, v40
	ds_bpermute_b32 v40, v36, v8
	s_and_saveexec_b32 s8, s5
	s_cbranch_execz .LBB459_37
; %bb.36:                               ;   in Loop: Header=BB459_13 Depth=1
	s_waitcnt lgkmcnt(0)
	v_add_f32_e32 v8, v8, v40
	ds_write_b32 v38, v8
.LBB459_37:                             ;   in Loop: Header=BB459_13 Depth=1
	s_or_b32 exec_lo, exec_lo, s8
	v_mov_b32_e32 v8, 0
	s_waitcnt lgkmcnt(0)
	s_barrier
	buffer_gl0_inv
	s_and_saveexec_b32 s8, s1
	s_cbranch_execnz .LBB459_54
; %bb.38:                               ;   in Loop: Header=BB459_13 Depth=1
	s_or_b32 exec_lo, exec_lo, s8
	s_and_saveexec_b32 s8, s0
	s_cbranch_execnz .LBB459_55
.LBB459_39:                             ;   in Loop: Header=BB459_13 Depth=1
	s_or_b32 exec_lo, exec_lo, s8
	s_and_saveexec_b32 s8, s2
	s_cbranch_execz .LBB459_12
	s_branch .LBB459_56
.LBB459_40:                             ;   in Loop: Header=BB459_13 Depth=1
	s_mul_i32 s9, s7, s15
	s_mul_hi_u32 s30, s7, s14
	s_add_i32 s31, s30, s9
	s_mul_i32 s30, s7, s14
	s_or_b32 s9, s7, 1
	s_lshl_b64 s[30:31], s[30:31], 1
	s_mul_i32 s42, s9, s15
	s_mul_hi_u32 s43, s9, s14
	v_add_co_u32 v1, vcc_lo, v9, s30
	v_add_co_ci_u32_e64 v2, null, s31, v10, vcc_lo
	s_add_i32 s31, s43, s42
	s_mul_i32 s30, s9, s14
	s_or_b32 s9, s7, 2
	s_lshl_b64 s[30:31], s[30:31], 1
	s_mul_i32 s42, s9, s15
	s_mul_hi_u32 s43, s9, s14
	v_add_co_u32 v3, vcc_lo, v9, s30
	v_add_co_ci_u32_e64 v4, null, s31, v10, vcc_lo
	s_add_i32 s31, s43, s42
	s_or_b32 s42, s7, 3
	s_mul_i32 s30, s9, s14
	s_mul_i32 s9, s42, s15
	s_mul_hi_u32 s43, s42, s14
	s_lshl_b64 s[30:31], s[30:31], 1
	s_add_i32 s43, s43, s9
	s_mul_i32 s42, s42, s14
	v_add_co_u32 v6, vcc_lo, v9, s30
	v_add_co_ci_u32_e64 v7, null, s31, v10, vcc_lo
	s_lshl_b64 s[30:31], s[42:43], 1
	v_add_co_u32 v39, vcc_lo, v9, s30
	v_add_co_ci_u32_e64 v40, null, s31, v10, vcc_lo
	s_waitcnt lgkmcnt(0)
	flat_load_ushort v8, v[14:15]
	s_clause 0x3
	flat_load_dwordx2 v[41:42], v[1:2]
	flat_load_dwordx2 v[43:44], v[3:4]
	;; [unrolled: 1-line block ×4, first 2 shown]
	s_clause 0x2
	flat_load_ushort v3, v[16:17]
	flat_load_ushort v4, v[18:19]
	;; [unrolled: 1-line block ×3, first 2 shown]
	s_waitcnt vmcnt(7) lgkmcnt(7)
	v_cvt_f32_f16_e32 v1, v8
	s_waitcnt vmcnt(6) lgkmcnt(6)
	v_fma_mix_f32 v39, v8, v41, 0 op_sel_hi:[1,1,0]
	s_waitcnt vmcnt(5) lgkmcnt(5)
	v_fma_mix_f32 v40, v8, v43, 0 op_sel_hi:[1,1,0]
	;; [unrolled: 2-line block ×4, first 2 shown]
	s_waitcnt vmcnt(2) lgkmcnt(2)
	v_cvt_f32_f16_e32 v2, v3
	v_fma_mix_f32 v39, v3, v41, v39 op_sel:[0,1,0] op_sel_hi:[1,1,0]
	v_fma_mix_f32 v40, v3, v43, v40 op_sel:[0,1,0] op_sel_hi:[1,1,0]
	;; [unrolled: 1-line block ×4, first 2 shown]
	s_waitcnt vmcnt(1) lgkmcnt(1)
	v_cvt_f32_f16_e32 v3, v4
	v_fma_mix_f32 v39, v4, v42, v39 op_sel_hi:[1,1,0]
	v_fma_mix_f32 v40, v4, v44, v40 op_sel_hi:[1,1,0]
	;; [unrolled: 1-line block ×4, first 2 shown]
	s_waitcnt vmcnt(0) lgkmcnt(0)
	v_cvt_f32_f16_e32 v4, v47
	v_fma_mix_f32 v41, v47, v42, v39 op_sel:[0,1,0] op_sel_hi:[1,1,0]
	v_fma_mix_f32 v40, v47, v44, v40 op_sel:[0,1,0] op_sel_hi:[1,1,0]
	;; [unrolled: 1-line block ×4, first 2 shown]
	s_andn2_saveexec_b32 s42, s8
	s_cbranch_execz .LBB459_15
.LBB459_41:                             ;   in Loop: Header=BB459_13 Depth=1
	s_waitcnt lgkmcnt(0)
	v_mov_b32_e32 v8, 0
	v_mov_b32_e32 v39, 0
	;; [unrolled: 1-line block ×4, first 2 shown]
	s_and_saveexec_b32 s43, s4
	s_cbranch_execz .LBB459_58
; %bb.42:                               ;   in Loop: Header=BB459_13 Depth=1
	s_andn2_b32 vcc_lo, exec_lo, s37
	s_cbranch_vccnz .LBB459_45
; %bb.43:                               ;   in Loop: Header=BB459_13 Depth=1
	v_mov_b32_e32 v6, v14
	v_mov_b32_e32 v7, v15
	s_mov_b64 s[30:31], 0
	.p2align	6
.LBB459_44:                             ;   Parent Loop BB459_13 Depth=1
                                        ; =>  This Inner Loop Header: Depth=2
	flat_load_ushort v8, v[6:7]
	s_cmp_eq_u32 s30, 3
	v_add_co_u32 v6, vcc_lo, v6, s22
	v_add_co_ci_u32_e64 v7, null, s23, v7, vcc_lo
	s_cselect_b32 vcc_lo, -1, 0
	s_cmp_eq_u32 s30, 2
	s_cselect_b32 s8, -1, 0
	s_cmp_eq_u32 s30, 1
	s_cselect_b32 s9, -1, 0
	s_cmp_eq_u32 s30, 0
	s_waitcnt vmcnt(0) lgkmcnt(0)
	v_cvt_f32_f16_e32 v8, v8
	v_cndmask_b32_e32 v4, v4, v8, vcc_lo
	s_cselect_b32 vcc_lo, -1, 0
	v_cndmask_b32_e64 v3, v3, v8, s8
	v_cndmask_b32_e64 v2, v2, v8, s9
	v_cndmask_b32_e32 v1, v1, v8, vcc_lo
	s_add_u32 s30, s30, 1
	s_addc_u32 s31, s31, 0
	s_cmp_eq_u32 s13, s30
	s_cbranch_scc0 .LBB459_44
.LBB459_45:                             ;   in Loop: Header=BB459_13 Depth=1
	s_andn2_b32 vcc_lo, exec_lo, s37
	s_cbranch_vccnz .LBB459_57
; %bb.46:                               ;   in Loop: Header=BB459_13 Depth=1
	v_mov_b32_e32 v6, v22
	v_mov_b32_e32 v41, 0
	;; [unrolled: 1-line block ×6, first 2 shown]
	s_mov_b64 s[30:31], 0
	s_inst_prefetch 0x1
	.p2align	6
.LBB459_47:                             ;   Parent Loop BB459_13 Depth=1
                                        ; =>  This Inner Loop Header: Depth=2
	v_add_co_u32 v42, vcc_lo, v6, s28
	v_add_co_ci_u32_e64 v43, null, s29, v7, vcc_lo
	v_add_co_u32 v44, vcc_lo, v6, s26
	v_add_co_ci_u32_e64 v45, null, s27, v7, vcc_lo
	;; [unrolled: 2-line block ×3, first 2 shown]
	s_clause 0x3
	flat_load_ushort v48, v[6:7]
	flat_load_ushort v42, v[42:43]
	flat_load_ushort v43, v[44:45]
	flat_load_ushort v44, v[46:47]
	s_cmp_eq_u32 s30, 1
	v_add_co_u32 v6, s8, v6, 2
	s_cselect_b32 vcc_lo, -1, 0
	s_cmp_eq_u32 s30, 2
	v_cndmask_b32_e32 v45, v1, v2, vcc_lo
	s_cselect_b32 vcc_lo, -1, 0
	s_cmp_eq_u32 s30, 3
	v_add_co_ci_u32_e64 v7, null, 0, v7, s8
	v_cndmask_b32_e32 v45, v45, v3, vcc_lo
	s_cselect_b32 vcc_lo, -1, 0
	s_add_u32 s30, s30, 1
	s_addc_u32 s31, s31, 0
	s_cmp_lg_u32 s13, s30
	v_cndmask_b32_e32 v45, v45, v4, vcc_lo
	s_waitcnt vmcnt(3) lgkmcnt(3)
	v_fma_mix_f32 v41, v45, v48, v41 op_sel_hi:[0,1,0]
	s_waitcnt vmcnt(2) lgkmcnt(2)
	v_fma_mix_f32 v40, v45, v42, v40 op_sel_hi:[0,1,0]
	;; [unrolled: 2-line block ×4, first 2 shown]
	s_cbranch_scc1 .LBB459_47
	s_branch .LBB459_58
.LBB459_48:                             ;   in Loop: Header=BB459_13 Depth=1
	ds_read_b32 v6, v37
	s_or_b32 exec_lo, exec_lo, s8
	s_and_saveexec_b32 s8, s0
	s_cbranch_execz .LBB459_21
.LBB459_49:                             ;   in Loop: Header=BB459_13 Depth=1
	s_waitcnt lgkmcnt(0)
	ds_bpermute_b32 v7, v34, v6
	s_waitcnt lgkmcnt(0)
	v_add_f32_e32 v6, v6, v7
	ds_bpermute_b32 v7, v35, v6
	s_waitcnt lgkmcnt(0)
	v_add_f32_e32 v6, v6, v7
	;; [unrolled: 3-line block ×3, first 2 shown]
	s_or_b32 exec_lo, exec_lo, s8
	s_and_saveexec_b32 s8, s0
	s_cbranch_execnz .LBB459_22
	s_branch .LBB459_23
.LBB459_50:                             ;   in Loop: Header=BB459_13 Depth=1
	ds_read_b32 v7, v37
	s_or_b32 exec_lo, exec_lo, s8
	s_and_saveexec_b32 s8, s0
	s_cbranch_execz .LBB459_27
.LBB459_51:                             ;   in Loop: Header=BB459_13 Depth=1
	s_waitcnt lgkmcnt(0)
	ds_bpermute_b32 v40, v34, v7
	s_waitcnt lgkmcnt(0)
	v_add_f32_e32 v7, v7, v40
	ds_bpermute_b32 v40, v35, v7
	s_waitcnt lgkmcnt(0)
	v_add_f32_e32 v7, v7, v40
	;; [unrolled: 3-line block ×3, first 2 shown]
	s_or_b32 exec_lo, exec_lo, s8
	s_and_saveexec_b32 s8, s0
	s_cbranch_execnz .LBB459_28
	s_branch .LBB459_29
.LBB459_52:                             ;   in Loop: Header=BB459_13 Depth=1
	ds_read_b32 v39, v37
	s_or_b32 exec_lo, exec_lo, s8
	s_and_saveexec_b32 s8, s0
	s_cbranch_execz .LBB459_33
.LBB459_53:                             ;   in Loop: Header=BB459_13 Depth=1
	s_waitcnt lgkmcnt(0)
	ds_bpermute_b32 v40, v34, v39
	s_waitcnt lgkmcnt(0)
	v_add_f32_e32 v39, v39, v40
	ds_bpermute_b32 v40, v35, v39
	s_waitcnt lgkmcnt(0)
	v_add_f32_e32 v39, v39, v40
	;; [unrolled: 3-line block ×3, first 2 shown]
	s_or_b32 exec_lo, exec_lo, s8
	s_and_saveexec_b32 s8, s0
	s_cbranch_execnz .LBB459_34
	s_branch .LBB459_35
.LBB459_54:                             ;   in Loop: Header=BB459_13 Depth=1
	ds_read_b32 v8, v37
	s_or_b32 exec_lo, exec_lo, s8
	s_and_saveexec_b32 s8, s0
	s_cbranch_execz .LBB459_39
.LBB459_55:                             ;   in Loop: Header=BB459_13 Depth=1
	s_waitcnt lgkmcnt(0)
	ds_bpermute_b32 v40, v34, v8
	s_waitcnt lgkmcnt(0)
	v_add_f32_e32 v8, v8, v40
	ds_bpermute_b32 v40, v35, v8
	s_waitcnt lgkmcnt(0)
	v_add_f32_e32 v8, v8, v40
	;; [unrolled: 3-line block ×3, first 2 shown]
	s_or_b32 exec_lo, exec_lo, s8
	s_and_saveexec_b32 s8, s2
	s_cbranch_execz .LBB459_12
.LBB459_56:                             ;   in Loop: Header=BB459_13 Depth=1
	s_mul_hi_u32 s31, s7, s12
	s_mul_i32 s30, s7, s12
	v_mul_f32_e32 v6, s33, v6
	s_lshl_b64 s[30:31], s[30:31], 2
	v_mul_f32_e32 v7, s33, v7
	s_add_u32 s30, s38, s30
	s_addc_u32 s31, s39, s31
	s_or_b32 s9, s7, 1
	global_store_dword v5, v6, s[30:31]
	s_mul_hi_u32 s43, s9, s12
	s_mul_i32 s42, s9, s12
	v_mul_f32_e32 v6, s33, v39
	s_lshl_b64 s[42:43], s[42:43], 2
	s_waitcnt lgkmcnt(0)
	v_mul_f32_e32 v8, s33, v8
	s_add_u32 s42, s38, s42
	s_addc_u32 s43, s39, s43
	s_or_b32 s9, s7, 2
	global_store_dword v5, v7, s[42:43]
	s_mul_hi_u32 s45, s9, s12
	s_mul_i32 s44, s9, s12
	s_lshl_b64 s[44:45], s[44:45], 2
	s_add_u32 s30, s38, s44
	s_addc_u32 s31, s39, s45
	s_or_b32 s9, s7, 3
	s_mul_hi_u32 s45, s9, s12
	s_mul_i32 s44, s9, s12
	s_lshl_b64 s[44:45], s[44:45], 2
	s_add_u32 s42, s38, s44
	s_addc_u32 s43, s39, s45
	global_store_dword v5, v6, s[30:31]
	global_store_dword v5, v8, s[42:43]
	s_branch .LBB459_12
.LBB459_57:                             ;   in Loop: Header=BB459_13 Depth=1
	v_mov_b32_e32 v8, 0
	v_mov_b32_e32 v39, 0
	;; [unrolled: 1-line block ×4, first 2 shown]
.LBB459_58:                             ;   in Loop: Header=BB459_13 Depth=1
	s_inst_prefetch 0x2
	s_or_b32 exec_lo, exec_lo, s43
	s_or_b32 exec_lo, exec_lo, s42
	s_and_saveexec_b32 s8, s0
	s_cbranch_execnz .LBB459_16
	s_branch .LBB459_17
.LBB459_59:
	v_mov_b32_e32 v1, 0
	s_mov_b32 s7, 0
	v_mov_b32_e32 v2, v1
	v_mov_b32_e32 v3, v1
	;; [unrolled: 1-line block ×3, first 2 shown]
.LBB459_60:
	s_cmp_ge_i32 s7, s11
	s_cbranch_scc1 .LBB459_84
; %bb.61:
	v_cmp_gt_u32_e32 vcc_lo, 24, v29
	v_lshl_or_b32 v20, v29, 2, 64
	v_mad_i64_i32 v[15:16], null, s20, v24, 0
	s_cmp_gt_i32 s13, 0
	v_cndmask_b32_e64 v5, 0, 8, vcc_lo
	v_cmp_gt_u32_e32 vcc_lo, 28, v29
	s_mov_b32 s9, 0
	s_mov_b32 s8, s6
	v_cmp_ge_i32_e64 s0, s10, v30
	v_add_lshl_u32 v21, v5, v29, 2
	v_cndmask_b32_e64 v6, 0, 4, vcc_lo
	v_cmp_gt_u32_e32 vcc_lo, 30, v29
	v_lshlrev_b64 v[15:16], 1, v[15:16]
	v_cmp_ge_i32_e64 s1, s10, v31
	s_cselect_b32 s10, -1, 0
	v_add_lshl_u32 v22, v6, v29, 2
	v_cndmask_b32_e64 v7, 0, 2, vcc_lo
	v_cmp_ne_u32_e32 vcc_lo, 31, v29
	v_mad_i64_i32 v[5:6], null, s20, v13, 0
	v_mad_i64_i32 v[13:14], null, s20, v25, 0
	s_waitcnt lgkmcnt(0)
	v_add_co_ci_u32_e64 v8, null, 0, v29, vcc_lo
	v_add_lshl_u32 v23, v7, v29, 2
	s_lshl_b64 s[22:23], s[8:9], 2
	v_lshlrev_b64 v[5:6], 1, v[5:6]
	v_lshlrev_b32_e32 v29, 2, v8
	v_mad_i64_i32 v[7:8], null, s20, v26, 0
	v_lshlrev_b64 v[13:14], 1, v[13:14]
	s_mul_i32 s6, s15, s7
	v_add_co_u32 v5, vcc_lo, s18, v5
	v_add_co_ci_u32_e64 v6, null, s19, v6, vcc_lo
	v_lshlrev_b64 v[7:8], 1, v[7:8]
	s_mul_hi_u32 s8, s14, s7
	s_add_u32 s22, s34, s22
	s_addc_u32 s23, s35, s23
	s_add_i32 s25, s8, s6
	s_mul_i32 s24, s14, s7
	v_add_co_u32 v7, vcc_lo, s18, v7
	v_add_co_ci_u32_e64 v8, null, s19, v8, vcc_lo
	v_add_co_u32 v13, vcc_lo, s18, v13
	v_add_co_ci_u32_e64 v14, null, s19, v14, vcc_lo
	v_add_co_u32 v15, vcc_lo, s18, v15
	s_lshl_b64 s[24:25], s[24:25], 1
	v_add_co_ci_u32_e64 v16, null, s19, v16, vcc_lo
	s_lshl_b64 s[18:19], s[20:21], 1
	s_add_u32 s6, s16, s24
	s_addc_u32 s8, s17, s25
	v_add_co_u32 v11, vcc_lo, s6, v11
	v_cmp_gt_u32_e64 s2, 32, v0
	v_lshlrev_b32_e32 v19, 2, v27
	v_cmp_eq_u32_e64 s3, 0, v27
	v_and_b32_e32 v27, 28, v28
	v_cmp_gt_u32_e64 s4, 8, v0
	v_cmp_eq_u32_e64 s5, 0, v0
	v_add_co_ci_u32_e64 v12, null, s8, v12, vcc_lo
	v_mov_b32_e32 v0, 0
	s_lshl_b64 s[16:17], s[14:15], 1
	s_branch .LBB459_63
.LBB459_62:                             ;   in Loop: Header=BB459_63 Depth=1
	s_or_b32 exec_lo, exec_lo, s6
	v_add_co_u32 v11, vcc_lo, v11, s16
	v_add_co_ci_u32_e64 v12, null, s17, v12, vcc_lo
	s_add_i32 s7, s7, 1
	s_cmp_ge_i32 s7, s11
	s_cbranch_scc1 .LBB459_84
.LBB459_63:                             ; =>This Loop Header: Depth=1
                                        ;     Child Loop BB459_76 Depth 2
                                        ;     Child Loop BB459_79 Depth 2
	v_mov_b32_e32 v24, s9
	s_and_saveexec_b32 s6, s0
	s_xor_b32 s6, exec_lo, s6
	s_cbranch_execnz .LBB459_72
; %bb.64:                               ;   in Loop: Header=BB459_63 Depth=1
	s_andn2_saveexec_b32 s24, s6
	s_cbranch_execnz .LBB459_73
.LBB459_65:                             ;   in Loop: Header=BB459_63 Depth=1
	s_or_b32 exec_lo, exec_lo, s24
	s_and_saveexec_b32 s6, s2
.LBB459_66:                             ;   in Loop: Header=BB459_63 Depth=1
	ds_write_b32 v19, v0
.LBB459_67:                             ;   in Loop: Header=BB459_63 Depth=1
	s_or_b32 exec_lo, exec_lo, s6
	s_waitcnt lgkmcnt(0)
	ds_bpermute_b32 v17, v20, v24
	s_waitcnt lgkmcnt(0)
	s_waitcnt_vscnt null, 0x0
	s_barrier
	buffer_gl0_inv
	v_add_f32_e32 v17, v24, v17
	ds_bpermute_b32 v18, v21, v17
	s_waitcnt lgkmcnt(0)
	v_add_f32_e32 v17, v17, v18
	ds_bpermute_b32 v18, v22, v17
	s_waitcnt lgkmcnt(0)
	;; [unrolled: 3-line block ×3, first 2 shown]
	v_add_f32_e32 v17, v17, v18
	ds_bpermute_b32 v18, v29, v17
	s_and_saveexec_b32 s6, s3
	s_cbranch_execz .LBB459_69
; %bb.68:                               ;   in Loop: Header=BB459_63 Depth=1
	s_waitcnt lgkmcnt(0)
	v_add_f32_e32 v17, v17, v18
	ds_write_b32 v27, v17
.LBB459_69:                             ;   in Loop: Header=BB459_63 Depth=1
	s_or_b32 exec_lo, exec_lo, s6
	v_mov_b32_e32 v17, 0
	s_waitcnt lgkmcnt(0)
	s_barrier
	buffer_gl0_inv
	s_and_saveexec_b32 s6, s4
	s_cbranch_execnz .LBB459_81
; %bb.70:                               ;   in Loop: Header=BB459_63 Depth=1
	s_or_b32 exec_lo, exec_lo, s6
	s_and_saveexec_b32 s6, s2
	s_cbranch_execnz .LBB459_82
.LBB459_71:                             ;   in Loop: Header=BB459_63 Depth=1
	s_or_b32 exec_lo, exec_lo, s6
	s_and_saveexec_b32 s6, s5
	s_cbranch_execz .LBB459_62
	s_branch .LBB459_83
.LBB459_72:                             ;   in Loop: Header=BB459_63 Depth=1
	s_mul_i32 s8, s7, s15
	s_mul_hi_u32 s21, s7, s14
	s_mul_i32 s20, s7, s14
	s_add_i32 s21, s21, s8
	s_lshl_b64 s[20:21], s[20:21], 1
	v_add_co_u32 v1, vcc_lo, v9, s20
	v_add_co_ci_u32_e64 v2, null, s21, v10, vcc_lo
	s_waitcnt lgkmcnt(0)
	flat_load_dwordx2 v[17:18], v[1:2]
	s_clause 0x3
	flat_load_ushort v1, v[5:6]
	flat_load_ushort v2, v[7:8]
	;; [unrolled: 1-line block ×4, first 2 shown]
	s_waitcnt vmcnt(3) lgkmcnt(3)
	v_fma_mix_f32 v4, v1, v17, 0 op_sel_hi:[1,1,0]
	v_cvt_f32_f16_e32 v1, v1
	s_waitcnt vmcnt(2) lgkmcnt(2)
	v_fma_mix_f32 v4, v2, v17, v4 op_sel:[0,1,0] op_sel_hi:[1,1,0]
	v_cvt_f32_f16_e32 v2, v2
	s_waitcnt vmcnt(1) lgkmcnt(1)
	v_fma_mix_f32 v17, v3, v18, v4 op_sel_hi:[1,1,0]
	v_cvt_f32_f16_e32 v3, v3
	s_waitcnt vmcnt(0) lgkmcnt(0)
	v_cvt_f32_f16_e32 v4, v24
	v_fma_mix_f32 v24, v24, v18, v17 op_sel:[0,1,0] op_sel_hi:[1,1,0]
	s_andn2_saveexec_b32 s24, s6
	s_cbranch_execz .LBB459_65
.LBB459_73:                             ;   in Loop: Header=BB459_63 Depth=1
	s_and_saveexec_b32 s25, s1
	s_cbranch_execz .LBB459_80
; %bb.74:                               ;   in Loop: Header=BB459_63 Depth=1
	s_andn2_b32 vcc_lo, exec_lo, s10
	s_cbranch_vccnz .LBB459_77
; %bb.75:                               ;   in Loop: Header=BB459_63 Depth=1
	s_waitcnt lgkmcnt(0)
	v_mov_b32_e32 v18, v6
	v_mov_b32_e32 v17, v5
	s_mov_b64 s[20:21], 0
	.p2align	6
.LBB459_76:                             ;   Parent Loop BB459_63 Depth=1
                                        ; =>  This Inner Loop Header: Depth=2
	flat_load_ushort v25, v[17:18]
	s_cmp_eq_u32 s20, 3
	v_add_co_u32 v17, vcc_lo, v17, s18
	v_add_co_ci_u32_e64 v18, null, s19, v18, vcc_lo
	s_cselect_b32 vcc_lo, -1, 0
	s_cmp_eq_u32 s20, 2
	s_cselect_b32 s6, -1, 0
	s_cmp_eq_u32 s20, 1
	s_cselect_b32 s8, -1, 0
	s_cmp_eq_u32 s20, 0
	s_waitcnt vmcnt(0) lgkmcnt(0)
	v_cvt_f32_f16_e32 v25, v25
	v_cndmask_b32_e32 v4, v4, v25, vcc_lo
	s_cselect_b32 vcc_lo, -1, 0
	v_cndmask_b32_e64 v3, v3, v25, s6
	v_cndmask_b32_e64 v2, v2, v25, s8
	v_cndmask_b32_e32 v1, v1, v25, vcc_lo
	s_add_u32 s20, s20, 1
	s_addc_u32 s21, s21, 0
	s_cmp_eq_u32 s13, s20
	s_cbranch_scc0 .LBB459_76
.LBB459_77:                             ;   in Loop: Header=BB459_63 Depth=1
	s_andn2_b32 vcc_lo, exec_lo, s10
	s_cbranch_vccnz .LBB459_80
; %bb.78:                               ;   in Loop: Header=BB459_63 Depth=1
	s_waitcnt lgkmcnt(0)
	v_mov_b32_e32 v18, v12
	v_mov_b32_e32 v17, v11
	s_mov_b64 s[20:21], 0
	.p2align	6
.LBB459_79:                             ;   Parent Loop BB459_63 Depth=1
                                        ; =>  This Inner Loop Header: Depth=2
	flat_load_ushort v25, v[17:18]
	s_cmp_eq_u32 s20, 1
	s_cselect_b32 vcc_lo, -1, 0
	s_cmp_eq_u32 s20, 2
	v_cndmask_b32_e32 v26, v1, v2, vcc_lo
	s_cselect_b32 vcc_lo, -1, 0
	s_cmp_eq_u32 s20, 3
	v_cndmask_b32_e32 v26, v26, v3, vcc_lo
	s_cselect_b32 vcc_lo, -1, 0
	s_add_u32 s20, s20, 1
	s_addc_u32 s21, s21, 0
	s_cmp_lg_u32 s13, s20
	v_cndmask_b32_e32 v26, v26, v4, vcc_lo
	v_add_co_u32 v17, vcc_lo, v17, 2
	v_add_co_ci_u32_e64 v18, null, 0, v18, vcc_lo
	s_waitcnt vmcnt(0) lgkmcnt(0)
	v_fma_mix_f32 v24, v26, v25, v24 op_sel_hi:[0,1,0]
	s_cbranch_scc1 .LBB459_79
.LBB459_80:                             ;   in Loop: Header=BB459_63 Depth=1
	s_or_b32 exec_lo, exec_lo, s25
	s_or_b32 exec_lo, exec_lo, s24
	s_and_saveexec_b32 s6, s2
	s_cbranch_execnz .LBB459_66
	s_branch .LBB459_67
.LBB459_81:                             ;   in Loop: Header=BB459_63 Depth=1
	ds_read_b32 v17, v19
	s_or_b32 exec_lo, exec_lo, s6
	s_and_saveexec_b32 s6, s2
	s_cbranch_execz .LBB459_71
.LBB459_82:                             ;   in Loop: Header=BB459_63 Depth=1
	s_waitcnt lgkmcnt(0)
	ds_bpermute_b32 v18, v22, v17
	s_waitcnt lgkmcnt(0)
	v_add_f32_e32 v17, v17, v18
	ds_bpermute_b32 v18, v23, v17
	s_waitcnt lgkmcnt(0)
	v_add_f32_e32 v17, v17, v18
	ds_bpermute_b32 v18, v29, v17
	s_waitcnt lgkmcnt(0)
	v_add_f32_e32 v17, v17, v18
	s_or_b32 exec_lo, exec_lo, s6
	s_and_saveexec_b32 s6, s5
	s_cbranch_execz .LBB459_62
.LBB459_83:                             ;   in Loop: Header=BB459_63 Depth=1
	s_mul_hi_u32 s21, s7, s12
	s_mul_i32 s20, s7, s12
	s_waitcnt lgkmcnt(0)
	v_mul_f32_e32 v17, s33, v17
	s_lshl_b64 s[20:21], s[20:21], 2
	s_add_u32 s20, s22, s20
	s_addc_u32 s21, s23, s21
	global_store_dword v0, v17, s[20:21]
	s_branch .LBB459_62
.LBB459_84:
	s_endpgm
	.section	.rodata,"a",@progbits
	.p2align	6, 0x0
	.amdhsa_kernel _ZL23rocblas_gemvt_sn_kernelILb1ELi256ELi4ElPKDF16_PKffEviiT4_lPKT3_lilS7_lilPT5_i
		.amdhsa_group_segment_fixed_size 128
		.amdhsa_private_segment_fixed_size 0
		.amdhsa_kernarg_size 360
		.amdhsa_user_sgpr_count 6
		.amdhsa_user_sgpr_private_segment_buffer 1
		.amdhsa_user_sgpr_dispatch_ptr 0
		.amdhsa_user_sgpr_queue_ptr 0
		.amdhsa_user_sgpr_kernarg_segment_ptr 1
		.amdhsa_user_sgpr_dispatch_id 0
		.amdhsa_user_sgpr_flat_scratch_init 0
		.amdhsa_user_sgpr_private_segment_size 0
		.amdhsa_wavefront_size32 1
		.amdhsa_uses_dynamic_stack 0
		.amdhsa_system_sgpr_private_segment_wavefront_offset 0
		.amdhsa_system_sgpr_workgroup_id_x 1
		.amdhsa_system_sgpr_workgroup_id_y 0
		.amdhsa_system_sgpr_workgroup_id_z 1
		.amdhsa_system_sgpr_workgroup_info 0
		.amdhsa_system_vgpr_workitem_id 0
		.amdhsa_next_free_vgpr 49
		.amdhsa_next_free_sgpr 46
		.amdhsa_reserve_vcc 1
		.amdhsa_reserve_flat_scratch 1
		.amdhsa_float_round_mode_32 0
		.amdhsa_float_round_mode_16_64 0
		.amdhsa_float_denorm_mode_32 3
		.amdhsa_float_denorm_mode_16_64 3
		.amdhsa_dx10_clamp 1
		.amdhsa_ieee_mode 1
		.amdhsa_fp16_overflow 0
		.amdhsa_workgroup_processor_mode 1
		.amdhsa_memory_ordered 1
		.amdhsa_forward_progress 1
		.amdhsa_shared_vgpr_count 0
		.amdhsa_exception_fp_ieee_invalid_op 0
		.amdhsa_exception_fp_denorm_src 0
		.amdhsa_exception_fp_ieee_div_zero 0
		.amdhsa_exception_fp_ieee_overflow 0
		.amdhsa_exception_fp_ieee_underflow 0
		.amdhsa_exception_fp_ieee_inexact 0
		.amdhsa_exception_int_div_zero 0
	.end_amdhsa_kernel
	.section	.text._ZL23rocblas_gemvt_sn_kernelILb1ELi256ELi4ElPKDF16_PKffEviiT4_lPKT3_lilS7_lilPT5_i,"axG",@progbits,_ZL23rocblas_gemvt_sn_kernelILb1ELi256ELi4ElPKDF16_PKffEviiT4_lPKT3_lilS7_lilPT5_i,comdat
.Lfunc_end459:
	.size	_ZL23rocblas_gemvt_sn_kernelILb1ELi256ELi4ElPKDF16_PKffEviiT4_lPKT3_lilS7_lilPT5_i, .Lfunc_end459-_ZL23rocblas_gemvt_sn_kernelILb1ELi256ELi4ElPKDF16_PKffEviiT4_lPKT3_lilS7_lilPT5_i
                                        ; -- End function
	.set _ZL23rocblas_gemvt_sn_kernelILb1ELi256ELi4ElPKDF16_PKffEviiT4_lPKT3_lilS7_lilPT5_i.num_vgpr, 49
	.set _ZL23rocblas_gemvt_sn_kernelILb1ELi256ELi4ElPKDF16_PKffEviiT4_lPKT3_lilS7_lilPT5_i.num_agpr, 0
	.set _ZL23rocblas_gemvt_sn_kernelILb1ELi256ELi4ElPKDF16_PKffEviiT4_lPKT3_lilS7_lilPT5_i.numbered_sgpr, 46
	.set _ZL23rocblas_gemvt_sn_kernelILb1ELi256ELi4ElPKDF16_PKffEviiT4_lPKT3_lilS7_lilPT5_i.num_named_barrier, 0
	.set _ZL23rocblas_gemvt_sn_kernelILb1ELi256ELi4ElPKDF16_PKffEviiT4_lPKT3_lilS7_lilPT5_i.private_seg_size, 0
	.set _ZL23rocblas_gemvt_sn_kernelILb1ELi256ELi4ElPKDF16_PKffEviiT4_lPKT3_lilS7_lilPT5_i.uses_vcc, 1
	.set _ZL23rocblas_gemvt_sn_kernelILb1ELi256ELi4ElPKDF16_PKffEviiT4_lPKT3_lilS7_lilPT5_i.uses_flat_scratch, 1
	.set _ZL23rocblas_gemvt_sn_kernelILb1ELi256ELi4ElPKDF16_PKffEviiT4_lPKT3_lilS7_lilPT5_i.has_dyn_sized_stack, 0
	.set _ZL23rocblas_gemvt_sn_kernelILb1ELi256ELi4ElPKDF16_PKffEviiT4_lPKT3_lilS7_lilPT5_i.has_recursion, 0
	.set _ZL23rocblas_gemvt_sn_kernelILb1ELi256ELi4ElPKDF16_PKffEviiT4_lPKT3_lilS7_lilPT5_i.has_indirect_call, 0
	.section	.AMDGPU.csdata,"",@progbits
; Kernel info:
; codeLenInByte = 4268
; TotalNumSgprs: 48
; NumVgprs: 49
; ScratchSize: 0
; MemoryBound: 0
; FloatMode: 240
; IeeeMode: 1
; LDSByteSize: 128 bytes/workgroup (compile time only)
; SGPRBlocks: 0
; VGPRBlocks: 6
; NumSGPRsForWavesPerEU: 48
; NumVGPRsForWavesPerEU: 49
; Occupancy: 16
; WaveLimiterHint : 0
; COMPUTE_PGM_RSRC2:SCRATCH_EN: 0
; COMPUTE_PGM_RSRC2:USER_SGPR: 6
; COMPUTE_PGM_RSRC2:TRAP_HANDLER: 0
; COMPUTE_PGM_RSRC2:TGID_X_EN: 1
; COMPUTE_PGM_RSRC2:TGID_Y_EN: 0
; COMPUTE_PGM_RSRC2:TGID_Z_EN: 1
; COMPUTE_PGM_RSRC2:TIDIG_COMP_CNT: 0
	.section	.text._ZL23rocblas_gemvt_sn_kernelILb1ELi256ELi4EiPKDF16_ffEviiT4_lPKT3_lilS5_lilPT5_i,"axG",@progbits,_ZL23rocblas_gemvt_sn_kernelILb1ELi256ELi4EiPKDF16_ffEviiT4_lPKT3_lilS5_lilPT5_i,comdat
	.globl	_ZL23rocblas_gemvt_sn_kernelILb1ELi256ELi4EiPKDF16_ffEviiT4_lPKT3_lilS5_lilPT5_i ; -- Begin function _ZL23rocblas_gemvt_sn_kernelILb1ELi256ELi4EiPKDF16_ffEviiT4_lPKT3_lilS5_lilPT5_i
	.p2align	8
	.type	_ZL23rocblas_gemvt_sn_kernelILb1ELi256ELi4EiPKDF16_ffEviiT4_lPKT3_lilS5_lilPT5_i,@function
_ZL23rocblas_gemvt_sn_kernelILb1ELi256ELi4EiPKDF16_ffEviiT4_lPKT3_lilS5_lilPT5_i: ; @_ZL23rocblas_gemvt_sn_kernelILb1ELi256ELi4EiPKDF16_ffEviiT4_lPKT3_lilS5_lilPT5_i
; %bb.0:
	s_load_dwordx4 s[12:15], s[4:5], 0x0
	s_mov_b32 s2, s7
	s_mov_b32 s3, 0
	s_waitcnt lgkmcnt(0)
	v_cmp_neq_f32_e64 s8, s14, 0
	v_cmp_eq_f32_e64 s7, s14, 0
	s_and_b32 vcc_lo, exec_lo, s8
	s_cbranch_vccnz .LBB460_2
; %bb.1:
	s_mov_b32 s0, s3
	s_mov_b64 s[10:11], 0
	s_andn2_b32 vcc_lo, exec_lo, s0
	s_mov_b64 s[0:1], 0
	s_cbranch_vccz .LBB460_3
	s_branch .LBB460_4
.LBB460_2:
	s_mov_b64 s[10:11], 0
	s_mov_b64 s[0:1], 0
.LBB460_3:
	s_load_dwordx4 s[16:19], s[4:5], 0x18
	s_lshl_b64 s[0:1], s[2:3], 3
	s_waitcnt lgkmcnt(0)
	s_add_u32 s0, s16, s0
	s_addc_u32 s1, s17, s1
	s_lshl_b64 s[16:17], s[18:19], 1
	s_load_dwordx2 s[0:1], s[0:1], 0x0
	s_waitcnt lgkmcnt(0)
	s_add_u32 s0, s0, s16
	s_addc_u32 s1, s1, s17
.LBB460_4:
	s_andn2_b32 vcc_lo, exec_lo, s8
	s_cbranch_vccnz .LBB460_6
; %bb.5:
	s_load_dwordx4 s[8:11], s[4:5], 0x38
	s_lshl_b64 s[16:17], s[2:3], 3
	s_waitcnt lgkmcnt(0)
	s_add_u32 s8, s8, s16
	s_addc_u32 s9, s9, s17
	s_lshl_b64 s[10:11], s[10:11], 1
	s_load_dwordx2 s[8:9], s[8:9], 0x0
	s_waitcnt lgkmcnt(0)
	s_add_u32 s10, s8, s10
	s_addc_u32 s11, s9, s11
.LBB460_6:
	s_clause 0x1
	s_load_dword s16, s[4:5], 0x68
	s_load_dwordx2 s[8:9], s[4:5], 0x58
	s_ashr_i32 s19, s13, 31
	s_mul_hi_u32 s3, s2, s13
	s_mul_i32 s15, s2, s19
	s_mul_i32 s2, s2, s13
	s_add_i32 s3, s3, s15
	s_mov_b32 s17, 0
	s_waitcnt lgkmcnt(0)
	s_mul_i32 s3, s3, s16
	s_mul_hi_u32 s15, s2, s16
	s_mul_i32 s2, s2, s16
	s_add_i32 s3, s15, s3
	s_lshl_b64 s[2:3], s[2:3], 2
	s_add_u32 s28, s8, s2
	s_addc_u32 s29, s9, s3
	s_andn2_b32 vcc_lo, exec_lo, s7
	s_mov_b32 s2, -1
	s_cbranch_vccnz .LBB460_11
; %bb.7:
	v_cmp_eq_u32_e32 vcc_lo, 0, v0
	s_cmp_gt_i32 s13, 0
	s_cselect_b32 s2, -1, 0
	s_and_b32 s2, vcc_lo, s2
	s_and_saveexec_b32 s15, s2
	s_cbranch_execz .LBB460_10
; %bb.8:
	s_mov_b32 s7, 0
	v_mov_b32_e32 v1, 0
	s_lshl_b64 s[2:3], s[6:7], 2
	s_mov_b32 s7, s13
	s_add_u32 s2, s28, s2
	s_addc_u32 s3, s29, s3
	s_lshl_b64 s[8:9], s[16:17], 2
.LBB460_9:                              ; =>This Inner Loop Header: Depth=1
	s_add_i32 s7, s7, -1
	global_store_dword v1, v1, s[2:3]
	s_add_u32 s2, s2, s8
	s_addc_u32 s3, s3, s9
	s_cmp_eq_u32 s7, 0
	s_cbranch_scc0 .LBB460_9
.LBB460_10:
	s_or_b32 exec_lo, exec_lo, s15
	s_mov_b32 s2, 0
.LBB460_11:
	s_andn2_b32 vcc_lo, exec_lo, s2
	s_cbranch_vccnz .LBB460_86
; %bb.12:
	s_clause 0x1
	s_load_dword s18, s[4:5], 0x28
	s_load_dword s15, s[4:5], 0x48
	s_lshl_b32 s2, s6, 10
	s_lshr_b32 s3, s19, 30
	v_lshl_or_b32 v1, v0, 2, s2
	s_ashr_i32 s2, s12, 31
	s_add_i32 s3, s13, s3
	s_lshr_b32 s2, s2, 30
	v_and_b32_e32 v21, 31, v0
	v_ashrrev_i32_e32 v2, 31, v1
	s_add_i32 s2, s12, s2
	v_add_nc_u32_e32 v24, 4, v1
	s_and_b32 s2, s2, -4
	v_mbcnt_lo_u32_b32 v23, -1, 0
	v_lshlrev_b64 v[2:3], 1, v[1:2]
	s_sub_i32 s17, s12, s2
	v_lshrrev_b32_e32 v22, 3, v0
	v_add_nc_u32_e32 v25, s17, v1
	v_cmp_eq_u32_e64 s2, 0, v0
	s_and_b32 s30, s3, -4
	v_add_co_u32 v19, vcc_lo, s0, v2
	s_waitcnt lgkmcnt(0)
	v_mul_lo_u32 v9, s15, v1
	v_add_co_ci_u32_e64 v20, null, s1, v3, vcc_lo
	v_cmp_gt_u32_e64 s0, 32, v0
	v_cmp_gt_u32_e64 s1, 8, v0
	s_cmp_lt_i32 s30, 1
	s_cbranch_scc1 .LBB460_61
; %bb.13:
	v_cmp_gt_u32_e32 vcc_lo, 24, v23
	v_mul_lo_u32 v10, s15, v1
	s_cmp_gt_i32 s17, 0
	s_mov_b32 s9, 0
	v_cmp_ge_i32_e64 s3, s12, v24
	v_cndmask_b32_e64 v2, 0, 8, vcc_lo
	v_cmp_gt_u32_e32 vcc_lo, 28, v23
	v_cmp_ge_i32_e64 s4, s12, v25
	v_lshl_or_b32 v26, v23, 2, 64
	v_add_nc_u32_e32 v1, s15, v10
	v_ashrrev_i32_e32 v11, 31, v10
	v_cndmask_b32_e64 v3, 0, 4, vcc_lo
	v_cmp_gt_u32_e32 vcc_lo, 30, v23
	v_add_lshl_u32 v27, v2, v23, 2
	v_ashrrev_i32_e32 v2, 31, v1
	v_cmp_eq_u32_e64 s5, 0, v21
	v_add_lshl_u32 v28, v3, v23, 2
	v_cndmask_b32_e64 v4, 0, 2, vcc_lo
	v_cmp_ne_u32_e32 vcc_lo, 31, v23
	v_add_nc_u32_e32 v3, s15, v1
	v_lshlrev_b64 v[1:2], 1, v[1:2]
	v_lshlrev_b32_e32 v31, 2, v21
	v_add_lshl_u32 v29, v4, v23, 2
	v_add_co_ci_u32_e64 v5, null, 0, v23, vcc_lo
	v_add_nc_u32_e32 v7, s15, v3
	v_ashrrev_i32_e32 v4, 31, v3
	v_and_b32_e32 v32, 28, v22
	v_lshlrev_b32_e32 v30, 2, v5
	v_lshlrev_b64 v[5:6], 1, v[10:11]
	v_ashrrev_i32_e32 v8, 31, v7
	v_lshlrev_b64 v[3:4], 1, v[3:4]
	s_cselect_b32 s31, -1, 0
	s_mov_b32 s19, s9
	s_lshl_b32 s8, s18, 1
	v_add_co_u32 v11, vcc_lo, s10, v5
	v_add_co_ci_u32_e64 v12, null, s11, v6, vcc_lo
	v_add_co_u32 v13, vcc_lo, s10, v1
	v_mov_b32_e32 v5, 0
	v_add_co_ci_u32_e64 v14, null, s11, v2, vcc_lo
	v_lshlrev_b64 v[1:2], 1, v[7:8]
	v_add_co_u32 v15, vcc_lo, s10, v3
	v_mov_b32_e32 v6, v5
	v_mov_b32_e32 v7, v5
	;; [unrolled: 1-line block ×3, first 2 shown]
	v_add_co_ci_u32_e64 v16, null, s11, v4, vcc_lo
	v_add_co_u32 v17, vcc_lo, s10, v1
	v_add_co_ci_u32_e64 v18, null, s11, v2, vcc_lo
	v_mov_b32_e32 v1, v5
	v_mov_b32_e32 v2, v6
	;; [unrolled: 1-line block ×4, first 2 shown]
	s_lshl_b32 s33, s18, 2
	s_mul_i32 s34, s18, 3
	s_mov_b32 s35, s9
	s_mov_b32 s20, s9
	s_mov_b64 s[22:23], s[8:9]
	s_mov_b64 s[24:25], s[18:19]
	s_mov_b32 s19, 0
	s_branch .LBB460_15
.LBB460_14:                             ;   in Loop: Header=BB460_15 Depth=1
	s_or_b32 exec_lo, exec_lo, s7
	s_add_i32 s19, s19, 4
	s_add_u32 s24, s24, s33
	s_addc_u32 s25, s25, 0
	s_add_u32 s22, s22, s33
	s_addc_u32 s23, s23, 0
	;; [unrolled: 2-line block ×3, first 2 shown]
	s_add_i32 s20, s20, s33
	s_cmp_ge_i32 s19, s30
	s_cbranch_scc1 .LBB460_62
.LBB460_15:                             ; =>This Loop Header: Depth=1
                                        ;     Child Loop BB460_46 Depth 2
                                        ;     Child Loop BB460_49 Depth 2
                                        ; implicit-def: $vgpr8
                                        ; implicit-def: $vgpr33
                                        ; implicit-def: $vgpr34
                                        ; implicit-def: $vgpr35
	s_and_saveexec_b32 s7, s3
	s_xor_b32 s7, exec_lo, s7
	s_cbranch_execnz .LBB460_42
; %bb.16:                               ;   in Loop: Header=BB460_15 Depth=1
	s_andn2_saveexec_b32 s36, s7
	s_cbranch_execnz .LBB460_43
.LBB460_17:                             ;   in Loop: Header=BB460_15 Depth=1
	s_or_b32 exec_lo, exec_lo, s36
	s_and_saveexec_b32 s7, s0
.LBB460_18:                             ;   in Loop: Header=BB460_15 Depth=1
	ds_write_b32 v31, v5
.LBB460_19:                             ;   in Loop: Header=BB460_15 Depth=1
	s_or_b32 exec_lo, exec_lo, s7
	ds_bpermute_b32 v6, v26, v35
	s_waitcnt lgkmcnt(0)
	s_waitcnt_vscnt null, 0x0
	s_barrier
	buffer_gl0_inv
	v_add_f32_e32 v6, v35, v6
	ds_bpermute_b32 v7, v27, v6
	s_waitcnt lgkmcnt(0)
	v_add_f32_e32 v6, v6, v7
	ds_bpermute_b32 v7, v28, v6
	s_waitcnt lgkmcnt(0)
	;; [unrolled: 3-line block ×3, first 2 shown]
	v_add_f32_e32 v6, v6, v7
	ds_bpermute_b32 v7, v30, v6
	s_and_saveexec_b32 s7, s5
	s_cbranch_execz .LBB460_21
; %bb.20:                               ;   in Loop: Header=BB460_15 Depth=1
	s_waitcnt lgkmcnt(0)
	v_add_f32_e32 v6, v6, v7
	ds_write_b32 v32, v6
.LBB460_21:                             ;   in Loop: Header=BB460_15 Depth=1
	s_or_b32 exec_lo, exec_lo, s7
	v_mov_b32_e32 v6, 0
	s_waitcnt lgkmcnt(0)
	s_barrier
	buffer_gl0_inv
	s_and_saveexec_b32 s7, s1
	s_cbranch_execnz .LBB460_50
; %bb.22:                               ;   in Loop: Header=BB460_15 Depth=1
	s_or_b32 exec_lo, exec_lo, s7
	s_and_saveexec_b32 s7, s0
	s_cbranch_execnz .LBB460_51
.LBB460_23:                             ;   in Loop: Header=BB460_15 Depth=1
	s_or_b32 exec_lo, exec_lo, s7
	s_and_saveexec_b32 s7, s0
.LBB460_24:                             ;   in Loop: Header=BB460_15 Depth=1
	ds_write_b32 v31, v5
.LBB460_25:                             ;   in Loop: Header=BB460_15 Depth=1
	s_or_b32 exec_lo, exec_lo, s7
	ds_bpermute_b32 v7, v26, v34
	s_waitcnt lgkmcnt(0)
	s_barrier
	buffer_gl0_inv
	v_add_f32_e32 v7, v34, v7
	ds_bpermute_b32 v34, v27, v7
	s_waitcnt lgkmcnt(0)
	v_add_f32_e32 v7, v7, v34
	ds_bpermute_b32 v34, v28, v7
	s_waitcnt lgkmcnt(0)
	;; [unrolled: 3-line block ×3, first 2 shown]
	v_add_f32_e32 v7, v7, v34
	ds_bpermute_b32 v34, v30, v7
	s_and_saveexec_b32 s7, s5
	s_cbranch_execz .LBB460_27
; %bb.26:                               ;   in Loop: Header=BB460_15 Depth=1
	s_waitcnt lgkmcnt(0)
	v_add_f32_e32 v7, v7, v34
	ds_write_b32 v32, v7
.LBB460_27:                             ;   in Loop: Header=BB460_15 Depth=1
	s_or_b32 exec_lo, exec_lo, s7
	v_mov_b32_e32 v7, 0
	s_waitcnt lgkmcnt(0)
	s_barrier
	buffer_gl0_inv
	s_and_saveexec_b32 s7, s1
	s_cbranch_execnz .LBB460_52
; %bb.28:                               ;   in Loop: Header=BB460_15 Depth=1
	s_or_b32 exec_lo, exec_lo, s7
	s_and_saveexec_b32 s7, s0
	s_cbranch_execnz .LBB460_53
.LBB460_29:                             ;   in Loop: Header=BB460_15 Depth=1
	s_or_b32 exec_lo, exec_lo, s7
	s_and_saveexec_b32 s7, s0
.LBB460_30:                             ;   in Loop: Header=BB460_15 Depth=1
	ds_write_b32 v31, v5
.LBB460_31:                             ;   in Loop: Header=BB460_15 Depth=1
	s_or_b32 exec_lo, exec_lo, s7
	ds_bpermute_b32 v34, v26, v33
	s_waitcnt lgkmcnt(0)
	s_barrier
	buffer_gl0_inv
	v_add_f32_e32 v33, v33, v34
	ds_bpermute_b32 v34, v27, v33
	s_waitcnt lgkmcnt(0)
	v_add_f32_e32 v33, v33, v34
	ds_bpermute_b32 v34, v28, v33
	s_waitcnt lgkmcnt(0)
	;; [unrolled: 3-line block ×3, first 2 shown]
	v_add_f32_e32 v33, v33, v34
	ds_bpermute_b32 v34, v30, v33
	s_and_saveexec_b32 s7, s5
	s_cbranch_execz .LBB460_33
; %bb.32:                               ;   in Loop: Header=BB460_15 Depth=1
	s_waitcnt lgkmcnt(0)
	v_add_f32_e32 v33, v33, v34
	ds_write_b32 v32, v33
.LBB460_33:                             ;   in Loop: Header=BB460_15 Depth=1
	s_or_b32 exec_lo, exec_lo, s7
	v_mov_b32_e32 v33, 0
	s_waitcnt lgkmcnt(0)
	s_barrier
	buffer_gl0_inv
	s_and_saveexec_b32 s7, s1
	s_cbranch_execnz .LBB460_54
; %bb.34:                               ;   in Loop: Header=BB460_15 Depth=1
	s_or_b32 exec_lo, exec_lo, s7
	s_and_saveexec_b32 s7, s0
	s_cbranch_execnz .LBB460_55
.LBB460_35:                             ;   in Loop: Header=BB460_15 Depth=1
	s_or_b32 exec_lo, exec_lo, s7
	s_and_saveexec_b32 s7, s0
.LBB460_36:                             ;   in Loop: Header=BB460_15 Depth=1
	ds_write_b32 v31, v5
.LBB460_37:                             ;   in Loop: Header=BB460_15 Depth=1
	s_or_b32 exec_lo, exec_lo, s7
	ds_bpermute_b32 v34, v26, v8
	s_waitcnt lgkmcnt(0)
	s_barrier
	buffer_gl0_inv
	v_add_f32_e32 v8, v8, v34
	ds_bpermute_b32 v34, v27, v8
	s_waitcnt lgkmcnt(0)
	v_add_f32_e32 v8, v8, v34
	ds_bpermute_b32 v34, v28, v8
	s_waitcnt lgkmcnt(0)
	;; [unrolled: 3-line block ×3, first 2 shown]
	v_add_f32_e32 v8, v8, v34
	ds_bpermute_b32 v34, v30, v8
	s_and_saveexec_b32 s7, s5
	s_cbranch_execz .LBB460_39
; %bb.38:                               ;   in Loop: Header=BB460_15 Depth=1
	s_waitcnt lgkmcnt(0)
	v_add_f32_e32 v8, v8, v34
	ds_write_b32 v32, v8
.LBB460_39:                             ;   in Loop: Header=BB460_15 Depth=1
	s_or_b32 exec_lo, exec_lo, s7
	v_mov_b32_e32 v8, 0
	s_waitcnt lgkmcnt(0)
	s_barrier
	buffer_gl0_inv
	s_and_saveexec_b32 s7, s1
	s_cbranch_execnz .LBB460_56
; %bb.40:                               ;   in Loop: Header=BB460_15 Depth=1
	s_or_b32 exec_lo, exec_lo, s7
	s_and_saveexec_b32 s7, s0
	s_cbranch_execnz .LBB460_57
.LBB460_41:                             ;   in Loop: Header=BB460_15 Depth=1
	s_or_b32 exec_lo, exec_lo, s7
	s_and_saveexec_b32 s7, s2
	s_cbranch_execz .LBB460_14
	s_branch .LBB460_58
.LBB460_42:                             ;   in Loop: Header=BB460_15 Depth=1
	s_mul_i32 s26, s19, s18
	s_ashr_i32 s27, s26, 31
	s_add_i32 s36, s26, s18
	s_lshl_b64 s[26:27], s[26:27], 1
	s_ashr_i32 s37, s36, 31
	v_add_co_u32 v1, vcc_lo, v19, s26
	v_add_co_ci_u32_e64 v2, null, s27, v20, vcc_lo
	s_lshl_b64 s[26:27], s[36:37], 1
	s_add_i32 s36, s36, s18
	v_add_co_u32 v3, vcc_lo, v19, s26
	s_ashr_i32 s37, s36, 31
	s_add_i32 s26, s36, s18
	v_add_co_ci_u32_e64 v4, null, s27, v20, vcc_lo
	s_lshl_b64 s[36:37], s[36:37], 1
	s_ashr_i32 s27, s26, 31
	v_add_co_u32 v6, vcc_lo, v19, s36
	s_lshl_b64 s[26:27], s[26:27], 1
	v_add_co_ci_u32_e64 v7, null, s37, v20, vcc_lo
	v_add_co_u32 v33, vcc_lo, v19, s26
	v_add_co_ci_u32_e64 v34, null, s27, v20, vcc_lo
	s_waitcnt lgkmcnt(0)
	flat_load_ushort v8, v[11:12]
	s_clause 0x3
	flat_load_dwordx2 v[35:36], v[1:2]
	flat_load_dwordx2 v[37:38], v[3:4]
	;; [unrolled: 1-line block ×4, first 2 shown]
	s_clause 0x2
	flat_load_ushort v3, v[13:14]
	flat_load_ushort v4, v[15:16]
	;; [unrolled: 1-line block ×3, first 2 shown]
	s_waitcnt vmcnt(7) lgkmcnt(7)
	v_cvt_f32_f16_e32 v1, v8
	s_waitcnt vmcnt(6) lgkmcnt(6)
	v_fma_mix_f32 v33, v8, v35, 0 op_sel_hi:[1,1,0]
	s_waitcnt vmcnt(5) lgkmcnt(5)
	v_fma_mix_f32 v34, v8, v37, 0 op_sel_hi:[1,1,0]
	s_waitcnt vmcnt(4) lgkmcnt(4)
	v_fma_mix_f32 v42, v8, v6, 0 op_sel_hi:[1,1,0]
	s_waitcnt vmcnt(3) lgkmcnt(3)
	v_fma_mix_f32 v8, v8, v39, 0 op_sel_hi:[1,1,0]
	s_waitcnt vmcnt(2) lgkmcnt(2)
	v_cvt_f32_f16_e32 v2, v3
	v_fma_mix_f32 v33, v3, v35, v33 op_sel:[0,1,0] op_sel_hi:[1,1,0]
	v_fma_mix_f32 v34, v3, v37, v34 op_sel:[0,1,0] op_sel_hi:[1,1,0]
	;; [unrolled: 1-line block ×4, first 2 shown]
	s_waitcnt vmcnt(1) lgkmcnt(1)
	v_cvt_f32_f16_e32 v3, v4
	v_fma_mix_f32 v33, v4, v36, v33 op_sel_hi:[1,1,0]
	v_fma_mix_f32 v34, v4, v38, v34 op_sel_hi:[1,1,0]
	;; [unrolled: 1-line block ×4, first 2 shown]
	s_waitcnt vmcnt(0) lgkmcnt(0)
	v_cvt_f32_f16_e32 v4, v41
	v_fma_mix_f32 v35, v41, v36, v33 op_sel:[0,1,0] op_sel_hi:[1,1,0]
	v_fma_mix_f32 v34, v41, v38, v34 op_sel:[0,1,0] op_sel_hi:[1,1,0]
	;; [unrolled: 1-line block ×4, first 2 shown]
	s_andn2_saveexec_b32 s36, s7
	s_cbranch_execz .LBB460_17
.LBB460_43:                             ;   in Loop: Header=BB460_15 Depth=1
	s_waitcnt lgkmcnt(0)
	v_mov_b32_e32 v8, 0
	v_mov_b32_e32 v33, 0
	;; [unrolled: 1-line block ×4, first 2 shown]
	s_and_saveexec_b32 s37, s4
	s_cbranch_execz .LBB460_60
; %bb.44:                               ;   in Loop: Header=BB460_15 Depth=1
	s_andn2_b32 vcc_lo, exec_lo, s31
	s_cbranch_vccnz .LBB460_47
; %bb.45:                               ;   in Loop: Header=BB460_15 Depth=1
	v_mov_b32_e32 v6, v10
	s_mov_b64 s[26:27], 0
	.p2align	6
.LBB460_46:                             ;   Parent Loop BB460_15 Depth=1
                                        ; =>  This Inner Loop Header: Depth=2
	v_ashrrev_i32_e32 v7, 31, v6
	s_cmp_eq_u32 s26, 3
	v_lshlrev_b64 v[7:8], 1, v[6:7]
	v_add_nc_u32_e32 v6, s15, v6
	v_add_co_u32 v7, vcc_lo, s10, v7
	v_add_co_ci_u32_e64 v8, null, s11, v8, vcc_lo
	s_cselect_b32 vcc_lo, -1, 0
	s_cmp_eq_u32 s26, 2
	s_cselect_b32 s7, -1, 0
	flat_load_ushort v7, v[7:8]
	s_cmp_eq_u32 s26, 1
	s_cselect_b32 s8, -1, 0
	s_cmp_eq_u32 s26, 0
	s_waitcnt vmcnt(0) lgkmcnt(0)
	v_cvt_f32_f16_e32 v7, v7
	v_cndmask_b32_e32 v4, v4, v7, vcc_lo
	s_cselect_b32 vcc_lo, -1, 0
	v_cndmask_b32_e64 v3, v3, v7, s7
	v_cndmask_b32_e64 v2, v2, v7, s8
	v_cndmask_b32_e32 v1, v1, v7, vcc_lo
	s_add_u32 s26, s26, 1
	s_addc_u32 s27, s27, 0
	s_cmp_eq_u32 s17, s26
	s_cbranch_scc0 .LBB460_46
.LBB460_47:                             ;   in Loop: Header=BB460_15 Depth=1
	s_andn2_b32 vcc_lo, exec_lo, s31
	s_cbranch_vccnz .LBB460_59
; %bb.48:                               ;   in Loop: Header=BB460_15 Depth=1
	s_ashr_i32 s21, s20, 31
	v_mov_b32_e32 v35, 0
	s_lshl_b64 s[26:27], s[20:21], 1
	v_mov_b32_e32 v34, 0
	v_add_co_u32 v6, vcc_lo, v19, s26
	v_add_co_ci_u32_e64 v7, null, s27, v20, vcc_lo
	v_mov_b32_e32 v33, 0
	v_mov_b32_e32 v8, 0
	s_mov_b64 s[26:27], 0
.LBB460_49:                             ;   Parent Loop BB460_15 Depth=1
                                        ; =>  This Inner Loop Header: Depth=2
	s_cmp_eq_u32 s26, 1
	s_cselect_b32 vcc_lo, -1, 0
	s_cmp_eq_u32 s26, 2
	v_cndmask_b32_e32 v36, v1, v2, vcc_lo
	s_cselect_b32 vcc_lo, -1, 0
	s_cmp_eq_u32 s26, 3
	v_cndmask_b32_e32 v42, v36, v3, vcc_lo
	s_cselect_b32 vcc_lo, -1, 0
	s_add_i32 s38, s24, s26
	s_add_i32 s40, s22, s26
	s_ashr_i32 s39, s38, 31
	s_add_i32 s42, s34, s26
	s_ashr_i32 s41, s40, 31
	s_lshl_b64 s[38:39], s[38:39], 1
	s_ashr_i32 s43, s42, 31
	s_lshl_b64 s[40:41], s[40:41], 1
	v_add_co_u32 v36, s7, v19, s38
	s_lshl_b64 s[42:43], s[42:43], 1
	v_add_co_ci_u32_e64 v37, null, s39, v20, s7
	v_add_co_u32 v38, s7, v19, s40
	v_add_co_ci_u32_e64 v39, null, s41, v20, s7
	v_add_co_u32 v40, s7, v19, s42
	v_add_co_ci_u32_e64 v41, null, s43, v20, s7
	flat_load_ushort v43, v[6:7]
	s_clause 0x2
	flat_load_ushort v36, v[36:37]
	flat_load_ushort v37, v[38:39]
	;; [unrolled: 1-line block ×3, first 2 shown]
	v_cndmask_b32_e32 v39, v42, v4, vcc_lo
	v_add_co_u32 v6, s7, v6, 2
	v_add_co_ci_u32_e64 v7, null, 0, v7, s7
	s_add_u32 s26, s26, 1
	s_addc_u32 s27, s27, 0
	s_cmp_lg_u32 s17, s26
	s_waitcnt vmcnt(3) lgkmcnt(3)
	v_fma_mix_f32 v35, v39, v43, v35 op_sel_hi:[0,1,0]
	s_waitcnt vmcnt(2) lgkmcnt(2)
	v_fma_mix_f32 v34, v39, v36, v34 op_sel_hi:[0,1,0]
	;; [unrolled: 2-line block ×4, first 2 shown]
	s_cbranch_scc1 .LBB460_49
	s_branch .LBB460_60
.LBB460_50:                             ;   in Loop: Header=BB460_15 Depth=1
	ds_read_b32 v6, v31
	s_or_b32 exec_lo, exec_lo, s7
	s_and_saveexec_b32 s7, s0
	s_cbranch_execz .LBB460_23
.LBB460_51:                             ;   in Loop: Header=BB460_15 Depth=1
	s_waitcnt lgkmcnt(0)
	ds_bpermute_b32 v7, v28, v6
	s_waitcnt lgkmcnt(0)
	v_add_f32_e32 v6, v6, v7
	ds_bpermute_b32 v7, v29, v6
	s_waitcnt lgkmcnt(0)
	v_add_f32_e32 v6, v6, v7
	;; [unrolled: 3-line block ×3, first 2 shown]
	s_or_b32 exec_lo, exec_lo, s7
	s_and_saveexec_b32 s7, s0
	s_cbranch_execnz .LBB460_24
	s_branch .LBB460_25
.LBB460_52:                             ;   in Loop: Header=BB460_15 Depth=1
	ds_read_b32 v7, v31
	s_or_b32 exec_lo, exec_lo, s7
	s_and_saveexec_b32 s7, s0
	s_cbranch_execz .LBB460_29
.LBB460_53:                             ;   in Loop: Header=BB460_15 Depth=1
	s_waitcnt lgkmcnt(0)
	ds_bpermute_b32 v34, v28, v7
	s_waitcnt lgkmcnt(0)
	v_add_f32_e32 v7, v7, v34
	ds_bpermute_b32 v34, v29, v7
	s_waitcnt lgkmcnt(0)
	v_add_f32_e32 v7, v7, v34
	ds_bpermute_b32 v34, v30, v7
	s_waitcnt lgkmcnt(0)
	v_add_f32_e32 v7, v7, v34
	s_or_b32 exec_lo, exec_lo, s7
	s_and_saveexec_b32 s7, s0
	s_cbranch_execnz .LBB460_30
	s_branch .LBB460_31
.LBB460_54:                             ;   in Loop: Header=BB460_15 Depth=1
	ds_read_b32 v33, v31
	s_or_b32 exec_lo, exec_lo, s7
	s_and_saveexec_b32 s7, s0
	s_cbranch_execz .LBB460_35
.LBB460_55:                             ;   in Loop: Header=BB460_15 Depth=1
	s_waitcnt lgkmcnt(0)
	ds_bpermute_b32 v34, v28, v33
	s_waitcnt lgkmcnt(0)
	v_add_f32_e32 v33, v33, v34
	ds_bpermute_b32 v34, v29, v33
	s_waitcnt lgkmcnt(0)
	v_add_f32_e32 v33, v33, v34
	;; [unrolled: 3-line block ×3, first 2 shown]
	s_or_b32 exec_lo, exec_lo, s7
	s_and_saveexec_b32 s7, s0
	s_cbranch_execnz .LBB460_36
	s_branch .LBB460_37
.LBB460_56:                             ;   in Loop: Header=BB460_15 Depth=1
	ds_read_b32 v8, v31
	s_or_b32 exec_lo, exec_lo, s7
	s_and_saveexec_b32 s7, s0
	s_cbranch_execz .LBB460_41
.LBB460_57:                             ;   in Loop: Header=BB460_15 Depth=1
	s_waitcnt lgkmcnt(0)
	ds_bpermute_b32 v34, v28, v8
	s_waitcnt lgkmcnt(0)
	v_add_f32_e32 v8, v8, v34
	ds_bpermute_b32 v34, v29, v8
	s_waitcnt lgkmcnt(0)
	v_add_f32_e32 v8, v8, v34
	;; [unrolled: 3-line block ×3, first 2 shown]
	s_or_b32 exec_lo, exec_lo, s7
	s_and_saveexec_b32 s7, s2
	s_cbranch_execz .LBB460_14
.LBB460_58:                             ;   in Loop: Header=BB460_15 Depth=1
	s_mul_i32 s8, s19, s16
	v_mul_f32_e32 v6, s14, v6
	s_add_i32 s8, s8, s6
	v_mul_f32_e32 v7, s14, v7
	s_lshl_b64 s[26:27], s[8:9], 2
	v_mul_f32_e32 v33, s14, v33
	s_add_u32 s26, s28, s26
	s_addc_u32 s27, s29, s27
	s_add_i32 s8, s8, s16
	global_store_dword v5, v6, s[26:27]
	s_lshl_b64 s[36:37], s[8:9], 2
	s_waitcnt lgkmcnt(0)
	v_mul_f32_e32 v6, s14, v8
	s_add_u32 s36, s28, s36
	s_addc_u32 s37, s29, s37
	s_add_i32 s8, s8, s16
	global_store_dword v5, v7, s[36:37]
	s_lshl_b64 s[38:39], s[8:9], 2
	s_add_u32 s26, s28, s38
	s_addc_u32 s27, s29, s39
	s_add_i32 s8, s8, s16
	s_lshl_b64 s[38:39], s[8:9], 2
	s_add_u32 s36, s28, s38
	s_addc_u32 s37, s29, s39
	global_store_dword v5, v33, s[26:27]
	global_store_dword v5, v6, s[36:37]
	s_branch .LBB460_14
.LBB460_59:                             ;   in Loop: Header=BB460_15 Depth=1
	v_mov_b32_e32 v8, 0
	v_mov_b32_e32 v33, 0
	;; [unrolled: 1-line block ×4, first 2 shown]
.LBB460_60:                             ;   in Loop: Header=BB460_15 Depth=1
	s_or_b32 exec_lo, exec_lo, s37
	s_or_b32 exec_lo, exec_lo, s36
	s_and_saveexec_b32 s7, s0
	s_cbranch_execnz .LBB460_18
	s_branch .LBB460_19
.LBB460_61:
	v_mov_b32_e32 v1, 0
	s_mov_b32 s19, 0
	v_mov_b32_e32 v2, v1
	v_mov_b32_e32 v3, v1
	;; [unrolled: 1-line block ×3, first 2 shown]
.LBB460_62:
	s_cmp_ge_i32 s19, s13
	s_cbranch_scc1 .LBB460_86
; %bb.63:
	v_cmp_gt_u32_e32 vcc_lo, 24, v23
	v_cmp_ge_i32_e64 s0, s12, v24
	v_lshl_or_b32 v17, v23, 2, 64
	v_ashrrev_i32_e32 v10, 31, v9
	v_cmp_ge_i32_e64 s1, s12, v25
	v_cndmask_b32_e64 v5, 0, 8, vcc_lo
	v_cmp_gt_u32_e32 vcc_lo, 28, v23
	s_cmp_gt_i32 s17, 0
	v_lshlrev_b64 v[10:11], 1, v[9:10]
	s_mov_b32 s7, 0
	v_add_lshl_u32 v18, v5, v23, 2
	v_cndmask_b32_e64 v6, 0, 4, vcc_lo
	v_cmp_gt_u32_e32 vcc_lo, 30, v23
	v_add_nc_u32_e32 v5, s15, v9
	s_cselect_b32 s12, -1, 0
	v_cmp_gt_u32_e64 s2, 32, v0
	v_add_lshl_u32 v24, v6, v23, 2
	v_cndmask_b32_e64 v7, 0, 2, vcc_lo
	v_cmp_ne_u32_e32 vcc_lo, 31, v23
	v_ashrrev_i32_e32 v6, 31, v5
	v_lshlrev_b32_e32 v16, 2, v21
	v_cmp_eq_u32_e64 s3, 0, v21
	v_and_b32_e32 v21, 28, v22
	s_waitcnt lgkmcnt(0)
	v_add_co_ci_u32_e64 v8, null, 0, v23, vcc_lo
	v_add_lshl_u32 v23, v7, v23, 2
	v_add_nc_u32_e32 v7, s15, v5
	v_lshlrev_b64 v[12:13], 1, v[5:6]
	v_lshlrev_b32_e32 v25, 2, v8
	v_add_co_u32 v5, vcc_lo, s10, v10
	v_add_nc_u32_e32 v14, s15, v7
	v_ashrrev_i32_e32 v8, 31, v7
	v_add_co_ci_u32_e64 v6, null, s11, v11, vcc_lo
	v_cmp_gt_u32_e64 s4, 8, v0
	v_ashrrev_i32_e32 v15, 31, v14
	v_lshlrev_b64 v[10:11], 1, v[7:8]
	v_add_co_u32 v7, vcc_lo, s10, v12
	v_add_co_ci_u32_e64 v8, null, s11, v13, vcc_lo
	v_lshlrev_b64 v[12:13], 1, v[14:15]
	v_add_co_u32 v10, vcc_lo, s10, v10
	v_add_co_ci_u32_e64 v11, null, s11, v11, vcc_lo
	v_cmp_eq_u32_e64 s5, 0, v0
	v_add_co_u32 v12, vcc_lo, s10, v12
	s_lshl_b64 s[8:9], s[6:7], 2
	v_add_co_ci_u32_e64 v13, null, s11, v13, vcc_lo
	v_mov_b32_e32 v0, 0
	s_add_u32 s24, s28, s8
	s_addc_u32 s25, s29, s9
	s_mul_i32 s20, s19, s18
	s_branch .LBB460_65
.LBB460_64:                             ;   in Loop: Header=BB460_65 Depth=1
	s_or_b32 exec_lo, exec_lo, s6
	s_add_i32 s19, s19, 1
	s_add_i32 s20, s20, s18
	s_cmp_ge_i32 s19, s13
	s_cbranch_scc1 .LBB460_86
.LBB460_65:                             ; =>This Loop Header: Depth=1
                                        ;     Child Loop BB460_78 Depth 2
                                        ;     Child Loop BB460_81 Depth 2
	v_mov_b32_e32 v22, s7
	s_and_saveexec_b32 s6, s0
	s_xor_b32 s6, exec_lo, s6
	s_cbranch_execnz .LBB460_74
; %bb.66:                               ;   in Loop: Header=BB460_65 Depth=1
	s_andn2_saveexec_b32 s26, s6
	s_cbranch_execnz .LBB460_75
.LBB460_67:                             ;   in Loop: Header=BB460_65 Depth=1
	s_or_b32 exec_lo, exec_lo, s26
	s_and_saveexec_b32 s6, s2
.LBB460_68:                             ;   in Loop: Header=BB460_65 Depth=1
	ds_write_b32 v16, v0
.LBB460_69:                             ;   in Loop: Header=BB460_65 Depth=1
	s_or_b32 exec_lo, exec_lo, s6
	s_waitcnt lgkmcnt(0)
	ds_bpermute_b32 v14, v17, v22
	s_waitcnt lgkmcnt(0)
	s_waitcnt_vscnt null, 0x0
	s_barrier
	buffer_gl0_inv
	v_add_f32_e32 v14, v22, v14
	ds_bpermute_b32 v15, v18, v14
	s_waitcnt lgkmcnt(0)
	v_add_f32_e32 v14, v14, v15
	ds_bpermute_b32 v15, v24, v14
	s_waitcnt lgkmcnt(0)
	;; [unrolled: 3-line block ×3, first 2 shown]
	v_add_f32_e32 v14, v14, v15
	ds_bpermute_b32 v15, v25, v14
	s_and_saveexec_b32 s6, s3
	s_cbranch_execz .LBB460_71
; %bb.70:                               ;   in Loop: Header=BB460_65 Depth=1
	s_waitcnt lgkmcnt(0)
	v_add_f32_e32 v14, v14, v15
	ds_write_b32 v21, v14
.LBB460_71:                             ;   in Loop: Header=BB460_65 Depth=1
	s_or_b32 exec_lo, exec_lo, s6
	v_mov_b32_e32 v14, 0
	s_waitcnt lgkmcnt(0)
	s_barrier
	buffer_gl0_inv
	s_and_saveexec_b32 s6, s4
	s_cbranch_execnz .LBB460_83
; %bb.72:                               ;   in Loop: Header=BB460_65 Depth=1
	s_or_b32 exec_lo, exec_lo, s6
	s_and_saveexec_b32 s6, s2
	s_cbranch_execnz .LBB460_84
.LBB460_73:                             ;   in Loop: Header=BB460_65 Depth=1
	s_or_b32 exec_lo, exec_lo, s6
	s_and_saveexec_b32 s6, s5
	s_cbranch_execz .LBB460_64
	s_branch .LBB460_85
.LBB460_74:                             ;   in Loop: Header=BB460_65 Depth=1
	s_mul_i32 s8, s19, s18
	s_ashr_i32 s9, s8, 31
	s_lshl_b64 s[8:9], s[8:9], 1
	v_add_co_u32 v1, vcc_lo, v19, s8
	v_add_co_ci_u32_e64 v2, null, s9, v20, vcc_lo
	s_waitcnt lgkmcnt(0)
	flat_load_dwordx2 v[14:15], v[1:2]
	s_clause 0x3
	flat_load_ushort v1, v[5:6]
	flat_load_ushort v2, v[7:8]
	;; [unrolled: 1-line block ×4, first 2 shown]
	s_waitcnt vmcnt(3) lgkmcnt(3)
	v_fma_mix_f32 v4, v1, v14, 0 op_sel_hi:[1,1,0]
	v_cvt_f32_f16_e32 v1, v1
	s_waitcnt vmcnt(2) lgkmcnt(2)
	v_fma_mix_f32 v4, v2, v14, v4 op_sel:[0,1,0] op_sel_hi:[1,1,0]
	v_cvt_f32_f16_e32 v2, v2
	s_waitcnt vmcnt(1) lgkmcnt(1)
	v_fma_mix_f32 v14, v3, v15, v4 op_sel_hi:[1,1,0]
	v_cvt_f32_f16_e32 v3, v3
	s_waitcnt vmcnt(0) lgkmcnt(0)
	v_cvt_f32_f16_e32 v4, v22
	v_fma_mix_f32 v22, v22, v15, v14 op_sel:[0,1,0] op_sel_hi:[1,1,0]
	s_andn2_saveexec_b32 s26, s6
	s_cbranch_execz .LBB460_67
.LBB460_75:                             ;   in Loop: Header=BB460_65 Depth=1
	s_and_saveexec_b32 s27, s1
	s_cbranch_execz .LBB460_82
; %bb.76:                               ;   in Loop: Header=BB460_65 Depth=1
	s_andn2_b32 vcc_lo, exec_lo, s12
	s_cbranch_vccnz .LBB460_79
; %bb.77:                               ;   in Loop: Header=BB460_65 Depth=1
	s_waitcnt lgkmcnt(0)
	v_mov_b32_e32 v14, v9
	s_mov_b64 s[22:23], 0
	.p2align	6
.LBB460_78:                             ;   Parent Loop BB460_65 Depth=1
                                        ; =>  This Inner Loop Header: Depth=2
	v_ashrrev_i32_e32 v15, 31, v14
	s_cmp_eq_u32 s22, 3
	v_lshlrev_b64 v[26:27], 1, v[14:15]
	v_add_nc_u32_e32 v14, s15, v14
	v_add_co_u32 v26, vcc_lo, s10, v26
	v_add_co_ci_u32_e64 v27, null, s11, v27, vcc_lo
	s_cselect_b32 vcc_lo, -1, 0
	s_cmp_eq_u32 s22, 2
	s_cselect_b32 s6, -1, 0
	flat_load_ushort v15, v[26:27]
	s_cmp_eq_u32 s22, 1
	s_cselect_b32 s8, -1, 0
	s_cmp_eq_u32 s22, 0
	s_waitcnt vmcnt(0) lgkmcnt(0)
	v_cvt_f32_f16_e32 v15, v15
	v_cndmask_b32_e32 v4, v4, v15, vcc_lo
	s_cselect_b32 vcc_lo, -1, 0
	v_cndmask_b32_e64 v3, v3, v15, s6
	v_cndmask_b32_e64 v2, v2, v15, s8
	v_cndmask_b32_e32 v1, v1, v15, vcc_lo
	s_add_u32 s22, s22, 1
	s_addc_u32 s23, s23, 0
	s_cmp_eq_u32 s17, s22
	s_cbranch_scc0 .LBB460_78
.LBB460_79:                             ;   in Loop: Header=BB460_65 Depth=1
	s_andn2_b32 vcc_lo, exec_lo, s12
	s_cbranch_vccnz .LBB460_82
; %bb.80:                               ;   in Loop: Header=BB460_65 Depth=1
	s_ashr_i32 s21, s20, 31
	s_lshl_b64 s[8:9], s[20:21], 1
	s_waitcnt lgkmcnt(0)
	v_add_co_u32 v14, vcc_lo, v19, s8
	v_add_co_ci_u32_e64 v15, null, s9, v20, vcc_lo
	s_mov_b64 s[8:9], 0
	.p2align	6
.LBB460_81:                             ;   Parent Loop BB460_65 Depth=1
                                        ; =>  This Inner Loop Header: Depth=2
	flat_load_ushort v26, v[14:15]
	s_cmp_eq_u32 s8, 1
	s_cselect_b32 vcc_lo, -1, 0
	s_cmp_eq_u32 s8, 2
	v_cndmask_b32_e32 v27, v1, v2, vcc_lo
	s_cselect_b32 vcc_lo, -1, 0
	s_cmp_eq_u32 s8, 3
	v_cndmask_b32_e32 v27, v27, v3, vcc_lo
	s_cselect_b32 vcc_lo, -1, 0
	s_add_u32 s8, s8, 1
	s_addc_u32 s9, s9, 0
	s_cmp_lg_u32 s17, s8
	v_cndmask_b32_e32 v27, v27, v4, vcc_lo
	v_add_co_u32 v14, vcc_lo, v14, 2
	v_add_co_ci_u32_e64 v15, null, 0, v15, vcc_lo
	s_waitcnt vmcnt(0) lgkmcnt(0)
	v_fma_mix_f32 v22, v27, v26, v22 op_sel_hi:[0,1,0]
	s_cbranch_scc1 .LBB460_81
.LBB460_82:                             ;   in Loop: Header=BB460_65 Depth=1
	s_or_b32 exec_lo, exec_lo, s27
	s_or_b32 exec_lo, exec_lo, s26
	s_and_saveexec_b32 s6, s2
	s_cbranch_execnz .LBB460_68
	s_branch .LBB460_69
.LBB460_83:                             ;   in Loop: Header=BB460_65 Depth=1
	ds_read_b32 v14, v16
	s_or_b32 exec_lo, exec_lo, s6
	s_and_saveexec_b32 s6, s2
	s_cbranch_execz .LBB460_73
.LBB460_84:                             ;   in Loop: Header=BB460_65 Depth=1
	s_waitcnt lgkmcnt(0)
	ds_bpermute_b32 v15, v24, v14
	s_waitcnt lgkmcnt(0)
	v_add_f32_e32 v14, v14, v15
	ds_bpermute_b32 v15, v23, v14
	s_waitcnt lgkmcnt(0)
	v_add_f32_e32 v14, v14, v15
	;; [unrolled: 3-line block ×3, first 2 shown]
	s_or_b32 exec_lo, exec_lo, s6
	s_and_saveexec_b32 s6, s5
	s_cbranch_execz .LBB460_64
.LBB460_85:                             ;   in Loop: Header=BB460_65 Depth=1
	s_mul_hi_u32 s9, s19, s16
	s_mul_i32 s8, s19, s16
	s_waitcnt lgkmcnt(0)
	v_mul_f32_e32 v14, s14, v14
	s_lshl_b64 s[8:9], s[8:9], 2
	s_add_u32 s8, s24, s8
	s_addc_u32 s9, s25, s9
	global_store_dword v0, v14, s[8:9]
	s_branch .LBB460_64
.LBB460_86:
	s_endpgm
	.section	.rodata,"a",@progbits
	.p2align	6, 0x0
	.amdhsa_kernel _ZL23rocblas_gemvt_sn_kernelILb1ELi256ELi4EiPKDF16_ffEviiT4_lPKT3_lilS5_lilPT5_i
		.amdhsa_group_segment_fixed_size 128
		.amdhsa_private_segment_fixed_size 0
		.amdhsa_kernarg_size 360
		.amdhsa_user_sgpr_count 6
		.amdhsa_user_sgpr_private_segment_buffer 1
		.amdhsa_user_sgpr_dispatch_ptr 0
		.amdhsa_user_sgpr_queue_ptr 0
		.amdhsa_user_sgpr_kernarg_segment_ptr 1
		.amdhsa_user_sgpr_dispatch_id 0
		.amdhsa_user_sgpr_flat_scratch_init 0
		.amdhsa_user_sgpr_private_segment_size 0
		.amdhsa_wavefront_size32 1
		.amdhsa_uses_dynamic_stack 0
		.amdhsa_system_sgpr_private_segment_wavefront_offset 0
		.amdhsa_system_sgpr_workgroup_id_x 1
		.amdhsa_system_sgpr_workgroup_id_y 0
		.amdhsa_system_sgpr_workgroup_id_z 1
		.amdhsa_system_sgpr_workgroup_info 0
		.amdhsa_system_vgpr_workitem_id 0
		.amdhsa_next_free_vgpr 44
		.amdhsa_next_free_sgpr 44
		.amdhsa_reserve_vcc 1
		.amdhsa_reserve_flat_scratch 1
		.amdhsa_float_round_mode_32 0
		.amdhsa_float_round_mode_16_64 0
		.amdhsa_float_denorm_mode_32 3
		.amdhsa_float_denorm_mode_16_64 3
		.amdhsa_dx10_clamp 1
		.amdhsa_ieee_mode 1
		.amdhsa_fp16_overflow 0
		.amdhsa_workgroup_processor_mode 1
		.amdhsa_memory_ordered 1
		.amdhsa_forward_progress 1
		.amdhsa_shared_vgpr_count 0
		.amdhsa_exception_fp_ieee_invalid_op 0
		.amdhsa_exception_fp_denorm_src 0
		.amdhsa_exception_fp_ieee_div_zero 0
		.amdhsa_exception_fp_ieee_overflow 0
		.amdhsa_exception_fp_ieee_underflow 0
		.amdhsa_exception_fp_ieee_inexact 0
		.amdhsa_exception_int_div_zero 0
	.end_amdhsa_kernel
	.section	.text._ZL23rocblas_gemvt_sn_kernelILb1ELi256ELi4EiPKDF16_ffEviiT4_lPKT3_lilS5_lilPT5_i,"axG",@progbits,_ZL23rocblas_gemvt_sn_kernelILb1ELi256ELi4EiPKDF16_ffEviiT4_lPKT3_lilS5_lilPT5_i,comdat
.Lfunc_end460:
	.size	_ZL23rocblas_gemvt_sn_kernelILb1ELi256ELi4EiPKDF16_ffEviiT4_lPKT3_lilS5_lilPT5_i, .Lfunc_end460-_ZL23rocblas_gemvt_sn_kernelILb1ELi256ELi4EiPKDF16_ffEviiT4_lPKT3_lilS5_lilPT5_i
                                        ; -- End function
	.set _ZL23rocblas_gemvt_sn_kernelILb1ELi256ELi4EiPKDF16_ffEviiT4_lPKT3_lilS5_lilPT5_i.num_vgpr, 44
	.set _ZL23rocblas_gemvt_sn_kernelILb1ELi256ELi4EiPKDF16_ffEviiT4_lPKT3_lilS5_lilPT5_i.num_agpr, 0
	.set _ZL23rocblas_gemvt_sn_kernelILb1ELi256ELi4EiPKDF16_ffEviiT4_lPKT3_lilS5_lilPT5_i.numbered_sgpr, 44
	.set _ZL23rocblas_gemvt_sn_kernelILb1ELi256ELi4EiPKDF16_ffEviiT4_lPKT3_lilS5_lilPT5_i.num_named_barrier, 0
	.set _ZL23rocblas_gemvt_sn_kernelILb1ELi256ELi4EiPKDF16_ffEviiT4_lPKT3_lilS5_lilPT5_i.private_seg_size, 0
	.set _ZL23rocblas_gemvt_sn_kernelILb1ELi256ELi4EiPKDF16_ffEviiT4_lPKT3_lilS5_lilPT5_i.uses_vcc, 1
	.set _ZL23rocblas_gemvt_sn_kernelILb1ELi256ELi4EiPKDF16_ffEviiT4_lPKT3_lilS5_lilPT5_i.uses_flat_scratch, 1
	.set _ZL23rocblas_gemvt_sn_kernelILb1ELi256ELi4EiPKDF16_ffEviiT4_lPKT3_lilS5_lilPT5_i.has_dyn_sized_stack, 0
	.set _ZL23rocblas_gemvt_sn_kernelILb1ELi256ELi4EiPKDF16_ffEviiT4_lPKT3_lilS5_lilPT5_i.has_recursion, 0
	.set _ZL23rocblas_gemvt_sn_kernelILb1ELi256ELi4EiPKDF16_ffEviiT4_lPKT3_lilS5_lilPT5_i.has_indirect_call, 0
	.section	.AMDGPU.csdata,"",@progbits
; Kernel info:
; codeLenInByte = 4204
; TotalNumSgprs: 46
; NumVgprs: 44
; ScratchSize: 0
; MemoryBound: 0
; FloatMode: 240
; IeeeMode: 1
; LDSByteSize: 128 bytes/workgroup (compile time only)
; SGPRBlocks: 0
; VGPRBlocks: 5
; NumSGPRsForWavesPerEU: 46
; NumVGPRsForWavesPerEU: 44
; Occupancy: 16
; WaveLimiterHint : 0
; COMPUTE_PGM_RSRC2:SCRATCH_EN: 0
; COMPUTE_PGM_RSRC2:USER_SGPR: 6
; COMPUTE_PGM_RSRC2:TRAP_HANDLER: 0
; COMPUTE_PGM_RSRC2:TGID_X_EN: 1
; COMPUTE_PGM_RSRC2:TGID_Y_EN: 0
; COMPUTE_PGM_RSRC2:TGID_Z_EN: 1
; COMPUTE_PGM_RSRC2:TIDIG_COMP_CNT: 0
	.section	.text._ZL23rocblas_gemvt_sn_kernelILb1ELi256ELi4ElPKDF16_ffEviiT4_lPKT3_lilS5_lilPT5_i,"axG",@progbits,_ZL23rocblas_gemvt_sn_kernelILb1ELi256ELi4ElPKDF16_ffEviiT4_lPKT3_lilS5_lilPT5_i,comdat
	.globl	_ZL23rocblas_gemvt_sn_kernelILb1ELi256ELi4ElPKDF16_ffEviiT4_lPKT3_lilS5_lilPT5_i ; -- Begin function _ZL23rocblas_gemvt_sn_kernelILb1ELi256ELi4ElPKDF16_ffEviiT4_lPKT3_lilS5_lilPT5_i
	.p2align	8
	.type	_ZL23rocblas_gemvt_sn_kernelILb1ELi256ELi4ElPKDF16_ffEviiT4_lPKT3_lilS5_lilPT5_i,@function
_ZL23rocblas_gemvt_sn_kernelILb1ELi256ELi4ElPKDF16_ffEviiT4_lPKT3_lilS5_lilPT5_i: ; @_ZL23rocblas_gemvt_sn_kernelILb1ELi256ELi4ElPKDF16_ffEviiT4_lPKT3_lilS5_lilPT5_i
; %bb.0:
	s_load_dwordx4 s[12:15], s[4:5], 0x0
	s_mov_b32 s0, s7
	s_mov_b32 s1, 0
	s_waitcnt lgkmcnt(0)
	v_cmp_neq_f32_e64 s3, s14, 0
	v_cmp_eq_f32_e64 s2, s14, 0
	s_and_b32 vcc_lo, exec_lo, s3
	s_cbranch_vccnz .LBB461_2
; %bb.1:
	s_mov_b32 s7, s1
	s_mov_b64 s[20:21], 0
	s_andn2_b32 vcc_lo, exec_lo, s7
	s_mov_b64 s[18:19], 0
	s_cbranch_vccz .LBB461_3
	s_branch .LBB461_4
.LBB461_2:
	s_mov_b64 s[20:21], 0
	s_mov_b64 s[18:19], 0
.LBB461_3:
	s_load_dwordx4 s[8:11], s[4:5], 0x18
	s_lshl_b64 s[16:17], s[0:1], 3
	s_waitcnt lgkmcnt(0)
	s_add_u32 s8, s8, s16
	s_addc_u32 s9, s9, s17
	s_lshl_b64 s[10:11], s[10:11], 1
	s_load_dwordx2 s[8:9], s[8:9], 0x0
	s_waitcnt lgkmcnt(0)
	s_add_u32 s18, s8, s10
	s_addc_u32 s19, s9, s11
.LBB461_4:
	s_andn2_b32 vcc_lo, exec_lo, s3
	s_cbranch_vccnz .LBB461_6
; %bb.5:
	s_load_dwordx4 s[8:11], s[4:5], 0x38
	s_lshl_b64 s[16:17], s[0:1], 3
	s_waitcnt lgkmcnt(0)
	s_add_u32 s8, s8, s16
	s_addc_u32 s9, s9, s17
	s_lshl_b64 s[10:11], s[10:11], 1
	s_load_dwordx2 s[8:9], s[8:9], 0x0
	s_waitcnt lgkmcnt(0)
	s_add_u32 s20, s8, s10
	s_addc_u32 s21, s9, s11
.LBB461_6:
	s_clause 0x1
	s_load_dword s10, s[4:5], 0x68
	s_load_dwordx2 s[16:17], s[4:5], 0x58
	s_ashr_i32 s8, s13, 31
	s_mul_hi_u32 s1, s0, s13
	s_mul_i32 s3, s0, s8
	s_mul_i32 s0, s0, s13
	s_add_i32 s1, s1, s3
	s_mov_b32 s11, 0
	s_waitcnt lgkmcnt(0)
	s_mul_i32 s1, s1, s10
	s_mul_hi_u32 s3, s0, s10
	s_mul_i32 s0, s0, s10
	s_add_i32 s1, s3, s1
	s_lshl_b64 s[0:1], s[0:1], 2
	s_add_u32 s15, s16, s0
	s_addc_u32 s33, s17, s1
	s_andn2_b32 vcc_lo, exec_lo, s2
	s_mov_b32 s0, -1
	s_cbranch_vccnz .LBB461_11
; %bb.7:
	v_cmp_eq_u32_e32 vcc_lo, 0, v0
	s_cmp_gt_i32 s13, 0
	s_cselect_b32 s0, -1, 0
	s_and_b32 s0, vcc_lo, s0
	s_and_saveexec_b32 s9, s0
	s_cbranch_execz .LBB461_10
; %bb.8:
	s_mov_b32 s7, 0
	v_mov_b32_e32 v1, 0
	s_lshl_b64 s[0:1], s[6:7], 2
	s_mov_b32 s7, s13
	s_add_u32 s0, s15, s0
	s_addc_u32 s1, s33, s1
	s_lshl_b64 s[2:3], s[10:11], 2
.LBB461_9:                              ; =>This Inner Loop Header: Depth=1
	s_add_i32 s7, s7, -1
	global_store_dword v1, v1, s[0:1]
	s_add_u32 s0, s0, s2
	s_addc_u32 s1, s1, s3
	s_cmp_eq_u32 s7, 0
	s_cbranch_scc0 .LBB461_9
.LBB461_10:
	s_or_b32 exec_lo, exec_lo, s9
	s_mov_b32 s0, 0
.LBB461_11:
	s_andn2_b32 vcc_lo, exec_lo, s0
	s_cbranch_vccnz .LBB461_86
; %bb.12:
	s_lshl_b32 s0, s6, 10
	s_clause 0x1
	s_load_dword s16, s[4:5], 0x28
	s_load_dword s22, s[4:5], 0x48
	v_lshl_or_b32 v13, v0, 2, s0
	s_ashr_i32 s0, s12, 31
	s_lshr_b32 s1, s8, 30
	s_lshr_b32 s0, s0, 30
	s_add_i32 s1, s13, s1
	v_ashrrev_i32_e32 v14, 31, v13
	s_add_i32 s0, s12, s0
	s_and_b32 s36, s1, -4
	s_and_b32 s0, s0, -4
	v_add_nc_u32_e32 v30, 4, v13
	v_lshlrev_b64 v[11:12], 1, v[13:14]
	s_sub_i32 s11, s12, s0
	v_and_b32_e32 v27, 31, v0
	v_add_nc_u32_e32 v31, s11, v13
	v_cmp_gt_u32_e64 s0, 32, v0
	v_mbcnt_lo_u32_b32 v29, -1, 0
	v_add_co_u32 v9, vcc_lo, s18, v11
	v_add_co_ci_u32_e64 v10, null, s19, v12, vcc_lo
	v_cmp_gt_u32_e64 s1, 8, v0
	v_lshrrev_b32_e32 v28, 3, v0
	v_cmp_eq_u32_e64 s2, 0, v0
	v_or_b32_e32 v26, 1, v13
	v_or_b32_e32 v25, 2, v13
	;; [unrolled: 1-line block ×3, first 2 shown]
	s_waitcnt lgkmcnt(0)
	s_ashr_i32 s17, s16, 31
	s_ashr_i32 s23, s22, 31
	s_cmp_lt_i32 s36, 1
	s_cbranch_scc1 .LBB461_61
; %bb.13:
	v_cmp_gt_u32_e32 vcc_lo, 24, v29
	v_mad_i64_i32 v[5:6], null, s22, v25, 0
	v_mad_i64_i32 v[7:8], null, s22, v24, 0
	v_cndmask_b32_e64 v1, 0, 8, vcc_lo
	v_cmp_gt_u32_e32 vcc_lo, 28, v29
	s_cmp_gt_i32 s11, 0
	s_mov_b32 s7, 0
	v_mov_b32_e32 v23, v10
	v_add_lshl_u32 v33, v1, v29, 2
	v_cndmask_b32_e64 v2, 0, 4, vcc_lo
	v_cmp_gt_u32_e32 vcc_lo, 30, v29
	v_cmp_ge_i32_e64 s3, s12, v30
	v_cmp_ge_i32_e64 s4, s12, v31
	s_cselect_b32 s37, -1, 0
	v_add_lshl_u32 v34, v2, v29, 2
	v_cndmask_b32_e64 v3, 0, 2, vcc_lo
	v_cmp_ne_u32_e32 vcc_lo, 31, v29
	v_mad_i64_i32 v[1:2], null, s22, v13, 0
	v_lshl_or_b32 v32, v29, 2, 64
	v_add_lshl_u32 v35, v3, v29, 2
	v_add_co_ci_u32_e64 v4, null, 0, v29, vcc_lo
	v_cmp_eq_u32_e64 s5, 0, v27
	v_lshlrev_b32_e32 v37, 2, v27
	v_lshlrev_b64 v[1:2], 1, v[1:2]
	v_lshlrev_b32_e32 v36, 2, v4
	v_mad_i64_i32 v[3:4], null, s22, v26, 0
	s_lshl_b64 s[8:9], s[6:7], 2
	v_and_b32_e32 v38, 28, v28
	v_add_co_u32 v14, vcc_lo, s20, v1
	v_add_co_ci_u32_e64 v15, null, s21, v2, vcc_lo
	v_lshlrev_b64 v[3:4], 1, v[3:4]
	v_lshlrev_b64 v[1:2], 1, v[5:6]
	v_mov_b32_e32 v5, 0
	v_mov_b32_e32 v22, v9
	s_add_u32 s38, s15, s8
	s_addc_u32 s39, s33, s9
	v_add_co_u32 v16, vcc_lo, s20, v3
	v_add_co_ci_u32_e64 v17, null, s21, v4, vcc_lo
	v_lshlrev_b64 v[3:4], 1, v[7:8]
	v_add_co_u32 v18, vcc_lo, s20, v1
	v_mov_b32_e32 v6, v5
	v_mov_b32_e32 v7, v5
	;; [unrolled: 1-line block ×3, first 2 shown]
	v_add_co_ci_u32_e64 v19, null, s21, v2, vcc_lo
	v_add_co_u32 v20, vcc_lo, s20, v3
	v_add_co_ci_u32_e64 v21, null, s21, v4, vcc_lo
	v_mov_b32_e32 v1, v5
	v_mov_b32_e32 v2, v6
	;; [unrolled: 1-line block ×4, first 2 shown]
	s_lshl_b64 s[24:25], s[22:23], 1
	s_mul_hi_i32 s40, s16, 6
	s_mul_i32 s41, s16, 6
	s_lshl_b64 s[26:27], s[16:17], 3
	s_lshl_b64 s[28:29], s[16:17], 2
	;; [unrolled: 1-line block ×3, first 2 shown]
	s_branch .LBB461_15
.LBB461_14:                             ;   in Loop: Header=BB461_15 Depth=1
	s_or_b32 exec_lo, exec_lo, s8
	v_add_co_u32 v22, vcc_lo, v22, s26
	v_add_co_ci_u32_e64 v23, null, s27, v23, vcc_lo
	s_add_i32 s7, s7, 4
	s_cmp_ge_i32 s7, s36
	s_cbranch_scc1 .LBB461_62
.LBB461_15:                             ; =>This Loop Header: Depth=1
                                        ;     Child Loop BB461_46 Depth 2
                                        ;     Child Loop BB461_49 Depth 2
                                        ; implicit-def: $vgpr8
                                        ; implicit-def: $vgpr39
                                        ; implicit-def: $vgpr40
                                        ; implicit-def: $vgpr41
	s_and_saveexec_b32 s8, s3
	s_xor_b32 s8, exec_lo, s8
	s_cbranch_execnz .LBB461_42
; %bb.16:                               ;   in Loop: Header=BB461_15 Depth=1
	s_andn2_saveexec_b32 s42, s8
	s_cbranch_execnz .LBB461_43
.LBB461_17:                             ;   in Loop: Header=BB461_15 Depth=1
	s_or_b32 exec_lo, exec_lo, s42
	s_and_saveexec_b32 s8, s0
.LBB461_18:                             ;   in Loop: Header=BB461_15 Depth=1
	ds_write_b32 v37, v5
.LBB461_19:                             ;   in Loop: Header=BB461_15 Depth=1
	s_or_b32 exec_lo, exec_lo, s8
	ds_bpermute_b32 v6, v32, v41
	s_waitcnt lgkmcnt(0)
	s_waitcnt_vscnt null, 0x0
	s_barrier
	buffer_gl0_inv
	v_add_f32_e32 v6, v41, v6
	ds_bpermute_b32 v7, v33, v6
	s_waitcnt lgkmcnt(0)
	v_add_f32_e32 v6, v6, v7
	ds_bpermute_b32 v7, v34, v6
	s_waitcnt lgkmcnt(0)
	;; [unrolled: 3-line block ×3, first 2 shown]
	v_add_f32_e32 v6, v6, v7
	ds_bpermute_b32 v7, v36, v6
	s_and_saveexec_b32 s8, s5
	s_cbranch_execz .LBB461_21
; %bb.20:                               ;   in Loop: Header=BB461_15 Depth=1
	s_waitcnt lgkmcnt(0)
	v_add_f32_e32 v6, v6, v7
	ds_write_b32 v38, v6
.LBB461_21:                             ;   in Loop: Header=BB461_15 Depth=1
	s_or_b32 exec_lo, exec_lo, s8
	v_mov_b32_e32 v6, 0
	s_waitcnt lgkmcnt(0)
	s_barrier
	buffer_gl0_inv
	s_and_saveexec_b32 s8, s1
	s_cbranch_execnz .LBB461_50
; %bb.22:                               ;   in Loop: Header=BB461_15 Depth=1
	s_or_b32 exec_lo, exec_lo, s8
	s_and_saveexec_b32 s8, s0
	s_cbranch_execnz .LBB461_51
.LBB461_23:                             ;   in Loop: Header=BB461_15 Depth=1
	s_or_b32 exec_lo, exec_lo, s8
	s_and_saveexec_b32 s8, s0
.LBB461_24:                             ;   in Loop: Header=BB461_15 Depth=1
	ds_write_b32 v37, v5
.LBB461_25:                             ;   in Loop: Header=BB461_15 Depth=1
	s_or_b32 exec_lo, exec_lo, s8
	ds_bpermute_b32 v7, v32, v40
	s_waitcnt lgkmcnt(0)
	s_barrier
	buffer_gl0_inv
	v_add_f32_e32 v7, v40, v7
	ds_bpermute_b32 v40, v33, v7
	s_waitcnt lgkmcnt(0)
	v_add_f32_e32 v7, v7, v40
	ds_bpermute_b32 v40, v34, v7
	s_waitcnt lgkmcnt(0)
	;; [unrolled: 3-line block ×3, first 2 shown]
	v_add_f32_e32 v7, v7, v40
	ds_bpermute_b32 v40, v36, v7
	s_and_saveexec_b32 s8, s5
	s_cbranch_execz .LBB461_27
; %bb.26:                               ;   in Loop: Header=BB461_15 Depth=1
	s_waitcnt lgkmcnt(0)
	v_add_f32_e32 v7, v7, v40
	ds_write_b32 v38, v7
.LBB461_27:                             ;   in Loop: Header=BB461_15 Depth=1
	s_or_b32 exec_lo, exec_lo, s8
	v_mov_b32_e32 v7, 0
	s_waitcnt lgkmcnt(0)
	s_barrier
	buffer_gl0_inv
	s_and_saveexec_b32 s8, s1
	s_cbranch_execnz .LBB461_52
; %bb.28:                               ;   in Loop: Header=BB461_15 Depth=1
	s_or_b32 exec_lo, exec_lo, s8
	s_and_saveexec_b32 s8, s0
	s_cbranch_execnz .LBB461_53
.LBB461_29:                             ;   in Loop: Header=BB461_15 Depth=1
	s_or_b32 exec_lo, exec_lo, s8
	s_and_saveexec_b32 s8, s0
.LBB461_30:                             ;   in Loop: Header=BB461_15 Depth=1
	ds_write_b32 v37, v5
.LBB461_31:                             ;   in Loop: Header=BB461_15 Depth=1
	s_or_b32 exec_lo, exec_lo, s8
	ds_bpermute_b32 v40, v32, v39
	s_waitcnt lgkmcnt(0)
	s_barrier
	buffer_gl0_inv
	v_add_f32_e32 v39, v39, v40
	ds_bpermute_b32 v40, v33, v39
	s_waitcnt lgkmcnt(0)
	v_add_f32_e32 v39, v39, v40
	ds_bpermute_b32 v40, v34, v39
	s_waitcnt lgkmcnt(0)
	;; [unrolled: 3-line block ×3, first 2 shown]
	v_add_f32_e32 v39, v39, v40
	ds_bpermute_b32 v40, v36, v39
	s_and_saveexec_b32 s8, s5
	s_cbranch_execz .LBB461_33
; %bb.32:                               ;   in Loop: Header=BB461_15 Depth=1
	s_waitcnt lgkmcnt(0)
	v_add_f32_e32 v39, v39, v40
	ds_write_b32 v38, v39
.LBB461_33:                             ;   in Loop: Header=BB461_15 Depth=1
	s_or_b32 exec_lo, exec_lo, s8
	v_mov_b32_e32 v39, 0
	s_waitcnt lgkmcnt(0)
	s_barrier
	buffer_gl0_inv
	s_and_saveexec_b32 s8, s1
	s_cbranch_execnz .LBB461_54
; %bb.34:                               ;   in Loop: Header=BB461_15 Depth=1
	s_or_b32 exec_lo, exec_lo, s8
	s_and_saveexec_b32 s8, s0
	s_cbranch_execnz .LBB461_55
.LBB461_35:                             ;   in Loop: Header=BB461_15 Depth=1
	s_or_b32 exec_lo, exec_lo, s8
	s_and_saveexec_b32 s8, s0
.LBB461_36:                             ;   in Loop: Header=BB461_15 Depth=1
	ds_write_b32 v37, v5
.LBB461_37:                             ;   in Loop: Header=BB461_15 Depth=1
	s_or_b32 exec_lo, exec_lo, s8
	ds_bpermute_b32 v40, v32, v8
	s_waitcnt lgkmcnt(0)
	s_barrier
	buffer_gl0_inv
	v_add_f32_e32 v8, v8, v40
	ds_bpermute_b32 v40, v33, v8
	s_waitcnt lgkmcnt(0)
	v_add_f32_e32 v8, v8, v40
	ds_bpermute_b32 v40, v34, v8
	s_waitcnt lgkmcnt(0)
	v_add_f32_e32 v8, v8, v40
	ds_bpermute_b32 v40, v35, v8
	s_waitcnt lgkmcnt(0)
	v_add_f32_e32 v8, v8, v40
	ds_bpermute_b32 v40, v36, v8
	s_and_saveexec_b32 s8, s5
	s_cbranch_execz .LBB461_39
; %bb.38:                               ;   in Loop: Header=BB461_15 Depth=1
	s_waitcnt lgkmcnt(0)
	v_add_f32_e32 v8, v8, v40
	ds_write_b32 v38, v8
.LBB461_39:                             ;   in Loop: Header=BB461_15 Depth=1
	s_or_b32 exec_lo, exec_lo, s8
	v_mov_b32_e32 v8, 0
	s_waitcnt lgkmcnt(0)
	s_barrier
	buffer_gl0_inv
	s_and_saveexec_b32 s8, s1
	s_cbranch_execnz .LBB461_56
; %bb.40:                               ;   in Loop: Header=BB461_15 Depth=1
	s_or_b32 exec_lo, exec_lo, s8
	s_and_saveexec_b32 s8, s0
	s_cbranch_execnz .LBB461_57
.LBB461_41:                             ;   in Loop: Header=BB461_15 Depth=1
	s_or_b32 exec_lo, exec_lo, s8
	s_and_saveexec_b32 s8, s2
	s_cbranch_execz .LBB461_14
	s_branch .LBB461_58
.LBB461_42:                             ;   in Loop: Header=BB461_15 Depth=1
	s_mul_i32 s9, s7, s17
	s_mul_hi_u32 s34, s7, s16
	s_add_i32 s35, s34, s9
	s_mul_i32 s34, s7, s16
	s_or_b32 s9, s7, 1
	s_lshl_b64 s[34:35], s[34:35], 1
	s_mul_i32 s42, s9, s17
	s_mul_hi_u32 s43, s9, s16
	v_add_co_u32 v1, vcc_lo, v9, s34
	v_add_co_ci_u32_e64 v2, null, s35, v10, vcc_lo
	s_add_i32 s35, s43, s42
	s_mul_i32 s34, s9, s16
	s_or_b32 s9, s7, 2
	s_lshl_b64 s[34:35], s[34:35], 1
	s_mul_i32 s42, s9, s17
	s_mul_hi_u32 s43, s9, s16
	v_add_co_u32 v3, vcc_lo, v9, s34
	v_add_co_ci_u32_e64 v4, null, s35, v10, vcc_lo
	s_add_i32 s35, s43, s42
	s_or_b32 s42, s7, 3
	s_mul_i32 s34, s9, s16
	s_mul_i32 s9, s42, s17
	s_mul_hi_u32 s43, s42, s16
	s_lshl_b64 s[34:35], s[34:35], 1
	s_add_i32 s43, s43, s9
	s_mul_i32 s42, s42, s16
	v_add_co_u32 v6, vcc_lo, v9, s34
	v_add_co_ci_u32_e64 v7, null, s35, v10, vcc_lo
	s_lshl_b64 s[34:35], s[42:43], 1
	v_add_co_u32 v39, vcc_lo, v9, s34
	v_add_co_ci_u32_e64 v40, null, s35, v10, vcc_lo
	s_waitcnt lgkmcnt(0)
	flat_load_ushort v8, v[14:15]
	s_clause 0x3
	flat_load_dwordx2 v[41:42], v[1:2]
	flat_load_dwordx2 v[43:44], v[3:4]
	;; [unrolled: 1-line block ×4, first 2 shown]
	s_clause 0x2
	flat_load_ushort v3, v[16:17]
	flat_load_ushort v4, v[18:19]
	;; [unrolled: 1-line block ×3, first 2 shown]
	s_waitcnt vmcnt(7) lgkmcnt(7)
	v_cvt_f32_f16_e32 v1, v8
	s_waitcnt vmcnt(6) lgkmcnt(6)
	v_fma_mix_f32 v39, v8, v41, 0 op_sel_hi:[1,1,0]
	s_waitcnt vmcnt(5) lgkmcnt(5)
	v_fma_mix_f32 v40, v8, v43, 0 op_sel_hi:[1,1,0]
	;; [unrolled: 2-line block ×4, first 2 shown]
	s_waitcnt vmcnt(2) lgkmcnt(2)
	v_cvt_f32_f16_e32 v2, v3
	v_fma_mix_f32 v39, v3, v41, v39 op_sel:[0,1,0] op_sel_hi:[1,1,0]
	v_fma_mix_f32 v40, v3, v43, v40 op_sel:[0,1,0] op_sel_hi:[1,1,0]
	;; [unrolled: 1-line block ×4, first 2 shown]
	s_waitcnt vmcnt(1) lgkmcnt(1)
	v_cvt_f32_f16_e32 v3, v4
	v_fma_mix_f32 v39, v4, v42, v39 op_sel_hi:[1,1,0]
	v_fma_mix_f32 v40, v4, v44, v40 op_sel_hi:[1,1,0]
	;; [unrolled: 1-line block ×4, first 2 shown]
	s_waitcnt vmcnt(0) lgkmcnt(0)
	v_cvt_f32_f16_e32 v4, v47
	v_fma_mix_f32 v41, v47, v42, v39 op_sel:[0,1,0] op_sel_hi:[1,1,0]
	v_fma_mix_f32 v40, v47, v44, v40 op_sel:[0,1,0] op_sel_hi:[1,1,0]
	;; [unrolled: 1-line block ×4, first 2 shown]
	s_andn2_saveexec_b32 s42, s8
	s_cbranch_execz .LBB461_17
.LBB461_43:                             ;   in Loop: Header=BB461_15 Depth=1
	s_waitcnt lgkmcnt(0)
	v_mov_b32_e32 v8, 0
	v_mov_b32_e32 v39, 0
	;; [unrolled: 1-line block ×4, first 2 shown]
	s_and_saveexec_b32 s43, s4
	s_cbranch_execz .LBB461_60
; %bb.44:                               ;   in Loop: Header=BB461_15 Depth=1
	s_andn2_b32 vcc_lo, exec_lo, s37
	s_cbranch_vccnz .LBB461_47
; %bb.45:                               ;   in Loop: Header=BB461_15 Depth=1
	v_mov_b32_e32 v6, v14
	v_mov_b32_e32 v7, v15
	s_mov_b64 s[34:35], 0
	.p2align	6
.LBB461_46:                             ;   Parent Loop BB461_15 Depth=1
                                        ; =>  This Inner Loop Header: Depth=2
	flat_load_ushort v8, v[6:7]
	s_cmp_eq_u32 s34, 3
	v_add_co_u32 v6, vcc_lo, v6, s24
	v_add_co_ci_u32_e64 v7, null, s25, v7, vcc_lo
	s_cselect_b32 vcc_lo, -1, 0
	s_cmp_eq_u32 s34, 2
	s_cselect_b32 s8, -1, 0
	s_cmp_eq_u32 s34, 1
	s_cselect_b32 s9, -1, 0
	s_cmp_eq_u32 s34, 0
	s_waitcnt vmcnt(0) lgkmcnt(0)
	v_cvt_f32_f16_e32 v8, v8
	v_cndmask_b32_e32 v4, v4, v8, vcc_lo
	s_cselect_b32 vcc_lo, -1, 0
	v_cndmask_b32_e64 v3, v3, v8, s8
	v_cndmask_b32_e64 v2, v2, v8, s9
	v_cndmask_b32_e32 v1, v1, v8, vcc_lo
	s_add_u32 s34, s34, 1
	s_addc_u32 s35, s35, 0
	s_cmp_eq_u32 s11, s34
	s_cbranch_scc0 .LBB461_46
.LBB461_47:                             ;   in Loop: Header=BB461_15 Depth=1
	s_andn2_b32 vcc_lo, exec_lo, s37
	s_cbranch_vccnz .LBB461_59
; %bb.48:                               ;   in Loop: Header=BB461_15 Depth=1
	v_mov_b32_e32 v6, v22
	v_mov_b32_e32 v41, 0
	;; [unrolled: 1-line block ×6, first 2 shown]
	s_mov_b64 s[34:35], 0
	s_inst_prefetch 0x1
	.p2align	6
.LBB461_49:                             ;   Parent Loop BB461_15 Depth=1
                                        ; =>  This Inner Loop Header: Depth=2
	v_add_co_u32 v42, vcc_lo, v6, s30
	v_add_co_ci_u32_e64 v43, null, s31, v7, vcc_lo
	v_add_co_u32 v44, vcc_lo, v6, s28
	v_add_co_ci_u32_e64 v45, null, s29, v7, vcc_lo
	;; [unrolled: 2-line block ×3, first 2 shown]
	s_clause 0x3
	flat_load_ushort v48, v[6:7]
	flat_load_ushort v42, v[42:43]
	;; [unrolled: 1-line block ×4, first 2 shown]
	s_cmp_eq_u32 s34, 1
	v_add_co_u32 v6, s8, v6, 2
	s_cselect_b32 vcc_lo, -1, 0
	s_cmp_eq_u32 s34, 2
	v_cndmask_b32_e32 v45, v1, v2, vcc_lo
	s_cselect_b32 vcc_lo, -1, 0
	s_cmp_eq_u32 s34, 3
	v_add_co_ci_u32_e64 v7, null, 0, v7, s8
	v_cndmask_b32_e32 v45, v45, v3, vcc_lo
	s_cselect_b32 vcc_lo, -1, 0
	s_add_u32 s34, s34, 1
	s_addc_u32 s35, s35, 0
	s_cmp_lg_u32 s11, s34
	v_cndmask_b32_e32 v45, v45, v4, vcc_lo
	s_waitcnt vmcnt(3) lgkmcnt(3)
	v_fma_mix_f32 v41, v45, v48, v41 op_sel_hi:[0,1,0]
	s_waitcnt vmcnt(2) lgkmcnt(2)
	v_fma_mix_f32 v40, v45, v42, v40 op_sel_hi:[0,1,0]
	;; [unrolled: 2-line block ×4, first 2 shown]
	s_cbranch_scc1 .LBB461_49
	s_branch .LBB461_60
.LBB461_50:                             ;   in Loop: Header=BB461_15 Depth=1
	ds_read_b32 v6, v37
	s_or_b32 exec_lo, exec_lo, s8
	s_and_saveexec_b32 s8, s0
	s_cbranch_execz .LBB461_23
.LBB461_51:                             ;   in Loop: Header=BB461_15 Depth=1
	s_waitcnt lgkmcnt(0)
	ds_bpermute_b32 v7, v34, v6
	s_waitcnt lgkmcnt(0)
	v_add_f32_e32 v6, v6, v7
	ds_bpermute_b32 v7, v35, v6
	s_waitcnt lgkmcnt(0)
	v_add_f32_e32 v6, v6, v7
	;; [unrolled: 3-line block ×3, first 2 shown]
	s_or_b32 exec_lo, exec_lo, s8
	s_and_saveexec_b32 s8, s0
	s_cbranch_execnz .LBB461_24
	s_branch .LBB461_25
.LBB461_52:                             ;   in Loop: Header=BB461_15 Depth=1
	ds_read_b32 v7, v37
	s_or_b32 exec_lo, exec_lo, s8
	s_and_saveexec_b32 s8, s0
	s_cbranch_execz .LBB461_29
.LBB461_53:                             ;   in Loop: Header=BB461_15 Depth=1
	s_waitcnt lgkmcnt(0)
	ds_bpermute_b32 v40, v34, v7
	s_waitcnt lgkmcnt(0)
	v_add_f32_e32 v7, v7, v40
	ds_bpermute_b32 v40, v35, v7
	s_waitcnt lgkmcnt(0)
	v_add_f32_e32 v7, v7, v40
	;; [unrolled: 3-line block ×3, first 2 shown]
	s_or_b32 exec_lo, exec_lo, s8
	s_and_saveexec_b32 s8, s0
	s_cbranch_execnz .LBB461_30
	s_branch .LBB461_31
.LBB461_54:                             ;   in Loop: Header=BB461_15 Depth=1
	ds_read_b32 v39, v37
	s_or_b32 exec_lo, exec_lo, s8
	s_and_saveexec_b32 s8, s0
	s_cbranch_execz .LBB461_35
.LBB461_55:                             ;   in Loop: Header=BB461_15 Depth=1
	s_waitcnt lgkmcnt(0)
	ds_bpermute_b32 v40, v34, v39
	s_waitcnt lgkmcnt(0)
	v_add_f32_e32 v39, v39, v40
	ds_bpermute_b32 v40, v35, v39
	s_waitcnt lgkmcnt(0)
	v_add_f32_e32 v39, v39, v40
	;; [unrolled: 3-line block ×3, first 2 shown]
	s_or_b32 exec_lo, exec_lo, s8
	s_and_saveexec_b32 s8, s0
	s_cbranch_execnz .LBB461_36
	s_branch .LBB461_37
.LBB461_56:                             ;   in Loop: Header=BB461_15 Depth=1
	ds_read_b32 v8, v37
	s_or_b32 exec_lo, exec_lo, s8
	s_and_saveexec_b32 s8, s0
	s_cbranch_execz .LBB461_41
.LBB461_57:                             ;   in Loop: Header=BB461_15 Depth=1
	s_waitcnt lgkmcnt(0)
	ds_bpermute_b32 v40, v34, v8
	s_waitcnt lgkmcnt(0)
	v_add_f32_e32 v8, v8, v40
	ds_bpermute_b32 v40, v35, v8
	s_waitcnt lgkmcnt(0)
	v_add_f32_e32 v8, v8, v40
	;; [unrolled: 3-line block ×3, first 2 shown]
	s_or_b32 exec_lo, exec_lo, s8
	s_and_saveexec_b32 s8, s2
	s_cbranch_execz .LBB461_14
.LBB461_58:                             ;   in Loop: Header=BB461_15 Depth=1
	s_mul_hi_u32 s35, s7, s10
	s_mul_i32 s34, s7, s10
	v_mul_f32_e32 v6, s14, v6
	s_lshl_b64 s[34:35], s[34:35], 2
	v_mul_f32_e32 v7, s14, v7
	s_add_u32 s34, s38, s34
	s_addc_u32 s35, s39, s35
	s_or_b32 s9, s7, 1
	global_store_dword v5, v6, s[34:35]
	s_mul_hi_u32 s43, s9, s10
	s_mul_i32 s42, s9, s10
	v_mul_f32_e32 v6, s14, v39
	s_lshl_b64 s[42:43], s[42:43], 2
	s_waitcnt lgkmcnt(0)
	v_mul_f32_e32 v8, s14, v8
	s_add_u32 s42, s38, s42
	s_addc_u32 s43, s39, s43
	s_or_b32 s9, s7, 2
	global_store_dword v5, v7, s[42:43]
	s_mul_hi_u32 s45, s9, s10
	s_mul_i32 s44, s9, s10
	s_lshl_b64 s[44:45], s[44:45], 2
	s_add_u32 s34, s38, s44
	s_addc_u32 s35, s39, s45
	s_or_b32 s9, s7, 3
	s_mul_hi_u32 s45, s9, s10
	s_mul_i32 s44, s9, s10
	s_lshl_b64 s[44:45], s[44:45], 2
	s_add_u32 s42, s38, s44
	s_addc_u32 s43, s39, s45
	global_store_dword v5, v6, s[34:35]
	global_store_dword v5, v8, s[42:43]
	s_branch .LBB461_14
.LBB461_59:                             ;   in Loop: Header=BB461_15 Depth=1
	v_mov_b32_e32 v8, 0
	v_mov_b32_e32 v39, 0
	;; [unrolled: 1-line block ×4, first 2 shown]
.LBB461_60:                             ;   in Loop: Header=BB461_15 Depth=1
	s_inst_prefetch 0x2
	s_or_b32 exec_lo, exec_lo, s43
	s_or_b32 exec_lo, exec_lo, s42
	s_and_saveexec_b32 s8, s0
	s_cbranch_execnz .LBB461_18
	s_branch .LBB461_19
.LBB461_61:
	v_mov_b32_e32 v1, 0
	s_mov_b32 s7, 0
	v_mov_b32_e32 v2, v1
	v_mov_b32_e32 v3, v1
	;; [unrolled: 1-line block ×3, first 2 shown]
.LBB461_62:
	s_cmp_ge_i32 s7, s13
	s_cbranch_scc1 .LBB461_86
; %bb.63:
	v_cmp_gt_u32_e32 vcc_lo, 24, v29
	v_lshl_or_b32 v20, v29, 2, 64
	v_mad_i64_i32 v[15:16], null, s22, v24, 0
	s_cmp_gt_i32 s11, 0
	v_cndmask_b32_e64 v5, 0, 8, vcc_lo
	v_cmp_gt_u32_e32 vcc_lo, 28, v29
	s_mov_b32 s9, 0
	s_mov_b32 s8, s6
	v_cmp_ge_i32_e64 s0, s12, v30
	v_add_lshl_u32 v21, v5, v29, 2
	v_cndmask_b32_e64 v6, 0, 4, vcc_lo
	v_cmp_gt_u32_e32 vcc_lo, 30, v29
	v_lshlrev_b64 v[15:16], 1, v[15:16]
	v_cmp_ge_i32_e64 s1, s12, v31
	s_cselect_b32 s12, -1, 0
	v_add_lshl_u32 v22, v6, v29, 2
	v_cndmask_b32_e64 v7, 0, 2, vcc_lo
	v_cmp_ne_u32_e32 vcc_lo, 31, v29
	v_mad_i64_i32 v[5:6], null, s22, v13, 0
	v_mad_i64_i32 v[13:14], null, s22, v25, 0
	s_waitcnt lgkmcnt(0)
	v_add_co_ci_u32_e64 v8, null, 0, v29, vcc_lo
	v_add_lshl_u32 v23, v7, v29, 2
	s_lshl_b64 s[24:25], s[8:9], 2
	v_lshlrev_b64 v[5:6], 1, v[5:6]
	v_lshlrev_b32_e32 v29, 2, v8
	v_mad_i64_i32 v[7:8], null, s22, v26, 0
	v_lshlrev_b64 v[13:14], 1, v[13:14]
	s_mul_i32 s6, s17, s7
	v_add_co_u32 v5, vcc_lo, s20, v5
	v_add_co_ci_u32_e64 v6, null, s21, v6, vcc_lo
	v_lshlrev_b64 v[7:8], 1, v[7:8]
	s_mul_hi_u32 s8, s16, s7
	s_add_u32 s15, s15, s24
	s_addc_u32 s24, s33, s25
	s_add_i32 s27, s8, s6
	s_mul_i32 s26, s16, s7
	v_add_co_u32 v7, vcc_lo, s20, v7
	v_add_co_ci_u32_e64 v8, null, s21, v8, vcc_lo
	v_add_co_u32 v13, vcc_lo, s20, v13
	v_add_co_ci_u32_e64 v14, null, s21, v14, vcc_lo
	v_add_co_u32 v15, vcc_lo, s20, v15
	s_lshl_b64 s[26:27], s[26:27], 1
	v_add_co_ci_u32_e64 v16, null, s21, v16, vcc_lo
	s_lshl_b64 s[20:21], s[22:23], 1
	s_add_u32 s6, s18, s26
	s_addc_u32 s8, s19, s27
	v_add_co_u32 v11, vcc_lo, s6, v11
	v_cmp_gt_u32_e64 s2, 32, v0
	v_lshlrev_b32_e32 v19, 2, v27
	v_cmp_eq_u32_e64 s3, 0, v27
	v_and_b32_e32 v27, 28, v28
	v_cmp_gt_u32_e64 s4, 8, v0
	v_cmp_eq_u32_e64 s5, 0, v0
	v_add_co_ci_u32_e64 v12, null, s8, v12, vcc_lo
	v_mov_b32_e32 v0, 0
	s_lshl_b64 s[18:19], s[16:17], 1
	s_branch .LBB461_65
.LBB461_64:                             ;   in Loop: Header=BB461_65 Depth=1
	s_or_b32 exec_lo, exec_lo, s6
	v_add_co_u32 v11, vcc_lo, v11, s18
	v_add_co_ci_u32_e64 v12, null, s19, v12, vcc_lo
	s_add_i32 s7, s7, 1
	s_cmp_ge_i32 s7, s13
	s_cbranch_scc1 .LBB461_86
.LBB461_65:                             ; =>This Loop Header: Depth=1
                                        ;     Child Loop BB461_78 Depth 2
                                        ;     Child Loop BB461_81 Depth 2
	v_mov_b32_e32 v24, s9
	s_and_saveexec_b32 s6, s0
	s_xor_b32 s6, exec_lo, s6
	s_cbranch_execnz .LBB461_74
; %bb.66:                               ;   in Loop: Header=BB461_65 Depth=1
	s_andn2_saveexec_b32 s25, s6
	s_cbranch_execnz .LBB461_75
.LBB461_67:                             ;   in Loop: Header=BB461_65 Depth=1
	s_or_b32 exec_lo, exec_lo, s25
	s_and_saveexec_b32 s6, s2
.LBB461_68:                             ;   in Loop: Header=BB461_65 Depth=1
	ds_write_b32 v19, v0
.LBB461_69:                             ;   in Loop: Header=BB461_65 Depth=1
	s_or_b32 exec_lo, exec_lo, s6
	s_waitcnt lgkmcnt(0)
	ds_bpermute_b32 v17, v20, v24
	s_waitcnt lgkmcnt(0)
	s_waitcnt_vscnt null, 0x0
	s_barrier
	buffer_gl0_inv
	v_add_f32_e32 v17, v24, v17
	ds_bpermute_b32 v18, v21, v17
	s_waitcnt lgkmcnt(0)
	v_add_f32_e32 v17, v17, v18
	ds_bpermute_b32 v18, v22, v17
	s_waitcnt lgkmcnt(0)
	;; [unrolled: 3-line block ×3, first 2 shown]
	v_add_f32_e32 v17, v17, v18
	ds_bpermute_b32 v18, v29, v17
	s_and_saveexec_b32 s6, s3
	s_cbranch_execz .LBB461_71
; %bb.70:                               ;   in Loop: Header=BB461_65 Depth=1
	s_waitcnt lgkmcnt(0)
	v_add_f32_e32 v17, v17, v18
	ds_write_b32 v27, v17
.LBB461_71:                             ;   in Loop: Header=BB461_65 Depth=1
	s_or_b32 exec_lo, exec_lo, s6
	v_mov_b32_e32 v17, 0
	s_waitcnt lgkmcnt(0)
	s_barrier
	buffer_gl0_inv
	s_and_saveexec_b32 s6, s4
	s_cbranch_execnz .LBB461_83
; %bb.72:                               ;   in Loop: Header=BB461_65 Depth=1
	s_or_b32 exec_lo, exec_lo, s6
	s_and_saveexec_b32 s6, s2
	s_cbranch_execnz .LBB461_84
.LBB461_73:                             ;   in Loop: Header=BB461_65 Depth=1
	s_or_b32 exec_lo, exec_lo, s6
	s_and_saveexec_b32 s6, s5
	s_cbranch_execz .LBB461_64
	s_branch .LBB461_85
.LBB461_74:                             ;   in Loop: Header=BB461_65 Depth=1
	s_mul_i32 s8, s7, s17
	s_mul_hi_u32 s23, s7, s16
	s_mul_i32 s22, s7, s16
	s_add_i32 s23, s23, s8
	s_lshl_b64 s[22:23], s[22:23], 1
	v_add_co_u32 v1, vcc_lo, v9, s22
	v_add_co_ci_u32_e64 v2, null, s23, v10, vcc_lo
	s_waitcnt lgkmcnt(0)
	flat_load_dwordx2 v[17:18], v[1:2]
	s_clause 0x3
	flat_load_ushort v1, v[5:6]
	flat_load_ushort v2, v[7:8]
	;; [unrolled: 1-line block ×4, first 2 shown]
	s_waitcnt vmcnt(3) lgkmcnt(3)
	v_fma_mix_f32 v4, v1, v17, 0 op_sel_hi:[1,1,0]
	v_cvt_f32_f16_e32 v1, v1
	s_waitcnt vmcnt(2) lgkmcnt(2)
	v_fma_mix_f32 v4, v2, v17, v4 op_sel:[0,1,0] op_sel_hi:[1,1,0]
	v_cvt_f32_f16_e32 v2, v2
	s_waitcnt vmcnt(1) lgkmcnt(1)
	v_fma_mix_f32 v17, v3, v18, v4 op_sel_hi:[1,1,0]
	v_cvt_f32_f16_e32 v3, v3
	s_waitcnt vmcnt(0) lgkmcnt(0)
	v_cvt_f32_f16_e32 v4, v24
	v_fma_mix_f32 v24, v24, v18, v17 op_sel:[0,1,0] op_sel_hi:[1,1,0]
	s_andn2_saveexec_b32 s25, s6
	s_cbranch_execz .LBB461_67
.LBB461_75:                             ;   in Loop: Header=BB461_65 Depth=1
	s_and_saveexec_b32 s26, s1
	s_cbranch_execz .LBB461_82
; %bb.76:                               ;   in Loop: Header=BB461_65 Depth=1
	s_andn2_b32 vcc_lo, exec_lo, s12
	s_cbranch_vccnz .LBB461_79
; %bb.77:                               ;   in Loop: Header=BB461_65 Depth=1
	s_waitcnt lgkmcnt(0)
	v_mov_b32_e32 v18, v6
	v_mov_b32_e32 v17, v5
	s_mov_b64 s[22:23], 0
	.p2align	6
.LBB461_78:                             ;   Parent Loop BB461_65 Depth=1
                                        ; =>  This Inner Loop Header: Depth=2
	flat_load_ushort v25, v[17:18]
	s_cmp_eq_u32 s22, 3
	v_add_co_u32 v17, vcc_lo, v17, s20
	v_add_co_ci_u32_e64 v18, null, s21, v18, vcc_lo
	s_cselect_b32 vcc_lo, -1, 0
	s_cmp_eq_u32 s22, 2
	s_cselect_b32 s6, -1, 0
	s_cmp_eq_u32 s22, 1
	s_cselect_b32 s8, -1, 0
	s_cmp_eq_u32 s22, 0
	s_waitcnt vmcnt(0) lgkmcnt(0)
	v_cvt_f32_f16_e32 v25, v25
	v_cndmask_b32_e32 v4, v4, v25, vcc_lo
	s_cselect_b32 vcc_lo, -1, 0
	v_cndmask_b32_e64 v3, v3, v25, s6
	v_cndmask_b32_e64 v2, v2, v25, s8
	v_cndmask_b32_e32 v1, v1, v25, vcc_lo
	s_add_u32 s22, s22, 1
	s_addc_u32 s23, s23, 0
	s_cmp_eq_u32 s11, s22
	s_cbranch_scc0 .LBB461_78
.LBB461_79:                             ;   in Loop: Header=BB461_65 Depth=1
	s_andn2_b32 vcc_lo, exec_lo, s12
	s_cbranch_vccnz .LBB461_82
; %bb.80:                               ;   in Loop: Header=BB461_65 Depth=1
	s_waitcnt lgkmcnt(0)
	v_mov_b32_e32 v18, v12
	v_mov_b32_e32 v17, v11
	s_mov_b64 s[22:23], 0
	.p2align	6
.LBB461_81:                             ;   Parent Loop BB461_65 Depth=1
                                        ; =>  This Inner Loop Header: Depth=2
	flat_load_ushort v25, v[17:18]
	s_cmp_eq_u32 s22, 1
	s_cselect_b32 vcc_lo, -1, 0
	s_cmp_eq_u32 s22, 2
	v_cndmask_b32_e32 v26, v1, v2, vcc_lo
	s_cselect_b32 vcc_lo, -1, 0
	s_cmp_eq_u32 s22, 3
	v_cndmask_b32_e32 v26, v26, v3, vcc_lo
	s_cselect_b32 vcc_lo, -1, 0
	s_add_u32 s22, s22, 1
	s_addc_u32 s23, s23, 0
	s_cmp_lg_u32 s11, s22
	v_cndmask_b32_e32 v26, v26, v4, vcc_lo
	v_add_co_u32 v17, vcc_lo, v17, 2
	v_add_co_ci_u32_e64 v18, null, 0, v18, vcc_lo
	s_waitcnt vmcnt(0) lgkmcnt(0)
	v_fma_mix_f32 v24, v26, v25, v24 op_sel_hi:[0,1,0]
	s_cbranch_scc1 .LBB461_81
.LBB461_82:                             ;   in Loop: Header=BB461_65 Depth=1
	s_or_b32 exec_lo, exec_lo, s26
	s_or_b32 exec_lo, exec_lo, s25
	s_and_saveexec_b32 s6, s2
	s_cbranch_execnz .LBB461_68
	s_branch .LBB461_69
.LBB461_83:                             ;   in Loop: Header=BB461_65 Depth=1
	ds_read_b32 v17, v19
	s_or_b32 exec_lo, exec_lo, s6
	s_and_saveexec_b32 s6, s2
	s_cbranch_execz .LBB461_73
.LBB461_84:                             ;   in Loop: Header=BB461_65 Depth=1
	s_waitcnt lgkmcnt(0)
	ds_bpermute_b32 v18, v22, v17
	s_waitcnt lgkmcnt(0)
	v_add_f32_e32 v17, v17, v18
	ds_bpermute_b32 v18, v23, v17
	s_waitcnt lgkmcnt(0)
	v_add_f32_e32 v17, v17, v18
	;; [unrolled: 3-line block ×3, first 2 shown]
	s_or_b32 exec_lo, exec_lo, s6
	s_and_saveexec_b32 s6, s5
	s_cbranch_execz .LBB461_64
.LBB461_85:                             ;   in Loop: Header=BB461_65 Depth=1
	s_mul_hi_u32 s23, s7, s10
	s_mul_i32 s22, s7, s10
	s_waitcnt lgkmcnt(0)
	v_mul_f32_e32 v17, s14, v17
	s_lshl_b64 s[22:23], s[22:23], 2
	s_add_u32 s22, s15, s22
	s_addc_u32 s23, s24, s23
	global_store_dword v0, v17, s[22:23]
	s_branch .LBB461_64
.LBB461_86:
	s_endpgm
	.section	.rodata,"a",@progbits
	.p2align	6, 0x0
	.amdhsa_kernel _ZL23rocblas_gemvt_sn_kernelILb1ELi256ELi4ElPKDF16_ffEviiT4_lPKT3_lilS5_lilPT5_i
		.amdhsa_group_segment_fixed_size 128
		.amdhsa_private_segment_fixed_size 0
		.amdhsa_kernarg_size 360
		.amdhsa_user_sgpr_count 6
		.amdhsa_user_sgpr_private_segment_buffer 1
		.amdhsa_user_sgpr_dispatch_ptr 0
		.amdhsa_user_sgpr_queue_ptr 0
		.amdhsa_user_sgpr_kernarg_segment_ptr 1
		.amdhsa_user_sgpr_dispatch_id 0
		.amdhsa_user_sgpr_flat_scratch_init 0
		.amdhsa_user_sgpr_private_segment_size 0
		.amdhsa_wavefront_size32 1
		.amdhsa_uses_dynamic_stack 0
		.amdhsa_system_sgpr_private_segment_wavefront_offset 0
		.amdhsa_system_sgpr_workgroup_id_x 1
		.amdhsa_system_sgpr_workgroup_id_y 0
		.amdhsa_system_sgpr_workgroup_id_z 1
		.amdhsa_system_sgpr_workgroup_info 0
		.amdhsa_system_vgpr_workitem_id 0
		.amdhsa_next_free_vgpr 49
		.amdhsa_next_free_sgpr 46
		.amdhsa_reserve_vcc 1
		.amdhsa_reserve_flat_scratch 1
		.amdhsa_float_round_mode_32 0
		.amdhsa_float_round_mode_16_64 0
		.amdhsa_float_denorm_mode_32 3
		.amdhsa_float_denorm_mode_16_64 3
		.amdhsa_dx10_clamp 1
		.amdhsa_ieee_mode 1
		.amdhsa_fp16_overflow 0
		.amdhsa_workgroup_processor_mode 1
		.amdhsa_memory_ordered 1
		.amdhsa_forward_progress 1
		.amdhsa_shared_vgpr_count 0
		.amdhsa_exception_fp_ieee_invalid_op 0
		.amdhsa_exception_fp_denorm_src 0
		.amdhsa_exception_fp_ieee_div_zero 0
		.amdhsa_exception_fp_ieee_overflow 0
		.amdhsa_exception_fp_ieee_underflow 0
		.amdhsa_exception_fp_ieee_inexact 0
		.amdhsa_exception_int_div_zero 0
	.end_amdhsa_kernel
	.section	.text._ZL23rocblas_gemvt_sn_kernelILb1ELi256ELi4ElPKDF16_ffEviiT4_lPKT3_lilS5_lilPT5_i,"axG",@progbits,_ZL23rocblas_gemvt_sn_kernelILb1ELi256ELi4ElPKDF16_ffEviiT4_lPKT3_lilS5_lilPT5_i,comdat
.Lfunc_end461:
	.size	_ZL23rocblas_gemvt_sn_kernelILb1ELi256ELi4ElPKDF16_ffEviiT4_lPKT3_lilS5_lilPT5_i, .Lfunc_end461-_ZL23rocblas_gemvt_sn_kernelILb1ELi256ELi4ElPKDF16_ffEviiT4_lPKT3_lilS5_lilPT5_i
                                        ; -- End function
	.set _ZL23rocblas_gemvt_sn_kernelILb1ELi256ELi4ElPKDF16_ffEviiT4_lPKT3_lilS5_lilPT5_i.num_vgpr, 49
	.set _ZL23rocblas_gemvt_sn_kernelILb1ELi256ELi4ElPKDF16_ffEviiT4_lPKT3_lilS5_lilPT5_i.num_agpr, 0
	.set _ZL23rocblas_gemvt_sn_kernelILb1ELi256ELi4ElPKDF16_ffEviiT4_lPKT3_lilS5_lilPT5_i.numbered_sgpr, 46
	.set _ZL23rocblas_gemvt_sn_kernelILb1ELi256ELi4ElPKDF16_ffEviiT4_lPKT3_lilS5_lilPT5_i.num_named_barrier, 0
	.set _ZL23rocblas_gemvt_sn_kernelILb1ELi256ELi4ElPKDF16_ffEviiT4_lPKT3_lilS5_lilPT5_i.private_seg_size, 0
	.set _ZL23rocblas_gemvt_sn_kernelILb1ELi256ELi4ElPKDF16_ffEviiT4_lPKT3_lilS5_lilPT5_i.uses_vcc, 1
	.set _ZL23rocblas_gemvt_sn_kernelILb1ELi256ELi4ElPKDF16_ffEviiT4_lPKT3_lilS5_lilPT5_i.uses_flat_scratch, 1
	.set _ZL23rocblas_gemvt_sn_kernelILb1ELi256ELi4ElPKDF16_ffEviiT4_lPKT3_lilS5_lilPT5_i.has_dyn_sized_stack, 0
	.set _ZL23rocblas_gemvt_sn_kernelILb1ELi256ELi4ElPKDF16_ffEviiT4_lPKT3_lilS5_lilPT5_i.has_recursion, 0
	.set _ZL23rocblas_gemvt_sn_kernelILb1ELi256ELi4ElPKDF16_ffEviiT4_lPKT3_lilS5_lilPT5_i.has_indirect_call, 0
	.section	.AMDGPU.csdata,"",@progbits
; Kernel info:
; codeLenInByte = 4268
; TotalNumSgprs: 48
; NumVgprs: 49
; ScratchSize: 0
; MemoryBound: 0
; FloatMode: 240
; IeeeMode: 1
; LDSByteSize: 128 bytes/workgroup (compile time only)
; SGPRBlocks: 0
; VGPRBlocks: 6
; NumSGPRsForWavesPerEU: 48
; NumVGPRsForWavesPerEU: 49
; Occupancy: 16
; WaveLimiterHint : 0
; COMPUTE_PGM_RSRC2:SCRATCH_EN: 0
; COMPUTE_PGM_RSRC2:USER_SGPR: 6
; COMPUTE_PGM_RSRC2:TRAP_HANDLER: 0
; COMPUTE_PGM_RSRC2:TGID_X_EN: 1
; COMPUTE_PGM_RSRC2:TGID_Y_EN: 0
; COMPUTE_PGM_RSRC2:TGID_Z_EN: 1
; COMPUTE_PGM_RSRC2:TIDIG_COMP_CNT: 0
	.section	.text._ZL20rocblas_gemvt_kernelILb1ELi256EPKDF16_PKfKPDF16_EviiT2_lPKT1_lilS9_lilS6_lPT3_lili,"axG",@progbits,_ZL20rocblas_gemvt_kernelILb1ELi256EPKDF16_PKfKPDF16_EviiT2_lPKT1_lilS9_lilS6_lPT3_lili,comdat
	.globl	_ZL20rocblas_gemvt_kernelILb1ELi256EPKDF16_PKfKPDF16_EviiT2_lPKT1_lilS9_lilS6_lPT3_lili ; -- Begin function _ZL20rocblas_gemvt_kernelILb1ELi256EPKDF16_PKfKPDF16_EviiT2_lPKT1_lilS9_lilS6_lPT3_lili
	.p2align	8
	.type	_ZL20rocblas_gemvt_kernelILb1ELi256EPKDF16_PKfKPDF16_EviiT2_lPKT1_lilS9_lilS6_lPT3_lili,@function
_ZL20rocblas_gemvt_kernelILb1ELi256EPKDF16_PKfKPDF16_EviiT2_lPKT1_lilS9_lilS6_lPT3_lili: ; @_ZL20rocblas_gemvt_kernelILb1ELi256EPKDF16_PKfKPDF16_EviiT2_lPKT1_lilS9_lilS6_lPT3_lili
; %bb.0:
	s_clause 0x1
	s_load_dwordx8 s[16:23], s[4:5], 0x8
	s_load_dwordx8 s[8:15], s[4:5], 0x58
	s_mov_b32 s0, s7
	s_waitcnt lgkmcnt(0)
	s_mul_i32 s1, s19, s7
	s_mul_hi_u32 s3, s18, s7
	s_mul_i32 s2, s18, s7
	s_add_i32 s3, s3, s1
	s_mul_i32 s1, s11, s7
	s_lshl_b64 s[2:3], s[2:3], 2
	s_mul_hi_u32 s7, s10, s7
	s_add_u32 s2, s16, s2
	s_addc_u32 s3, s17, s3
	s_add_i32 s11, s7, s1
	s_mul_i32 s10, s10, s0
	s_lshl_b64 s[10:11], s[10:11], 2
	s_add_u32 s8, s8, s10
	s_addc_u32 s9, s9, s11
	s_load_dword s16, s[2:3], 0x0
	s_load_dword s7, s[8:9], 0x0
	s_waitcnt lgkmcnt(0)
	v_cmp_eq_f32_e64 s10, s16, 0
	v_cmp_eq_f32_e64 s1, s7, 1.0
	s_and_b32 s1, s10, s1
	s_and_b32 vcc_lo, exec_lo, s1
	s_mov_b32 s1, 0
	s_cbranch_vccnz .LBB462_41
; %bb.1:
	v_cmp_neq_f32_e64 s11, s16, 0
	s_mov_b64 s[2:3], 0
	s_and_b32 vcc_lo, exec_lo, s10
	s_mov_b64 s[8:9], 0
	s_cbranch_vccnz .LBB462_3
; %bb.2:
	s_lshl_b64 s[8:9], s[0:1], 3
	s_add_u32 s8, s20, s8
	s_addc_u32 s9, s21, s9
	s_lshl_b64 s[18:19], s[22:23], 1
	s_load_dwordx2 s[8:9], s[8:9], 0x0
	s_waitcnt lgkmcnt(0)
	s_add_u32 s8, s8, s18
	s_addc_u32 s9, s9, s19
.LBB462_3:
	s_andn2_b32 vcc_lo, exec_lo, s11
	s_cbranch_vccnz .LBB462_5
; %bb.4:
	s_load_dwordx4 s[20:23], s[4:5], 0x38
	s_lshl_b64 s[2:3], s[0:1], 3
	s_waitcnt lgkmcnt(0)
	s_add_u32 s2, s20, s2
	s_addc_u32 s3, s21, s3
	s_lshl_b64 s[18:19], s[22:23], 1
	s_load_dwordx2 s[2:3], s[2:3], 0x0
	s_waitcnt lgkmcnt(0)
	s_add_u32 s2, s2, s18
	s_addc_u32 s3, s3, s19
.LBB462_5:
	s_lshl_b64 s[0:1], s[0:1], 3
	s_add_u32 s0, s12, s0
	s_addc_u32 s1, s13, s1
	s_lshl_b64 s[14:15], s[14:15], 1
	s_load_dwordx2 s[12:13], s[0:1], 0x0
	s_load_dword s17, s[4:5], 0x78
	v_cmp_eq_u32_e64 s0, 0, v0
	s_waitcnt lgkmcnt(0)
	s_add_u32 s12, s12, s14
	s_addc_u32 s13, s13, s15
	s_andn2_b32 vcc_lo, exec_lo, s10
	s_cbranch_vccnz .LBB462_9
; %bb.6:
	s_mov_b32 s1, 0
	s_mov_b32 s14, 0
                                        ; implicit-def: $vgpr1
                                        ; implicit-def: $sgpr10_sgpr11
	s_and_saveexec_b32 s15, s0
	s_cbranch_execz .LBB462_10
; %bb.7:
	v_cmp_eq_f32_e64 s0, s7, 0
	s_mul_hi_i32 s11, s17, s6
	s_mul_i32 s10, s17, s6
	s_and_b32 vcc_lo, exec_lo, s0
	s_cbranch_vccnz .LBB462_11
; %bb.8:
	s_lshl_b64 s[18:19], s[10:11], 1
	s_add_u32 s18, s12, s18
	s_addc_u32 s19, s13, s19
	v_mov_b32_e32 v1, s18
	v_mov_b32_e32 v2, s19
	flat_load_ushort v1, v[1:2]
	s_waitcnt vmcnt(0) lgkmcnt(0)
	v_fma_mixlo_f16 v1, s7, v1, 0 op_sel_hi:[0,1,0]
	s_branch .LBB462_12
.LBB462_9:
	s_mov_b32 s14, 0
                                        ; implicit-def: $vgpr1
                                        ; implicit-def: $sgpr10_sgpr11
	s_cbranch_execnz .LBB462_13
	s_branch .LBB462_39
.LBB462_10:
	s_or_b32 exec_lo, exec_lo, s15
	s_and_b32 vcc_lo, exec_lo, s1
	s_cbranch_vccnz .LBB462_13
	s_branch .LBB462_39
.LBB462_11:
	v_mov_b32_e32 v1, 0
.LBB462_12:
	s_mov_b32 s14, exec_lo
	s_or_b32 exec_lo, exec_lo, s15
	s_and_b32 vcc_lo, exec_lo, s1
	s_cbranch_vccz .LBB462_39
.LBB462_13:
	s_clause 0x2
	s_load_dword s10, s[4:5], 0x0
	s_load_dword s1, s[4:5], 0x28
	;; [unrolled: 1-line block ×3, first 2 shown]
	v_mov_b32_e32 v7, 0
	s_waitcnt lgkmcnt(0)
	v_cmp_gt_i32_e32 vcc_lo, s10, v0
	s_mul_hi_i32 s5, s1, s6
	s_mul_i32 s4, s1, s6
	s_ashr_i32 s1, s10, 31
	s_lshl_b64 s[4:5], s[4:5], 1
	v_cndmask_b32_e32 v1, 0, v0, vcc_lo
	s_lshr_b32 s1, s1, 24
	s_add_i32 s1, s10, s1
	v_lshlrev_b32_e32 v1, 1, v1
	v_add_co_u32 v1, s8, s8, v1
	v_add_co_ci_u32_e64 v2, null, s9, 0, s8
	v_add_co_u32 v1, vcc_lo, v1, s4
	v_add_co_ci_u32_e64 v2, null, s5, v2, vcc_lo
	s_and_b32 s4, s1, 0xffffff00
	s_cmpk_lt_i32 s10, 0x100
	s_mov_b32 s5, 0
	s_cbranch_scc1 .LBB462_16
; %bb.14:
	v_mad_i64_i32 v[3:4], null, s0, v0, 0
	v_mov_b32_e32 v6, v2
	v_mov_b32_e32 v7, 0
	;; [unrolled: 1-line block ×3, first 2 shown]
	s_ashr_i32 s1, s0, 31
	s_lshl_b64 s[8:9], s[0:1], 9
	v_lshlrev_b64 v[3:4], 1, v[3:4]
	v_add_co_u32 v3, vcc_lo, s2, v3
	v_add_co_ci_u32_e64 v4, null, s3, v4, vcc_lo
	.p2align	6
.LBB462_15:                             ; =>This Inner Loop Header: Depth=1
	flat_load_ushort v8, v[5:6]
	flat_load_ushort v9, v[3:4]
	v_add_co_u32 v3, vcc_lo, v3, s8
	v_add_co_ci_u32_e64 v4, null, s9, v4, vcc_lo
	v_add_co_u32 v5, vcc_lo, 0x200, v5
	v_add_co_ci_u32_e64 v6, null, 0, v6, vcc_lo
	s_addk_i32 s5, 0x100
	s_cmp_ge_i32 s5, s4
	s_waitcnt vmcnt(0) lgkmcnt(0)
	v_mul_f16_e32 v8, v8, v9
	v_cvt_f32_f16_e32 v8, v8
	v_add_f32_e32 v7, v7, v8
	s_cbranch_scc0 .LBB462_15
.LBB462_16:
	v_add_nc_u32_e32 v3, s4, v0
	s_mov_b32 s1, exec_lo
	v_cmpx_gt_i32_e64 s10, v3
	s_cbranch_execz .LBB462_18
; %bb.17:
	v_mad_i64_i32 v[3:4], null, s0, v3, 0
	s_ashr_i32 s5, s4, 31
	s_lshl_b64 s[4:5], s[4:5], 1
	v_add_co_u32 v1, vcc_lo, v1, s4
	v_lshlrev_b64 v[3:4], 1, v[3:4]
	v_add_co_ci_u32_e64 v2, null, s5, v2, vcc_lo
	v_add_co_u32 v3, vcc_lo, s2, v3
	v_add_co_ci_u32_e64 v4, null, s3, v4, vcc_lo
	flat_load_ushort v1, v[1:2]
	flat_load_ushort v2, v[3:4]
	s_waitcnt vmcnt(0) lgkmcnt(0)
	v_mul_f16_e32 v1, v1, v2
	v_cvt_f32_f16_e32 v1, v1
	v_add_f32_e32 v7, v7, v1
.LBB462_18:
	s_or_b32 exec_lo, exec_lo, s1
	v_lshlrev_b32_e32 v1, 2, v0
	s_mov_b32 s0, exec_lo
	ds_write_b32 v1, v7
	s_waitcnt lgkmcnt(0)
	s_barrier
	buffer_gl0_inv
	v_cmpx_gt_u32_e32 0x80, v0
	s_cbranch_execz .LBB462_20
; %bb.19:
	ds_read2st64_b32 v[2:3], v1 offset1:2
	s_waitcnt lgkmcnt(0)
	v_add_f32_e32 v2, v3, v2
	ds_write_b32 v1, v2
.LBB462_20:
	s_or_b32 exec_lo, exec_lo, s0
	s_mov_b32 s0, exec_lo
	s_waitcnt lgkmcnt(0)
	s_barrier
	buffer_gl0_inv
	v_cmpx_gt_u32_e32 64, v0
	s_cbranch_execz .LBB462_22
; %bb.21:
	ds_read2st64_b32 v[2:3], v1 offset1:1
	s_waitcnt lgkmcnt(0)
	v_add_f32_e32 v2, v3, v2
	ds_write_b32 v1, v2
.LBB462_22:
	s_or_b32 exec_lo, exec_lo, s0
	s_mov_b32 s0, exec_lo
	s_waitcnt lgkmcnt(0)
	s_barrier
	buffer_gl0_inv
	v_cmpx_gt_u32_e32 32, v0
	s_cbranch_execz .LBB462_24
; %bb.23:
	ds_read2_b32 v[2:3], v1 offset1:32
	s_waitcnt lgkmcnt(0)
	v_add_f32_e32 v2, v3, v2
	ds_write_b32 v1, v2
.LBB462_24:
	s_or_b32 exec_lo, exec_lo, s0
	s_mov_b32 s0, exec_lo
	s_waitcnt lgkmcnt(0)
	s_barrier
	buffer_gl0_inv
	v_cmpx_gt_u32_e32 16, v0
	s_cbranch_execz .LBB462_26
; %bb.25:
	ds_read2_b32 v[2:3], v1 offset1:16
	s_waitcnt lgkmcnt(0)
	v_add_f32_e32 v2, v3, v2
	ds_write_b32 v1, v2
.LBB462_26:
	;; [unrolled: 13-line block ×5, first 2 shown]
	s_or_b32 exec_lo, exec_lo, s0
	v_cmp_eq_u32_e32 vcc_lo, 0, v0
	s_waitcnt lgkmcnt(0)
	s_barrier
	buffer_gl0_inv
	s_and_saveexec_b32 s0, vcc_lo
	s_cbranch_execz .LBB462_34
; %bb.33:
	v_mov_b32_e32 v2, 0
	ds_read_b64 v[0:1], v2
	s_waitcnt lgkmcnt(0)
	v_add_f32_e32 v0, v1, v0
	ds_write_b32 v2, v0
.LBB462_34:
	s_or_b32 exec_lo, exec_lo, s0
	s_waitcnt lgkmcnt(0)
	s_barrier
	buffer_gl0_inv
                                        ; implicit-def: $vgpr1
                                        ; implicit-def: $sgpr10_sgpr11
	s_and_saveexec_b32 s0, vcc_lo
	s_cbranch_execz .LBB462_38
; %bb.35:
	v_mov_b32_e32 v0, 0
	v_cmp_eq_f32_e64 s1, s7, 0
	s_mul_hi_i32 s11, s17, s6
	s_mul_i32 s10, s17, s6
	ds_read_b32 v0, v0
	s_and_b32 vcc_lo, exec_lo, s1
	s_waitcnt lgkmcnt(0)
	v_mul_f32_e32 v0, s16, v0
	s_cbranch_vccnz .LBB462_37
; %bb.36:
	s_lshl_b64 s[2:3], s[10:11], 1
	s_add_u32 s2, s12, s2
	s_addc_u32 s3, s13, s3
	v_mov_b32_e32 v1, s2
	v_mov_b32_e32 v2, s3
	flat_load_ushort v1, v[1:2]
	s_waitcnt vmcnt(0) lgkmcnt(0)
	v_fma_mix_f32 v0, s7, v1, v0 op_sel_hi:[0,1,0]
.LBB462_37:
	v_cvt_f16_f32_e32 v1, v0
	s_or_b32 s14, s14, exec_lo
.LBB462_38:
	s_or_b32 exec_lo, exec_lo, s0
.LBB462_39:
	s_and_saveexec_b32 s0, s14
	s_cbranch_execz .LBB462_41
; %bb.40:
	s_lshl_b64 s[0:1], s[10:11], 1
	s_add_u32 s0, s12, s0
	s_addc_u32 s1, s13, s1
	v_mov_b32_e32 v3, s1
	v_mov_b32_e32 v2, s0
	flat_store_short v[2:3], v1
.LBB462_41:
	s_endpgm
	.section	.rodata,"a",@progbits
	.p2align	6, 0x0
	.amdhsa_kernel _ZL20rocblas_gemvt_kernelILb1ELi256EPKDF16_PKfKPDF16_EviiT2_lPKT1_lilS9_lilS6_lPT3_lili
		.amdhsa_group_segment_fixed_size 1024
		.amdhsa_private_segment_fixed_size 0
		.amdhsa_kernarg_size 140
		.amdhsa_user_sgpr_count 6
		.amdhsa_user_sgpr_private_segment_buffer 1
		.amdhsa_user_sgpr_dispatch_ptr 0
		.amdhsa_user_sgpr_queue_ptr 0
		.amdhsa_user_sgpr_kernarg_segment_ptr 1
		.amdhsa_user_sgpr_dispatch_id 0
		.amdhsa_user_sgpr_flat_scratch_init 0
		.amdhsa_user_sgpr_private_segment_size 0
		.amdhsa_wavefront_size32 1
		.amdhsa_uses_dynamic_stack 0
		.amdhsa_system_sgpr_private_segment_wavefront_offset 0
		.amdhsa_system_sgpr_workgroup_id_x 1
		.amdhsa_system_sgpr_workgroup_id_y 0
		.amdhsa_system_sgpr_workgroup_id_z 1
		.amdhsa_system_sgpr_workgroup_info 0
		.amdhsa_system_vgpr_workitem_id 0
		.amdhsa_next_free_vgpr 10
		.amdhsa_next_free_sgpr 24
		.amdhsa_reserve_vcc 1
		.amdhsa_reserve_flat_scratch 0
		.amdhsa_float_round_mode_32 0
		.amdhsa_float_round_mode_16_64 0
		.amdhsa_float_denorm_mode_32 3
		.amdhsa_float_denorm_mode_16_64 3
		.amdhsa_dx10_clamp 1
		.amdhsa_ieee_mode 1
		.amdhsa_fp16_overflow 0
		.amdhsa_workgroup_processor_mode 1
		.amdhsa_memory_ordered 1
		.amdhsa_forward_progress 1
		.amdhsa_shared_vgpr_count 0
		.amdhsa_exception_fp_ieee_invalid_op 0
		.amdhsa_exception_fp_denorm_src 0
		.amdhsa_exception_fp_ieee_div_zero 0
		.amdhsa_exception_fp_ieee_overflow 0
		.amdhsa_exception_fp_ieee_underflow 0
		.amdhsa_exception_fp_ieee_inexact 0
		.amdhsa_exception_int_div_zero 0
	.end_amdhsa_kernel
	.section	.text._ZL20rocblas_gemvt_kernelILb1ELi256EPKDF16_PKfKPDF16_EviiT2_lPKT1_lilS9_lilS6_lPT3_lili,"axG",@progbits,_ZL20rocblas_gemvt_kernelILb1ELi256EPKDF16_PKfKPDF16_EviiT2_lPKT1_lilS9_lilS6_lPT3_lili,comdat
.Lfunc_end462:
	.size	_ZL20rocblas_gemvt_kernelILb1ELi256EPKDF16_PKfKPDF16_EviiT2_lPKT1_lilS9_lilS6_lPT3_lili, .Lfunc_end462-_ZL20rocblas_gemvt_kernelILb1ELi256EPKDF16_PKfKPDF16_EviiT2_lPKT1_lilS9_lilS6_lPT3_lili
                                        ; -- End function
	.set _ZL20rocblas_gemvt_kernelILb1ELi256EPKDF16_PKfKPDF16_EviiT2_lPKT1_lilS9_lilS6_lPT3_lili.num_vgpr, 10
	.set _ZL20rocblas_gemvt_kernelILb1ELi256EPKDF16_PKfKPDF16_EviiT2_lPKT1_lilS9_lilS6_lPT3_lili.num_agpr, 0
	.set _ZL20rocblas_gemvt_kernelILb1ELi256EPKDF16_PKfKPDF16_EviiT2_lPKT1_lilS9_lilS6_lPT3_lili.numbered_sgpr, 24
	.set _ZL20rocblas_gemvt_kernelILb1ELi256EPKDF16_PKfKPDF16_EviiT2_lPKT1_lilS9_lilS6_lPT3_lili.num_named_barrier, 0
	.set _ZL20rocblas_gemvt_kernelILb1ELi256EPKDF16_PKfKPDF16_EviiT2_lPKT1_lilS9_lilS6_lPT3_lili.private_seg_size, 0
	.set _ZL20rocblas_gemvt_kernelILb1ELi256EPKDF16_PKfKPDF16_EviiT2_lPKT1_lilS9_lilS6_lPT3_lili.uses_vcc, 1
	.set _ZL20rocblas_gemvt_kernelILb1ELi256EPKDF16_PKfKPDF16_EviiT2_lPKT1_lilS9_lilS6_lPT3_lili.uses_flat_scratch, 0
	.set _ZL20rocblas_gemvt_kernelILb1ELi256EPKDF16_PKfKPDF16_EviiT2_lPKT1_lilS9_lilS6_lPT3_lili.has_dyn_sized_stack, 0
	.set _ZL20rocblas_gemvt_kernelILb1ELi256EPKDF16_PKfKPDF16_EviiT2_lPKT1_lilS9_lilS6_lPT3_lili.has_recursion, 0
	.set _ZL20rocblas_gemvt_kernelILb1ELi256EPKDF16_PKfKPDF16_EviiT2_lPKT1_lilS9_lilS6_lPT3_lili.has_indirect_call, 0
	.section	.AMDGPU.csdata,"",@progbits
; Kernel info:
; codeLenInByte = 1460
; TotalNumSgprs: 26
; NumVgprs: 10
; ScratchSize: 0
; MemoryBound: 0
; FloatMode: 240
; IeeeMode: 1
; LDSByteSize: 1024 bytes/workgroup (compile time only)
; SGPRBlocks: 0
; VGPRBlocks: 1
; NumSGPRsForWavesPerEU: 26
; NumVGPRsForWavesPerEU: 10
; Occupancy: 16
; WaveLimiterHint : 1
; COMPUTE_PGM_RSRC2:SCRATCH_EN: 0
; COMPUTE_PGM_RSRC2:USER_SGPR: 6
; COMPUTE_PGM_RSRC2:TRAP_HANDLER: 0
; COMPUTE_PGM_RSRC2:TGID_X_EN: 1
; COMPUTE_PGM_RSRC2:TGID_Y_EN: 0
; COMPUTE_PGM_RSRC2:TGID_Z_EN: 1
; COMPUTE_PGM_RSRC2:TIDIG_COMP_CNT: 0
	.section	.text._ZL20rocblas_gemvt_kernelILb1ELi256EPKDF16_fKPDF16_EviiT2_lPKT1_lilS7_lilS4_lPT3_lili,"axG",@progbits,_ZL20rocblas_gemvt_kernelILb1ELi256EPKDF16_fKPDF16_EviiT2_lPKT1_lilS7_lilS4_lPT3_lili,comdat
	.globl	_ZL20rocblas_gemvt_kernelILb1ELi256EPKDF16_fKPDF16_EviiT2_lPKT1_lilS7_lilS4_lPT3_lili ; -- Begin function _ZL20rocblas_gemvt_kernelILb1ELi256EPKDF16_fKPDF16_EviiT2_lPKT1_lilS7_lilS4_lPT3_lili
	.p2align	8
	.type	_ZL20rocblas_gemvt_kernelILb1ELi256EPKDF16_fKPDF16_EviiT2_lPKT1_lilS7_lilS4_lPT3_lili,@function
_ZL20rocblas_gemvt_kernelILb1ELi256EPKDF16_fKPDF16_EviiT2_lPKT1_lilS7_lilS4_lPT3_lili: ; @_ZL20rocblas_gemvt_kernelILb1ELi256EPKDF16_fKPDF16_EviiT2_lPKT1_lilS7_lilS4_lPT3_lili
; %bb.0:
	s_mov_b32 s10, s7
	s_clause 0x1
	s_load_dword s12, s[4:5], 0x8
	s_load_dword s7, s[4:5], 0x58
	s_mov_b32 s11, 0
	s_waitcnt lgkmcnt(0)
	v_cmp_eq_f32_e64 s16, s12, 0
	v_cmp_eq_f32_e64 s0, s7, 1.0
	s_and_b32 s0, s16, s0
	s_and_b32 vcc_lo, exec_lo, s0
	s_cbranch_vccnz .LBB463_43
; %bb.1:
	v_cmp_neq_f32_e64 s13, s12, 0
	s_and_b32 vcc_lo, exec_lo, s13
	s_cbranch_vccnz .LBB463_3
; %bb.2:
	s_mov_b32 s1, 0
	s_mov_b32 s0, s10
	;; [unrolled: 1-line block ×3, first 2 shown]
	s_mov_b64 s[2:3], 0
	s_andn2_b32 vcc_lo, exec_lo, s8
	s_mov_b64 s[8:9], 0
	s_cbranch_vccz .LBB463_4
	s_branch .LBB463_5
.LBB463_3:
	s_mov_b64 s[0:1], s[10:11]
	s_mov_b64 s[2:3], 0
	;; [unrolled: 1-line block ×3, first 2 shown]
.LBB463_4:
	s_load_dwordx4 s[20:23], s[4:5], 0x18
	s_lshl_b64 s[8:9], s[10:11], 3
	s_waitcnt lgkmcnt(0)
	s_add_u32 s8, s20, s8
	s_addc_u32 s9, s21, s9
	s_lshl_b64 s[10:11], s[22:23], 1
	s_load_dwordx2 s[8:9], s[8:9], 0x0
	s_waitcnt lgkmcnt(0)
	s_add_u32 s8, s8, s10
	s_addc_u32 s9, s9, s11
.LBB463_5:
	s_andn2_b32 vcc_lo, exec_lo, s13
	s_cbranch_vccnz .LBB463_7
; %bb.6:
	s_load_dwordx4 s[20:23], s[4:5], 0x38
	s_lshl_b64 s[2:3], s[0:1], 3
	s_waitcnt lgkmcnt(0)
	s_add_u32 s2, s20, s2
	s_addc_u32 s3, s21, s3
	s_lshl_b64 s[10:11], s[22:23], 1
	s_load_dwordx2 s[2:3], s[2:3], 0x0
	s_waitcnt lgkmcnt(0)
	s_add_u32 s2, s2, s10
	s_addc_u32 s3, s3, s11
.LBB463_7:
	s_clause 0x1
	s_load_dwordx4 s[20:23], s[4:5], 0x68
	s_load_dword s15, s[4:5], 0x78
	s_lshl_b64 s[0:1], s[0:1], 3
	s_waitcnt lgkmcnt(0)
	s_add_u32 s0, s20, s0
	s_addc_u32 s1, s21, s1
	s_lshl_b64 s[18:19], s[22:23], 1
	s_load_dwordx2 s[10:11], s[0:1], 0x0
	v_cmp_eq_u32_e64 s0, 0, v0
	s_waitcnt lgkmcnt(0)
	s_add_u32 s13, s10, s18
	s_addc_u32 s14, s11, s19
	s_andn2_b32 vcc_lo, exec_lo, s16
	s_cbranch_vccnz .LBB463_11
; %bb.8:
	s_mov_b32 s1, 0
	s_mov_b32 s16, 0
                                        ; implicit-def: $vgpr1
                                        ; implicit-def: $sgpr10_sgpr11
	s_and_saveexec_b32 s17, s0
	s_cbranch_execz .LBB463_12
; %bb.9:
	v_cmp_eq_f32_e64 s0, s7, 0
	s_mul_hi_i32 s11, s15, s6
	s_mul_i32 s10, s15, s6
	s_and_b32 vcc_lo, exec_lo, s0
	s_cbranch_vccnz .LBB463_13
; %bb.10:
	s_lshl_b64 s[18:19], s[10:11], 1
	s_add_u32 s18, s13, s18
	s_addc_u32 s19, s14, s19
	v_mov_b32_e32 v1, s18
	v_mov_b32_e32 v2, s19
	flat_load_ushort v1, v[1:2]
	s_waitcnt vmcnt(0) lgkmcnt(0)
	v_fma_mixlo_f16 v1, s7, v1, 0 op_sel_hi:[0,1,0]
	s_branch .LBB463_14
.LBB463_11:
	s_mov_b32 s16, 0
                                        ; implicit-def: $vgpr1
                                        ; implicit-def: $sgpr10_sgpr11
	s_cbranch_execnz .LBB463_15
	s_branch .LBB463_41
.LBB463_12:
	s_or_b32 exec_lo, exec_lo, s17
	s_and_b32 vcc_lo, exec_lo, s1
	s_cbranch_vccnz .LBB463_15
	s_branch .LBB463_41
.LBB463_13:
	v_mov_b32_e32 v1, 0
.LBB463_14:
	s_mov_b32 s16, exec_lo
	s_or_b32 exec_lo, exec_lo, s17
	s_and_b32 vcc_lo, exec_lo, s1
	s_cbranch_vccz .LBB463_41
.LBB463_15:
	s_clause 0x2
	s_load_dword s10, s[4:5], 0x0
	s_load_dword s1, s[4:5], 0x28
	;; [unrolled: 1-line block ×3, first 2 shown]
	v_mov_b32_e32 v7, 0
	s_waitcnt lgkmcnt(0)
	v_cmp_gt_i32_e32 vcc_lo, s10, v0
	s_mul_hi_i32 s5, s1, s6
	s_mul_i32 s4, s1, s6
	s_ashr_i32 s1, s10, 31
	s_lshl_b64 s[4:5], s[4:5], 1
	v_cndmask_b32_e32 v1, 0, v0, vcc_lo
	s_lshr_b32 s1, s1, 24
	s_add_i32 s1, s10, s1
	v_lshlrev_b32_e32 v1, 1, v1
	v_add_co_u32 v1, s8, s8, v1
	v_add_co_ci_u32_e64 v2, null, s9, 0, s8
	v_add_co_u32 v1, vcc_lo, v1, s4
	v_add_co_ci_u32_e64 v2, null, s5, v2, vcc_lo
	s_and_b32 s4, s1, 0xffffff00
	s_cmpk_lt_i32 s10, 0x100
	s_mov_b32 s5, 0
	s_cbranch_scc1 .LBB463_18
; %bb.16:
	v_mad_i64_i32 v[3:4], null, s0, v0, 0
	v_mov_b32_e32 v6, v2
	v_mov_b32_e32 v7, 0
	;; [unrolled: 1-line block ×3, first 2 shown]
	s_ashr_i32 s1, s0, 31
	s_lshl_b64 s[8:9], s[0:1], 9
	v_lshlrev_b64 v[3:4], 1, v[3:4]
	v_add_co_u32 v3, vcc_lo, s2, v3
	v_add_co_ci_u32_e64 v4, null, s3, v4, vcc_lo
	.p2align	6
.LBB463_17:                             ; =>This Inner Loop Header: Depth=1
	flat_load_ushort v8, v[5:6]
	flat_load_ushort v9, v[3:4]
	v_add_co_u32 v3, vcc_lo, v3, s8
	v_add_co_ci_u32_e64 v4, null, s9, v4, vcc_lo
	v_add_co_u32 v5, vcc_lo, 0x200, v5
	v_add_co_ci_u32_e64 v6, null, 0, v6, vcc_lo
	s_addk_i32 s5, 0x100
	s_cmp_ge_i32 s5, s4
	s_waitcnt vmcnt(0) lgkmcnt(0)
	v_mul_f16_e32 v8, v8, v9
	v_cvt_f32_f16_e32 v8, v8
	v_add_f32_e32 v7, v7, v8
	s_cbranch_scc0 .LBB463_17
.LBB463_18:
	v_add_nc_u32_e32 v3, s4, v0
	s_mov_b32 s1, exec_lo
	v_cmpx_gt_i32_e64 s10, v3
	s_cbranch_execz .LBB463_20
; %bb.19:
	v_mad_i64_i32 v[3:4], null, s0, v3, 0
	s_ashr_i32 s5, s4, 31
	s_lshl_b64 s[4:5], s[4:5], 1
	v_add_co_u32 v1, vcc_lo, v1, s4
	v_lshlrev_b64 v[3:4], 1, v[3:4]
	v_add_co_ci_u32_e64 v2, null, s5, v2, vcc_lo
	v_add_co_u32 v3, vcc_lo, s2, v3
	v_add_co_ci_u32_e64 v4, null, s3, v4, vcc_lo
	flat_load_ushort v1, v[1:2]
	flat_load_ushort v2, v[3:4]
	s_waitcnt vmcnt(0) lgkmcnt(0)
	v_mul_f16_e32 v1, v1, v2
	v_cvt_f32_f16_e32 v1, v1
	v_add_f32_e32 v7, v7, v1
.LBB463_20:
	s_or_b32 exec_lo, exec_lo, s1
	v_lshlrev_b32_e32 v1, 2, v0
	s_mov_b32 s0, exec_lo
	ds_write_b32 v1, v7
	s_waitcnt lgkmcnt(0)
	s_barrier
	buffer_gl0_inv
	v_cmpx_gt_u32_e32 0x80, v0
	s_cbranch_execz .LBB463_22
; %bb.21:
	ds_read2st64_b32 v[2:3], v1 offset1:2
	s_waitcnt lgkmcnt(0)
	v_add_f32_e32 v2, v3, v2
	ds_write_b32 v1, v2
.LBB463_22:
	s_or_b32 exec_lo, exec_lo, s0
	s_mov_b32 s0, exec_lo
	s_waitcnt lgkmcnt(0)
	s_barrier
	buffer_gl0_inv
	v_cmpx_gt_u32_e32 64, v0
	s_cbranch_execz .LBB463_24
; %bb.23:
	ds_read2st64_b32 v[2:3], v1 offset1:1
	s_waitcnt lgkmcnt(0)
	v_add_f32_e32 v2, v3, v2
	ds_write_b32 v1, v2
.LBB463_24:
	s_or_b32 exec_lo, exec_lo, s0
	s_mov_b32 s0, exec_lo
	s_waitcnt lgkmcnt(0)
	s_barrier
	buffer_gl0_inv
	v_cmpx_gt_u32_e32 32, v0
	s_cbranch_execz .LBB463_26
; %bb.25:
	ds_read2_b32 v[2:3], v1 offset1:32
	s_waitcnt lgkmcnt(0)
	v_add_f32_e32 v2, v3, v2
	ds_write_b32 v1, v2
.LBB463_26:
	s_or_b32 exec_lo, exec_lo, s0
	s_mov_b32 s0, exec_lo
	s_waitcnt lgkmcnt(0)
	s_barrier
	buffer_gl0_inv
	v_cmpx_gt_u32_e32 16, v0
	s_cbranch_execz .LBB463_28
; %bb.27:
	ds_read2_b32 v[2:3], v1 offset1:16
	s_waitcnt lgkmcnt(0)
	v_add_f32_e32 v2, v3, v2
	ds_write_b32 v1, v2
.LBB463_28:
	;; [unrolled: 13-line block ×5, first 2 shown]
	s_or_b32 exec_lo, exec_lo, s0
	v_cmp_eq_u32_e32 vcc_lo, 0, v0
	s_waitcnt lgkmcnt(0)
	s_barrier
	buffer_gl0_inv
	s_and_saveexec_b32 s0, vcc_lo
	s_cbranch_execz .LBB463_36
; %bb.35:
	v_mov_b32_e32 v2, 0
	ds_read_b64 v[0:1], v2
	s_waitcnt lgkmcnt(0)
	v_add_f32_e32 v0, v1, v0
	ds_write_b32 v2, v0
.LBB463_36:
	s_or_b32 exec_lo, exec_lo, s0
	s_waitcnt lgkmcnt(0)
	s_barrier
	buffer_gl0_inv
                                        ; implicit-def: $vgpr1
                                        ; implicit-def: $sgpr10_sgpr11
	s_and_saveexec_b32 s0, vcc_lo
	s_cbranch_execz .LBB463_40
; %bb.37:
	v_mov_b32_e32 v0, 0
	v_cmp_eq_f32_e64 s1, s7, 0
	s_mul_hi_i32 s11, s15, s6
	s_mul_i32 s10, s15, s6
	ds_read_b32 v0, v0
	s_and_b32 vcc_lo, exec_lo, s1
	s_waitcnt lgkmcnt(0)
	v_mul_f32_e32 v0, s12, v0
	s_cbranch_vccnz .LBB463_39
; %bb.38:
	s_lshl_b64 s[2:3], s[10:11], 1
	s_add_u32 s2, s13, s2
	s_addc_u32 s3, s14, s3
	v_mov_b32_e32 v1, s2
	v_mov_b32_e32 v2, s3
	flat_load_ushort v1, v[1:2]
	s_waitcnt vmcnt(0) lgkmcnt(0)
	v_fma_mix_f32 v0, s7, v1, v0 op_sel_hi:[0,1,0]
.LBB463_39:
	v_cvt_f16_f32_e32 v1, v0
	s_or_b32 s16, s16, exec_lo
.LBB463_40:
	s_or_b32 exec_lo, exec_lo, s0
.LBB463_41:
	s_and_saveexec_b32 s0, s16
	s_cbranch_execz .LBB463_43
; %bb.42:
	s_lshl_b64 s[0:1], s[10:11], 1
	s_add_u32 s0, s13, s0
	s_addc_u32 s1, s14, s1
	v_mov_b32_e32 v3, s1
	v_mov_b32_e32 v2, s0
	flat_store_short v[2:3], v1
.LBB463_43:
	s_endpgm
	.section	.rodata,"a",@progbits
	.p2align	6, 0x0
	.amdhsa_kernel _ZL20rocblas_gemvt_kernelILb1ELi256EPKDF16_fKPDF16_EviiT2_lPKT1_lilS7_lilS4_lPT3_lili
		.amdhsa_group_segment_fixed_size 1024
		.amdhsa_private_segment_fixed_size 0
		.amdhsa_kernarg_size 140
		.amdhsa_user_sgpr_count 6
		.amdhsa_user_sgpr_private_segment_buffer 1
		.amdhsa_user_sgpr_dispatch_ptr 0
		.amdhsa_user_sgpr_queue_ptr 0
		.amdhsa_user_sgpr_kernarg_segment_ptr 1
		.amdhsa_user_sgpr_dispatch_id 0
		.amdhsa_user_sgpr_flat_scratch_init 0
		.amdhsa_user_sgpr_private_segment_size 0
		.amdhsa_wavefront_size32 1
		.amdhsa_uses_dynamic_stack 0
		.amdhsa_system_sgpr_private_segment_wavefront_offset 0
		.amdhsa_system_sgpr_workgroup_id_x 1
		.amdhsa_system_sgpr_workgroup_id_y 0
		.amdhsa_system_sgpr_workgroup_id_z 1
		.amdhsa_system_sgpr_workgroup_info 0
		.amdhsa_system_vgpr_workitem_id 0
		.amdhsa_next_free_vgpr 10
		.amdhsa_next_free_sgpr 24
		.amdhsa_reserve_vcc 1
		.amdhsa_reserve_flat_scratch 0
		.amdhsa_float_round_mode_32 0
		.amdhsa_float_round_mode_16_64 0
		.amdhsa_float_denorm_mode_32 3
		.amdhsa_float_denorm_mode_16_64 3
		.amdhsa_dx10_clamp 1
		.amdhsa_ieee_mode 1
		.amdhsa_fp16_overflow 0
		.amdhsa_workgroup_processor_mode 1
		.amdhsa_memory_ordered 1
		.amdhsa_forward_progress 1
		.amdhsa_shared_vgpr_count 0
		.amdhsa_exception_fp_ieee_invalid_op 0
		.amdhsa_exception_fp_denorm_src 0
		.amdhsa_exception_fp_ieee_div_zero 0
		.amdhsa_exception_fp_ieee_overflow 0
		.amdhsa_exception_fp_ieee_underflow 0
		.amdhsa_exception_fp_ieee_inexact 0
		.amdhsa_exception_int_div_zero 0
	.end_amdhsa_kernel
	.section	.text._ZL20rocblas_gemvt_kernelILb1ELi256EPKDF16_fKPDF16_EviiT2_lPKT1_lilS7_lilS4_lPT3_lili,"axG",@progbits,_ZL20rocblas_gemvt_kernelILb1ELi256EPKDF16_fKPDF16_EviiT2_lPKT1_lilS7_lilS4_lPT3_lili,comdat
.Lfunc_end463:
	.size	_ZL20rocblas_gemvt_kernelILb1ELi256EPKDF16_fKPDF16_EviiT2_lPKT1_lilS7_lilS4_lPT3_lili, .Lfunc_end463-_ZL20rocblas_gemvt_kernelILb1ELi256EPKDF16_fKPDF16_EviiT2_lPKT1_lilS7_lilS4_lPT3_lili
                                        ; -- End function
	.set _ZL20rocblas_gemvt_kernelILb1ELi256EPKDF16_fKPDF16_EviiT2_lPKT1_lilS7_lilS4_lPT3_lili.num_vgpr, 10
	.set _ZL20rocblas_gemvt_kernelILb1ELi256EPKDF16_fKPDF16_EviiT2_lPKT1_lilS7_lilS4_lPT3_lili.num_agpr, 0
	.set _ZL20rocblas_gemvt_kernelILb1ELi256EPKDF16_fKPDF16_EviiT2_lPKT1_lilS7_lilS4_lPT3_lili.numbered_sgpr, 24
	.set _ZL20rocblas_gemvt_kernelILb1ELi256EPKDF16_fKPDF16_EviiT2_lPKT1_lilS7_lilS4_lPT3_lili.num_named_barrier, 0
	.set _ZL20rocblas_gemvt_kernelILb1ELi256EPKDF16_fKPDF16_EviiT2_lPKT1_lilS7_lilS4_lPT3_lili.private_seg_size, 0
	.set _ZL20rocblas_gemvt_kernelILb1ELi256EPKDF16_fKPDF16_EviiT2_lPKT1_lilS7_lilS4_lPT3_lili.uses_vcc, 1
	.set _ZL20rocblas_gemvt_kernelILb1ELi256EPKDF16_fKPDF16_EviiT2_lPKT1_lilS7_lilS4_lPT3_lili.uses_flat_scratch, 0
	.set _ZL20rocblas_gemvt_kernelILb1ELi256EPKDF16_fKPDF16_EviiT2_lPKT1_lilS7_lilS4_lPT3_lili.has_dyn_sized_stack, 0
	.set _ZL20rocblas_gemvt_kernelILb1ELi256EPKDF16_fKPDF16_EviiT2_lPKT1_lilS7_lilS4_lPT3_lili.has_recursion, 0
	.set _ZL20rocblas_gemvt_kernelILb1ELi256EPKDF16_fKPDF16_EviiT2_lPKT1_lilS7_lilS4_lPT3_lili.has_indirect_call, 0
	.section	.AMDGPU.csdata,"",@progbits
; Kernel info:
; codeLenInByte = 1460
; TotalNumSgprs: 26
; NumVgprs: 10
; ScratchSize: 0
; MemoryBound: 0
; FloatMode: 240
; IeeeMode: 1
; LDSByteSize: 1024 bytes/workgroup (compile time only)
; SGPRBlocks: 0
; VGPRBlocks: 1
; NumSGPRsForWavesPerEU: 26
; NumVGPRsForWavesPerEU: 10
; Occupancy: 16
; WaveLimiterHint : 1
; COMPUTE_PGM_RSRC2:SCRATCH_EN: 0
; COMPUTE_PGM_RSRC2:USER_SGPR: 6
; COMPUTE_PGM_RSRC2:TRAP_HANDLER: 0
; COMPUTE_PGM_RSRC2:TGID_X_EN: 1
; COMPUTE_PGM_RSRC2:TGID_Y_EN: 0
; COMPUTE_PGM_RSRC2:TGID_Z_EN: 1
; COMPUTE_PGM_RSRC2:TIDIG_COMP_CNT: 0
	.section	.text._ZL32rocblas_gemvt_warp_reduce_kernelILb1ELi1024EiPKDF16_PKfKPDF16_EviiT3_lPKT2_lT1_lS9_lSA_lS6_lPT4_lSA_li,"axG",@progbits,_ZL32rocblas_gemvt_warp_reduce_kernelILb1ELi1024EiPKDF16_PKfKPDF16_EviiT3_lPKT2_lT1_lS9_lSA_lS6_lPT4_lSA_li,comdat
	.globl	_ZL32rocblas_gemvt_warp_reduce_kernelILb1ELi1024EiPKDF16_PKfKPDF16_EviiT3_lPKT2_lT1_lS9_lSA_lS6_lPT4_lSA_li ; -- Begin function _ZL32rocblas_gemvt_warp_reduce_kernelILb1ELi1024EiPKDF16_PKfKPDF16_EviiT3_lPKT2_lT1_lS9_lSA_lS6_lPT4_lSA_li
	.p2align	8
	.type	_ZL32rocblas_gemvt_warp_reduce_kernelILb1ELi1024EiPKDF16_PKfKPDF16_EviiT3_lPKT2_lT1_lS9_lSA_lS6_lPT4_lSA_li,@function
_ZL32rocblas_gemvt_warp_reduce_kernelILb1ELi1024EiPKDF16_PKfKPDF16_EviiT3_lPKT2_lT1_lS9_lSA_lS6_lPT4_lSA_li: ; @_ZL32rocblas_gemvt_warp_reduce_kernelILb1ELi1024EiPKDF16_PKfKPDF16_EviiT3_lPKT2_lT1_lS9_lSA_lS6_lPT4_lSA_li
; %bb.0:
	s_clause 0x1
	s_load_dwordx8 s[16:23], s[4:5], 0x8
	s_load_dwordx8 s[8:15], s[4:5], 0x58
	s_mov_b32 s0, s7
	s_waitcnt lgkmcnt(0)
	s_mul_i32 s1, s19, s7
	s_mul_hi_u32 s3, s18, s7
	s_mul_i32 s2, s18, s7
	s_add_i32 s3, s3, s1
	s_mul_i32 s1, s11, s7
	s_lshl_b64 s[2:3], s[2:3], 2
	s_mul_hi_u32 s7, s10, s7
	s_add_u32 s2, s16, s2
	s_addc_u32 s3, s17, s3
	s_add_i32 s11, s7, s1
	s_mul_i32 s10, s10, s0
	s_lshl_b64 s[10:11], s[10:11], 2
	s_add_u32 s8, s8, s10
	s_addc_u32 s9, s9, s11
	s_load_dword s16, s[2:3], 0x0
	s_load_dword s7, s[8:9], 0x0
	s_waitcnt lgkmcnt(0)
	v_cmp_eq_f32_e64 s10, s16, 0
	v_cmp_eq_f32_e64 s1, s7, 1.0
	s_and_b32 s1, s10, s1
	s_and_b32 vcc_lo, exec_lo, s1
	s_mov_b32 s1, 0
	s_cbranch_vccnz .LBB464_34
; %bb.1:
	v_cmp_neq_f32_e64 s11, s16, 0
	s_mov_b64 s[2:3], 0
	s_and_b32 vcc_lo, exec_lo, s10
	s_mov_b64 s[8:9], 0
	s_cbranch_vccnz .LBB464_3
; %bb.2:
	s_lshl_b64 s[8:9], s[0:1], 3
	s_add_u32 s8, s20, s8
	s_addc_u32 s9, s21, s9
	s_lshl_b64 s[18:19], s[22:23], 1
	s_load_dwordx2 s[8:9], s[8:9], 0x0
	s_waitcnt lgkmcnt(0)
	s_add_u32 s8, s8, s18
	s_addc_u32 s9, s9, s19
.LBB464_3:
	s_andn2_b32 vcc_lo, exec_lo, s11
	s_cbranch_vccnz .LBB464_5
; %bb.4:
	s_load_dwordx4 s[20:23], s[4:5], 0x38
	s_lshl_b64 s[2:3], s[0:1], 3
	s_waitcnt lgkmcnt(0)
	s_add_u32 s2, s20, s2
	s_addc_u32 s3, s21, s3
	s_lshl_b64 s[18:19], s[22:23], 1
	s_load_dwordx2 s[2:3], s[2:3], 0x0
	s_waitcnt lgkmcnt(0)
	s_add_u32 s2, s2, s18
	s_addc_u32 s3, s3, s19
.LBB464_5:
	s_lshl_b64 s[0:1], s[0:1], 3
	s_add_u32 s0, s12, s0
	s_addc_u32 s1, s13, s1
	s_lshl_b64 s[14:15], s[14:15], 1
	s_load_dwordx2 s[12:13], s[0:1], 0x0
	s_load_dword s17, s[4:5], 0x78
	v_cmp_eq_u32_e64 s0, 0, v0
	s_waitcnt lgkmcnt(0)
	s_add_u32 s1, s12, s14
	s_addc_u32 s12, s13, s15
	s_andn2_b32 vcc_lo, exec_lo, s10
	s_cbranch_vccnz .LBB464_9
; %bb.6:
	s_mov_b32 s14, 0
	s_mov_b32 s13, 0
                                        ; implicit-def: $vgpr1
                                        ; implicit-def: $sgpr10_sgpr11
	s_and_saveexec_b32 s15, s0
	s_cbranch_execz .LBB464_10
; %bb.7:
	v_cmp_eq_f32_e64 s0, s7, 0
	s_mul_i32 s10, s17, s6
	s_ashr_i32 s11, s10, 31
	s_and_b32 vcc_lo, exec_lo, s0
	s_cbranch_vccnz .LBB464_11
; %bb.8:
	s_lshl_b64 s[18:19], s[10:11], 1
	s_add_u32 s18, s1, s18
	s_addc_u32 s19, s12, s19
	v_mov_b32_e32 v1, s18
	v_mov_b32_e32 v2, s19
	flat_load_ushort v1, v[1:2]
	s_waitcnt vmcnt(0) lgkmcnt(0)
	v_fma_mixlo_f16 v1, s7, v1, 0 op_sel_hi:[0,1,0]
	s_branch .LBB464_12
.LBB464_9:
	s_mov_b32 s13, 0
                                        ; implicit-def: $vgpr1
                                        ; implicit-def: $sgpr10_sgpr11
	s_cbranch_execnz .LBB464_13
	s_branch .LBB464_32
.LBB464_10:
	s_or_b32 exec_lo, exec_lo, s15
	s_and_b32 vcc_lo, exec_lo, s14
	s_cbranch_vccnz .LBB464_13
	s_branch .LBB464_32
.LBB464_11:
	v_mov_b32_e32 v1, 0
.LBB464_12:
	s_mov_b32 s13, exec_lo
	s_or_b32 exec_lo, exec_lo, s15
	s_and_b32 vcc_lo, exec_lo, s14
	s_cbranch_vccz .LBB464_32
.LBB464_13:
	s_clause 0x2
	s_load_dword s10, s[4:5], 0x0
	s_load_dword s0, s[4:5], 0x28
	;; [unrolled: 1-line block ×3, first 2 shown]
	v_mov_b32_e32 v7, 0
	s_waitcnt lgkmcnt(0)
	v_cmp_gt_i32_e32 vcc_lo, s10, v0
	s_mul_i32 s14, s0, s6
	s_ashr_i32 s0, s10, 31
	s_ashr_i32 s15, s14, 31
	s_lshr_b32 s0, s0, 22
	v_cndmask_b32_e32 v1, 0, v0, vcc_lo
	s_lshl_b64 s[14:15], s[14:15], 1
	s_add_i32 s0, s10, s0
	v_lshlrev_b32_e32 v1, 1, v1
	v_add_co_u32 v1, s4, s8, v1
	v_add_co_ci_u32_e64 v2, null, s9, 0, s4
	s_and_b32 s4, s0, 0xfffffc00
	v_add_co_u32 v1, vcc_lo, v1, s14
	v_add_co_ci_u32_e64 v2, null, s15, v2, vcc_lo
	s_mov_b32 s9, 0
	s_mov_b32 s8, exec_lo
	v_cmpx_gt_i32_e64 s4, v0
	s_cbranch_execz .LBB464_17
; %bb.14:
	v_mul_lo_u32 v3, v0, s5
	v_mov_b32_e32 v6, v2
	v_mov_b32_e32 v7, 0
	;; [unrolled: 1-line block ×4, first 2 shown]
	s_lshl_b32 s11, s5, 10
	.p2align	6
.LBB464_15:                             ; =>This Inner Loop Header: Depth=1
	v_ashrrev_i32_e32 v4, 31, v3
	v_add_nc_u32_e32 v8, 0x400, v8
	v_lshlrev_b64 v[9:10], 1, v[3:4]
	v_cmp_le_i32_e64 s0, s4, v8
	v_add_nc_u32_e32 v3, s11, v3
	s_or_b32 s9, s0, s9
	v_add_co_u32 v9, vcc_lo, s2, v9
	v_add_co_ci_u32_e64 v10, null, s3, v10, vcc_lo
	flat_load_ushort v4, v[5:6]
	flat_load_ushort v9, v[9:10]
	v_add_co_u32 v5, vcc_lo, 0x800, v5
	v_add_co_ci_u32_e64 v6, null, 0, v6, vcc_lo
	s_waitcnt vmcnt(0) lgkmcnt(0)
	v_mul_f16_e32 v4, v4, v9
	v_cvt_f32_f16_e32 v4, v4
	v_add_f32_e32 v7, v7, v4
	s_andn2_b32 exec_lo, exec_lo, s9
	s_cbranch_execnz .LBB464_15
; %bb.16:
	s_or_b32 exec_lo, exec_lo, s9
.LBB464_17:
	s_or_b32 exec_lo, exec_lo, s8
	v_or_b32_e32 v3, s4, v0
	s_mov_b32 s0, exec_lo
	v_cmpx_gt_i32_e64 s10, v3
	s_cbranch_execz .LBB464_19
; %bb.18:
	v_mul_lo_u32 v3, s5, v3
	s_ashr_i32 s5, s4, 31
	s_lshl_b64 s[4:5], s[4:5], 1
	v_add_co_u32 v1, vcc_lo, v1, s4
	v_add_co_ci_u32_e64 v2, null, s5, v2, vcc_lo
	v_ashrrev_i32_e32 v4, 31, v3
	v_lshlrev_b64 v[3:4], 1, v[3:4]
	v_add_co_u32 v3, vcc_lo, s2, v3
	v_add_co_ci_u32_e64 v4, null, s3, v4, vcc_lo
	flat_load_ushort v1, v[1:2]
	flat_load_ushort v2, v[3:4]
	s_waitcnt vmcnt(0) lgkmcnt(0)
	v_mul_f16_e32 v1, v1, v2
	v_cvt_f32_f16_e32 v1, v1
	v_add_f32_e32 v7, v7, v1
.LBB464_19:
	s_or_b32 exec_lo, exec_lo, s0
	v_and_b32_e32 v8, 31, v0
	v_cmp_gt_u32_e32 vcc_lo, 32, v0
	v_lshlrev_b32_e32 v1, 2, v8
	s_and_saveexec_b32 s0, vcc_lo
; %bb.20:
	v_mov_b32_e32 v2, 0
	ds_write_b32 v1, v2
; %bb.21:
	s_or_b32 exec_lo, exec_lo, s0
	v_mbcnt_lo_u32_b32 v6, -1, 0
	s_mov_b32 s2, exec_lo
	s_waitcnt lgkmcnt(0)
	s_barrier
	buffer_gl0_inv
	v_lshl_or_b32 v2, v6, 2, 64
	v_cmp_gt_u32_e64 s0, 24, v6
	ds_bpermute_b32 v4, v2, v7
	v_cndmask_b32_e64 v3, 0, 8, s0
	v_cmp_gt_u32_e64 s0, 28, v6
	v_add_lshl_u32 v3, v3, v6, 2
	s_waitcnt lgkmcnt(0)
	v_add_f32_e32 v5, v7, v4
	v_cndmask_b32_e64 v4, 0, 4, s0
	v_cmp_gt_u32_e64 s0, 30, v6
	ds_bpermute_b32 v7, v3, v5
	v_add_lshl_u32 v4, v4, v6, 2
	s_waitcnt lgkmcnt(0)
	v_add_f32_e32 v7, v5, v7
	v_cndmask_b32_e64 v5, 0, 2, s0
	v_cmp_ne_u32_e64 s0, 31, v6
	ds_bpermute_b32 v9, v4, v7
	v_add_lshl_u32 v5, v5, v6, 2
	v_add_co_ci_u32_e64 v6, null, 0, v6, s0
	v_lshlrev_b32_e32 v6, 2, v6
	s_waitcnt lgkmcnt(0)
	v_add_f32_e32 v7, v7, v9
	ds_bpermute_b32 v9, v5, v7
	s_waitcnt lgkmcnt(0)
	v_add_f32_e32 v7, v7, v9
	ds_bpermute_b32 v9, v6, v7
	v_cmpx_eq_u32_e32 0, v8
	s_cbranch_execz .LBB464_23
; %bb.22:
	v_lshrrev_b32_e32 v8, 3, v0
	s_waitcnt lgkmcnt(0)
	v_add_f32_e32 v7, v7, v9
	v_and_b32_e32 v8, 0x7c, v8
	ds_write_b32 v8, v7
.LBB464_23:
	s_or_b32 exec_lo, exec_lo, s2
	v_mov_b32_e32 v7, 0
	s_waitcnt lgkmcnt(0)
	s_barrier
	buffer_gl0_inv
	s_and_saveexec_b32 s0, vcc_lo
; %bb.24:
	ds_read_b32 v7, v1
; %bb.25:
	s_or_b32 exec_lo, exec_lo, s0
	s_and_saveexec_b32 s0, vcc_lo
	s_cbranch_execz .LBB464_27
; %bb.26:
	s_waitcnt lgkmcnt(0)
	ds_bpermute_b32 v1, v2, v7
	s_waitcnt lgkmcnt(0)
	v_add_f32_e32 v1, v7, v1
	ds_bpermute_b32 v2, v3, v1
	s_waitcnt lgkmcnt(0)
	v_add_f32_e32 v1, v1, v2
	;; [unrolled: 3-line block ×5, first 2 shown]
.LBB464_27:
	s_or_b32 exec_lo, exec_lo, s0
	s_mov_b32 s0, exec_lo
                                        ; implicit-def: $vgpr1
                                        ; implicit-def: $sgpr10_sgpr11
	v_cmpx_eq_u32_e32 0, v0
	s_cbranch_execz .LBB464_31
; %bb.28:
	v_cmp_eq_f32_e64 s2, s7, 0
	s_waitcnt lgkmcnt(0)
	v_mul_f32_e32 v0, s16, v7
	s_mul_i32 s10, s17, s6
	s_ashr_i32 s11, s10, 31
	s_and_b32 vcc_lo, exec_lo, s2
	s_cbranch_vccnz .LBB464_30
; %bb.29:
	s_lshl_b64 s[2:3], s[10:11], 1
	s_add_u32 s2, s1, s2
	s_addc_u32 s3, s12, s3
	v_mov_b32_e32 v1, s2
	v_mov_b32_e32 v2, s3
	flat_load_ushort v1, v[1:2]
	s_waitcnt vmcnt(0) lgkmcnt(0)
	v_fma_mix_f32 v0, s7, v1, v0 op_sel_hi:[0,1,0]
.LBB464_30:
	v_cvt_f16_f32_e32 v1, v0
	s_or_b32 s13, s13, exec_lo
.LBB464_31:
	s_or_b32 exec_lo, exec_lo, s0
.LBB464_32:
	s_and_saveexec_b32 s0, s13
	s_cbranch_execz .LBB464_34
; %bb.33:
	s_lshl_b64 s[2:3], s[10:11], 1
	s_add_u32 s0, s1, s2
	s_addc_u32 s1, s12, s3
	v_mov_b32_e32 v3, s1
	v_mov_b32_e32 v2, s0
	flat_store_short v[2:3], v1
.LBB464_34:
	s_endpgm
	.section	.rodata,"a",@progbits
	.p2align	6, 0x0
	.amdhsa_kernel _ZL32rocblas_gemvt_warp_reduce_kernelILb1ELi1024EiPKDF16_PKfKPDF16_EviiT3_lPKT2_lT1_lS9_lSA_lS6_lPT4_lSA_li
		.amdhsa_group_segment_fixed_size 128
		.amdhsa_private_segment_fixed_size 0
		.amdhsa_kernarg_size 140
		.amdhsa_user_sgpr_count 6
		.amdhsa_user_sgpr_private_segment_buffer 1
		.amdhsa_user_sgpr_dispatch_ptr 0
		.amdhsa_user_sgpr_queue_ptr 0
		.amdhsa_user_sgpr_kernarg_segment_ptr 1
		.amdhsa_user_sgpr_dispatch_id 0
		.amdhsa_user_sgpr_flat_scratch_init 0
		.amdhsa_user_sgpr_private_segment_size 0
		.amdhsa_wavefront_size32 1
		.amdhsa_uses_dynamic_stack 0
		.amdhsa_system_sgpr_private_segment_wavefront_offset 0
		.amdhsa_system_sgpr_workgroup_id_x 1
		.amdhsa_system_sgpr_workgroup_id_y 0
		.amdhsa_system_sgpr_workgroup_id_z 1
		.amdhsa_system_sgpr_workgroup_info 0
		.amdhsa_system_vgpr_workitem_id 0
		.amdhsa_next_free_vgpr 11
		.amdhsa_next_free_sgpr 24
		.amdhsa_reserve_vcc 1
		.amdhsa_reserve_flat_scratch 0
		.amdhsa_float_round_mode_32 0
		.amdhsa_float_round_mode_16_64 0
		.amdhsa_float_denorm_mode_32 3
		.amdhsa_float_denorm_mode_16_64 3
		.amdhsa_dx10_clamp 1
		.amdhsa_ieee_mode 1
		.amdhsa_fp16_overflow 0
		.amdhsa_workgroup_processor_mode 1
		.amdhsa_memory_ordered 1
		.amdhsa_forward_progress 1
		.amdhsa_shared_vgpr_count 0
		.amdhsa_exception_fp_ieee_invalid_op 0
		.amdhsa_exception_fp_denorm_src 0
		.amdhsa_exception_fp_ieee_div_zero 0
		.amdhsa_exception_fp_ieee_overflow 0
		.amdhsa_exception_fp_ieee_underflow 0
		.amdhsa_exception_fp_ieee_inexact 0
		.amdhsa_exception_int_div_zero 0
	.end_amdhsa_kernel
	.section	.text._ZL32rocblas_gemvt_warp_reduce_kernelILb1ELi1024EiPKDF16_PKfKPDF16_EviiT3_lPKT2_lT1_lS9_lSA_lS6_lPT4_lSA_li,"axG",@progbits,_ZL32rocblas_gemvt_warp_reduce_kernelILb1ELi1024EiPKDF16_PKfKPDF16_EviiT3_lPKT2_lT1_lS9_lSA_lS6_lPT4_lSA_li,comdat
.Lfunc_end464:
	.size	_ZL32rocblas_gemvt_warp_reduce_kernelILb1ELi1024EiPKDF16_PKfKPDF16_EviiT3_lPKT2_lT1_lS9_lSA_lS6_lPT4_lSA_li, .Lfunc_end464-_ZL32rocblas_gemvt_warp_reduce_kernelILb1ELi1024EiPKDF16_PKfKPDF16_EviiT3_lPKT2_lT1_lS9_lSA_lS6_lPT4_lSA_li
                                        ; -- End function
	.set _ZL32rocblas_gemvt_warp_reduce_kernelILb1ELi1024EiPKDF16_PKfKPDF16_EviiT3_lPKT2_lT1_lS9_lSA_lS6_lPT4_lSA_li.num_vgpr, 11
	.set _ZL32rocblas_gemvt_warp_reduce_kernelILb1ELi1024EiPKDF16_PKfKPDF16_EviiT3_lPKT2_lT1_lS9_lSA_lS6_lPT4_lSA_li.num_agpr, 0
	.set _ZL32rocblas_gemvt_warp_reduce_kernelILb1ELi1024EiPKDF16_PKfKPDF16_EviiT3_lPKT2_lT1_lS9_lSA_lS6_lPT4_lSA_li.numbered_sgpr, 24
	.set _ZL32rocblas_gemvt_warp_reduce_kernelILb1ELi1024EiPKDF16_PKfKPDF16_EviiT3_lPKT2_lT1_lS9_lSA_lS6_lPT4_lSA_li.num_named_barrier, 0
	.set _ZL32rocblas_gemvt_warp_reduce_kernelILb1ELi1024EiPKDF16_PKfKPDF16_EviiT3_lPKT2_lT1_lS9_lSA_lS6_lPT4_lSA_li.private_seg_size, 0
	.set _ZL32rocblas_gemvt_warp_reduce_kernelILb1ELi1024EiPKDF16_PKfKPDF16_EviiT3_lPKT2_lT1_lS9_lSA_lS6_lPT4_lSA_li.uses_vcc, 1
	.set _ZL32rocblas_gemvt_warp_reduce_kernelILb1ELi1024EiPKDF16_PKfKPDF16_EviiT3_lPKT2_lT1_lS9_lSA_lS6_lPT4_lSA_li.uses_flat_scratch, 0
	.set _ZL32rocblas_gemvt_warp_reduce_kernelILb1ELi1024EiPKDF16_PKfKPDF16_EviiT3_lPKT2_lT1_lS9_lSA_lS6_lPT4_lSA_li.has_dyn_sized_stack, 0
	.set _ZL32rocblas_gemvt_warp_reduce_kernelILb1ELi1024EiPKDF16_PKfKPDF16_EviiT3_lPKT2_lT1_lS9_lSA_lS6_lPT4_lSA_li.has_recursion, 0
	.set _ZL32rocblas_gemvt_warp_reduce_kernelILb1ELi1024EiPKDF16_PKfKPDF16_EviiT3_lPKT2_lT1_lS9_lSA_lS6_lPT4_lSA_li.has_indirect_call, 0
	.section	.AMDGPU.csdata,"",@progbits
; Kernel info:
; codeLenInByte = 1416
; TotalNumSgprs: 26
; NumVgprs: 11
; ScratchSize: 0
; MemoryBound: 0
; FloatMode: 240
; IeeeMode: 1
; LDSByteSize: 128 bytes/workgroup (compile time only)
; SGPRBlocks: 0
; VGPRBlocks: 1
; NumSGPRsForWavesPerEU: 26
; NumVGPRsForWavesPerEU: 11
; Occupancy: 16
; WaveLimiterHint : 1
; COMPUTE_PGM_RSRC2:SCRATCH_EN: 0
; COMPUTE_PGM_RSRC2:USER_SGPR: 6
; COMPUTE_PGM_RSRC2:TRAP_HANDLER: 0
; COMPUTE_PGM_RSRC2:TGID_X_EN: 1
; COMPUTE_PGM_RSRC2:TGID_Y_EN: 0
; COMPUTE_PGM_RSRC2:TGID_Z_EN: 1
; COMPUTE_PGM_RSRC2:TIDIG_COMP_CNT: 0
	.section	.text._ZL32rocblas_gemvt_warp_reduce_kernelILb1ELi1024ElPKDF16_PKfKPDF16_EviiT3_lPKT2_lT1_lS9_lSA_lS6_lPT4_lSA_li,"axG",@progbits,_ZL32rocblas_gemvt_warp_reduce_kernelILb1ELi1024ElPKDF16_PKfKPDF16_EviiT3_lPKT2_lT1_lS9_lSA_lS6_lPT4_lSA_li,comdat
	.globl	_ZL32rocblas_gemvt_warp_reduce_kernelILb1ELi1024ElPKDF16_PKfKPDF16_EviiT3_lPKT2_lT1_lS9_lSA_lS6_lPT4_lSA_li ; -- Begin function _ZL32rocblas_gemvt_warp_reduce_kernelILb1ELi1024ElPKDF16_PKfKPDF16_EviiT3_lPKT2_lT1_lS9_lSA_lS6_lPT4_lSA_li
	.p2align	8
	.type	_ZL32rocblas_gemvt_warp_reduce_kernelILb1ELi1024ElPKDF16_PKfKPDF16_EviiT3_lPKT2_lT1_lS9_lSA_lS6_lPT4_lSA_li,@function
_ZL32rocblas_gemvt_warp_reduce_kernelILb1ELi1024ElPKDF16_PKfKPDF16_EviiT3_lPKT2_lT1_lS9_lSA_lS6_lPT4_lSA_li: ; @_ZL32rocblas_gemvt_warp_reduce_kernelILb1ELi1024ElPKDF16_PKfKPDF16_EviiT3_lPKT2_lT1_lS9_lSA_lS6_lPT4_lSA_li
; %bb.0:
	s_clause 0x1
	s_load_dwordx8 s[16:23], s[4:5], 0x8
	s_load_dwordx8 s[8:15], s[4:5], 0x58
	s_mov_b32 s26, s7
	s_mov_b32 s27, 0
	s_waitcnt lgkmcnt(0)
	s_mul_i32 s1, s19, s7
	s_mul_hi_u32 s2, s18, s7
	s_mul_i32 s0, s18, s7
	s_add_i32 s1, s2, s1
	s_mul_i32 s2, s11, s7
	s_lshl_b64 s[0:1], s[0:1], 2
	s_mul_hi_u32 s3, s10, s7
	s_add_u32 s0, s16, s0
	s_addc_u32 s1, s17, s1
	s_add_i32 s3, s3, s2
	s_mul_i32 s2, s10, s7
	s_lshl_b64 s[2:3], s[2:3], 2
	s_add_u32 s2, s8, s2
	s_addc_u32 s3, s9, s3
	s_load_dword s28, s[0:1], 0x0
	s_load_dword s7, s[2:3], 0x0
	s_waitcnt lgkmcnt(0)
	v_cmp_eq_f32_e64 s29, s28, 0
	v_cmp_eq_f32_e64 s0, s7, 1.0
	s_and_b32 s0, s29, s0
	s_and_b32 vcc_lo, exec_lo, s0
	s_cbranch_vccnz .LBB465_34
; %bb.1:
	s_clause 0x1
	s_load_dwordx2 s[18:19], s[4:5], 0x28
	s_load_dwordx2 s[8:9], s[4:5], 0x78
	v_cmp_neq_f32_e64 s30, s28, 0
	s_mov_b64 s[10:11], 0
	s_and_b32 vcc_lo, exec_lo, s29
	s_mov_b64 s[24:25], 0
	s_cbranch_vccnz .LBB465_3
; %bb.2:
	s_lshl_b64 s[0:1], s[26:27], 3
	s_add_u32 s0, s20, s0
	s_addc_u32 s1, s21, s1
	s_lshl_b64 s[2:3], s[22:23], 1
	s_load_dwordx2 s[0:1], s[0:1], 0x0
	s_waitcnt lgkmcnt(0)
	s_add_u32 s24, s0, s2
	s_addc_u32 s25, s1, s3
.LBB465_3:
	s_clause 0x1
	s_load_dwordx4 s[0:3], s[4:5], 0x38
	s_load_dwordx2 s[16:17], s[4:5], 0x48
	s_andn2_b32 vcc_lo, exec_lo, s30
	s_cbranch_vccnz .LBB465_5
; %bb.4:
	s_lshl_b64 s[10:11], s[26:27], 3
	s_waitcnt lgkmcnt(0)
	s_add_u32 s0, s0, s10
	s_addc_u32 s1, s1, s11
	s_lshl_b64 s[2:3], s[2:3], 1
	s_load_dwordx2 s[0:1], s[0:1], 0x0
	s_waitcnt lgkmcnt(0)
	s_add_u32 s10, s0, s2
	s_addc_u32 s11, s1, s3
.LBB465_5:
	s_waitcnt lgkmcnt(0)
	s_lshl_b64 s[0:1], s[26:27], 3
	s_add_u32 s0, s12, s0
	s_addc_u32 s1, s13, s1
	s_lshl_b64 s[12:13], s[14:15], 1
	s_load_dwordx2 s[2:3], s[0:1], 0x0
	v_cmp_eq_u32_e64 s0, 0, v0
	s_waitcnt lgkmcnt(0)
	s_add_u32 s1, s2, s12
	s_addc_u32 s12, s3, s13
	s_andn2_b32 vcc_lo, exec_lo, s29
	s_cbranch_vccnz .LBB465_9
; %bb.6:
	s_mov_b32 s14, 0
	s_mov_b32 s13, 0
                                        ; implicit-def: $vgpr1
                                        ; implicit-def: $sgpr2_sgpr3
	s_and_saveexec_b32 s15, s0
	s_cbranch_execz .LBB465_10
; %bb.7:
	s_ashr_i32 s2, s6, 31
	v_cmp_eq_f32_e64 s0, s7, 0
	s_mul_hi_u32 s3, s8, s6
	s_mul_i32 s2, s8, s2
	s_mul_i32 s13, s9, s6
	s_add_i32 s2, s3, s2
	s_and_b32 vcc_lo, exec_lo, s0
	s_add_i32 s3, s2, s13
	s_mul_i32 s2, s8, s6
	s_cbranch_vccnz .LBB465_11
; %bb.8:
	s_lshl_b64 s[20:21], s[2:3], 1
	s_add_u32 s20, s1, s20
	s_addc_u32 s21, s12, s21
	v_mov_b32_e32 v1, s20
	v_mov_b32_e32 v2, s21
	flat_load_ushort v1, v[1:2]
	s_waitcnt vmcnt(0) lgkmcnt(0)
	v_fma_mixlo_f16 v1, s7, v1, 0 op_sel_hi:[0,1,0]
	s_branch .LBB465_12
.LBB465_9:
	s_mov_b32 s13, 0
                                        ; implicit-def: $vgpr1
                                        ; implicit-def: $sgpr2_sgpr3
	s_cbranch_execnz .LBB465_13
	s_branch .LBB465_32
.LBB465_10:
	s_or_b32 exec_lo, exec_lo, s15
	s_and_b32 vcc_lo, exec_lo, s14
	s_cbranch_vccnz .LBB465_13
	s_branch .LBB465_32
.LBB465_11:
	v_mov_b32_e32 v1, 0
.LBB465_12:
	s_mov_b32 s13, exec_lo
	s_or_b32 exec_lo, exec_lo, s15
	s_and_b32 vcc_lo, exec_lo, s14
	s_cbranch_vccz .LBB465_32
.LBB465_13:
	s_load_dword s3, s[4:5], 0x0
	s_ashr_i32 s14, s6, 31
	s_mul_hi_u32 s0, s18, s6
	s_mul_i32 s4, s18, s14
	s_mul_i32 s2, s19, s6
	s_add_i32 s0, s0, s4
	s_mul_i32 s4, s18, s6
	s_add_i32 s5, s0, s2
	v_mov_b32_e32 v7, 0
	s_lshl_b64 s[4:5], s[4:5], 1
	s_mov_b32 s18, 0
	s_mov_b32 s15, exec_lo
	s_waitcnt lgkmcnt(0)
	v_cmp_gt_i32_e32 vcc_lo, s3, v0
	s_ashr_i32 s0, s3, 31
	s_lshr_b32 s0, s0, 22
	s_add_i32 s0, s3, s0
	v_cndmask_b32_e32 v1, 0, v0, vcc_lo
	v_lshlrev_b32_e32 v1, 1, v1
	v_add_co_u32 v1, s2, s24, v1
	v_add_co_ci_u32_e64 v2, null, s25, 0, s2
	s_and_b32 s2, s0, 0xfffffc00
	v_add_co_u32 v1, vcc_lo, v1, s4
	v_add_co_ci_u32_e64 v2, null, s5, v2, vcc_lo
	v_cmpx_gt_i32_e64 s2, v0
	s_cbranch_execz .LBB465_17
; %bb.14:
	v_mad_u64_u32 v[3:4], null, s16, v0, 0
	v_mov_b32_e32 v7, 0
	v_mov_b32_e32 v8, v0
	s_lshl_b64 s[4:5], s[16:17], 11
	v_mad_u64_u32 v[4:5], null, s17, v0, v[4:5]
	v_lshlrev_b64 v[5:6], 1, v[3:4]
	v_mov_b32_e32 v4, v2
	v_mov_b32_e32 v3, v1
	v_add_co_u32 v5, vcc_lo, s10, v5
	v_add_co_ci_u32_e64 v6, null, s11, v6, vcc_lo
	.p2align	6
.LBB465_15:                             ; =>This Inner Loop Header: Depth=1
	flat_load_ushort v9, v[3:4]
	flat_load_ushort v10, v[5:6]
	v_add_nc_u32_e32 v8, 0x400, v8
	v_add_co_u32 v3, vcc_lo, 0x800, v3
	v_add_co_ci_u32_e64 v4, null, 0, v4, vcc_lo
	v_add_co_u32 v5, vcc_lo, v5, s4
	v_cmp_le_i32_e64 s0, s2, v8
	v_add_co_ci_u32_e64 v6, null, s5, v6, vcc_lo
	s_or_b32 s18, s0, s18
	s_waitcnt vmcnt(0) lgkmcnt(0)
	v_mul_f16_e32 v9, v9, v10
	v_cvt_f32_f16_e32 v9, v9
	v_add_f32_e32 v7, v7, v9
	s_andn2_b32 exec_lo, exec_lo, s18
	s_cbranch_execnz .LBB465_15
; %bb.16:
	s_or_b32 exec_lo, exec_lo, s18
.LBB465_17:
	s_or_b32 exec_lo, exec_lo, s15
	v_or_b32_e32 v3, s2, v0
	s_mov_b32 s0, exec_lo
	v_cmpx_gt_i32_e64 s3, v3
	s_cbranch_execz .LBB465_19
; %bb.18:
	v_ashrrev_i32_e32 v5, 31, v3
	v_mul_lo_u32 v6, s17, v3
	v_mad_u64_u32 v[3:4], null, s16, v3, 0
	s_ashr_i32 s3, s2, 31
	v_mul_lo_u32 v5, s16, v5
	s_lshl_b64 s[2:3], s[2:3], 1
	v_add_co_u32 v1, vcc_lo, v1, s2
	v_add_co_ci_u32_e64 v2, null, s3, v2, vcc_lo
	v_add3_u32 v4, v4, v5, v6
	v_lshlrev_b64 v[3:4], 1, v[3:4]
	v_add_co_u32 v3, vcc_lo, s10, v3
	v_add_co_ci_u32_e64 v4, null, s11, v4, vcc_lo
	flat_load_ushort v1, v[1:2]
	flat_load_ushort v2, v[3:4]
	s_waitcnt vmcnt(0) lgkmcnt(0)
	v_mul_f16_e32 v1, v1, v2
	v_cvt_f32_f16_e32 v1, v1
	v_add_f32_e32 v7, v7, v1
.LBB465_19:
	s_or_b32 exec_lo, exec_lo, s0
	v_and_b32_e32 v8, 31, v0
	v_cmp_gt_u32_e32 vcc_lo, 32, v0
	v_lshlrev_b32_e32 v1, 2, v8
	s_and_saveexec_b32 s0, vcc_lo
; %bb.20:
	v_mov_b32_e32 v2, 0
	ds_write_b32 v1, v2
; %bb.21:
	s_or_b32 exec_lo, exec_lo, s0
	v_mbcnt_lo_u32_b32 v6, -1, 0
	s_mov_b32 s2, exec_lo
	s_waitcnt lgkmcnt(0)
	s_barrier
	buffer_gl0_inv
	v_lshl_or_b32 v2, v6, 2, 64
	v_cmp_gt_u32_e64 s0, 24, v6
	ds_bpermute_b32 v4, v2, v7
	v_cndmask_b32_e64 v3, 0, 8, s0
	v_cmp_gt_u32_e64 s0, 28, v6
	v_add_lshl_u32 v3, v3, v6, 2
	s_waitcnt lgkmcnt(0)
	v_add_f32_e32 v5, v7, v4
	v_cndmask_b32_e64 v4, 0, 4, s0
	v_cmp_gt_u32_e64 s0, 30, v6
	ds_bpermute_b32 v7, v3, v5
	v_add_lshl_u32 v4, v4, v6, 2
	s_waitcnt lgkmcnt(0)
	v_add_f32_e32 v7, v5, v7
	v_cndmask_b32_e64 v5, 0, 2, s0
	v_cmp_ne_u32_e64 s0, 31, v6
	ds_bpermute_b32 v9, v4, v7
	v_add_lshl_u32 v5, v5, v6, 2
	v_add_co_ci_u32_e64 v6, null, 0, v6, s0
	v_lshlrev_b32_e32 v6, 2, v6
	s_waitcnt lgkmcnt(0)
	v_add_f32_e32 v7, v7, v9
	ds_bpermute_b32 v9, v5, v7
	s_waitcnt lgkmcnt(0)
	v_add_f32_e32 v7, v7, v9
	ds_bpermute_b32 v9, v6, v7
	v_cmpx_eq_u32_e32 0, v8
	s_cbranch_execz .LBB465_23
; %bb.22:
	v_lshrrev_b32_e32 v8, 3, v0
	s_waitcnt lgkmcnt(0)
	v_add_f32_e32 v7, v7, v9
	v_and_b32_e32 v8, 0x7c, v8
	ds_write_b32 v8, v7
.LBB465_23:
	s_or_b32 exec_lo, exec_lo, s2
	v_mov_b32_e32 v7, 0
	s_waitcnt lgkmcnt(0)
	s_barrier
	buffer_gl0_inv
	s_and_saveexec_b32 s0, vcc_lo
; %bb.24:
	ds_read_b32 v7, v1
; %bb.25:
	s_or_b32 exec_lo, exec_lo, s0
	s_and_saveexec_b32 s0, vcc_lo
	s_cbranch_execz .LBB465_27
; %bb.26:
	s_waitcnt lgkmcnt(0)
	ds_bpermute_b32 v1, v2, v7
	s_waitcnt lgkmcnt(0)
	v_add_f32_e32 v1, v7, v1
	ds_bpermute_b32 v2, v3, v1
	s_waitcnt lgkmcnt(0)
	v_add_f32_e32 v1, v1, v2
	;; [unrolled: 3-line block ×5, first 2 shown]
.LBB465_27:
	s_or_b32 exec_lo, exec_lo, s0
	s_mov_b32 s0, exec_lo
                                        ; implicit-def: $vgpr1
                                        ; implicit-def: $sgpr2_sgpr3
	v_cmpx_eq_u32_e32 0, v0
	s_cbranch_execz .LBB465_31
; %bb.28:
	v_cmp_eq_f32_e64 s4, s7, 0
	s_mul_i32 s2, s8, s14
	s_mul_hi_u32 s3, s8, s6
	s_waitcnt lgkmcnt(0)
	v_mul_f32_e32 v0, s28, v7
	s_add_i32 s2, s3, s2
	s_mul_i32 s3, s9, s6
	s_and_b32 vcc_lo, exec_lo, s4
	s_add_i32 s3, s2, s3
	s_mul_i32 s2, s8, s6
	s_cbranch_vccnz .LBB465_30
; %bb.29:
	s_lshl_b64 s[4:5], s[2:3], 1
	s_add_u32 s4, s1, s4
	s_addc_u32 s5, s12, s5
	v_mov_b32_e32 v1, s4
	v_mov_b32_e32 v2, s5
	flat_load_ushort v1, v[1:2]
	s_waitcnt vmcnt(0) lgkmcnt(0)
	v_fma_mix_f32 v0, s7, v1, v0 op_sel_hi:[0,1,0]
.LBB465_30:
	v_cvt_f16_f32_e32 v1, v0
	s_or_b32 s13, s13, exec_lo
.LBB465_31:
	s_or_b32 exec_lo, exec_lo, s0
.LBB465_32:
	s_and_saveexec_b32 s0, s13
	s_cbranch_execz .LBB465_34
; %bb.33:
	s_lshl_b64 s[2:3], s[2:3], 1
	s_add_u32 s0, s1, s2
	s_addc_u32 s1, s12, s3
	v_mov_b32_e32 v3, s1
	v_mov_b32_e32 v2, s0
	flat_store_short v[2:3], v1
.LBB465_34:
	s_endpgm
	.section	.rodata,"a",@progbits
	.p2align	6, 0x0
	.amdhsa_kernel _ZL32rocblas_gemvt_warp_reduce_kernelILb1ELi1024ElPKDF16_PKfKPDF16_EviiT3_lPKT2_lT1_lS9_lSA_lS6_lPT4_lSA_li
		.amdhsa_group_segment_fixed_size 128
		.amdhsa_private_segment_fixed_size 0
		.amdhsa_kernarg_size 140
		.amdhsa_user_sgpr_count 6
		.amdhsa_user_sgpr_private_segment_buffer 1
		.amdhsa_user_sgpr_dispatch_ptr 0
		.amdhsa_user_sgpr_queue_ptr 0
		.amdhsa_user_sgpr_kernarg_segment_ptr 1
		.amdhsa_user_sgpr_dispatch_id 0
		.amdhsa_user_sgpr_flat_scratch_init 0
		.amdhsa_user_sgpr_private_segment_size 0
		.amdhsa_wavefront_size32 1
		.amdhsa_uses_dynamic_stack 0
		.amdhsa_system_sgpr_private_segment_wavefront_offset 0
		.amdhsa_system_sgpr_workgroup_id_x 1
		.amdhsa_system_sgpr_workgroup_id_y 0
		.amdhsa_system_sgpr_workgroup_id_z 1
		.amdhsa_system_sgpr_workgroup_info 0
		.amdhsa_system_vgpr_workitem_id 0
		.amdhsa_next_free_vgpr 11
		.amdhsa_next_free_sgpr 31
		.amdhsa_reserve_vcc 1
		.amdhsa_reserve_flat_scratch 0
		.amdhsa_float_round_mode_32 0
		.amdhsa_float_round_mode_16_64 0
		.amdhsa_float_denorm_mode_32 3
		.amdhsa_float_denorm_mode_16_64 3
		.amdhsa_dx10_clamp 1
		.amdhsa_ieee_mode 1
		.amdhsa_fp16_overflow 0
		.amdhsa_workgroup_processor_mode 1
		.amdhsa_memory_ordered 1
		.amdhsa_forward_progress 1
		.amdhsa_shared_vgpr_count 0
		.amdhsa_exception_fp_ieee_invalid_op 0
		.amdhsa_exception_fp_denorm_src 0
		.amdhsa_exception_fp_ieee_div_zero 0
		.amdhsa_exception_fp_ieee_overflow 0
		.amdhsa_exception_fp_ieee_underflow 0
		.amdhsa_exception_fp_ieee_inexact 0
		.amdhsa_exception_int_div_zero 0
	.end_amdhsa_kernel
	.section	.text._ZL32rocblas_gemvt_warp_reduce_kernelILb1ELi1024ElPKDF16_PKfKPDF16_EviiT3_lPKT2_lT1_lS9_lSA_lS6_lPT4_lSA_li,"axG",@progbits,_ZL32rocblas_gemvt_warp_reduce_kernelILb1ELi1024ElPKDF16_PKfKPDF16_EviiT3_lPKT2_lT1_lS9_lSA_lS6_lPT4_lSA_li,comdat
.Lfunc_end465:
	.size	_ZL32rocblas_gemvt_warp_reduce_kernelILb1ELi1024ElPKDF16_PKfKPDF16_EviiT3_lPKT2_lT1_lS9_lSA_lS6_lPT4_lSA_li, .Lfunc_end465-_ZL32rocblas_gemvt_warp_reduce_kernelILb1ELi1024ElPKDF16_PKfKPDF16_EviiT3_lPKT2_lT1_lS9_lSA_lS6_lPT4_lSA_li
                                        ; -- End function
	.set _ZL32rocblas_gemvt_warp_reduce_kernelILb1ELi1024ElPKDF16_PKfKPDF16_EviiT3_lPKT2_lT1_lS9_lSA_lS6_lPT4_lSA_li.num_vgpr, 11
	.set _ZL32rocblas_gemvt_warp_reduce_kernelILb1ELi1024ElPKDF16_PKfKPDF16_EviiT3_lPKT2_lT1_lS9_lSA_lS6_lPT4_lSA_li.num_agpr, 0
	.set _ZL32rocblas_gemvt_warp_reduce_kernelILb1ELi1024ElPKDF16_PKfKPDF16_EviiT3_lPKT2_lT1_lS9_lSA_lS6_lPT4_lSA_li.numbered_sgpr, 31
	.set _ZL32rocblas_gemvt_warp_reduce_kernelILb1ELi1024ElPKDF16_PKfKPDF16_EviiT3_lPKT2_lT1_lS9_lSA_lS6_lPT4_lSA_li.num_named_barrier, 0
	.set _ZL32rocblas_gemvt_warp_reduce_kernelILb1ELi1024ElPKDF16_PKfKPDF16_EviiT3_lPKT2_lT1_lS9_lSA_lS6_lPT4_lSA_li.private_seg_size, 0
	.set _ZL32rocblas_gemvt_warp_reduce_kernelILb1ELi1024ElPKDF16_PKfKPDF16_EviiT3_lPKT2_lT1_lS9_lSA_lS6_lPT4_lSA_li.uses_vcc, 1
	.set _ZL32rocblas_gemvt_warp_reduce_kernelILb1ELi1024ElPKDF16_PKfKPDF16_EviiT3_lPKT2_lT1_lS9_lSA_lS6_lPT4_lSA_li.uses_flat_scratch, 0
	.set _ZL32rocblas_gemvt_warp_reduce_kernelILb1ELi1024ElPKDF16_PKfKPDF16_EviiT3_lPKT2_lT1_lS9_lSA_lS6_lPT4_lSA_li.has_dyn_sized_stack, 0
	.set _ZL32rocblas_gemvt_warp_reduce_kernelILb1ELi1024ElPKDF16_PKfKPDF16_EviiT3_lPKT2_lT1_lS9_lSA_lS6_lPT4_lSA_li.has_recursion, 0
	.set _ZL32rocblas_gemvt_warp_reduce_kernelILb1ELi1024ElPKDF16_PKfKPDF16_EviiT3_lPKT2_lT1_lS9_lSA_lS6_lPT4_lSA_li.has_indirect_call, 0
	.section	.AMDGPU.csdata,"",@progbits
; Kernel info:
; codeLenInByte = 1504
; TotalNumSgprs: 33
; NumVgprs: 11
; ScratchSize: 0
; MemoryBound: 0
; FloatMode: 240
; IeeeMode: 1
; LDSByteSize: 128 bytes/workgroup (compile time only)
; SGPRBlocks: 0
; VGPRBlocks: 1
; NumSGPRsForWavesPerEU: 33
; NumVGPRsForWavesPerEU: 11
; Occupancy: 16
; WaveLimiterHint : 1
; COMPUTE_PGM_RSRC2:SCRATCH_EN: 0
; COMPUTE_PGM_RSRC2:USER_SGPR: 6
; COMPUTE_PGM_RSRC2:TRAP_HANDLER: 0
; COMPUTE_PGM_RSRC2:TGID_X_EN: 1
; COMPUTE_PGM_RSRC2:TGID_Y_EN: 0
; COMPUTE_PGM_RSRC2:TGID_Z_EN: 1
; COMPUTE_PGM_RSRC2:TIDIG_COMP_CNT: 0
	.section	.text._ZL32rocblas_gemvt_warp_reduce_kernelILb1ELi1024EiPKDF16_fKPDF16_EviiT3_lPKT2_lT1_lS7_lS8_lS4_lPT4_lS8_li,"axG",@progbits,_ZL32rocblas_gemvt_warp_reduce_kernelILb1ELi1024EiPKDF16_fKPDF16_EviiT3_lPKT2_lT1_lS7_lS8_lS4_lPT4_lS8_li,comdat
	.globl	_ZL32rocblas_gemvt_warp_reduce_kernelILb1ELi1024EiPKDF16_fKPDF16_EviiT3_lPKT2_lT1_lS7_lS8_lS4_lPT4_lS8_li ; -- Begin function _ZL32rocblas_gemvt_warp_reduce_kernelILb1ELi1024EiPKDF16_fKPDF16_EviiT3_lPKT2_lT1_lS7_lS8_lS4_lPT4_lS8_li
	.p2align	8
	.type	_ZL32rocblas_gemvt_warp_reduce_kernelILb1ELi1024EiPKDF16_fKPDF16_EviiT3_lPKT2_lT1_lS7_lS8_lS4_lPT4_lS8_li,@function
_ZL32rocblas_gemvt_warp_reduce_kernelILb1ELi1024EiPKDF16_fKPDF16_EviiT3_lPKT2_lT1_lS7_lS8_lS4_lPT4_lS8_li: ; @_ZL32rocblas_gemvt_warp_reduce_kernelILb1ELi1024EiPKDF16_fKPDF16_EviiT3_lPKT2_lT1_lS7_lS8_lS4_lPT4_lS8_li
; %bb.0:
	s_mov_b32 s10, s7
	s_clause 0x1
	s_load_dword s12, s[4:5], 0x8
	s_load_dword s7, s[4:5], 0x58
	s_mov_b32 s11, 0
	s_waitcnt lgkmcnt(0)
	v_cmp_eq_f32_e64 s15, s12, 0
	v_cmp_eq_f32_e64 s0, s7, 1.0
	s_and_b32 s0, s15, s0
	s_and_b32 vcc_lo, exec_lo, s0
	s_cbranch_vccnz .LBB466_36
; %bb.1:
	v_cmp_neq_f32_e64 s13, s12, 0
	s_and_b32 vcc_lo, exec_lo, s13
	s_cbranch_vccnz .LBB466_3
; %bb.2:
	s_mov_b32 s1, 0
	s_mov_b32 s0, s10
	;; [unrolled: 1-line block ×3, first 2 shown]
	s_mov_b64 s[2:3], 0
	s_andn2_b32 vcc_lo, exec_lo, s8
	s_mov_b64 s[8:9], 0
	s_cbranch_vccz .LBB466_4
	s_branch .LBB466_5
.LBB466_3:
	s_mov_b64 s[0:1], s[10:11]
	s_mov_b64 s[2:3], 0
	;; [unrolled: 1-line block ×3, first 2 shown]
.LBB466_4:
	s_load_dwordx4 s[16:19], s[4:5], 0x18
	s_lshl_b64 s[8:9], s[10:11], 3
	s_waitcnt lgkmcnt(0)
	s_add_u32 s8, s16, s8
	s_addc_u32 s9, s17, s9
	s_lshl_b64 s[10:11], s[18:19], 1
	s_load_dwordx2 s[8:9], s[8:9], 0x0
	s_waitcnt lgkmcnt(0)
	s_add_u32 s8, s8, s10
	s_addc_u32 s9, s9, s11
.LBB466_5:
	s_andn2_b32 vcc_lo, exec_lo, s13
	s_cbranch_vccnz .LBB466_7
; %bb.6:
	s_load_dwordx4 s[16:19], s[4:5], 0x38
	s_lshl_b64 s[2:3], s[0:1], 3
	s_waitcnt lgkmcnt(0)
	s_add_u32 s2, s16, s2
	s_addc_u32 s3, s17, s3
	s_lshl_b64 s[10:11], s[18:19], 1
	s_load_dwordx2 s[2:3], s[2:3], 0x0
	s_waitcnt lgkmcnt(0)
	s_add_u32 s2, s2, s10
	s_addc_u32 s3, s3, s11
.LBB466_7:
	s_clause 0x1
	s_load_dwordx4 s[16:19], s[4:5], 0x68
	s_load_dword s14, s[4:5], 0x78
	s_lshl_b64 s[0:1], s[0:1], 3
	s_waitcnt lgkmcnt(0)
	s_add_u32 s0, s16, s0
	s_addc_u32 s1, s17, s1
	s_lshl_b64 s[16:17], s[18:19], 1
	s_load_dwordx2 s[10:11], s[0:1], 0x0
	v_cmp_eq_u32_e64 s0, 0, v0
	s_waitcnt lgkmcnt(0)
	s_add_u32 s1, s10, s16
	s_addc_u32 s13, s11, s17
	s_andn2_b32 vcc_lo, exec_lo, s15
	s_cbranch_vccnz .LBB466_11
; %bb.8:
	s_mov_b32 s16, 0
	s_mov_b32 s15, 0
                                        ; implicit-def: $vgpr1
                                        ; implicit-def: $sgpr10_sgpr11
	s_and_saveexec_b32 s17, s0
	s_cbranch_execz .LBB466_12
; %bb.9:
	v_cmp_eq_f32_e64 s0, s7, 0
	s_mul_i32 s10, s14, s6
	s_ashr_i32 s11, s10, 31
	s_and_b32 vcc_lo, exec_lo, s0
	s_cbranch_vccnz .LBB466_13
; %bb.10:
	s_lshl_b64 s[18:19], s[10:11], 1
	s_add_u32 s18, s1, s18
	s_addc_u32 s19, s13, s19
	v_mov_b32_e32 v1, s18
	v_mov_b32_e32 v2, s19
	flat_load_ushort v1, v[1:2]
	s_waitcnt vmcnt(0) lgkmcnt(0)
	v_fma_mixlo_f16 v1, s7, v1, 0 op_sel_hi:[0,1,0]
	s_branch .LBB466_14
.LBB466_11:
	s_mov_b32 s15, 0
                                        ; implicit-def: $vgpr1
                                        ; implicit-def: $sgpr10_sgpr11
	s_cbranch_execnz .LBB466_15
	s_branch .LBB466_34
.LBB466_12:
	s_or_b32 exec_lo, exec_lo, s17
	s_and_b32 vcc_lo, exec_lo, s16
	s_cbranch_vccnz .LBB466_15
	s_branch .LBB466_34
.LBB466_13:
	v_mov_b32_e32 v1, 0
.LBB466_14:
	s_mov_b32 s15, exec_lo
	s_or_b32 exec_lo, exec_lo, s17
	s_and_b32 vcc_lo, exec_lo, s16
	s_cbranch_vccz .LBB466_34
.LBB466_15:
	s_clause 0x2
	s_load_dword s10, s[4:5], 0x0
	s_load_dword s0, s[4:5], 0x28
	;; [unrolled: 1-line block ×3, first 2 shown]
	v_mov_b32_e32 v7, 0
	s_waitcnt lgkmcnt(0)
	v_cmp_gt_i32_e32 vcc_lo, s10, v0
	s_mul_i32 s16, s0, s6
	s_ashr_i32 s0, s10, 31
	s_ashr_i32 s17, s16, 31
	s_lshr_b32 s0, s0, 22
	v_cndmask_b32_e32 v1, 0, v0, vcc_lo
	s_lshl_b64 s[16:17], s[16:17], 1
	s_add_i32 s0, s10, s0
	v_lshlrev_b32_e32 v1, 1, v1
	v_add_co_u32 v1, s4, s8, v1
	v_add_co_ci_u32_e64 v2, null, s9, 0, s4
	s_and_b32 s4, s0, 0xfffffc00
	v_add_co_u32 v1, vcc_lo, v1, s16
	v_add_co_ci_u32_e64 v2, null, s17, v2, vcc_lo
	s_mov_b32 s9, 0
	s_mov_b32 s8, exec_lo
	v_cmpx_gt_i32_e64 s4, v0
	s_cbranch_execz .LBB466_19
; %bb.16:
	v_mul_lo_u32 v3, v0, s5
	v_mov_b32_e32 v6, v2
	v_mov_b32_e32 v7, 0
	;; [unrolled: 1-line block ×4, first 2 shown]
	s_lshl_b32 s11, s5, 10
	.p2align	6
.LBB466_17:                             ; =>This Inner Loop Header: Depth=1
	v_ashrrev_i32_e32 v4, 31, v3
	v_add_nc_u32_e32 v8, 0x400, v8
	v_lshlrev_b64 v[9:10], 1, v[3:4]
	v_cmp_le_i32_e64 s0, s4, v8
	v_add_nc_u32_e32 v3, s11, v3
	s_or_b32 s9, s0, s9
	v_add_co_u32 v9, vcc_lo, s2, v9
	v_add_co_ci_u32_e64 v10, null, s3, v10, vcc_lo
	flat_load_ushort v4, v[5:6]
	flat_load_ushort v9, v[9:10]
	v_add_co_u32 v5, vcc_lo, 0x800, v5
	v_add_co_ci_u32_e64 v6, null, 0, v6, vcc_lo
	s_waitcnt vmcnt(0) lgkmcnt(0)
	v_mul_f16_e32 v4, v4, v9
	v_cvt_f32_f16_e32 v4, v4
	v_add_f32_e32 v7, v7, v4
	s_andn2_b32 exec_lo, exec_lo, s9
	s_cbranch_execnz .LBB466_17
; %bb.18:
	s_or_b32 exec_lo, exec_lo, s9
.LBB466_19:
	s_or_b32 exec_lo, exec_lo, s8
	v_or_b32_e32 v3, s4, v0
	s_mov_b32 s0, exec_lo
	v_cmpx_gt_i32_e64 s10, v3
	s_cbranch_execz .LBB466_21
; %bb.20:
	v_mul_lo_u32 v3, s5, v3
	s_ashr_i32 s5, s4, 31
	s_lshl_b64 s[4:5], s[4:5], 1
	v_add_co_u32 v1, vcc_lo, v1, s4
	v_add_co_ci_u32_e64 v2, null, s5, v2, vcc_lo
	v_ashrrev_i32_e32 v4, 31, v3
	v_lshlrev_b64 v[3:4], 1, v[3:4]
	v_add_co_u32 v3, vcc_lo, s2, v3
	v_add_co_ci_u32_e64 v4, null, s3, v4, vcc_lo
	flat_load_ushort v1, v[1:2]
	flat_load_ushort v2, v[3:4]
	s_waitcnt vmcnt(0) lgkmcnt(0)
	v_mul_f16_e32 v1, v1, v2
	v_cvt_f32_f16_e32 v1, v1
	v_add_f32_e32 v7, v7, v1
.LBB466_21:
	s_or_b32 exec_lo, exec_lo, s0
	v_and_b32_e32 v8, 31, v0
	v_cmp_gt_u32_e32 vcc_lo, 32, v0
	v_lshlrev_b32_e32 v1, 2, v8
	s_and_saveexec_b32 s0, vcc_lo
; %bb.22:
	v_mov_b32_e32 v2, 0
	ds_write_b32 v1, v2
; %bb.23:
	s_or_b32 exec_lo, exec_lo, s0
	v_mbcnt_lo_u32_b32 v6, -1, 0
	s_mov_b32 s2, exec_lo
	s_waitcnt lgkmcnt(0)
	s_barrier
	buffer_gl0_inv
	v_lshl_or_b32 v2, v6, 2, 64
	v_cmp_gt_u32_e64 s0, 24, v6
	ds_bpermute_b32 v4, v2, v7
	v_cndmask_b32_e64 v3, 0, 8, s0
	v_cmp_gt_u32_e64 s0, 28, v6
	v_add_lshl_u32 v3, v3, v6, 2
	s_waitcnt lgkmcnt(0)
	v_add_f32_e32 v5, v7, v4
	v_cndmask_b32_e64 v4, 0, 4, s0
	v_cmp_gt_u32_e64 s0, 30, v6
	ds_bpermute_b32 v7, v3, v5
	v_add_lshl_u32 v4, v4, v6, 2
	s_waitcnt lgkmcnt(0)
	v_add_f32_e32 v7, v5, v7
	v_cndmask_b32_e64 v5, 0, 2, s0
	v_cmp_ne_u32_e64 s0, 31, v6
	ds_bpermute_b32 v9, v4, v7
	v_add_lshl_u32 v5, v5, v6, 2
	v_add_co_ci_u32_e64 v6, null, 0, v6, s0
	v_lshlrev_b32_e32 v6, 2, v6
	s_waitcnt lgkmcnt(0)
	v_add_f32_e32 v7, v7, v9
	ds_bpermute_b32 v9, v5, v7
	s_waitcnt lgkmcnt(0)
	v_add_f32_e32 v7, v7, v9
	ds_bpermute_b32 v9, v6, v7
	v_cmpx_eq_u32_e32 0, v8
	s_cbranch_execz .LBB466_25
; %bb.24:
	v_lshrrev_b32_e32 v8, 3, v0
	s_waitcnt lgkmcnt(0)
	v_add_f32_e32 v7, v7, v9
	v_and_b32_e32 v8, 0x7c, v8
	ds_write_b32 v8, v7
.LBB466_25:
	s_or_b32 exec_lo, exec_lo, s2
	v_mov_b32_e32 v7, 0
	s_waitcnt lgkmcnt(0)
	s_barrier
	buffer_gl0_inv
	s_and_saveexec_b32 s0, vcc_lo
; %bb.26:
	ds_read_b32 v7, v1
; %bb.27:
	s_or_b32 exec_lo, exec_lo, s0
	s_and_saveexec_b32 s0, vcc_lo
	s_cbranch_execz .LBB466_29
; %bb.28:
	s_waitcnt lgkmcnt(0)
	ds_bpermute_b32 v1, v2, v7
	s_waitcnt lgkmcnt(0)
	v_add_f32_e32 v1, v7, v1
	ds_bpermute_b32 v2, v3, v1
	s_waitcnt lgkmcnt(0)
	v_add_f32_e32 v1, v1, v2
	;; [unrolled: 3-line block ×5, first 2 shown]
.LBB466_29:
	s_or_b32 exec_lo, exec_lo, s0
	s_mov_b32 s0, exec_lo
                                        ; implicit-def: $vgpr1
                                        ; implicit-def: $sgpr10_sgpr11
	v_cmpx_eq_u32_e32 0, v0
	s_cbranch_execz .LBB466_33
; %bb.30:
	v_cmp_eq_f32_e64 s2, s7, 0
	s_waitcnt lgkmcnt(0)
	v_mul_f32_e32 v0, s12, v7
	s_mul_i32 s10, s14, s6
	s_ashr_i32 s11, s10, 31
	s_and_b32 vcc_lo, exec_lo, s2
	s_cbranch_vccnz .LBB466_32
; %bb.31:
	s_lshl_b64 s[2:3], s[10:11], 1
	s_add_u32 s2, s1, s2
	s_addc_u32 s3, s13, s3
	v_mov_b32_e32 v1, s2
	v_mov_b32_e32 v2, s3
	flat_load_ushort v1, v[1:2]
	s_waitcnt vmcnt(0) lgkmcnt(0)
	v_fma_mix_f32 v0, s7, v1, v0 op_sel_hi:[0,1,0]
.LBB466_32:
	v_cvt_f16_f32_e32 v1, v0
	s_or_b32 s15, s15, exec_lo
.LBB466_33:
	s_or_b32 exec_lo, exec_lo, s0
.LBB466_34:
	s_and_saveexec_b32 s0, s15
	s_cbranch_execz .LBB466_36
; %bb.35:
	s_lshl_b64 s[2:3], s[10:11], 1
	s_add_u32 s0, s1, s2
	s_addc_u32 s1, s13, s3
	v_mov_b32_e32 v3, s1
	v_mov_b32_e32 v2, s0
	flat_store_short v[2:3], v1
.LBB466_36:
	s_endpgm
	.section	.rodata,"a",@progbits
	.p2align	6, 0x0
	.amdhsa_kernel _ZL32rocblas_gemvt_warp_reduce_kernelILb1ELi1024EiPKDF16_fKPDF16_EviiT3_lPKT2_lT1_lS7_lS8_lS4_lPT4_lS8_li
		.amdhsa_group_segment_fixed_size 128
		.amdhsa_private_segment_fixed_size 0
		.amdhsa_kernarg_size 140
		.amdhsa_user_sgpr_count 6
		.amdhsa_user_sgpr_private_segment_buffer 1
		.amdhsa_user_sgpr_dispatch_ptr 0
		.amdhsa_user_sgpr_queue_ptr 0
		.amdhsa_user_sgpr_kernarg_segment_ptr 1
		.amdhsa_user_sgpr_dispatch_id 0
		.amdhsa_user_sgpr_flat_scratch_init 0
		.amdhsa_user_sgpr_private_segment_size 0
		.amdhsa_wavefront_size32 1
		.amdhsa_uses_dynamic_stack 0
		.amdhsa_system_sgpr_private_segment_wavefront_offset 0
		.amdhsa_system_sgpr_workgroup_id_x 1
		.amdhsa_system_sgpr_workgroup_id_y 0
		.amdhsa_system_sgpr_workgroup_id_z 1
		.amdhsa_system_sgpr_workgroup_info 0
		.amdhsa_system_vgpr_workitem_id 0
		.amdhsa_next_free_vgpr 11
		.amdhsa_next_free_sgpr 20
		.amdhsa_reserve_vcc 1
		.amdhsa_reserve_flat_scratch 0
		.amdhsa_float_round_mode_32 0
		.amdhsa_float_round_mode_16_64 0
		.amdhsa_float_denorm_mode_32 3
		.amdhsa_float_denorm_mode_16_64 3
		.amdhsa_dx10_clamp 1
		.amdhsa_ieee_mode 1
		.amdhsa_fp16_overflow 0
		.amdhsa_workgroup_processor_mode 1
		.amdhsa_memory_ordered 1
		.amdhsa_forward_progress 1
		.amdhsa_shared_vgpr_count 0
		.amdhsa_exception_fp_ieee_invalid_op 0
		.amdhsa_exception_fp_denorm_src 0
		.amdhsa_exception_fp_ieee_div_zero 0
		.amdhsa_exception_fp_ieee_overflow 0
		.amdhsa_exception_fp_ieee_underflow 0
		.amdhsa_exception_fp_ieee_inexact 0
		.amdhsa_exception_int_div_zero 0
	.end_amdhsa_kernel
	.section	.text._ZL32rocblas_gemvt_warp_reduce_kernelILb1ELi1024EiPKDF16_fKPDF16_EviiT3_lPKT2_lT1_lS7_lS8_lS4_lPT4_lS8_li,"axG",@progbits,_ZL32rocblas_gemvt_warp_reduce_kernelILb1ELi1024EiPKDF16_fKPDF16_EviiT3_lPKT2_lT1_lS7_lS8_lS4_lPT4_lS8_li,comdat
.Lfunc_end466:
	.size	_ZL32rocblas_gemvt_warp_reduce_kernelILb1ELi1024EiPKDF16_fKPDF16_EviiT3_lPKT2_lT1_lS7_lS8_lS4_lPT4_lS8_li, .Lfunc_end466-_ZL32rocblas_gemvt_warp_reduce_kernelILb1ELi1024EiPKDF16_fKPDF16_EviiT3_lPKT2_lT1_lS7_lS8_lS4_lPT4_lS8_li
                                        ; -- End function
	.set _ZL32rocblas_gemvt_warp_reduce_kernelILb1ELi1024EiPKDF16_fKPDF16_EviiT3_lPKT2_lT1_lS7_lS8_lS4_lPT4_lS8_li.num_vgpr, 11
	.set _ZL32rocblas_gemvt_warp_reduce_kernelILb1ELi1024EiPKDF16_fKPDF16_EviiT3_lPKT2_lT1_lS7_lS8_lS4_lPT4_lS8_li.num_agpr, 0
	.set _ZL32rocblas_gemvt_warp_reduce_kernelILb1ELi1024EiPKDF16_fKPDF16_EviiT3_lPKT2_lT1_lS7_lS8_lS4_lPT4_lS8_li.numbered_sgpr, 20
	.set _ZL32rocblas_gemvt_warp_reduce_kernelILb1ELi1024EiPKDF16_fKPDF16_EviiT3_lPKT2_lT1_lS7_lS8_lS4_lPT4_lS8_li.num_named_barrier, 0
	.set _ZL32rocblas_gemvt_warp_reduce_kernelILb1ELi1024EiPKDF16_fKPDF16_EviiT3_lPKT2_lT1_lS7_lS8_lS4_lPT4_lS8_li.private_seg_size, 0
	.set _ZL32rocblas_gemvt_warp_reduce_kernelILb1ELi1024EiPKDF16_fKPDF16_EviiT3_lPKT2_lT1_lS7_lS8_lS4_lPT4_lS8_li.uses_vcc, 1
	.set _ZL32rocblas_gemvt_warp_reduce_kernelILb1ELi1024EiPKDF16_fKPDF16_EviiT3_lPKT2_lT1_lS7_lS8_lS4_lPT4_lS8_li.uses_flat_scratch, 0
	.set _ZL32rocblas_gemvt_warp_reduce_kernelILb1ELi1024EiPKDF16_fKPDF16_EviiT3_lPKT2_lT1_lS7_lS8_lS4_lPT4_lS8_li.has_dyn_sized_stack, 0
	.set _ZL32rocblas_gemvt_warp_reduce_kernelILb1ELi1024EiPKDF16_fKPDF16_EviiT3_lPKT2_lT1_lS7_lS8_lS4_lPT4_lS8_li.has_recursion, 0
	.set _ZL32rocblas_gemvt_warp_reduce_kernelILb1ELi1024EiPKDF16_fKPDF16_EviiT3_lPKT2_lT1_lS7_lS8_lS4_lPT4_lS8_li.has_indirect_call, 0
	.section	.AMDGPU.csdata,"",@progbits
; Kernel info:
; codeLenInByte = 1416
; TotalNumSgprs: 22
; NumVgprs: 11
; ScratchSize: 0
; MemoryBound: 0
; FloatMode: 240
; IeeeMode: 1
; LDSByteSize: 128 bytes/workgroup (compile time only)
; SGPRBlocks: 0
; VGPRBlocks: 1
; NumSGPRsForWavesPerEU: 22
; NumVGPRsForWavesPerEU: 11
; Occupancy: 16
; WaveLimiterHint : 1
; COMPUTE_PGM_RSRC2:SCRATCH_EN: 0
; COMPUTE_PGM_RSRC2:USER_SGPR: 6
; COMPUTE_PGM_RSRC2:TRAP_HANDLER: 0
; COMPUTE_PGM_RSRC2:TGID_X_EN: 1
; COMPUTE_PGM_RSRC2:TGID_Y_EN: 0
; COMPUTE_PGM_RSRC2:TGID_Z_EN: 1
; COMPUTE_PGM_RSRC2:TIDIG_COMP_CNT: 0
	.section	.text._ZL32rocblas_gemvt_warp_reduce_kernelILb1ELi1024ElPKDF16_fKPDF16_EviiT3_lPKT2_lT1_lS7_lS8_lS4_lPT4_lS8_li,"axG",@progbits,_ZL32rocblas_gemvt_warp_reduce_kernelILb1ELi1024ElPKDF16_fKPDF16_EviiT3_lPKT2_lT1_lS7_lS8_lS4_lPT4_lS8_li,comdat
	.globl	_ZL32rocblas_gemvt_warp_reduce_kernelILb1ELi1024ElPKDF16_fKPDF16_EviiT3_lPKT2_lT1_lS7_lS8_lS4_lPT4_lS8_li ; -- Begin function _ZL32rocblas_gemvt_warp_reduce_kernelILb1ELi1024ElPKDF16_fKPDF16_EviiT3_lPKT2_lT1_lS7_lS8_lS4_lPT4_lS8_li
	.p2align	8
	.type	_ZL32rocblas_gemvt_warp_reduce_kernelILb1ELi1024ElPKDF16_fKPDF16_EviiT3_lPKT2_lT1_lS7_lS8_lS4_lPT4_lS8_li,@function
_ZL32rocblas_gemvt_warp_reduce_kernelILb1ELi1024ElPKDF16_fKPDF16_EviiT3_lPKT2_lT1_lS7_lS8_lS4_lPT4_lS8_li: ; @_ZL32rocblas_gemvt_warp_reduce_kernelILb1ELi1024ElPKDF16_fKPDF16_EviiT3_lPKT2_lT1_lS7_lS8_lS4_lPT4_lS8_li
; %bb.0:
	s_mov_b32 s10, s7
	s_clause 0x1
	s_load_dword s18, s[4:5], 0x8
	s_load_dword s7, s[4:5], 0x58
	s_mov_b32 s11, 0
	s_waitcnt lgkmcnt(0)
	v_cmp_eq_f32_e64 s20, s18, 0
	v_cmp_eq_f32_e64 s0, s7, 1.0
	s_and_b32 s0, s20, s0
	s_and_b32 vcc_lo, exec_lo, s0
	s_cbranch_vccnz .LBB467_36
; %bb.1:
	s_clause 0x1
	s_load_dwordx4 s[0:3], s[4:5], 0x18
	s_load_dwordx2 s[12:13], s[4:5], 0x28
	v_cmp_neq_f32_e64 s19, s18, 0
	s_and_b32 vcc_lo, exec_lo, s19
	s_cbranch_vccnz .LBB467_3
; %bb.2:
	s_mov_b32 s17, 0
	s_mov_b32 s16, s10
	;; [unrolled: 1-line block ×3, first 2 shown]
	s_mov_b64 s[8:9], 0
	s_andn2_b32 vcc_lo, exec_lo, s14
	s_mov_b64 s[14:15], 0
	s_cbranch_vccz .LBB467_4
	s_branch .LBB467_5
.LBB467_3:
	s_mov_b64 s[16:17], s[10:11]
	s_mov_b64 s[8:9], 0
	;; [unrolled: 1-line block ×3, first 2 shown]
.LBB467_4:
	s_lshl_b64 s[10:11], s[10:11], 3
	s_waitcnt lgkmcnt(0)
	s_add_u32 s0, s0, s10
	s_addc_u32 s1, s1, s11
	s_lshl_b64 s[2:3], s[2:3], 1
	s_load_dwordx2 s[0:1], s[0:1], 0x0
	s_waitcnt lgkmcnt(0)
	s_add_u32 s14, s0, s2
	s_addc_u32 s15, s1, s3
.LBB467_5:
	s_waitcnt lgkmcnt(0)
	s_clause 0x1
	s_load_dwordx4 s[0:3], s[4:5], 0x38
	s_load_dwordx2 s[10:11], s[4:5], 0x48
	s_andn2_b32 vcc_lo, exec_lo, s19
	s_cbranch_vccnz .LBB467_7
; %bb.6:
	s_lshl_b64 s[8:9], s[16:17], 3
	s_waitcnt lgkmcnt(0)
	s_add_u32 s0, s0, s8
	s_addc_u32 s1, s1, s9
	s_lshl_b64 s[2:3], s[2:3], 1
	s_load_dwordx2 s[0:1], s[0:1], 0x0
	s_waitcnt lgkmcnt(0)
	s_add_u32 s8, s0, s2
	s_addc_u32 s9, s1, s3
.LBB467_7:
	s_load_dwordx4 s[24:27], s[4:5], 0x68
	s_waitcnt lgkmcnt(0)
	s_load_dwordx2 s[2:3], s[4:5], 0x78
	s_lshl_b64 s[0:1], s[16:17], 3
	s_add_u32 s0, s24, s0
	s_addc_u32 s1, s25, s1
	s_lshl_b64 s[22:23], s[26:27], 1
	s_load_dwordx2 s[16:17], s[0:1], 0x0
	v_cmp_eq_u32_e64 s0, 0, v0
	s_waitcnt lgkmcnt(0)
	s_add_u32 s1, s16, s22
	s_addc_u32 s19, s17, s23
	s_andn2_b32 vcc_lo, exec_lo, s20
	s_cbranch_vccnz .LBB467_11
; %bb.8:
	s_mov_b32 s21, 0
	s_mov_b32 s20, 0
                                        ; implicit-def: $vgpr1
                                        ; implicit-def: $sgpr16_sgpr17
	s_and_saveexec_b32 s22, s0
	s_cbranch_execz .LBB467_12
; %bb.9:
	s_ashr_i32 s16, s6, 31
	v_cmp_eq_f32_e64 s0, s7, 0
	s_mul_hi_u32 s17, s2, s6
	s_mul_i32 s16, s2, s16
	s_mul_i32 s20, s3, s6
	s_add_i32 s16, s17, s16
	s_and_b32 vcc_lo, exec_lo, s0
	s_add_i32 s17, s16, s20
	s_mul_i32 s16, s2, s6
	s_cbranch_vccnz .LBB467_13
; %bb.10:
	s_lshl_b64 s[24:25], s[16:17], 1
	s_add_u32 s24, s1, s24
	s_addc_u32 s25, s19, s25
	v_mov_b32_e32 v1, s24
	v_mov_b32_e32 v2, s25
	flat_load_ushort v1, v[1:2]
	s_waitcnt vmcnt(0) lgkmcnt(0)
	v_fma_mixlo_f16 v1, s7, v1, 0 op_sel_hi:[0,1,0]
	s_branch .LBB467_14
.LBB467_11:
	s_mov_b32 s20, 0
                                        ; implicit-def: $vgpr1
                                        ; implicit-def: $sgpr16_sgpr17
	s_cbranch_execnz .LBB467_15
	s_branch .LBB467_34
.LBB467_12:
	s_or_b32 exec_lo, exec_lo, s22
	s_and_b32 vcc_lo, exec_lo, s21
	s_cbranch_vccnz .LBB467_15
	s_branch .LBB467_34
.LBB467_13:
	v_mov_b32_e32 v1, 0
.LBB467_14:
	s_mov_b32 s20, exec_lo
	s_or_b32 exec_lo, exec_lo, s22
	s_and_b32 vcc_lo, exec_lo, s21
	s_cbranch_vccz .LBB467_34
.LBB467_15:
	s_load_dword s5, s[4:5], 0x0
	s_ashr_i32 s21, s6, 31
	s_mul_hi_u32 s0, s12, s6
	s_mul_i32 s4, s13, s6
	s_mul_i32 s13, s12, s21
	;; [unrolled: 1-line block ×3, first 2 shown]
	s_add_i32 s0, s0, s13
	v_mov_b32_e32 v7, 0
	s_add_i32 s13, s0, s4
	s_lshl_b64 s[12:13], s[12:13], 1
	s_waitcnt lgkmcnt(0)
	v_cmp_gt_i32_e32 vcc_lo, s5, v0
	s_ashr_i32 s0, s5, 31
	s_lshr_b32 s0, s0, 22
	s_add_i32 s0, s5, s0
	v_cndmask_b32_e32 v1, 0, v0, vcc_lo
	v_lshlrev_b32_e32 v1, 1, v1
	v_add_co_u32 v1, s4, s14, v1
	v_add_co_ci_u32_e64 v2, null, s15, 0, s4
	s_and_b32 s4, s0, 0xfffffc00
	v_add_co_u32 v1, vcc_lo, v1, s12
	v_add_co_ci_u32_e64 v2, null, s13, v2, vcc_lo
	s_mov_b32 s15, 0
	s_mov_b32 s14, exec_lo
	v_cmpx_gt_i32_e64 s4, v0
	s_cbranch_execz .LBB467_19
; %bb.16:
	v_mad_u64_u32 v[3:4], null, s10, v0, 0
	v_mov_b32_e32 v7, 0
	v_mov_b32_e32 v8, v0
	s_lshl_b64 s[12:13], s[10:11], 11
	v_mad_u64_u32 v[4:5], null, s11, v0, v[4:5]
	v_lshlrev_b64 v[5:6], 1, v[3:4]
	v_mov_b32_e32 v4, v2
	v_mov_b32_e32 v3, v1
	v_add_co_u32 v5, vcc_lo, s8, v5
	v_add_co_ci_u32_e64 v6, null, s9, v6, vcc_lo
	.p2align	6
.LBB467_17:                             ; =>This Inner Loop Header: Depth=1
	flat_load_ushort v9, v[3:4]
	flat_load_ushort v10, v[5:6]
	v_add_nc_u32_e32 v8, 0x400, v8
	v_add_co_u32 v3, vcc_lo, 0x800, v3
	v_add_co_ci_u32_e64 v4, null, 0, v4, vcc_lo
	v_add_co_u32 v5, vcc_lo, v5, s12
	v_cmp_le_i32_e64 s0, s4, v8
	v_add_co_ci_u32_e64 v6, null, s13, v6, vcc_lo
	s_or_b32 s15, s0, s15
	s_waitcnt vmcnt(0) lgkmcnt(0)
	v_mul_f16_e32 v9, v9, v10
	v_cvt_f32_f16_e32 v9, v9
	v_add_f32_e32 v7, v7, v9
	s_andn2_b32 exec_lo, exec_lo, s15
	s_cbranch_execnz .LBB467_17
; %bb.18:
	s_or_b32 exec_lo, exec_lo, s15
.LBB467_19:
	s_or_b32 exec_lo, exec_lo, s14
	v_or_b32_e32 v3, s4, v0
	s_mov_b32 s0, exec_lo
	v_cmpx_gt_i32_e64 s5, v3
	s_cbranch_execz .LBB467_21
; %bb.20:
	v_ashrrev_i32_e32 v5, 31, v3
	v_mul_lo_u32 v6, s11, v3
	v_mad_u64_u32 v[3:4], null, s10, v3, 0
	s_ashr_i32 s5, s4, 31
	v_mul_lo_u32 v5, s10, v5
	s_lshl_b64 s[4:5], s[4:5], 1
	v_add_co_u32 v1, vcc_lo, v1, s4
	v_add_co_ci_u32_e64 v2, null, s5, v2, vcc_lo
	v_add3_u32 v4, v4, v5, v6
	v_lshlrev_b64 v[3:4], 1, v[3:4]
	v_add_co_u32 v3, vcc_lo, s8, v3
	v_add_co_ci_u32_e64 v4, null, s9, v4, vcc_lo
	flat_load_ushort v1, v[1:2]
	flat_load_ushort v2, v[3:4]
	s_waitcnt vmcnt(0) lgkmcnt(0)
	v_mul_f16_e32 v1, v1, v2
	v_cvt_f32_f16_e32 v1, v1
	v_add_f32_e32 v7, v7, v1
.LBB467_21:
	s_or_b32 exec_lo, exec_lo, s0
	v_and_b32_e32 v8, 31, v0
	v_cmp_gt_u32_e32 vcc_lo, 32, v0
	v_lshlrev_b32_e32 v1, 2, v8
	s_and_saveexec_b32 s0, vcc_lo
; %bb.22:
	v_mov_b32_e32 v2, 0
	ds_write_b32 v1, v2
; %bb.23:
	s_or_b32 exec_lo, exec_lo, s0
	v_mbcnt_lo_u32_b32 v6, -1, 0
	s_mov_b32 s4, exec_lo
	s_waitcnt lgkmcnt(0)
	s_barrier
	buffer_gl0_inv
	v_lshl_or_b32 v2, v6, 2, 64
	v_cmp_gt_u32_e64 s0, 24, v6
	ds_bpermute_b32 v4, v2, v7
	v_cndmask_b32_e64 v3, 0, 8, s0
	v_cmp_gt_u32_e64 s0, 28, v6
	v_add_lshl_u32 v3, v3, v6, 2
	s_waitcnt lgkmcnt(0)
	v_add_f32_e32 v5, v7, v4
	v_cndmask_b32_e64 v4, 0, 4, s0
	v_cmp_gt_u32_e64 s0, 30, v6
	ds_bpermute_b32 v7, v3, v5
	v_add_lshl_u32 v4, v4, v6, 2
	s_waitcnt lgkmcnt(0)
	v_add_f32_e32 v7, v5, v7
	v_cndmask_b32_e64 v5, 0, 2, s0
	v_cmp_ne_u32_e64 s0, 31, v6
	ds_bpermute_b32 v9, v4, v7
	v_add_lshl_u32 v5, v5, v6, 2
	v_add_co_ci_u32_e64 v6, null, 0, v6, s0
	v_lshlrev_b32_e32 v6, 2, v6
	s_waitcnt lgkmcnt(0)
	v_add_f32_e32 v7, v7, v9
	ds_bpermute_b32 v9, v5, v7
	s_waitcnt lgkmcnt(0)
	v_add_f32_e32 v7, v7, v9
	ds_bpermute_b32 v9, v6, v7
	v_cmpx_eq_u32_e32 0, v8
	s_cbranch_execz .LBB467_25
; %bb.24:
	v_lshrrev_b32_e32 v8, 3, v0
	s_waitcnt lgkmcnt(0)
	v_add_f32_e32 v7, v7, v9
	v_and_b32_e32 v8, 0x7c, v8
	ds_write_b32 v8, v7
.LBB467_25:
	s_or_b32 exec_lo, exec_lo, s4
	v_mov_b32_e32 v7, 0
	s_waitcnt lgkmcnt(0)
	s_barrier
	buffer_gl0_inv
	s_and_saveexec_b32 s0, vcc_lo
; %bb.26:
	ds_read_b32 v7, v1
; %bb.27:
	s_or_b32 exec_lo, exec_lo, s0
	s_and_saveexec_b32 s0, vcc_lo
	s_cbranch_execz .LBB467_29
; %bb.28:
	s_waitcnt lgkmcnt(0)
	ds_bpermute_b32 v1, v2, v7
	s_waitcnt lgkmcnt(0)
	v_add_f32_e32 v1, v7, v1
	ds_bpermute_b32 v2, v3, v1
	s_waitcnt lgkmcnt(0)
	v_add_f32_e32 v1, v1, v2
	;; [unrolled: 3-line block ×5, first 2 shown]
.LBB467_29:
	s_or_b32 exec_lo, exec_lo, s0
	s_mov_b32 s0, exec_lo
                                        ; implicit-def: $vgpr1
                                        ; implicit-def: $sgpr16_sgpr17
	v_cmpx_eq_u32_e32 0, v0
	s_cbranch_execz .LBB467_33
; %bb.30:
	v_cmp_eq_f32_e64 s8, s7, 0
	s_mul_i32 s4, s2, s21
	s_mul_hi_u32 s5, s2, s6
	s_waitcnt lgkmcnt(0)
	v_mul_f32_e32 v0, s18, v7
	s_add_i32 s4, s5, s4
	s_mul_i32 s3, s3, s6
	s_and_b32 vcc_lo, exec_lo, s8
	s_add_i32 s17, s4, s3
	s_mul_i32 s16, s2, s6
	s_cbranch_vccnz .LBB467_32
; %bb.31:
	s_lshl_b64 s[2:3], s[16:17], 1
	s_add_u32 s2, s1, s2
	s_addc_u32 s3, s19, s3
	v_mov_b32_e32 v1, s2
	v_mov_b32_e32 v2, s3
	flat_load_ushort v1, v[1:2]
	s_waitcnt vmcnt(0) lgkmcnt(0)
	v_fma_mix_f32 v0, s7, v1, v0 op_sel_hi:[0,1,0]
.LBB467_32:
	v_cvt_f16_f32_e32 v1, v0
	s_or_b32 s20, s20, exec_lo
.LBB467_33:
	s_or_b32 exec_lo, exec_lo, s0
.LBB467_34:
	s_and_saveexec_b32 s0, s20
	s_cbranch_execz .LBB467_36
; %bb.35:
	s_lshl_b64 s[2:3], s[16:17], 1
	s_add_u32 s0, s1, s2
	s_addc_u32 s1, s19, s3
	v_mov_b32_e32 v3, s1
	v_mov_b32_e32 v2, s0
	flat_store_short v[2:3], v1
.LBB467_36:
	s_endpgm
	.section	.rodata,"a",@progbits
	.p2align	6, 0x0
	.amdhsa_kernel _ZL32rocblas_gemvt_warp_reduce_kernelILb1ELi1024ElPKDF16_fKPDF16_EviiT3_lPKT2_lT1_lS7_lS8_lS4_lPT4_lS8_li
		.amdhsa_group_segment_fixed_size 128
		.amdhsa_private_segment_fixed_size 0
		.amdhsa_kernarg_size 140
		.amdhsa_user_sgpr_count 6
		.amdhsa_user_sgpr_private_segment_buffer 1
		.amdhsa_user_sgpr_dispatch_ptr 0
		.amdhsa_user_sgpr_queue_ptr 0
		.amdhsa_user_sgpr_kernarg_segment_ptr 1
		.amdhsa_user_sgpr_dispatch_id 0
		.amdhsa_user_sgpr_flat_scratch_init 0
		.amdhsa_user_sgpr_private_segment_size 0
		.amdhsa_wavefront_size32 1
		.amdhsa_uses_dynamic_stack 0
		.amdhsa_system_sgpr_private_segment_wavefront_offset 0
		.amdhsa_system_sgpr_workgroup_id_x 1
		.amdhsa_system_sgpr_workgroup_id_y 0
		.amdhsa_system_sgpr_workgroup_id_z 1
		.amdhsa_system_sgpr_workgroup_info 0
		.amdhsa_system_vgpr_workitem_id 0
		.amdhsa_next_free_vgpr 11
		.amdhsa_next_free_sgpr 28
		.amdhsa_reserve_vcc 1
		.amdhsa_reserve_flat_scratch 0
		.amdhsa_float_round_mode_32 0
		.amdhsa_float_round_mode_16_64 0
		.amdhsa_float_denorm_mode_32 3
		.amdhsa_float_denorm_mode_16_64 3
		.amdhsa_dx10_clamp 1
		.amdhsa_ieee_mode 1
		.amdhsa_fp16_overflow 0
		.amdhsa_workgroup_processor_mode 1
		.amdhsa_memory_ordered 1
		.amdhsa_forward_progress 1
		.amdhsa_shared_vgpr_count 0
		.amdhsa_exception_fp_ieee_invalid_op 0
		.amdhsa_exception_fp_denorm_src 0
		.amdhsa_exception_fp_ieee_div_zero 0
		.amdhsa_exception_fp_ieee_overflow 0
		.amdhsa_exception_fp_ieee_underflow 0
		.amdhsa_exception_fp_ieee_inexact 0
		.amdhsa_exception_int_div_zero 0
	.end_amdhsa_kernel
	.section	.text._ZL32rocblas_gemvt_warp_reduce_kernelILb1ELi1024ElPKDF16_fKPDF16_EviiT3_lPKT2_lT1_lS7_lS8_lS4_lPT4_lS8_li,"axG",@progbits,_ZL32rocblas_gemvt_warp_reduce_kernelILb1ELi1024ElPKDF16_fKPDF16_EviiT3_lPKT2_lT1_lS7_lS8_lS4_lPT4_lS8_li,comdat
.Lfunc_end467:
	.size	_ZL32rocblas_gemvt_warp_reduce_kernelILb1ELi1024ElPKDF16_fKPDF16_EviiT3_lPKT2_lT1_lS7_lS8_lS4_lPT4_lS8_li, .Lfunc_end467-_ZL32rocblas_gemvt_warp_reduce_kernelILb1ELi1024ElPKDF16_fKPDF16_EviiT3_lPKT2_lT1_lS7_lS8_lS4_lPT4_lS8_li
                                        ; -- End function
	.set _ZL32rocblas_gemvt_warp_reduce_kernelILb1ELi1024ElPKDF16_fKPDF16_EviiT3_lPKT2_lT1_lS7_lS8_lS4_lPT4_lS8_li.num_vgpr, 11
	.set _ZL32rocblas_gemvt_warp_reduce_kernelILb1ELi1024ElPKDF16_fKPDF16_EviiT3_lPKT2_lT1_lS7_lS8_lS4_lPT4_lS8_li.num_agpr, 0
	.set _ZL32rocblas_gemvt_warp_reduce_kernelILb1ELi1024ElPKDF16_fKPDF16_EviiT3_lPKT2_lT1_lS7_lS8_lS4_lPT4_lS8_li.numbered_sgpr, 28
	.set _ZL32rocblas_gemvt_warp_reduce_kernelILb1ELi1024ElPKDF16_fKPDF16_EviiT3_lPKT2_lT1_lS7_lS8_lS4_lPT4_lS8_li.num_named_barrier, 0
	.set _ZL32rocblas_gemvt_warp_reduce_kernelILb1ELi1024ElPKDF16_fKPDF16_EviiT3_lPKT2_lT1_lS7_lS8_lS4_lPT4_lS8_li.private_seg_size, 0
	.set _ZL32rocblas_gemvt_warp_reduce_kernelILb1ELi1024ElPKDF16_fKPDF16_EviiT3_lPKT2_lT1_lS7_lS8_lS4_lPT4_lS8_li.uses_vcc, 1
	.set _ZL32rocblas_gemvt_warp_reduce_kernelILb1ELi1024ElPKDF16_fKPDF16_EviiT3_lPKT2_lT1_lS7_lS8_lS4_lPT4_lS8_li.uses_flat_scratch, 0
	.set _ZL32rocblas_gemvt_warp_reduce_kernelILb1ELi1024ElPKDF16_fKPDF16_EviiT3_lPKT2_lT1_lS7_lS8_lS4_lPT4_lS8_li.has_dyn_sized_stack, 0
	.set _ZL32rocblas_gemvt_warp_reduce_kernelILb1ELi1024ElPKDF16_fKPDF16_EviiT3_lPKT2_lT1_lS7_lS8_lS4_lPT4_lS8_li.has_recursion, 0
	.set _ZL32rocblas_gemvt_warp_reduce_kernelILb1ELi1024ElPKDF16_fKPDF16_EviiT3_lPKT2_lT1_lS7_lS8_lS4_lPT4_lS8_li.has_indirect_call, 0
	.section	.AMDGPU.csdata,"",@progbits
; Kernel info:
; codeLenInByte = 1504
; TotalNumSgprs: 30
; NumVgprs: 11
; ScratchSize: 0
; MemoryBound: 0
; FloatMode: 240
; IeeeMode: 1
; LDSByteSize: 128 bytes/workgroup (compile time only)
; SGPRBlocks: 0
; VGPRBlocks: 1
; NumSGPRsForWavesPerEU: 30
; NumVGPRsForWavesPerEU: 11
; Occupancy: 16
; WaveLimiterHint : 1
; COMPUTE_PGM_RSRC2:SCRATCH_EN: 0
; COMPUTE_PGM_RSRC2:USER_SGPR: 6
; COMPUTE_PGM_RSRC2:TRAP_HANDLER: 0
; COMPUTE_PGM_RSRC2:TGID_X_EN: 1
; COMPUTE_PGM_RSRC2:TGID_Y_EN: 0
; COMPUTE_PGM_RSRC2:TGID_Z_EN: 1
; COMPUTE_PGM_RSRC2:TIDIG_COMP_CNT: 0
	.section	.text._ZL34rocblas_gemvn_sm_mn_batched_kernelILi32ELi24EDF16_PKffEviiT2_lPKT1_lilS5_lilS2_lPT3_lili,"axG",@progbits,_ZL34rocblas_gemvn_sm_mn_batched_kernelILi32ELi24EDF16_PKffEviiT2_lPKT1_lilS5_lilS2_lPT3_lili,comdat
	.globl	_ZL34rocblas_gemvn_sm_mn_batched_kernelILi32ELi24EDF16_PKffEviiT2_lPKT1_lilS5_lilS2_lPT3_lili ; -- Begin function _ZL34rocblas_gemvn_sm_mn_batched_kernelILi32ELi24EDF16_PKffEviiT2_lPKT1_lilS5_lilS2_lPT3_lili
	.p2align	8
	.type	_ZL34rocblas_gemvn_sm_mn_batched_kernelILi32ELi24EDF16_PKffEviiT2_lPKT1_lilS5_lilS2_lPT3_lili,@function
_ZL34rocblas_gemvn_sm_mn_batched_kernelILi32ELi24EDF16_PKffEviiT2_lPKT1_lilS5_lilS2_lPT3_lili: ; @_ZL34rocblas_gemvn_sm_mn_batched_kernelILi32ELi24EDF16_PKffEviiT2_lPKT1_lilS5_lilS2_lPT3_lili
; %bb.0:
	s_endpgm
	.section	.rodata,"a",@progbits
	.p2align	6, 0x0
	.amdhsa_kernel _ZL34rocblas_gemvn_sm_mn_batched_kernelILi32ELi24EDF16_PKffEviiT2_lPKT1_lilS5_lilS2_lPT3_lili
		.amdhsa_group_segment_fixed_size 0
		.amdhsa_private_segment_fixed_size 0
		.amdhsa_kernarg_size 140
		.amdhsa_user_sgpr_count 6
		.amdhsa_user_sgpr_private_segment_buffer 1
		.amdhsa_user_sgpr_dispatch_ptr 0
		.amdhsa_user_sgpr_queue_ptr 0
		.amdhsa_user_sgpr_kernarg_segment_ptr 1
		.amdhsa_user_sgpr_dispatch_id 0
		.amdhsa_user_sgpr_flat_scratch_init 0
		.amdhsa_user_sgpr_private_segment_size 0
		.amdhsa_wavefront_size32 1
		.amdhsa_uses_dynamic_stack 0
		.amdhsa_system_sgpr_private_segment_wavefront_offset 0
		.amdhsa_system_sgpr_workgroup_id_x 1
		.amdhsa_system_sgpr_workgroup_id_y 0
		.amdhsa_system_sgpr_workgroup_id_z 0
		.amdhsa_system_sgpr_workgroup_info 0
		.amdhsa_system_vgpr_workitem_id 0
		.amdhsa_next_free_vgpr 1
		.amdhsa_next_free_sgpr 1
		.amdhsa_reserve_vcc 0
		.amdhsa_reserve_flat_scratch 0
		.amdhsa_float_round_mode_32 0
		.amdhsa_float_round_mode_16_64 0
		.amdhsa_float_denorm_mode_32 3
		.amdhsa_float_denorm_mode_16_64 3
		.amdhsa_dx10_clamp 1
		.amdhsa_ieee_mode 1
		.amdhsa_fp16_overflow 0
		.amdhsa_workgroup_processor_mode 1
		.amdhsa_memory_ordered 1
		.amdhsa_forward_progress 1
		.amdhsa_shared_vgpr_count 0
		.amdhsa_exception_fp_ieee_invalid_op 0
		.amdhsa_exception_fp_denorm_src 0
		.amdhsa_exception_fp_ieee_div_zero 0
		.amdhsa_exception_fp_ieee_overflow 0
		.amdhsa_exception_fp_ieee_underflow 0
		.amdhsa_exception_fp_ieee_inexact 0
		.amdhsa_exception_int_div_zero 0
	.end_amdhsa_kernel
	.section	.text._ZL34rocblas_gemvn_sm_mn_batched_kernelILi32ELi24EDF16_PKffEviiT2_lPKT1_lilS5_lilS2_lPT3_lili,"axG",@progbits,_ZL34rocblas_gemvn_sm_mn_batched_kernelILi32ELi24EDF16_PKffEviiT2_lPKT1_lilS5_lilS2_lPT3_lili,comdat
.Lfunc_end468:
	.size	_ZL34rocblas_gemvn_sm_mn_batched_kernelILi32ELi24EDF16_PKffEviiT2_lPKT1_lilS5_lilS2_lPT3_lili, .Lfunc_end468-_ZL34rocblas_gemvn_sm_mn_batched_kernelILi32ELi24EDF16_PKffEviiT2_lPKT1_lilS5_lilS2_lPT3_lili
                                        ; -- End function
	.set _ZL34rocblas_gemvn_sm_mn_batched_kernelILi32ELi24EDF16_PKffEviiT2_lPKT1_lilS5_lilS2_lPT3_lili.num_vgpr, 0
	.set _ZL34rocblas_gemvn_sm_mn_batched_kernelILi32ELi24EDF16_PKffEviiT2_lPKT1_lilS5_lilS2_lPT3_lili.num_agpr, 0
	.set _ZL34rocblas_gemvn_sm_mn_batched_kernelILi32ELi24EDF16_PKffEviiT2_lPKT1_lilS5_lilS2_lPT3_lili.numbered_sgpr, 0
	.set _ZL34rocblas_gemvn_sm_mn_batched_kernelILi32ELi24EDF16_PKffEviiT2_lPKT1_lilS5_lilS2_lPT3_lili.num_named_barrier, 0
	.set _ZL34rocblas_gemvn_sm_mn_batched_kernelILi32ELi24EDF16_PKffEviiT2_lPKT1_lilS5_lilS2_lPT3_lili.private_seg_size, 0
	.set _ZL34rocblas_gemvn_sm_mn_batched_kernelILi32ELi24EDF16_PKffEviiT2_lPKT1_lilS5_lilS2_lPT3_lili.uses_vcc, 0
	.set _ZL34rocblas_gemvn_sm_mn_batched_kernelILi32ELi24EDF16_PKffEviiT2_lPKT1_lilS5_lilS2_lPT3_lili.uses_flat_scratch, 0
	.set _ZL34rocblas_gemvn_sm_mn_batched_kernelILi32ELi24EDF16_PKffEviiT2_lPKT1_lilS5_lilS2_lPT3_lili.has_dyn_sized_stack, 0
	.set _ZL34rocblas_gemvn_sm_mn_batched_kernelILi32ELi24EDF16_PKffEviiT2_lPKT1_lilS5_lilS2_lPT3_lili.has_recursion, 0
	.set _ZL34rocblas_gemvn_sm_mn_batched_kernelILi32ELi24EDF16_PKffEviiT2_lPKT1_lilS5_lilS2_lPT3_lili.has_indirect_call, 0
	.section	.AMDGPU.csdata,"",@progbits
; Kernel info:
; codeLenInByte = 4
; TotalNumSgprs: 0
; NumVgprs: 0
; ScratchSize: 0
; MemoryBound: 0
; FloatMode: 240
; IeeeMode: 1
; LDSByteSize: 0 bytes/workgroup (compile time only)
; SGPRBlocks: 0
; VGPRBlocks: 0
; NumSGPRsForWavesPerEU: 1
; NumVGPRsForWavesPerEU: 1
; Occupancy: 16
; WaveLimiterHint : 0
; COMPUTE_PGM_RSRC2:SCRATCH_EN: 0
; COMPUTE_PGM_RSRC2:USER_SGPR: 6
; COMPUTE_PGM_RSRC2:TRAP_HANDLER: 0
; COMPUTE_PGM_RSRC2:TGID_X_EN: 1
; COMPUTE_PGM_RSRC2:TGID_Y_EN: 0
; COMPUTE_PGM_RSRC2:TGID_Z_EN: 0
; COMPUTE_PGM_RSRC2:TIDIG_COMP_CNT: 0
	.section	.text._ZL34rocblas_gemvn_sm_mn_batched_kernelILi32ELi24EDF16_ffEviiT2_lPKT1_lilS3_lilS0_lPT3_lili,"axG",@progbits,_ZL34rocblas_gemvn_sm_mn_batched_kernelILi32ELi24EDF16_ffEviiT2_lPKT1_lilS3_lilS0_lPT3_lili,comdat
	.globl	_ZL34rocblas_gemvn_sm_mn_batched_kernelILi32ELi24EDF16_ffEviiT2_lPKT1_lilS3_lilS0_lPT3_lili ; -- Begin function _ZL34rocblas_gemvn_sm_mn_batched_kernelILi32ELi24EDF16_ffEviiT2_lPKT1_lilS3_lilS0_lPT3_lili
	.p2align	8
	.type	_ZL34rocblas_gemvn_sm_mn_batched_kernelILi32ELi24EDF16_ffEviiT2_lPKT1_lilS3_lilS0_lPT3_lili,@function
_ZL34rocblas_gemvn_sm_mn_batched_kernelILi32ELi24EDF16_ffEviiT2_lPKT1_lilS3_lilS0_lPT3_lili: ; @_ZL34rocblas_gemvn_sm_mn_batched_kernelILi32ELi24EDF16_ffEviiT2_lPKT1_lilS3_lilS0_lPT3_lili
; %bb.0:
	s_endpgm
	.section	.rodata,"a",@progbits
	.p2align	6, 0x0
	.amdhsa_kernel _ZL34rocblas_gemvn_sm_mn_batched_kernelILi32ELi24EDF16_ffEviiT2_lPKT1_lilS3_lilS0_lPT3_lili
		.amdhsa_group_segment_fixed_size 0
		.amdhsa_private_segment_fixed_size 0
		.amdhsa_kernarg_size 140
		.amdhsa_user_sgpr_count 6
		.amdhsa_user_sgpr_private_segment_buffer 1
		.amdhsa_user_sgpr_dispatch_ptr 0
		.amdhsa_user_sgpr_queue_ptr 0
		.amdhsa_user_sgpr_kernarg_segment_ptr 1
		.amdhsa_user_sgpr_dispatch_id 0
		.amdhsa_user_sgpr_flat_scratch_init 0
		.amdhsa_user_sgpr_private_segment_size 0
		.amdhsa_wavefront_size32 1
		.amdhsa_uses_dynamic_stack 0
		.amdhsa_system_sgpr_private_segment_wavefront_offset 0
		.amdhsa_system_sgpr_workgroup_id_x 1
		.amdhsa_system_sgpr_workgroup_id_y 0
		.amdhsa_system_sgpr_workgroup_id_z 0
		.amdhsa_system_sgpr_workgroup_info 0
		.amdhsa_system_vgpr_workitem_id 0
		.amdhsa_next_free_vgpr 1
		.amdhsa_next_free_sgpr 1
		.amdhsa_reserve_vcc 0
		.amdhsa_reserve_flat_scratch 0
		.amdhsa_float_round_mode_32 0
		.amdhsa_float_round_mode_16_64 0
		.amdhsa_float_denorm_mode_32 3
		.amdhsa_float_denorm_mode_16_64 3
		.amdhsa_dx10_clamp 1
		.amdhsa_ieee_mode 1
		.amdhsa_fp16_overflow 0
		.amdhsa_workgroup_processor_mode 1
		.amdhsa_memory_ordered 1
		.amdhsa_forward_progress 1
		.amdhsa_shared_vgpr_count 0
		.amdhsa_exception_fp_ieee_invalid_op 0
		.amdhsa_exception_fp_denorm_src 0
		.amdhsa_exception_fp_ieee_div_zero 0
		.amdhsa_exception_fp_ieee_overflow 0
		.amdhsa_exception_fp_ieee_underflow 0
		.amdhsa_exception_fp_ieee_inexact 0
		.amdhsa_exception_int_div_zero 0
	.end_amdhsa_kernel
	.section	.text._ZL34rocblas_gemvn_sm_mn_batched_kernelILi32ELi24EDF16_ffEviiT2_lPKT1_lilS3_lilS0_lPT3_lili,"axG",@progbits,_ZL34rocblas_gemvn_sm_mn_batched_kernelILi32ELi24EDF16_ffEviiT2_lPKT1_lilS3_lilS0_lPT3_lili,comdat
.Lfunc_end469:
	.size	_ZL34rocblas_gemvn_sm_mn_batched_kernelILi32ELi24EDF16_ffEviiT2_lPKT1_lilS3_lilS0_lPT3_lili, .Lfunc_end469-_ZL34rocblas_gemvn_sm_mn_batched_kernelILi32ELi24EDF16_ffEviiT2_lPKT1_lilS3_lilS0_lPT3_lili
                                        ; -- End function
	.set _ZL34rocblas_gemvn_sm_mn_batched_kernelILi32ELi24EDF16_ffEviiT2_lPKT1_lilS3_lilS0_lPT3_lili.num_vgpr, 0
	.set _ZL34rocblas_gemvn_sm_mn_batched_kernelILi32ELi24EDF16_ffEviiT2_lPKT1_lilS3_lilS0_lPT3_lili.num_agpr, 0
	.set _ZL34rocblas_gemvn_sm_mn_batched_kernelILi32ELi24EDF16_ffEviiT2_lPKT1_lilS3_lilS0_lPT3_lili.numbered_sgpr, 0
	.set _ZL34rocblas_gemvn_sm_mn_batched_kernelILi32ELi24EDF16_ffEviiT2_lPKT1_lilS3_lilS0_lPT3_lili.num_named_barrier, 0
	.set _ZL34rocblas_gemvn_sm_mn_batched_kernelILi32ELi24EDF16_ffEviiT2_lPKT1_lilS3_lilS0_lPT3_lili.private_seg_size, 0
	.set _ZL34rocblas_gemvn_sm_mn_batched_kernelILi32ELi24EDF16_ffEviiT2_lPKT1_lilS3_lilS0_lPT3_lili.uses_vcc, 0
	.set _ZL34rocblas_gemvn_sm_mn_batched_kernelILi32ELi24EDF16_ffEviiT2_lPKT1_lilS3_lilS0_lPT3_lili.uses_flat_scratch, 0
	.set _ZL34rocblas_gemvn_sm_mn_batched_kernelILi32ELi24EDF16_ffEviiT2_lPKT1_lilS3_lilS0_lPT3_lili.has_dyn_sized_stack, 0
	.set _ZL34rocblas_gemvn_sm_mn_batched_kernelILi32ELi24EDF16_ffEviiT2_lPKT1_lilS3_lilS0_lPT3_lili.has_recursion, 0
	.set _ZL34rocblas_gemvn_sm_mn_batched_kernelILi32ELi24EDF16_ffEviiT2_lPKT1_lilS3_lilS0_lPT3_lili.has_indirect_call, 0
	.section	.AMDGPU.csdata,"",@progbits
; Kernel info:
; codeLenInByte = 4
; TotalNumSgprs: 0
; NumVgprs: 0
; ScratchSize: 0
; MemoryBound: 0
; FloatMode: 240
; IeeeMode: 1
; LDSByteSize: 0 bytes/workgroup (compile time only)
; SGPRBlocks: 0
; VGPRBlocks: 0
; NumSGPRsForWavesPerEU: 1
; NumVGPRsForWavesPerEU: 1
; Occupancy: 16
; WaveLimiterHint : 0
; COMPUTE_PGM_RSRC2:SCRATCH_EN: 0
; COMPUTE_PGM_RSRC2:USER_SGPR: 6
; COMPUTE_PGM_RSRC2:TRAP_HANDLER: 0
; COMPUTE_PGM_RSRC2:TGID_X_EN: 1
; COMPUTE_PGM_RSRC2:TGID_Y_EN: 0
; COMPUTE_PGM_RSRC2:TGID_Z_EN: 0
; COMPUTE_PGM_RSRC2:TIDIG_COMP_CNT: 0
	.section	.text._ZL20rocblas_gemvn_kernelILi64ELi4EiDF16_PKffEviiT3_lPKT2_lT1_lS5_lS6_lS2_lPT4_lS6_li,"axG",@progbits,_ZL20rocblas_gemvn_kernelILi64ELi4EiDF16_PKffEviiT3_lPKT2_lT1_lS5_lS6_lS2_lPT4_lS6_li,comdat
	.globl	_ZL20rocblas_gemvn_kernelILi64ELi4EiDF16_PKffEviiT3_lPKT2_lT1_lS5_lS6_lS2_lPT4_lS6_li ; -- Begin function _ZL20rocblas_gemvn_kernelILi64ELi4EiDF16_PKffEviiT3_lPKT2_lT1_lS5_lS6_lS2_lPT4_lS6_li
	.p2align	8
	.type	_ZL20rocblas_gemvn_kernelILi64ELi4EiDF16_PKffEviiT3_lPKT2_lT1_lS5_lS6_lS2_lPT4_lS6_li,@function
_ZL20rocblas_gemvn_kernelILi64ELi4EiDF16_PKffEviiT3_lPKT2_lT1_lS5_lS6_lS2_lPT4_lS6_li: ; @_ZL20rocblas_gemvn_kernelILi64ELi4EiDF16_PKffEviiT3_lPKT2_lT1_lS5_lS6_lS2_lPT4_lS6_li
; %bb.0:
	s_load_dwordx2 s[0:1], s[4:5], 0x9c
	s_waitcnt lgkmcnt(0)
	s_lshr_b32 s2, s0, 16
	s_and_b32 s0, s0, 0xffff
	s_and_b32 s1, s1, 0xffff
	s_mul_i32 s0, s2, s0
	s_mul_i32 s0, s0, s1
	s_cmpk_lg_i32 s0, 0x100
	s_cbranch_scc1 .LBB470_50
; %bb.1:
	s_clause 0x1
	s_load_dwordx8 s[16:23], s[4:5], 0x8
	s_load_dwordx8 s[8:15], s[4:5], 0x50
	s_waitcnt lgkmcnt(0)
	s_mul_i32 s1, s19, s7
	s_mul_hi_u32 s2, s18, s7
	s_mul_i32 s0, s18, s7
	s_add_i32 s1, s2, s1
	s_mul_i32 s2, s13, s7
	s_lshl_b64 s[0:1], s[0:1], 2
	s_mul_hi_u32 s3, s12, s7
	s_add_u32 s0, s16, s0
	s_addc_u32 s1, s17, s1
	s_add_i32 s3, s3, s2
	s_mul_i32 s2, s12, s7
	s_mov_b32 s18, 0
	s_lshl_b64 s[2:3], s[2:3], 2
	s_add_u32 s2, s10, s2
	s_addc_u32 s3, s11, s3
	s_load_dword s17, s[0:1], 0x0
	s_load_dword s16, s[2:3], 0x0
	s_waitcnt lgkmcnt(0)
	v_cmp_eq_f32_e64 s0, s17, 0
	v_cmp_eq_f32_e64 s1, s16, 1.0
	s_and_b32 s0, s0, s1
	s_and_b32 vcc_lo, exec_lo, s0
	s_cbranch_vccnz .LBB470_50
; %bb.2:
	s_clause 0x3
	s_load_dwordx2 s[0:1], s[4:5], 0x80
	s_load_dwordx2 s[2:3], s[4:5], 0x70
	s_load_dword s19, s[4:5], 0x78
	s_load_dwordx2 s[10:11], s[4:5], 0x0
	v_lshlrev_b32_e32 v13, 6, v1
	v_cmp_neq_f32_e64 s24, s17, 0
	v_add_nc_u32_e32 v14, v13, v0
	s_waitcnt lgkmcnt(0)
	s_mul_i32 s1, s1, s7
	s_mul_hi_u32 s12, s0, s7
	s_mul_i32 s0, s0, s7
	s_add_i32 s1, s12, s1
	s_lshl_b64 s[0:1], s[0:1], 2
	s_add_u32 s12, s14, s0
	s_addc_u32 s13, s15, s1
	s_lshl_b64 s[0:1], s[2:3], 2
	s_add_u32 s12, s12, s0
	v_cmp_gt_u32_e64 s0, 0x100, v14
	s_addc_u32 s13, s13, s1
	s_and_b32 vcc_lo, exec_lo, s24
	s_cbranch_vccnz .LBB470_9
; %bb.3:
	s_mov_b32 s1, 0
                                        ; implicit-def: $vgpr3
                                        ; implicit-def: $vgpr4_vgpr5
	s_and_saveexec_b32 s2, s0
	s_cbranch_execz .LBB470_10
; %bb.4:
	v_lshl_or_b32 v2, s6, 8, v14
	v_mov_b32_e32 v3, 0
	s_ashr_i32 s15, s10, 31
	s_mov_b32 s14, s10
	s_mov_b32 s3, 0
	s_mov_b32 s0, exec_lo
                                        ; implicit-def: $vgpr4_vgpr5
	v_cmpx_gt_i64_e64 s[14:15], v[2:3]
	s_cbranch_execz .LBB470_8
; %bb.5:
	v_mad_u64_u32 v[4:5], null, s19, v2, 0
	s_ashr_i32 s3, s19, 31
	v_mad_u64_u32 v[5:6], null, s3, v2, v[5:6]
	v_cmp_eq_f32_e64 s3, s16, 0
	s_and_b32 vcc_lo, exec_lo, s3
	s_cbranch_vccnz .LBB470_7
; %bb.6:
	v_lshlrev_b64 v[2:3], 2, v[4:5]
	v_add_co_u32 v2, vcc_lo, s12, v2
	v_add_co_ci_u32_e64 v3, null, s13, v3, vcc_lo
	global_load_dword v2, v[2:3], off
	s_waitcnt vmcnt(0)
	v_mul_f32_e32 v3, s16, v2
.LBB470_7:
	s_mov_b32 s3, exec_lo
.LBB470_8:
	s_or_b32 exec_lo, exec_lo, s0
	s_and_b32 s18, s3, exec_lo
	s_or_b32 exec_lo, exec_lo, s2
	s_and_b32 vcc_lo, exec_lo, s1
	s_cbranch_vccnz .LBB470_11
	s_branch .LBB470_48
.LBB470_9:
                                        ; implicit-def: $vgpr3
                                        ; implicit-def: $vgpr4_vgpr5
	s_cbranch_execnz .LBB470_11
	s_branch .LBB470_48
.LBB470_10:
	s_or_b32 exec_lo, exec_lo, s2
	s_and_b32 vcc_lo, exec_lo, s1
	s_cbranch_vccz .LBB470_48
.LBB470_11:
	s_clause 0x3
	s_load_dwordx4 s[0:3], s[4:5], 0x30
	s_load_dword s14, s[4:5], 0x28
	s_load_dwordx2 s[24:25], s[4:5], 0x40
	s_load_dword s4, s[4:5], 0x48
	s_mul_i32 s9, s9, s7
	v_lshlrev_b32_e32 v20, 2, v1
	v_mov_b32_e32 v19, 0
	v_mov_b32_e32 v18, 0
	;; [unrolled: 1-line block ×4, first 2 shown]
	s_waitcnt lgkmcnt(0)
	s_mul_i32 s1, s1, s7
	s_mul_hi_u32 s15, s0, s7
	s_mul_i32 s0, s0, s7
	s_add_i32 s1, s15, s1
	s_mul_hi_u32 s15, s8, s7
	s_lshl_b64 s[0:1], s[0:1], 1
	s_add_u32 s26, s20, s0
	s_addc_u32 s21, s21, s1
	s_lshl_b64 s[0:1], s[22:23], 1
	s_mul_i32 s20, s8, s7
	s_add_u32 s7, s26, s0
	s_addc_u32 s8, s21, s1
	s_add_i32 s21, s15, s9
	s_lshl_b64 s[0:1], s[20:21], 1
	s_mov_b32 s20, exec_lo
	s_add_u32 s2, s2, s0
	s_addc_u32 s3, s3, s1
	s_lshl_b64 s[0:1], s[24:25], 1
	s_add_u32 s9, s2, s0
	s_addc_u32 s15, s3, s1
	s_ashr_i32 s0, s11, 31
	s_lshl_b32 s5, s6, 8
	s_lshr_b32 s0, s0, 28
	v_or_b32_e32 v17, s5, v0
	s_add_i32 s0, s11, s0
	s_and_b32 s6, s0, -16
	v_cmpx_gt_i32_e64 s6, v20
	s_cbranch_execz .LBB470_23
; %bb.12:
	v_add_nc_u32_e32 v5, 0xc0, v17
	v_mul_lo_u32 v3, s14, v20
	v_add_nc_u32_e32 v2, 64, v17
	v_add_nc_u32_e32 v6, 2, v20
	;; [unrolled: 1-line block ×3, first 2 shown]
	v_cmp_gt_i32_e64 s2, s10, v5
	v_mul_lo_u32 v5, v1, s14
	v_add_nc_u32_e32 v7, 3, v20
	v_mul_lo_u32 v8, v1, s4
	v_cmp_gt_i32_e64 s0, s10, v2
	v_add3_u32 v21, v3, s14, v0
	v_mad_u64_u32 v[2:3], null, s14, v6, v[0:1]
	v_cmp_gt_i32_e64 s1, s10, v4
	v_mad_u64_u32 v[3:4], null, s14, v7, v[0:1]
	v_lshl_add_u32 v22, v5, 2, v0
	v_mad_u64_u32 v[4:5], null, s4, v20, s[4:5]
	v_mul_lo_u32 v23, s4, v6
	v_mul_lo_u32 v24, s4, v7
	v_lshlrev_b32_e32 v25, 2, v8
	v_mov_b32_e32 v19, 0
	v_mov_b32_e32 v18, 0
	;; [unrolled: 1-line block ×4, first 2 shown]
	s_lshl_b32 s21, s14, 4
	s_lshl_b32 s23, s4, 4
	s_mov_b32 s22, 0
	s_mov_b32 s24, 0
	v_cmp_gt_i32_e32 vcc_lo, s10, v17
	s_branch .LBB470_17
.LBB470_13:                             ;   in Loop: Header=BB470_17 Depth=1
	s_or_b32 exec_lo, exec_lo, s27
	s_waitcnt vmcnt(3)
	v_fma_mix_f32 v5, v38, v42, v16 op_sel_hi:[0,1,0]
	s_waitcnt vmcnt(2)
	v_fma_mix_f32 v5, v39, v43, v5 op_sel_hi:[0,1,0]
	;; [unrolled: 2-line block ×4, first 2 shown]
.LBB470_14:                             ;   in Loop: Header=BB470_17 Depth=1
	s_or_b32 exec_lo, exec_lo, s26
	s_waitcnt vmcnt(3)
	v_fma_mix_f32 v5, v38, v34, v18 op_sel_hi:[0,1,0]
	s_waitcnt vmcnt(2)
	v_fma_mix_f32 v5, v39, v35, v5 op_sel_hi:[0,1,0]
	;; [unrolled: 2-line block ×4, first 2 shown]
.LBB470_15:                             ;   in Loop: Header=BB470_17 Depth=1
	s_or_b32 exec_lo, exec_lo, s3
	s_waitcnt vmcnt(3)
	v_fma_mix_f32 v5, v26, v30, v19 op_sel_hi:[1,1,0]
	s_waitcnt vmcnt(2)
	v_fma_mix_f32 v5, v27, v31, v5 op_sel_hi:[1,1,0]
	;; [unrolled: 2-line block ×4, first 2 shown]
.LBB470_16:                             ;   in Loop: Header=BB470_17 Depth=1
	s_or_b32 exec_lo, exec_lo, s25
	v_add_nc_u32_e32 v20, 16, v20
	v_add_nc_u32_e32 v21, s21, v21
	;; [unrolled: 1-line block ×5, first 2 shown]
	v_cmp_le_i32_e64 s3, s6, v20
	s_add_i32 s24, s24, s23
	s_or_b32 s22, s3, s22
	s_andn2_b32 exec_lo, exec_lo, s22
	s_cbranch_execz .LBB470_22
.LBB470_17:                             ; =>This Inner Loop Header: Depth=1
	s_and_saveexec_b32 s25, vcc_lo
	s_cbranch_execz .LBB470_16
; %bb.18:                               ;   in Loop: Header=BB470_17 Depth=1
	v_add_nc_u32_e32 v5, s24, v25
	v_add_nc_u32_e32 v7, s24, v4
	;; [unrolled: 1-line block ×5, first 2 shown]
	v_ashrrev_i32_e32 v6, 31, v5
	v_ashrrev_i32_e32 v8, 31, v7
	;; [unrolled: 1-line block ×5, first 2 shown]
	v_lshlrev_b64 v[5:6], 1, v[5:6]
	v_lshlrev_b64 v[7:8], 1, v[7:8]
	;; [unrolled: 1-line block ×3, first 2 shown]
	v_add_co_u32 v28, s3, s9, v5
	v_add_co_ci_u32_e64 v29, null, s15, v6, s3
	v_add_co_u32 v30, s3, s9, v7
	v_add_nc_u32_e32 v7, s5, v21
	v_add_co_ci_u32_e64 v31, null, s15, v8, s3
	v_lshlrev_b64 v[5:6], 1, v[11:12]
	v_add_co_u32 v32, s3, s9, v9
	v_add_nc_u32_e32 v11, s5, v2
	v_add_co_ci_u32_e64 v33, null, s15, v10, s3
	v_lshlrev_b64 v[9:10], 1, v[26:27]
	v_add_nc_u32_e32 v26, s5, v3
	v_ashrrev_i32_e32 v8, 31, v7
	v_ashrrev_i32_e32 v12, 31, v11
	v_add_co_u32 v34, s3, s9, v5
	v_ashrrev_i32_e32 v27, 31, v26
	v_add_co_ci_u32_e64 v35, null, s15, v6, s3
	v_lshlrev_b64 v[7:8], 1, v[7:8]
	v_add_co_u32 v5, s3, s7, v9
	v_add_co_ci_u32_e64 v6, null, s8, v10, s3
	v_lshlrev_b64 v[9:10], 1, v[11:12]
	v_lshlrev_b64 v[11:12], 1, v[26:27]
	v_add_co_u32 v7, s3, s7, v7
	v_add_co_ci_u32_e64 v8, null, s8, v8, s3
	v_add_co_u32 v9, s3, s7, v9
	v_add_co_ci_u32_e64 v10, null, s8, v10, s3
	;; [unrolled: 2-line block ×3, first 2 shown]
	s_clause 0x3
	global_load_ushort v26, v[28:29], off
	global_load_ushort v27, v[30:31], off
	;; [unrolled: 1-line block ×4, first 2 shown]
	s_clause 0x3
	global_load_ushort v30, v[5:6], off
	global_load_ushort v31, v[7:8], off
	;; [unrolled: 1-line block ×4, first 2 shown]
	s_and_saveexec_b32 s3, s0
	s_cbranch_execz .LBB470_15
; %bb.19:                               ;   in Loop: Header=BB470_17 Depth=1
	s_clause 0x3
	global_load_ushort v34, v[5:6], off offset:128
	global_load_ushort v35, v[7:8], off offset:128
	;; [unrolled: 1-line block ×4, first 2 shown]
	s_waitcnt vmcnt(11)
	v_cvt_f32_f16_e32 v38, v26
	s_waitcnt vmcnt(10)
	v_cvt_f32_f16_e32 v39, v27
	s_waitcnt vmcnt(9)
	v_cvt_f32_f16_e32 v40, v28
	s_waitcnt vmcnt(8)
	v_cvt_f32_f16_e32 v41, v29
	s_and_saveexec_b32 s26, s1
	s_cbranch_execz .LBB470_14
; %bb.20:                               ;   in Loop: Header=BB470_17 Depth=1
	s_clause 0x3
	global_load_ushort v42, v[5:6], off offset:256
	global_load_ushort v43, v[7:8], off offset:256
	;; [unrolled: 1-line block ×4, first 2 shown]
	s_and_saveexec_b32 s27, s2
	s_cbranch_execz .LBB470_13
; %bb.21:                               ;   in Loop: Header=BB470_17 Depth=1
	s_clause 0x3
	global_load_ushort v5, v[5:6], off offset:384
	global_load_ushort v6, v[7:8], off offset:384
	global_load_ushort v7, v[9:10], off offset:384
	global_load_ushort v8, v[11:12], off offset:384
	s_waitcnt vmcnt(3)
	v_fma_mix_f32 v5, v38, v5, v15 op_sel_hi:[0,1,0]
	s_waitcnt vmcnt(2)
	v_fma_mix_f32 v5, v39, v6, v5 op_sel_hi:[0,1,0]
	;; [unrolled: 2-line block ×4, first 2 shown]
	s_branch .LBB470_13
.LBB470_22:
	s_or_b32 exec_lo, exec_lo, s22
.LBB470_23:
	s_or_b32 exec_lo, exec_lo, s20
	s_sub_i32 s0, s11, s6
	s_cmp_lt_i32 s0, 1
	s_cbranch_scc1 .LBB470_41
; %bb.24:
	v_cmp_gt_i32_e32 vcc_lo, s11, v20
	v_mov_b32_e32 v10, 0
	v_or_b32_e32 v2, 1, v20
	v_mov_b32_e32 v11, 0
	v_mov_b32_e32 v12, 0
	v_mov_b32_e32 v21, 0
	s_and_saveexec_b32 s1, vcc_lo
	s_cbranch_execz .LBB470_32
; %bb.25:
	v_mul_lo_u32 v3, v20, s4
	v_mov_b32_e32 v12, 0
	v_mov_b32_e32 v11, 0
	;; [unrolled: 1-line block ×3, first 2 shown]
	s_mov_b32 s2, exec_lo
	v_ashrrev_i32_e32 v4, 31, v3
	v_lshlrev_b64 v[3:4], 1, v[3:4]
	v_add_co_u32 v3, s0, s9, v3
	v_add_co_ci_u32_e64 v4, null, s15, v4, s0
	global_load_ushort v3, v[3:4], off
	v_cmpx_gt_i32_e64 s11, v2
	s_cbranch_execz .LBB470_31
; %bb.26:
	v_mul_lo_u32 v4, v2, s4
	v_mov_b32_e32 v11, 0
	v_mov_b32_e32 v10, 0
	s_mov_b32 s3, exec_lo
	v_ashrrev_i32_e32 v5, 31, v4
	v_lshlrev_b64 v[4:5], 1, v[4:5]
	v_add_co_u32 v4, s0, s9, v4
	v_add_co_ci_u32_e64 v5, null, s15, v5, s0
	global_load_ushort v4, v[4:5], off
	v_or_b32_e32 v5, 2, v20
	v_cmpx_gt_i32_e64 s11, v5
	s_cbranch_execz .LBB470_30
; %bb.27:
	v_mul_lo_u32 v5, v5, s4
	v_mov_b32_e32 v10, 0
	s_mov_b32 s6, exec_lo
	v_ashrrev_i32_e32 v6, 31, v5
	v_lshlrev_b64 v[5:6], 1, v[5:6]
	v_add_co_u32 v5, s0, s9, v5
	v_add_co_ci_u32_e64 v6, null, s15, v6, s0
	global_load_ushort v5, v[5:6], off
	v_or_b32_e32 v6, 3, v20
	v_cmpx_gt_i32_e64 s11, v6
	s_cbranch_execz .LBB470_29
; %bb.28:
	v_mul_lo_u32 v6, v6, s4
	v_ashrrev_i32_e32 v7, 31, v6
	v_lshlrev_b64 v[6:7], 1, v[6:7]
	v_add_co_u32 v6, s0, s9, v6
	v_add_co_ci_u32_e64 v7, null, s15, v7, s0
	global_load_ushort v6, v[6:7], off
	s_waitcnt vmcnt(0)
	v_cvt_f32_f16_e32 v10, v6
.LBB470_29:
	s_or_b32 exec_lo, exec_lo, s6
	s_waitcnt vmcnt(0)
	v_cvt_f32_f16_e32 v11, v5
.LBB470_30:
	s_or_b32 exec_lo, exec_lo, s3
	s_waitcnt vmcnt(0)
	v_cvt_f32_f16_e32 v12, v4
.LBB470_31:
	s_or_b32 exec_lo, exec_lo, s2
	s_waitcnt vmcnt(0)
	v_cvt_f32_f16_e32 v21, v3
.LBB470_32:
	s_or_b32 exec_lo, exec_lo, s1
	s_mov_b32 s1, exec_lo
	v_cmpx_gt_i32_e64 s10, v17
	s_cbranch_execz .LBB470_40
; %bb.33:
	v_mul_lo_u32 v3, v20, s14
	v_or_b32_e32 v4, 2, v20
	v_mul_lo_u32 v5, v2, s14
	v_or_b32_e32 v6, 3, v20
	s_mov_b32 s0, exec_lo
	v_mul_lo_u32 v7, v4, s14
	v_mul_lo_u32 v8, v6, s14
	v_cndmask_b32_e32 v3, 0, v3, vcc_lo
	v_cmp_gt_i32_e32 vcc_lo, s11, v2
	v_add_nc_u32_e32 v2, v3, v17
	v_cndmask_b32_e32 v5, 0, v5, vcc_lo
	v_cmp_gt_i32_e32 vcc_lo, s11, v4
	v_ashrrev_i32_e32 v3, 31, v2
	v_add_nc_u32_e32 v4, v5, v17
	v_cndmask_b32_e32 v7, 0, v7, vcc_lo
	v_cmp_gt_i32_e32 vcc_lo, s11, v6
	v_lshlrev_b64 v[2:3], 1, v[2:3]
	v_ashrrev_i32_e32 v5, 31, v4
	v_add_nc_u32_e32 v6, v7, v17
	v_cndmask_b32_e32 v8, 0, v8, vcc_lo
	v_lshlrev_b64 v[4:5], 1, v[4:5]
	v_ashrrev_i32_e32 v7, 31, v6
	v_add_nc_u32_e32 v8, v8, v17
	v_add_co_u32 v2, vcc_lo, s7, v2
	v_add_co_ci_u32_e64 v3, null, s8, v3, vcc_lo
	v_lshlrev_b64 v[6:7], 1, v[6:7]
	v_ashrrev_i32_e32 v9, 31, v8
	v_add_co_u32 v4, vcc_lo, s7, v4
	v_add_co_ci_u32_e64 v5, null, s8, v5, vcc_lo
	global_load_ushort v22, v[2:3], off
	v_add_co_u32 v6, vcc_lo, s7, v6
	v_add_co_ci_u32_e64 v7, null, s8, v7, vcc_lo
	v_lshlrev_b64 v[8:9], 1, v[8:9]
	s_clause 0x1
	global_load_ushort v23, v[4:5], off
	global_load_ushort v24, v[6:7], off
	v_add_co_u32 v8, vcc_lo, s7, v8
	v_add_co_ci_u32_e64 v9, null, s8, v9, vcc_lo
	global_load_ushort v20, v[8:9], off
	s_waitcnt vmcnt(3)
	v_fma_mix_f32 v19, v21, v22, v19 op_sel_hi:[0,1,0]
	v_add_nc_u32_e32 v22, 64, v17
	s_waitcnt vmcnt(2)
	v_fma_mix_f32 v19, v12, v23, v19 op_sel_hi:[0,1,0]
	s_waitcnt vmcnt(1)
	v_fma_mix_f32 v19, v11, v24, v19 op_sel_hi:[0,1,0]
	v_cmpx_gt_i32_e64 s10, v22
	s_cbranch_execz .LBB470_39
; %bb.34:
	s_clause 0x3
	global_load_ushort v23, v[2:3], off offset:128
	global_load_ushort v24, v[4:5], off offset:128
	global_load_ushort v25, v[6:7], off offset:128
	global_load_ushort v22, v[8:9], off offset:128
	s_mov_b32 s2, exec_lo
	s_waitcnt vmcnt(3)
	v_fma_mix_f32 v18, v21, v23, v18 op_sel_hi:[0,1,0]
	v_add_nc_u32_e32 v23, 0x80, v17
	s_waitcnt vmcnt(2)
	v_fma_mix_f32 v18, v12, v24, v18 op_sel_hi:[0,1,0]
	s_waitcnt vmcnt(1)
	v_fma_mix_f32 v18, v11, v25, v18 op_sel_hi:[0,1,0]
	v_cmpx_gt_i32_e64 s10, v23
	s_cbranch_execz .LBB470_38
; %bb.35:
	s_clause 0x3
	global_load_ushort v24, v[2:3], off offset:256
	global_load_ushort v25, v[4:5], off offset:256
	;; [unrolled: 1-line block ×4, first 2 shown]
	v_add_nc_u32_e32 v17, 0xc0, v17
	s_mov_b32 s3, exec_lo
	s_waitcnt vmcnt(3)
	v_fma_mix_f32 v16, v21, v24, v16 op_sel_hi:[0,1,0]
	s_waitcnt vmcnt(2)
	v_fma_mix_f32 v16, v12, v25, v16 op_sel_hi:[0,1,0]
	;; [unrolled: 2-line block ×3, first 2 shown]
	v_cmpx_gt_i32_e64 s10, v17
	s_cbranch_execz .LBB470_37
; %bb.36:
	s_clause 0x3
	global_load_ushort v2, v[2:3], off offset:384
	global_load_ushort v3, v[4:5], off offset:384
	;; [unrolled: 1-line block ×4, first 2 shown]
	s_waitcnt vmcnt(3)
	v_fma_mix_f32 v2, v21, v2, v15 op_sel_hi:[0,1,0]
	s_waitcnt vmcnt(2)
	v_fma_mix_f32 v2, v12, v3, v2 op_sel_hi:[0,1,0]
	;; [unrolled: 2-line block ×4, first 2 shown]
.LBB470_37:
	s_or_b32 exec_lo, exec_lo, s3
	s_waitcnt vmcnt(0)
	v_fma_mix_f32 v16, v10, v23, v16 op_sel_hi:[0,1,0]
.LBB470_38:
	s_or_b32 exec_lo, exec_lo, s2
	s_waitcnt vmcnt(0)
	v_fma_mix_f32 v18, v10, v22, v18 op_sel_hi:[0,1,0]
.LBB470_39:
	s_or_b32 exec_lo, exec_lo, s0
	s_waitcnt vmcnt(0)
	v_fma_mix_f32 v19, v10, v20, v19 op_sel_hi:[0,1,0]
.LBB470_40:
	s_or_b32 exec_lo, exec_lo, s1
.LBB470_41:
	v_lshlrev_b32_e32 v0, 2, v0
	s_mov_b32 s0, exec_lo
                                        ; implicit-def: $vgpr3
                                        ; implicit-def: $vgpr4_vgpr5
	v_lshl_or_b32 v1, v1, 10, v0
	ds_write2st64_b32 v1, v19, v18 offset1:1
	ds_write2st64_b32 v1, v16, v15 offset0:2 offset1:3
	s_waitcnt lgkmcnt(0)
	s_barrier
	buffer_gl0_inv
	v_cmpx_gt_u32_e32 0x100, v14
	s_cbranch_execz .LBB470_47
; %bb.42:
	v_lshl_add_u32 v4, v13, 2, v0
	s_mov_b32 s2, s18
	s_mov_b32 s1, exec_lo
	ds_read2st64_b32 v[0:1], v4 offset1:4
	ds_read2st64_b32 v[2:3], v4 offset0:8 offset1:12
	s_waitcnt lgkmcnt(1)
	v_add_f32_e32 v0, v0, v1
	v_or_b32_e32 v1, s5, v14
	s_waitcnt lgkmcnt(0)
	v_add_f32_e32 v0, v2, v0
	v_add_f32_e32 v0, v3, v0
                                        ; implicit-def: $vgpr3
	ds_write_b32 v4, v0
                                        ; implicit-def: $vgpr4_vgpr5
	v_cmpx_gt_i32_e64 s10, v1
	s_cbranch_execz .LBB470_46
; %bb.43:
	v_mul_lo_u32 v4, s19, v1
	v_cmp_eq_f32_e64 s2, s16, 0
	v_mul_f32_e32 v3, s17, v0
	s_and_b32 vcc_lo, exec_lo, s2
	v_ashrrev_i32_e32 v5, 31, v4
	s_cbranch_vccnz .LBB470_45
; %bb.44:
	v_lshlrev_b64 v[0:1], 2, v[4:5]
	v_add_co_u32 v0, vcc_lo, s12, v0
	v_add_co_ci_u32_e64 v1, null, s13, v1, vcc_lo
	global_load_dword v0, v[0:1], off
	s_waitcnt vmcnt(0)
	v_fmac_f32_e32 v3, s16, v0
.LBB470_45:
	s_or_b32 s2, s18, exec_lo
.LBB470_46:
	s_or_b32 exec_lo, exec_lo, s1
	s_andn2_b32 s1, s18, exec_lo
	s_and_b32 s2, s2, exec_lo
	s_or_b32 s18, s1, s2
.LBB470_47:
	s_or_b32 exec_lo, exec_lo, s0
.LBB470_48:
	s_and_saveexec_b32 s0, s18
	s_cbranch_execz .LBB470_50
; %bb.49:
	v_lshlrev_b64 v[0:1], 2, v[4:5]
	v_add_co_u32 v0, vcc_lo, s12, v0
	v_add_co_ci_u32_e64 v1, null, s13, v1, vcc_lo
	global_store_dword v[0:1], v3, off
.LBB470_50:
	s_endpgm
	.section	.rodata,"a",@progbits
	.p2align	6, 0x0
	.amdhsa_kernel _ZL20rocblas_gemvn_kernelILi64ELi4EiDF16_PKffEviiT3_lPKT2_lT1_lS5_lS6_lS2_lPT4_lS6_li
		.amdhsa_group_segment_fixed_size 4096
		.amdhsa_private_segment_fixed_size 0
		.amdhsa_kernarg_size 400
		.amdhsa_user_sgpr_count 6
		.amdhsa_user_sgpr_private_segment_buffer 1
		.amdhsa_user_sgpr_dispatch_ptr 0
		.amdhsa_user_sgpr_queue_ptr 0
		.amdhsa_user_sgpr_kernarg_segment_ptr 1
		.amdhsa_user_sgpr_dispatch_id 0
		.amdhsa_user_sgpr_flat_scratch_init 0
		.amdhsa_user_sgpr_private_segment_size 0
		.amdhsa_wavefront_size32 1
		.amdhsa_uses_dynamic_stack 0
		.amdhsa_system_sgpr_private_segment_wavefront_offset 0
		.amdhsa_system_sgpr_workgroup_id_x 1
		.amdhsa_system_sgpr_workgroup_id_y 0
		.amdhsa_system_sgpr_workgroup_id_z 1
		.amdhsa_system_sgpr_workgroup_info 0
		.amdhsa_system_vgpr_workitem_id 1
		.amdhsa_next_free_vgpr 46
		.amdhsa_next_free_sgpr 28
		.amdhsa_reserve_vcc 1
		.amdhsa_reserve_flat_scratch 0
		.amdhsa_float_round_mode_32 0
		.amdhsa_float_round_mode_16_64 0
		.amdhsa_float_denorm_mode_32 3
		.amdhsa_float_denorm_mode_16_64 3
		.amdhsa_dx10_clamp 1
		.amdhsa_ieee_mode 1
		.amdhsa_fp16_overflow 0
		.amdhsa_workgroup_processor_mode 1
		.amdhsa_memory_ordered 1
		.amdhsa_forward_progress 1
		.amdhsa_shared_vgpr_count 0
		.amdhsa_exception_fp_ieee_invalid_op 0
		.amdhsa_exception_fp_denorm_src 0
		.amdhsa_exception_fp_ieee_div_zero 0
		.amdhsa_exception_fp_ieee_overflow 0
		.amdhsa_exception_fp_ieee_underflow 0
		.amdhsa_exception_fp_ieee_inexact 0
		.amdhsa_exception_int_div_zero 0
	.end_amdhsa_kernel
	.section	.text._ZL20rocblas_gemvn_kernelILi64ELi4EiDF16_PKffEviiT3_lPKT2_lT1_lS5_lS6_lS2_lPT4_lS6_li,"axG",@progbits,_ZL20rocblas_gemvn_kernelILi64ELi4EiDF16_PKffEviiT3_lPKT2_lT1_lS5_lS6_lS2_lPT4_lS6_li,comdat
.Lfunc_end470:
	.size	_ZL20rocblas_gemvn_kernelILi64ELi4EiDF16_PKffEviiT3_lPKT2_lT1_lS5_lS6_lS2_lPT4_lS6_li, .Lfunc_end470-_ZL20rocblas_gemvn_kernelILi64ELi4EiDF16_PKffEviiT3_lPKT2_lT1_lS5_lS6_lS2_lPT4_lS6_li
                                        ; -- End function
	.set _ZL20rocblas_gemvn_kernelILi64ELi4EiDF16_PKffEviiT3_lPKT2_lT1_lS5_lS6_lS2_lPT4_lS6_li.num_vgpr, 46
	.set _ZL20rocblas_gemvn_kernelILi64ELi4EiDF16_PKffEviiT3_lPKT2_lT1_lS5_lS6_lS2_lPT4_lS6_li.num_agpr, 0
	.set _ZL20rocblas_gemvn_kernelILi64ELi4EiDF16_PKffEviiT3_lPKT2_lT1_lS5_lS6_lS2_lPT4_lS6_li.numbered_sgpr, 28
	.set _ZL20rocblas_gemvn_kernelILi64ELi4EiDF16_PKffEviiT3_lPKT2_lT1_lS5_lS6_lS2_lPT4_lS6_li.num_named_barrier, 0
	.set _ZL20rocblas_gemvn_kernelILi64ELi4EiDF16_PKffEviiT3_lPKT2_lT1_lS5_lS6_lS2_lPT4_lS6_li.private_seg_size, 0
	.set _ZL20rocblas_gemvn_kernelILi64ELi4EiDF16_PKffEviiT3_lPKT2_lT1_lS5_lS6_lS2_lPT4_lS6_li.uses_vcc, 1
	.set _ZL20rocblas_gemvn_kernelILi64ELi4EiDF16_PKffEviiT3_lPKT2_lT1_lS5_lS6_lS2_lPT4_lS6_li.uses_flat_scratch, 0
	.set _ZL20rocblas_gemvn_kernelILi64ELi4EiDF16_PKffEviiT3_lPKT2_lT1_lS5_lS6_lS2_lPT4_lS6_li.has_dyn_sized_stack, 0
	.set _ZL20rocblas_gemvn_kernelILi64ELi4EiDF16_PKffEviiT3_lPKT2_lT1_lS5_lS6_lS2_lPT4_lS6_li.has_recursion, 0
	.set _ZL20rocblas_gemvn_kernelILi64ELi4EiDF16_PKffEviiT3_lPKT2_lT1_lS5_lS6_lS2_lPT4_lS6_li.has_indirect_call, 0
	.section	.AMDGPU.csdata,"",@progbits
; Kernel info:
; codeLenInByte = 2848
; TotalNumSgprs: 30
; NumVgprs: 46
; ScratchSize: 0
; MemoryBound: 0
; FloatMode: 240
; IeeeMode: 1
; LDSByteSize: 4096 bytes/workgroup (compile time only)
; SGPRBlocks: 0
; VGPRBlocks: 5
; NumSGPRsForWavesPerEU: 30
; NumVGPRsForWavesPerEU: 46
; Occupancy: 16
; WaveLimiterHint : 1
; COMPUTE_PGM_RSRC2:SCRATCH_EN: 0
; COMPUTE_PGM_RSRC2:USER_SGPR: 6
; COMPUTE_PGM_RSRC2:TRAP_HANDLER: 0
; COMPUTE_PGM_RSRC2:TGID_X_EN: 1
; COMPUTE_PGM_RSRC2:TGID_Y_EN: 0
; COMPUTE_PGM_RSRC2:TGID_Z_EN: 1
; COMPUTE_PGM_RSRC2:TIDIG_COMP_CNT: 1
	.section	.text._ZL20rocblas_gemvn_kernelILi64ELi4ElDF16_PKffEviiT3_lPKT2_lT1_lS5_lS6_lS2_lPT4_lS6_li,"axG",@progbits,_ZL20rocblas_gemvn_kernelILi64ELi4ElDF16_PKffEviiT3_lPKT2_lT1_lS5_lS6_lS2_lPT4_lS6_li,comdat
	.globl	_ZL20rocblas_gemvn_kernelILi64ELi4ElDF16_PKffEviiT3_lPKT2_lT1_lS5_lS6_lS2_lPT4_lS6_li ; -- Begin function _ZL20rocblas_gemvn_kernelILi64ELi4ElDF16_PKffEviiT3_lPKT2_lT1_lS5_lS6_lS2_lPT4_lS6_li
	.p2align	8
	.type	_ZL20rocblas_gemvn_kernelILi64ELi4ElDF16_PKffEviiT3_lPKT2_lT1_lS5_lS6_lS2_lPT4_lS6_li,@function
_ZL20rocblas_gemvn_kernelILi64ELi4ElDF16_PKffEviiT3_lPKT2_lT1_lS5_lS6_lS2_lPT4_lS6_li: ; @_ZL20rocblas_gemvn_kernelILi64ELi4ElDF16_PKffEviiT3_lPKT2_lT1_lS5_lS6_lS2_lPT4_lS6_li
; %bb.0:
	s_load_dwordx2 s[0:1], s[4:5], 0x9c
	s_waitcnt lgkmcnt(0)
	s_lshr_b32 s2, s0, 16
	s_and_b32 s0, s0, 0xffff
	s_and_b32 s1, s1, 0xffff
	s_mul_i32 s0, s2, s0
	s_mul_i32 s0, s0, s1
	s_cmpk_lg_i32 s0, 0x100
	s_cbranch_scc1 .LBB471_50
; %bb.1:
	s_clause 0x1
	s_load_dwordx16 s[36:51], s[4:5], 0x8
	s_load_dwordx16 s[8:23], s[4:5], 0x48
	s_mov_b32 s26, 0
	s_waitcnt lgkmcnt(0)
	s_mul_i32 s1, s39, s7
	s_mul_hi_u32 s2, s38, s7
	s_mul_i32 s0, s38, s7
	s_add_i32 s1, s2, s1
	s_mul_i32 s2, s15, s7
	s_lshl_b64 s[0:1], s[0:1], 2
	s_mul_hi_u32 s3, s14, s7
	s_add_u32 s0, s36, s0
	s_addc_u32 s1, s37, s1
	s_add_i32 s3, s3, s2
	s_mul_i32 s2, s14, s7
	s_lshl_b64 s[2:3], s[2:3], 2
	s_add_u32 s2, s12, s2
	s_addc_u32 s3, s13, s3
	s_load_dword s25, s[0:1], 0x0
	s_load_dword s24, s[2:3], 0x0
	s_waitcnt lgkmcnt(0)
	v_cmp_eq_f32_e64 s0, s25, 0
	v_cmp_eq_f32_e64 s1, s24, 1.0
	s_and_b32 s0, s0, s1
	s_and_b32 vcc_lo, exec_lo, s0
	s_cbranch_vccnz .LBB471_50
; %bb.2:
	s_load_dwordx2 s[12:13], s[4:5], 0x0
	v_lshlrev_b32_e32 v14, 6, v1
	s_mul_i32 s0, s23, s7
	s_mul_hi_u32 s1, s22, s7
	v_cmp_neq_f32_e64 s4, s25, 0
	s_add_i32 s1, s1, s0
	s_mul_i32 s0, s22, s7
	v_add_nc_u32_e32 v13, v14, v0
	s_lshl_b64 s[0:1], s[0:1], 2
	s_add_u32 s2, s16, s0
	s_addc_u32 s3, s17, s1
	s_lshl_b64 s[0:1], s[18:19], 2
	s_add_u32 s5, s2, s0
	v_cmp_gt_u32_e64 s0, 0x100, v13
	s_addc_u32 s22, s3, s1
	s_and_b32 vcc_lo, exec_lo, s4
	s_cbranch_vccnz .LBB471_9
; %bb.3:
	s_mov_b32 s1, 0
                                        ; implicit-def: $vgpr3
                                        ; implicit-def: $vgpr4_vgpr5
	s_and_saveexec_b32 s2, s0
	s_cbranch_execz .LBB471_10
; %bb.4:
	v_lshl_or_b32 v2, s6, 8, v13
	v_mov_b32_e32 v3, 0
	s_waitcnt lgkmcnt(0)
	s_ashr_i32 s15, s12, 31
	s_mov_b32 s14, s12
	s_mov_b32 s3, 0
	s_mov_b32 s0, exec_lo
                                        ; implicit-def: $vgpr4_vgpr5
	v_cmpx_gt_i64_e64 s[14:15], v[2:3]
	s_cbranch_execz .LBB471_8
; %bb.5:
	v_mad_u64_u32 v[4:5], null, s20, v2, 0
	v_cmp_eq_f32_e64 s3, s24, 0
	s_and_b32 vcc_lo, exec_lo, s3
	v_mad_u64_u32 v[5:6], null, s21, v2, v[5:6]
	s_cbranch_vccnz .LBB471_7
; %bb.6:
	v_lshlrev_b64 v[2:3], 2, v[4:5]
	v_add_co_u32 v2, vcc_lo, s5, v2
	v_add_co_ci_u32_e64 v3, null, s22, v3, vcc_lo
	global_load_dword v2, v[2:3], off
	s_waitcnt vmcnt(0)
	v_mul_f32_e32 v3, s24, v2
.LBB471_7:
	s_mov_b32 s3, exec_lo
.LBB471_8:
	s_or_b32 exec_lo, exec_lo, s0
	s_and_b32 s26, s3, exec_lo
	s_or_b32 exec_lo, exec_lo, s2
	s_and_b32 vcc_lo, exec_lo, s1
	s_cbranch_vccnz .LBB471_11
	s_branch .LBB471_48
.LBB471_9:
                                        ; implicit-def: $vgpr3
                                        ; implicit-def: $vgpr4_vgpr5
	s_cbranch_execnz .LBB471_11
	s_branch .LBB471_48
.LBB471_10:
	s_or_b32 exec_lo, exec_lo, s2
	s_and_b32 vcc_lo, exec_lo, s1
	s_cbranch_vccz .LBB471_48
.LBB471_11:
	s_mul_i32 s0, s47, s7
	s_mul_hi_u32 s1, s46, s7
	s_lshl_b32 s23, s6, 8
	s_add_i32 s15, s1, s0
	s_waitcnt lgkmcnt(0)
	s_ashr_i32 s1, s13, 31
	v_lshlrev_b32_e32 v15, 2, v1
	s_lshr_b32 s1, s1, 28
	v_or_b32_e32 v2, s23, v0
	v_mov_b32_e32 v19, 0
	v_mov_b32_e32 v18, 0
	;; [unrolled: 1-line block ×4, first 2 shown]
	s_mul_i32 s0, s11, s7
	s_mul_hi_u32 s2, s10, s7
	s_add_i32 s1, s13, s1
	s_mul_i32 s14, s46, s7
	s_and_b32 s27, s1, -16
	s_add_i32 s11, s2, s0
	s_mul_i32 s10, s10, s7
	s_mov_b32 s28, exec_lo
	v_cmpx_gt_i32_e64 s27, v15
	s_cbranch_execz .LBB471_23
; %bb.12:
	v_lshlrev_b32_e32 v30, 2, v1
	v_mad_u64_u32 v[4:5], null, s8, v1, 0
	v_add_nc_u32_e32 v11, 64, v2
	v_add_nc_u32_e32 v12, 0x80, v2
	v_or_b32_e32 v16, 3, v30
	s_lshl_b64 s[0:1], s[10:11], 1
	s_lshl_b64 s[6:7], s[50:51], 1
	s_add_u32 s4, s48, s0
	s_addc_u32 s29, s49, s1
	v_mad_u64_u32 v[6:7], null, s44, v16, 0
	v_cmp_gt_i32_e64 s0, s12, v11
	v_cmp_gt_i32_e64 s1, s12, v12
	v_add_nc_u32_e32 v17, 0xc0, v2
	v_or_b32_e32 v24, 2, v30
	s_lshl_b64 s[18:19], s[42:43], 1
	s_lshl_b64 s[16:17], s[8:9], 5
	v_mad_u64_u32 v[8:9], null, s9, v1, v[5:6]
	v_mad_u64_u32 v[9:10], null, s8, v16, 0
	v_cmp_gt_i32_e64 s2, s12, v17
	s_lshl_b64 s[30:31], s[14:15], 1
	v_mad_u64_u32 v[28:29], null, s8, v24, 0
	v_mov_b32_e32 v5, v8
	v_mad_u64_u32 v[7:8], null, s45, v16, v[7:8]
	v_mad_u64_u32 v[32:33], null, s44, v30, s[44:45]
	v_lshlrev_b64 v[11:12], 3, v[4:5]
	v_mov_b32_e32 v5, v10
	v_mov_b32_e32 v8, v29
	v_ashrrev_i32_e32 v3, 31, v2
	v_lshlrev_b64 v[6:7], 1, v[6:7]
	v_cmp_gt_i32_e32 vcc_lo, s12, v2
	v_add_co_u32 v20, s3, s4, v11
	v_add_co_ci_u32_e64 v21, null, s29, v12, s3
	v_mad_u64_u32 v[16:17], null, s9, v16, v[5:6]
	v_mad_u64_u32 v[11:12], null, s44, v1, 0
	s_add_u32 s3, s40, s18
	s_addc_u32 s18, s41, s19
	s_add_u32 s19, s3, s30
	s_addc_u32 s18, s18, s31
	v_mov_b32_e32 v10, v16
	v_mad_u64_u32 v[16:17], null, s44, v24, 0
	v_mov_b32_e32 v5, v12
	v_add_co_u32 v22, s3, s19, v6
	v_add_co_ci_u32_e64 v23, null, s18, v7, s3
	v_mad_u64_u32 v[18:19], null, s45, v1, v[5:6]
	v_lshlrev_b64 v[6:7], 1, v[9:10]
	v_mov_b32_e32 v5, v17
	v_lshlrev_b64 v[3:4], 1, v[2:3]
	v_mad_u64_u32 v[9:10], null, s45, v24, v[5:6]
	v_mov_b32_e32 v12, v18
	v_mad_u64_u32 v[18:19], null, s8, v30, s[8:9]
	v_mad_u64_u32 v[26:27], null, s9, v24, v[8:9]
	v_add_co_u32 v24, s3, s4, v6
	v_add_co_ci_u32_e64 v25, null, s29, v7, s3
	v_lshlrev_b64 v[6:7], 3, v[11:12]
	v_mov_b32_e32 v5, v19
	v_mov_b32_e32 v17, v9
	;; [unrolled: 1-line block ×3, first 2 shown]
	v_add_co_u32 v26, s3, s19, v6
	v_mad_u64_u32 v[8:9], null, s9, v30, v[5:6]
	v_add_co_ci_u32_e64 v27, null, s18, v7, s3
	v_lshlrev_b64 v[6:7], 1, v[16:17]
	v_mov_b32_e32 v5, v33
	v_mov_b32_e32 v17, 0
	;; [unrolled: 1-line block ×4, first 2 shown]
	v_mad_u64_u32 v[9:10], null, s45, v30, v[5:6]
	v_lshlrev_b64 v[10:11], 1, v[28:29]
	v_add_co_u32 v28, s3, s19, v6
	v_lshlrev_b64 v[5:6], 1, v[18:19]
	v_add_co_ci_u32_e64 v29, null, s18, v7, s3
	v_mov_b32_e32 v33, v9
	v_add_co_u32 v30, s3, s4, v10
	v_add_co_ci_u32_e64 v31, null, s29, v11, s3
	v_lshlrev_b64 v[7:8], 1, v[32:33]
	v_add_co_u32 v32, s3, s4, v5
	v_add_co_ci_u32_e64 v33, null, s29, v6, s3
	v_mov_b32_e32 v19, 0
	v_add_co_u32 v34, s3, s19, v7
	v_add_co_ci_u32_e64 v35, null, s18, v8, s3
	v_mov_b32_e32 v18, 0
	s_lshl_b64 s[18:19], s[44:45], 5
	s_mov_b32 s29, 0
	s_branch .LBB471_17
.LBB471_13:                             ;   in Loop: Header=BB471_17 Depth=1
	s_or_b32 exec_lo, exec_lo, s31
	s_waitcnt vmcnt(3)
	v_fma_mix_f32 v5, v48, v52, v17 op_sel_hi:[0,1,0]
	s_waitcnt vmcnt(2)
	v_fma_mix_f32 v5, v49, v53, v5 op_sel_hi:[0,1,0]
	;; [unrolled: 2-line block ×4, first 2 shown]
.LBB471_14:                             ;   in Loop: Header=BB471_17 Depth=1
	s_or_b32 exec_lo, exec_lo, s30
	s_waitcnt vmcnt(3)
	v_fma_mix_f32 v5, v48, v44, v18 op_sel_hi:[0,1,0]
	s_waitcnt vmcnt(2)
	v_fma_mix_f32 v5, v49, v45, v5 op_sel_hi:[0,1,0]
	;; [unrolled: 2-line block ×4, first 2 shown]
.LBB471_15:                             ;   in Loop: Header=BB471_17 Depth=1
	s_or_b32 exec_lo, exec_lo, s3
	s_waitcnt vmcnt(3)
	v_fma_mix_f32 v5, v36, v40, v19 op_sel_hi:[1,1,0]
	s_waitcnt vmcnt(2)
	v_fma_mix_f32 v5, v37, v41, v5 op_sel_hi:[1,1,0]
	;; [unrolled: 2-line block ×4, first 2 shown]
.LBB471_16:                             ;   in Loop: Header=BB471_17 Depth=1
	s_or_b32 exec_lo, exec_lo, s4
	v_add_co_u32 v20, s3, v20, s16
	v_add_co_ci_u32_e64 v21, null, s17, v21, s3
	v_add_co_u32 v22, s3, v22, s18
	v_add_co_ci_u32_e64 v23, null, s19, v23, s3
	;; [unrolled: 2-line block ×4, first 2 shown]
	v_add_co_u32 v28, s3, v28, s18
	v_add_nc_u32_e32 v15, 16, v15
	v_add_co_ci_u32_e64 v29, null, s19, v29, s3
	v_add_co_u32 v30, s3, v30, s16
	v_add_co_ci_u32_e64 v31, null, s17, v31, s3
	v_add_co_u32 v32, s3, v32, s16
	v_add_co_ci_u32_e64 v33, null, s17, v33, s3
	v_cmp_le_i32_e64 s3, s27, v15
	v_add_co_u32 v34, s4, v34, s18
	v_add_co_ci_u32_e64 v35, null, s19, v35, s4
	s_or_b32 s29, s3, s29
	s_andn2_b32 exec_lo, exec_lo, s29
	s_cbranch_execz .LBB471_22
.LBB471_17:                             ; =>This Inner Loop Header: Depth=1
	s_and_saveexec_b32 s4, vcc_lo
	s_cbranch_execz .LBB471_16
; %bb.18:                               ;   in Loop: Header=BB471_17 Depth=1
	v_add_co_u32 v5, s3, v20, s6
	v_add_co_ci_u32_e64 v6, null, s7, v21, s3
	v_add_co_u32 v7, s3, v32, s6
	v_add_co_ci_u32_e64 v8, null, s7, v33, s3
	;; [unrolled: 2-line block ×3, first 2 shown]
	v_add_co_u32 v39, s3, v24, s6
	global_load_ushort v36, v[5:6], off
	global_load_ushort v37, v[7:8], off
	;; [unrolled: 1-line block ×3, first 2 shown]
	v_add_co_ci_u32_e64 v40, null, s7, v25, s3
	v_add_co_u32 v5, s3, v26, v3
	v_add_co_ci_u32_e64 v6, null, v27, v4, s3
	v_add_co_u32 v7, s3, v34, v3
	;; [unrolled: 2-line block ×4, first 2 shown]
	v_add_co_ci_u32_e64 v12, null, v23, v4, s3
	global_load_ushort v39, v[39:40], off
	global_load_ushort v40, v[5:6], off
	;; [unrolled: 1-line block ×5, first 2 shown]
	s_and_saveexec_b32 s3, s0
	s_cbranch_execz .LBB471_15
; %bb.19:                               ;   in Loop: Header=BB471_17 Depth=1
	global_load_ushort v44, v[5:6], off offset:128
	global_load_ushort v45, v[7:8], off offset:128
	;; [unrolled: 1-line block ×4, first 2 shown]
	s_waitcnt vmcnt(11)
	v_cvt_f32_f16_e32 v48, v36
	s_waitcnt vmcnt(10)
	v_cvt_f32_f16_e32 v49, v37
	;; [unrolled: 2-line block ×4, first 2 shown]
	s_and_saveexec_b32 s30, s1
	s_cbranch_execz .LBB471_14
; %bb.20:                               ;   in Loop: Header=BB471_17 Depth=1
	global_load_ushort v52, v[5:6], off offset:256
	global_load_ushort v53, v[7:8], off offset:256
	;; [unrolled: 1-line block ×4, first 2 shown]
	s_and_saveexec_b32 s31, s2
	s_cbranch_execz .LBB471_13
; %bb.21:                               ;   in Loop: Header=BB471_17 Depth=1
	global_load_ushort v5, v[5:6], off offset:384
	global_load_ushort v6, v[7:8], off offset:384
	;; [unrolled: 1-line block ×4, first 2 shown]
	s_waitcnt vmcnt(3)
	v_fma_mix_f32 v5, v48, v5, v16 op_sel_hi:[0,1,0]
	s_waitcnt vmcnt(2)
	v_fma_mix_f32 v5, v49, v6, v5 op_sel_hi:[0,1,0]
	;; [unrolled: 2-line block ×4, first 2 shown]
	s_branch .LBB471_13
.LBB471_22:
	s_or_b32 exec_lo, exec_lo, s29
.LBB471_23:
	s_or_b32 exec_lo, exec_lo, s28
	s_sub_i32 s0, s13, s27
	s_cmp_lt_i32 s0, 1
	s_cbranch_scc1 .LBB471_41
; %bb.24:
	v_cmp_gt_i32_e32 vcc_lo, s13, v15
	v_mov_b32_e32 v11, 0
	v_or_b32_e32 v4, 1, v15
	v_mov_b32_e32 v12, 0
	v_mov_b32_e32 v20, 0
	;; [unrolled: 1-line block ×3, first 2 shown]
	s_and_saveexec_b32 s1, vcc_lo
	s_cbranch_execz .LBB471_32
; %bb.25:
	v_mad_u64_u32 v[5:6], null, s8, v15, 0
	s_lshl_b64 s[2:3], s[10:11], 1
	v_mov_b32_e32 v20, 0
	s_add_u32 s0, s48, s2
	s_addc_u32 s2, s49, s3
	s_lshl_b64 s[6:7], s[50:51], 1
	v_mov_b32_e32 v12, 0
	v_mov_b32_e32 v3, v6
	s_add_u32 s3, s0, s6
	s_addc_u32 s4, s2, s7
	v_mov_b32_e32 v11, 0
	s_mov_b32 s2, exec_lo
	v_mad_u64_u32 v[6:7], null, s9, v15, v[3:4]
	v_lshlrev_b64 v[5:6], 1, v[5:6]
	v_add_co_u32 v5, s0, s3, v5
	v_add_co_ci_u32_e64 v6, null, s4, v6, s0
	global_load_ushort v3, v[5:6], off
	v_cmpx_gt_i32_e64 s13, v4
	s_cbranch_execz .LBB471_31
; %bb.26:
	v_mad_u64_u32 v[5:6], null, s8, v4, 0
	v_mov_b32_e32 v12, 0
	v_mov_b32_e32 v11, 0
	s_mov_b32 s6, exec_lo
	v_mad_u64_u32 v[6:7], null, s9, v4, v[6:7]
	v_lshlrev_b64 v[5:6], 1, v[5:6]
	v_add_co_u32 v5, s0, s3, v5
	v_add_co_ci_u32_e64 v6, null, s4, v6, s0
	global_load_ushort v5, v[5:6], off
	v_or_b32_e32 v6, 2, v15
	v_cmpx_gt_i32_e64 s13, v6
	s_cbranch_execz .LBB471_30
; %bb.27:
	v_mad_u64_u32 v[7:8], null, s8, v6, 0
	v_mov_b32_e32 v11, 0
	s_mov_b32 s7, exec_lo
	v_mad_u64_u32 v[8:9], null, s9, v6, v[8:9]
	v_lshlrev_b64 v[6:7], 1, v[7:8]
	v_add_co_u32 v6, s0, s3, v6
	v_add_co_ci_u32_e64 v7, null, s4, v7, s0
	global_load_ushort v6, v[6:7], off
	v_or_b32_e32 v7, 3, v15
	v_cmpx_gt_i32_e64 s13, v7
	s_cbranch_execz .LBB471_29
; %bb.28:
	v_mad_u64_u32 v[8:9], null, s8, v7, 0
	v_mad_u64_u32 v[9:10], null, s9, v7, v[9:10]
	v_lshlrev_b64 v[7:8], 1, v[8:9]
	v_add_co_u32 v7, s0, s3, v7
	v_add_co_ci_u32_e64 v8, null, s4, v8, s0
	global_load_ushort v7, v[7:8], off
	s_waitcnt vmcnt(0)
	v_cvt_f32_f16_e32 v11, v7
.LBB471_29:
	s_or_b32 exec_lo, exec_lo, s7
	s_waitcnt vmcnt(0)
	v_cvt_f32_f16_e32 v12, v6
.LBB471_30:
	s_or_b32 exec_lo, exec_lo, s6
	s_waitcnt vmcnt(0)
	v_cvt_f32_f16_e32 v20, v5
.LBB471_31:
	s_or_b32 exec_lo, exec_lo, s2
	s_waitcnt vmcnt(0)
	v_cvt_f32_f16_e32 v21, v3
.LBB471_32:
	s_or_b32 exec_lo, exec_lo, s1
	s_mov_b32 s1, exec_lo
	v_cmpx_gt_i32_e64 s12, v2
	s_cbranch_execz .LBB471_40
; %bb.33:
	v_mad_u64_u32 v[5:6], null, s44, v15, 0
	v_mad_u64_u32 v[7:8], null, s44, v4, 0
	v_ashrrev_i32_e32 v3, 31, v2
	v_or_b32_e32 v29, 2, v15
	s_lshl_b64 s[2:3], s[14:15], 1
	s_add_u32 s0, s40, s2
	v_lshlrev_b64 v[22:23], 1, v[2:3]
	v_mad_u64_u32 v[9:10], null, s45, v15, v[6:7]
	v_mov_b32_e32 v3, v8
	v_cndmask_b32_e32 v5, 0, v5, vcc_lo
	v_or_b32_e32 v15, 3, v15
	v_mad_u64_u32 v[24:25], null, s44, v29, 0
	v_mad_u64_u32 v[26:27], null, s45, v4, v[3:4]
	v_cndmask_b32_e32 v6, 0, v9, vcc_lo
	v_cmp_gt_i32_e32 vcc_lo, s13, v4
	s_addc_u32 s4, s41, s3
	s_lshl_b64 s[2:3], s[42:43], 1
	v_mad_u64_u32 v[8:9], null, s44, v15, 0
	v_lshlrev_b64 v[5:6], 1, v[5:6]
	v_cndmask_b32_e32 v27, 0, v7, vcc_lo
	v_cndmask_b32_e32 v28, 0, v26, vcc_lo
	s_add_u32 s2, s0, s2
	v_mov_b32_e32 v7, v25
	s_addc_u32 s3, s4, s3
	v_add_co_u32 v3, s0, s2, v5
	v_add_co_ci_u32_e64 v4, null, s3, v6, s0
	v_lshlrev_b64 v[5:6], 1, v[27:28]
	v_mad_u64_u32 v[25:26], null, s45, v29, v[7:8]
	v_add_co_u32 v3, vcc_lo, v3, v22
	v_add_co_ci_u32_e64 v4, null, v4, v23, vcc_lo
	v_cmp_gt_i32_e32 vcc_lo, s13, v29
	v_mov_b32_e32 v7, v9
	v_add_co_u32 v5, s0, s2, v5
	v_add_co_ci_u32_e64 v6, null, s3, v6, s0
	v_cndmask_b32_e32 v9, 0, v24, vcc_lo
	v_cndmask_b32_e32 v10, 0, v25, vcc_lo
	v_mad_u64_u32 v[24:25], null, s45, v15, v[7:8]
	v_add_co_u32 v5, vcc_lo, v5, v22
	v_add_co_ci_u32_e64 v6, null, v6, v23, vcc_lo
	v_cmp_gt_i32_e32 vcc_lo, s13, v15
	v_lshlrev_b64 v[9:10], 1, v[9:10]
	s_clause 0x1
	global_load_ushort v25, v[3:4], off
	global_load_ushort v26, v[5:6], off
	s_mov_b32 s0, exec_lo
	v_cndmask_b32_e32 v7, 0, v8, vcc_lo
	v_cndmask_b32_e32 v8, 0, v24, vcc_lo
	v_add_co_u32 v15, vcc_lo, s2, v9
	v_add_co_ci_u32_e64 v24, null, s3, v10, vcc_lo
	v_lshlrev_b64 v[9:10], 1, v[7:8]
	v_add_co_u32 v7, vcc_lo, v15, v22
	v_add_co_ci_u32_e64 v8, null, v24, v23, vcc_lo
	v_add_co_u32 v9, vcc_lo, s2, v9
	v_add_co_ci_u32_e64 v10, null, s3, v10, vcc_lo
	global_load_ushort v24, v[7:8], off
	v_add_co_u32 v9, vcc_lo, v9, v22
	v_add_co_ci_u32_e64 v10, null, v10, v23, vcc_lo
	v_add_nc_u32_e32 v22, 64, v2
	global_load_ushort v15, v[9:10], off
	s_waitcnt vmcnt(3)
	v_fma_mix_f32 v19, v21, v25, v19 op_sel_hi:[0,1,0]
	s_waitcnt vmcnt(2)
	v_fma_mix_f32 v19, v20, v26, v19 op_sel_hi:[0,1,0]
	;; [unrolled: 2-line block ×3, first 2 shown]
	v_cmpx_gt_i32_e64 s12, v22
	s_cbranch_execz .LBB471_39
; %bb.34:
	s_clause 0x3
	global_load_ushort v23, v[3:4], off offset:128
	global_load_ushort v24, v[5:6], off offset:128
	;; [unrolled: 1-line block ×4, first 2 shown]
	s_mov_b32 s2, exec_lo
	s_waitcnt vmcnt(3)
	v_fma_mix_f32 v18, v21, v23, v18 op_sel_hi:[0,1,0]
	v_add_nc_u32_e32 v23, 0x80, v2
	s_waitcnt vmcnt(2)
	v_fma_mix_f32 v18, v20, v24, v18 op_sel_hi:[0,1,0]
	s_waitcnt vmcnt(1)
	v_fma_mix_f32 v18, v12, v25, v18 op_sel_hi:[0,1,0]
	v_cmpx_gt_i32_e64 s12, v23
	s_cbranch_execz .LBB471_38
; %bb.35:
	s_clause 0x3
	global_load_ushort v24, v[3:4], off offset:256
	global_load_ushort v25, v[5:6], off offset:256
	;; [unrolled: 1-line block ×4, first 2 shown]
	s_mov_b32 s3, exec_lo
	s_waitcnt vmcnt(3)
	v_fma_mix_f32 v17, v21, v24, v17 op_sel_hi:[0,1,0]
	v_add_nc_u32_e32 v24, 0xc0, v2
	s_waitcnt vmcnt(2)
	v_fma_mix_f32 v17, v20, v25, v17 op_sel_hi:[0,1,0]
	s_waitcnt vmcnt(1)
	v_fma_mix_f32 v2, v12, v26, v17 op_sel_hi:[0,1,0]
	v_cmpx_gt_i32_e64 s12, v24
	s_cbranch_execz .LBB471_37
; %bb.36:
	s_clause 0x3
	global_load_ushort v3, v[3:4], off offset:384
	global_load_ushort v4, v[5:6], off offset:384
	;; [unrolled: 1-line block ×4, first 2 shown]
	s_waitcnt vmcnt(3)
	v_fma_mix_f32 v3, v21, v3, v16 op_sel_hi:[0,1,0]
	s_waitcnt vmcnt(2)
	v_fma_mix_f32 v3, v20, v4, v3 op_sel_hi:[0,1,0]
	;; [unrolled: 2-line block ×4, first 2 shown]
.LBB471_37:
	s_or_b32 exec_lo, exec_lo, s3
	s_waitcnt vmcnt(0)
	v_fma_mix_f32 v17, v11, v23, v2 op_sel_hi:[0,1,0]
.LBB471_38:
	s_or_b32 exec_lo, exec_lo, s2
	s_waitcnt vmcnt(0)
	v_fma_mix_f32 v18, v11, v22, v18 op_sel_hi:[0,1,0]
.LBB471_39:
	s_or_b32 exec_lo, exec_lo, s0
	s_waitcnt vmcnt(0)
	v_fma_mix_f32 v19, v11, v15, v19 op_sel_hi:[0,1,0]
.LBB471_40:
	s_or_b32 exec_lo, exec_lo, s1
.LBB471_41:
	v_lshlrev_b32_e32 v0, 2, v0
	s_mov_b32 s0, exec_lo
                                        ; implicit-def: $vgpr3
                                        ; implicit-def: $vgpr4_vgpr5
	v_lshl_or_b32 v1, v1, 10, v0
	ds_write2st64_b32 v1, v19, v18 offset1:1
	ds_write2st64_b32 v1, v17, v16 offset0:2 offset1:3
	s_waitcnt lgkmcnt(0)
	s_barrier
	buffer_gl0_inv
	v_cmpx_gt_u32_e32 0x100, v13
	s_cbranch_execz .LBB471_47
; %bb.42:
	v_lshl_add_u32 v4, v14, 2, v0
	s_mov_b32 s2, s26
	s_mov_b32 s1, exec_lo
	ds_read2st64_b32 v[0:1], v4 offset1:4
	ds_read2st64_b32 v[2:3], v4 offset0:8 offset1:12
	s_waitcnt lgkmcnt(1)
	v_add_f32_e32 v0, v0, v1
	v_or_b32_e32 v1, s23, v13
	s_waitcnt lgkmcnt(0)
	v_add_f32_e32 v0, v2, v0
	v_add_f32_e32 v0, v3, v0
                                        ; implicit-def: $vgpr3
	ds_write_b32 v4, v0
                                        ; implicit-def: $vgpr4_vgpr5
	v_cmpx_gt_i32_e64 s12, v1
	s_cbranch_execz .LBB471_46
; %bb.43:
	v_ashrrev_i32_e32 v2, 31, v1
	v_mul_lo_u32 v6, s21, v1
	v_mad_u64_u32 v[4:5], null, s20, v1, 0
	v_cmp_eq_f32_e64 s2, s24, 0
	v_mul_lo_u32 v1, s20, v2
	v_mul_f32_e32 v3, s25, v0
	s_and_b32 vcc_lo, exec_lo, s2
	v_add3_u32 v5, v5, v1, v6
	s_cbranch_vccnz .LBB471_45
; %bb.44:
	v_lshlrev_b64 v[0:1], 2, v[4:5]
	v_add_co_u32 v0, vcc_lo, s5, v0
	v_add_co_ci_u32_e64 v1, null, s22, v1, vcc_lo
	global_load_dword v0, v[0:1], off
	s_waitcnt vmcnt(0)
	v_fmac_f32_e32 v3, s24, v0
.LBB471_45:
	s_or_b32 s2, s26, exec_lo
.LBB471_46:
	s_or_b32 exec_lo, exec_lo, s1
	s_andn2_b32 s1, s26, exec_lo
	s_and_b32 s2, s2, exec_lo
	s_or_b32 s26, s1, s2
.LBB471_47:
	s_or_b32 exec_lo, exec_lo, s0
.LBB471_48:
	s_and_saveexec_b32 s0, s26
	s_cbranch_execz .LBB471_50
; %bb.49:
	v_lshlrev_b64 v[0:1], 2, v[4:5]
	v_add_co_u32 v0, vcc_lo, s5, v0
	v_add_co_ci_u32_e64 v1, null, s22, v1, vcc_lo
	global_store_dword v[0:1], v3, off
.LBB471_50:
	s_endpgm
	.section	.rodata,"a",@progbits
	.p2align	6, 0x0
	.amdhsa_kernel _ZL20rocblas_gemvn_kernelILi64ELi4ElDF16_PKffEviiT3_lPKT2_lT1_lS5_lS6_lS2_lPT4_lS6_li
		.amdhsa_group_segment_fixed_size 4096
		.amdhsa_private_segment_fixed_size 0
		.amdhsa_kernarg_size 400
		.amdhsa_user_sgpr_count 6
		.amdhsa_user_sgpr_private_segment_buffer 1
		.amdhsa_user_sgpr_dispatch_ptr 0
		.amdhsa_user_sgpr_queue_ptr 0
		.amdhsa_user_sgpr_kernarg_segment_ptr 1
		.amdhsa_user_sgpr_dispatch_id 0
		.amdhsa_user_sgpr_flat_scratch_init 0
		.amdhsa_user_sgpr_private_segment_size 0
		.amdhsa_wavefront_size32 1
		.amdhsa_uses_dynamic_stack 0
		.amdhsa_system_sgpr_private_segment_wavefront_offset 0
		.amdhsa_system_sgpr_workgroup_id_x 1
		.amdhsa_system_sgpr_workgroup_id_y 0
		.amdhsa_system_sgpr_workgroup_id_z 1
		.amdhsa_system_sgpr_workgroup_info 0
		.amdhsa_system_vgpr_workitem_id 1
		.amdhsa_next_free_vgpr 56
		.amdhsa_next_free_sgpr 52
		.amdhsa_reserve_vcc 1
		.amdhsa_reserve_flat_scratch 0
		.amdhsa_float_round_mode_32 0
		.amdhsa_float_round_mode_16_64 0
		.amdhsa_float_denorm_mode_32 3
		.amdhsa_float_denorm_mode_16_64 3
		.amdhsa_dx10_clamp 1
		.amdhsa_ieee_mode 1
		.amdhsa_fp16_overflow 0
		.amdhsa_workgroup_processor_mode 1
		.amdhsa_memory_ordered 1
		.amdhsa_forward_progress 1
		.amdhsa_shared_vgpr_count 0
		.amdhsa_exception_fp_ieee_invalid_op 0
		.amdhsa_exception_fp_denorm_src 0
		.amdhsa_exception_fp_ieee_div_zero 0
		.amdhsa_exception_fp_ieee_overflow 0
		.amdhsa_exception_fp_ieee_underflow 0
		.amdhsa_exception_fp_ieee_inexact 0
		.amdhsa_exception_int_div_zero 0
	.end_amdhsa_kernel
	.section	.text._ZL20rocblas_gemvn_kernelILi64ELi4ElDF16_PKffEviiT3_lPKT2_lT1_lS5_lS6_lS2_lPT4_lS6_li,"axG",@progbits,_ZL20rocblas_gemvn_kernelILi64ELi4ElDF16_PKffEviiT3_lPKT2_lT1_lS5_lS6_lS2_lPT4_lS6_li,comdat
.Lfunc_end471:
	.size	_ZL20rocblas_gemvn_kernelILi64ELi4ElDF16_PKffEviiT3_lPKT2_lT1_lS5_lS6_lS2_lPT4_lS6_li, .Lfunc_end471-_ZL20rocblas_gemvn_kernelILi64ELi4ElDF16_PKffEviiT3_lPKT2_lT1_lS5_lS6_lS2_lPT4_lS6_li
                                        ; -- End function
	.set _ZL20rocblas_gemvn_kernelILi64ELi4ElDF16_PKffEviiT3_lPKT2_lT1_lS5_lS6_lS2_lPT4_lS6_li.num_vgpr, 56
	.set _ZL20rocblas_gemvn_kernelILi64ELi4ElDF16_PKffEviiT3_lPKT2_lT1_lS5_lS6_lS2_lPT4_lS6_li.num_agpr, 0
	.set _ZL20rocblas_gemvn_kernelILi64ELi4ElDF16_PKffEviiT3_lPKT2_lT1_lS5_lS6_lS2_lPT4_lS6_li.numbered_sgpr, 52
	.set _ZL20rocblas_gemvn_kernelILi64ELi4ElDF16_PKffEviiT3_lPKT2_lT1_lS5_lS6_lS2_lPT4_lS6_li.num_named_barrier, 0
	.set _ZL20rocblas_gemvn_kernelILi64ELi4ElDF16_PKffEviiT3_lPKT2_lT1_lS5_lS6_lS2_lPT4_lS6_li.private_seg_size, 0
	.set _ZL20rocblas_gemvn_kernelILi64ELi4ElDF16_PKffEviiT3_lPKT2_lT1_lS5_lS6_lS2_lPT4_lS6_li.uses_vcc, 1
	.set _ZL20rocblas_gemvn_kernelILi64ELi4ElDF16_PKffEviiT3_lPKT2_lT1_lS5_lS6_lS2_lPT4_lS6_li.uses_flat_scratch, 0
	.set _ZL20rocblas_gemvn_kernelILi64ELi4ElDF16_PKffEviiT3_lPKT2_lT1_lS5_lS6_lS2_lPT4_lS6_li.has_dyn_sized_stack, 0
	.set _ZL20rocblas_gemvn_kernelILi64ELi4ElDF16_PKffEviiT3_lPKT2_lT1_lS5_lS6_lS2_lPT4_lS6_li.has_recursion, 0
	.set _ZL20rocblas_gemvn_kernelILi64ELi4ElDF16_PKffEviiT3_lPKT2_lT1_lS5_lS6_lS2_lPT4_lS6_li.has_indirect_call, 0
	.section	.AMDGPU.csdata,"",@progbits
; Kernel info:
; codeLenInByte = 3228
; TotalNumSgprs: 54
; NumVgprs: 56
; ScratchSize: 0
; MemoryBound: 0
; FloatMode: 240
; IeeeMode: 1
; LDSByteSize: 4096 bytes/workgroup (compile time only)
; SGPRBlocks: 0
; VGPRBlocks: 6
; NumSGPRsForWavesPerEU: 54
; NumVGPRsForWavesPerEU: 56
; Occupancy: 16
; WaveLimiterHint : 0
; COMPUTE_PGM_RSRC2:SCRATCH_EN: 0
; COMPUTE_PGM_RSRC2:USER_SGPR: 6
; COMPUTE_PGM_RSRC2:TRAP_HANDLER: 0
; COMPUTE_PGM_RSRC2:TGID_X_EN: 1
; COMPUTE_PGM_RSRC2:TGID_Y_EN: 0
; COMPUTE_PGM_RSRC2:TGID_Z_EN: 1
; COMPUTE_PGM_RSRC2:TIDIG_COMP_CNT: 1
	.section	.text._ZL20rocblas_gemvn_kernelILi64ELi4EiDF16_ffEviiT3_lPKT2_lT1_lS3_lS4_lS0_lPT4_lS4_li,"axG",@progbits,_ZL20rocblas_gemvn_kernelILi64ELi4EiDF16_ffEviiT3_lPKT2_lT1_lS3_lS4_lS0_lPT4_lS4_li,comdat
	.globl	_ZL20rocblas_gemvn_kernelILi64ELi4EiDF16_ffEviiT3_lPKT2_lT1_lS3_lS4_lS0_lPT4_lS4_li ; -- Begin function _ZL20rocblas_gemvn_kernelILi64ELi4EiDF16_ffEviiT3_lPKT2_lT1_lS3_lS4_lS0_lPT4_lS4_li
	.p2align	8
	.type	_ZL20rocblas_gemvn_kernelILi64ELi4EiDF16_ffEviiT3_lPKT2_lT1_lS3_lS4_lS0_lPT4_lS4_li,@function
_ZL20rocblas_gemvn_kernelILi64ELi4EiDF16_ffEviiT3_lPKT2_lT1_lS3_lS4_lS0_lPT4_lS4_li: ; @_ZL20rocblas_gemvn_kernelILi64ELi4EiDF16_ffEviiT3_lPKT2_lT1_lS3_lS4_lS0_lPT4_lS4_li
; %bb.0:
	s_load_dwordx2 s[0:1], s[4:5], 0x9c
	s_waitcnt lgkmcnt(0)
	s_lshr_b32 s2, s0, 16
	s_and_b32 s0, s0, 0xffff
	s_and_b32 s1, s1, 0xffff
	s_mul_i32 s0, s2, s0
	s_mul_i32 s0, s0, s1
	s_cmpk_lg_i32 s0, 0x100
	s_cbranch_scc1 .LBB472_50
; %bb.1:
	s_clause 0x1
	s_load_dwordx4 s[8:11], s[4:5], 0x0
	s_load_dword s13, s[4:5], 0x58
	s_mov_b32 s14, 0
	s_waitcnt lgkmcnt(0)
	v_cmp_eq_f32_e64 s0, s10, 0
	v_cmp_eq_f32_e64 s1, s13, 1.0
	s_and_b32 s0, s0, s1
	s_and_b32 vcc_lo, exec_lo, s0
	s_cbranch_vccnz .LBB472_50
; %bb.2:
	s_clause 0x2
	s_load_dwordx2 s[16:17], s[4:5], 0x80
	s_load_dwordx4 s[0:3], s[4:5], 0x68
	s_load_dword s15, s[4:5], 0x78
	v_lshlrev_b32_e32 v13, 6, v1
	v_cmp_neq_f32_e64 s18, s10, 0
	v_add_nc_u32_e32 v14, v13, v0
	s_waitcnt lgkmcnt(0)
	s_mul_i32 s11, s17, s7
	s_mul_hi_u32 s12, s16, s7
	s_mul_i32 s16, s16, s7
	s_add_i32 s17, s12, s11
	s_lshl_b64 s[16:17], s[16:17], 2
	s_add_u32 s11, s0, s16
	s_addc_u32 s12, s1, s17
	s_lshl_b64 s[0:1], s[2:3], 2
	s_add_u32 s11, s11, s0
	v_cmp_gt_u32_e64 s0, 0x100, v14
	s_addc_u32 s12, s12, s1
	s_and_b32 vcc_lo, exec_lo, s18
	s_cbranch_vccnz .LBB472_9
; %bb.3:
	s_mov_b32 s1, 0
                                        ; implicit-def: $vgpr3
                                        ; implicit-def: $vgpr4_vgpr5
	s_and_saveexec_b32 s2, s0
	s_cbranch_execz .LBB472_10
; %bb.4:
	v_lshl_or_b32 v2, s6, 8, v14
	v_mov_b32_e32 v3, 0
	s_ashr_i32 s17, s8, 31
	s_mov_b32 s16, s8
	s_mov_b32 s3, 0
	s_mov_b32 s0, exec_lo
                                        ; implicit-def: $vgpr4_vgpr5
	v_cmpx_gt_i64_e64 s[16:17], v[2:3]
	s_cbranch_execz .LBB472_8
; %bb.5:
	v_mad_u64_u32 v[4:5], null, s15, v2, 0
	s_ashr_i32 s3, s15, 31
	v_mad_u64_u32 v[5:6], null, s3, v2, v[5:6]
	v_cmp_eq_f32_e64 s3, s13, 0
	s_and_b32 vcc_lo, exec_lo, s3
	s_cbranch_vccnz .LBB472_7
; %bb.6:
	v_lshlrev_b64 v[2:3], 2, v[4:5]
	v_add_co_u32 v2, vcc_lo, s11, v2
	v_add_co_ci_u32_e64 v3, null, s12, v3, vcc_lo
	global_load_dword v2, v[2:3], off
	s_waitcnt vmcnt(0)
	v_mul_f32_e32 v3, s13, v2
.LBB472_7:
	s_mov_b32 s3, exec_lo
.LBB472_8:
	s_or_b32 exec_lo, exec_lo, s0
	s_and_b32 s14, s3, exec_lo
	s_or_b32 exec_lo, exec_lo, s2
	s_and_b32 vcc_lo, exec_lo, s1
	s_cbranch_vccnz .LBB472_11
	s_branch .LBB472_48
.LBB472_9:
                                        ; implicit-def: $vgpr3
                                        ; implicit-def: $vgpr4_vgpr5
	s_cbranch_execnz .LBB472_11
	s_branch .LBB472_48
.LBB472_10:
	s_or_b32 exec_lo, exec_lo, s2
	s_and_b32 vcc_lo, exec_lo, s1
	s_cbranch_vccz .LBB472_48
.LBB472_11:
	s_clause 0x5
	s_load_dwordx4 s[0:3], s[4:5], 0x30
	s_load_dwordx2 s[18:19], s[4:5], 0x50
	s_load_dwordx4 s[20:23], s[4:5], 0x18
	s_load_dword s17, s[4:5], 0x28
	s_load_dwordx2 s[24:25], s[4:5], 0x40
	s_load_dword s4, s[4:5], 0x48
	v_lshlrev_b32_e32 v20, 2, v1
	v_mov_b32_e32 v19, 0
	v_mov_b32_e32 v18, 0
	;; [unrolled: 1-line block ×4, first 2 shown]
	s_waitcnt lgkmcnt(0)
	s_mul_i32 s1, s1, s7
	s_mul_hi_u32 s16, s0, s7
	s_mul_i32 s0, s0, s7
	s_add_i32 s1, s16, s1
	s_mul_i32 s19, s19, s7
	s_lshl_b64 s[0:1], s[0:1], 1
	s_mul_hi_u32 s26, s18, s7
	s_add_u32 s16, s20, s0
	s_addc_u32 s20, s21, s1
	s_lshl_b64 s[0:1], s[22:23], 1
	s_mul_i32 s18, s18, s7
	s_add_u32 s7, s16, s0
	s_addc_u32 s16, s20, s1
	s_add_i32 s19, s26, s19
	s_mov_b32 s20, exec_lo
	s_lshl_b64 s[0:1], s[18:19], 1
	s_add_u32 s2, s2, s0
	s_addc_u32 s3, s3, s1
	s_lshl_b64 s[0:1], s[24:25], 1
	s_add_u32 s18, s2, s0
	s_addc_u32 s19, s3, s1
	s_ashr_i32 s0, s9, 31
	s_lshl_b32 s5, s6, 8
	s_lshr_b32 s0, s0, 28
	v_or_b32_e32 v17, s5, v0
	s_add_i32 s0, s9, s0
	s_and_b32 s6, s0, -16
	v_cmpx_gt_i32_e64 s6, v20
	s_cbranch_execz .LBB472_23
; %bb.12:
	v_add_nc_u32_e32 v5, 0xc0, v17
	v_mul_lo_u32 v3, s17, v20
	v_add_nc_u32_e32 v2, 64, v17
	v_add_nc_u32_e32 v6, 2, v20
	;; [unrolled: 1-line block ×3, first 2 shown]
	v_cmp_gt_i32_e64 s2, s8, v5
	v_mul_lo_u32 v5, v1, s17
	v_add_nc_u32_e32 v7, 3, v20
	v_mul_lo_u32 v8, v1, s4
	v_cmp_gt_i32_e64 s0, s8, v2
	v_add3_u32 v21, v3, s17, v0
	v_mad_u64_u32 v[2:3], null, s17, v6, v[0:1]
	v_cmp_gt_i32_e64 s1, s8, v4
	v_mad_u64_u32 v[3:4], null, s17, v7, v[0:1]
	v_lshl_add_u32 v22, v5, 2, v0
	v_mad_u64_u32 v[4:5], null, s4, v20, s[4:5]
	v_mul_lo_u32 v23, s4, v6
	v_mul_lo_u32 v24, s4, v7
	v_lshlrev_b32_e32 v25, 2, v8
	v_mov_b32_e32 v19, 0
	v_mov_b32_e32 v18, 0
	;; [unrolled: 1-line block ×4, first 2 shown]
	s_lshl_b32 s21, s17, 4
	s_lshl_b32 s23, s4, 4
	s_mov_b32 s22, 0
	s_mov_b32 s24, 0
	v_cmp_gt_i32_e32 vcc_lo, s8, v17
	s_branch .LBB472_17
.LBB472_13:                             ;   in Loop: Header=BB472_17 Depth=1
	s_or_b32 exec_lo, exec_lo, s27
	s_waitcnt vmcnt(3)
	v_fma_mix_f32 v5, v38, v42, v16 op_sel_hi:[0,1,0]
	s_waitcnt vmcnt(2)
	v_fma_mix_f32 v5, v39, v43, v5 op_sel_hi:[0,1,0]
	s_waitcnt vmcnt(1)
	v_fma_mix_f32 v5, v40, v44, v5 op_sel_hi:[0,1,0]
	s_waitcnt vmcnt(0)
	v_fma_mix_f32 v16, v41, v45, v5 op_sel_hi:[0,1,0]
.LBB472_14:                             ;   in Loop: Header=BB472_17 Depth=1
	s_or_b32 exec_lo, exec_lo, s26
	s_waitcnt vmcnt(3)
	v_fma_mix_f32 v5, v38, v34, v18 op_sel_hi:[0,1,0]
	s_waitcnt vmcnt(2)
	v_fma_mix_f32 v5, v39, v35, v5 op_sel_hi:[0,1,0]
	;; [unrolled: 2-line block ×4, first 2 shown]
.LBB472_15:                             ;   in Loop: Header=BB472_17 Depth=1
	s_or_b32 exec_lo, exec_lo, s3
	s_waitcnt vmcnt(3)
	v_fma_mix_f32 v5, v26, v30, v19 op_sel_hi:[1,1,0]
	s_waitcnt vmcnt(2)
	v_fma_mix_f32 v5, v27, v31, v5 op_sel_hi:[1,1,0]
	;; [unrolled: 2-line block ×4, first 2 shown]
.LBB472_16:                             ;   in Loop: Header=BB472_17 Depth=1
	s_or_b32 exec_lo, exec_lo, s25
	v_add_nc_u32_e32 v20, 16, v20
	v_add_nc_u32_e32 v21, s21, v21
	;; [unrolled: 1-line block ×5, first 2 shown]
	v_cmp_le_i32_e64 s3, s6, v20
	s_add_i32 s24, s24, s23
	s_or_b32 s22, s3, s22
	s_andn2_b32 exec_lo, exec_lo, s22
	s_cbranch_execz .LBB472_22
.LBB472_17:                             ; =>This Inner Loop Header: Depth=1
	s_and_saveexec_b32 s25, vcc_lo
	s_cbranch_execz .LBB472_16
; %bb.18:                               ;   in Loop: Header=BB472_17 Depth=1
	v_add_nc_u32_e32 v5, s24, v25
	v_add_nc_u32_e32 v7, s24, v4
	v_add_nc_u32_e32 v9, s24, v23
	v_add_nc_u32_e32 v11, s24, v24
	v_add_nc_u32_e32 v26, s5, v22
	v_ashrrev_i32_e32 v6, 31, v5
	v_ashrrev_i32_e32 v8, 31, v7
	;; [unrolled: 1-line block ×5, first 2 shown]
	v_lshlrev_b64 v[5:6], 1, v[5:6]
	v_lshlrev_b64 v[7:8], 1, v[7:8]
	;; [unrolled: 1-line block ×3, first 2 shown]
	v_add_co_u32 v28, s3, s18, v5
	v_add_co_ci_u32_e64 v29, null, s19, v6, s3
	v_add_co_u32 v30, s3, s18, v7
	v_add_nc_u32_e32 v7, s5, v21
	v_add_co_ci_u32_e64 v31, null, s19, v8, s3
	v_lshlrev_b64 v[5:6], 1, v[11:12]
	v_add_co_u32 v32, s3, s18, v9
	v_add_nc_u32_e32 v11, s5, v2
	v_add_co_ci_u32_e64 v33, null, s19, v10, s3
	v_lshlrev_b64 v[9:10], 1, v[26:27]
	v_add_nc_u32_e32 v26, s5, v3
	v_ashrrev_i32_e32 v8, 31, v7
	v_ashrrev_i32_e32 v12, 31, v11
	v_add_co_u32 v34, s3, s18, v5
	v_ashrrev_i32_e32 v27, 31, v26
	v_add_co_ci_u32_e64 v35, null, s19, v6, s3
	v_lshlrev_b64 v[7:8], 1, v[7:8]
	v_add_co_u32 v5, s3, s7, v9
	v_add_co_ci_u32_e64 v6, null, s16, v10, s3
	v_lshlrev_b64 v[9:10], 1, v[11:12]
	v_lshlrev_b64 v[11:12], 1, v[26:27]
	v_add_co_u32 v7, s3, s7, v7
	v_add_co_ci_u32_e64 v8, null, s16, v8, s3
	v_add_co_u32 v9, s3, s7, v9
	v_add_co_ci_u32_e64 v10, null, s16, v10, s3
	;; [unrolled: 2-line block ×3, first 2 shown]
	s_clause 0x3
	global_load_ushort v26, v[28:29], off
	global_load_ushort v27, v[30:31], off
	;; [unrolled: 1-line block ×4, first 2 shown]
	s_clause 0x3
	global_load_ushort v30, v[5:6], off
	global_load_ushort v31, v[7:8], off
	;; [unrolled: 1-line block ×4, first 2 shown]
	s_and_saveexec_b32 s3, s0
	s_cbranch_execz .LBB472_15
; %bb.19:                               ;   in Loop: Header=BB472_17 Depth=1
	s_clause 0x3
	global_load_ushort v34, v[5:6], off offset:128
	global_load_ushort v35, v[7:8], off offset:128
	;; [unrolled: 1-line block ×4, first 2 shown]
	s_waitcnt vmcnt(11)
	v_cvt_f32_f16_e32 v38, v26
	s_waitcnt vmcnt(10)
	v_cvt_f32_f16_e32 v39, v27
	;; [unrolled: 2-line block ×4, first 2 shown]
	s_and_saveexec_b32 s26, s1
	s_cbranch_execz .LBB472_14
; %bb.20:                               ;   in Loop: Header=BB472_17 Depth=1
	s_clause 0x3
	global_load_ushort v42, v[5:6], off offset:256
	global_load_ushort v43, v[7:8], off offset:256
	;; [unrolled: 1-line block ×4, first 2 shown]
	s_and_saveexec_b32 s27, s2
	s_cbranch_execz .LBB472_13
; %bb.21:                               ;   in Loop: Header=BB472_17 Depth=1
	s_clause 0x3
	global_load_ushort v5, v[5:6], off offset:384
	global_load_ushort v6, v[7:8], off offset:384
	;; [unrolled: 1-line block ×4, first 2 shown]
	s_waitcnt vmcnt(3)
	v_fma_mix_f32 v5, v38, v5, v15 op_sel_hi:[0,1,0]
	s_waitcnt vmcnt(2)
	v_fma_mix_f32 v5, v39, v6, v5 op_sel_hi:[0,1,0]
	;; [unrolled: 2-line block ×4, first 2 shown]
	s_branch .LBB472_13
.LBB472_22:
	s_or_b32 exec_lo, exec_lo, s22
.LBB472_23:
	s_or_b32 exec_lo, exec_lo, s20
	s_sub_i32 s0, s9, s6
	s_cmp_lt_i32 s0, 1
	s_cbranch_scc1 .LBB472_41
; %bb.24:
	v_cmp_gt_i32_e32 vcc_lo, s9, v20
	v_mov_b32_e32 v10, 0
	v_or_b32_e32 v2, 1, v20
	v_mov_b32_e32 v11, 0
	v_mov_b32_e32 v12, 0
	;; [unrolled: 1-line block ×3, first 2 shown]
	s_and_saveexec_b32 s1, vcc_lo
	s_cbranch_execz .LBB472_32
; %bb.25:
	v_mul_lo_u32 v3, v20, s4
	v_mov_b32_e32 v12, 0
	v_mov_b32_e32 v11, 0
	v_mov_b32_e32 v10, 0
	s_mov_b32 s2, exec_lo
	v_ashrrev_i32_e32 v4, 31, v3
	v_lshlrev_b64 v[3:4], 1, v[3:4]
	v_add_co_u32 v3, s0, s18, v3
	v_add_co_ci_u32_e64 v4, null, s19, v4, s0
	global_load_ushort v3, v[3:4], off
	v_cmpx_gt_i32_e64 s9, v2
	s_cbranch_execz .LBB472_31
; %bb.26:
	v_mul_lo_u32 v4, v2, s4
	v_mov_b32_e32 v11, 0
	v_mov_b32_e32 v10, 0
	s_mov_b32 s3, exec_lo
	v_ashrrev_i32_e32 v5, 31, v4
	v_lshlrev_b64 v[4:5], 1, v[4:5]
	v_add_co_u32 v4, s0, s18, v4
	v_add_co_ci_u32_e64 v5, null, s19, v5, s0
	global_load_ushort v4, v[4:5], off
	v_or_b32_e32 v5, 2, v20
	v_cmpx_gt_i32_e64 s9, v5
	s_cbranch_execz .LBB472_30
; %bb.27:
	v_mul_lo_u32 v5, v5, s4
	v_mov_b32_e32 v10, 0
	s_mov_b32 s6, exec_lo
	v_ashrrev_i32_e32 v6, 31, v5
	v_lshlrev_b64 v[5:6], 1, v[5:6]
	v_add_co_u32 v5, s0, s18, v5
	v_add_co_ci_u32_e64 v6, null, s19, v6, s0
	global_load_ushort v5, v[5:6], off
	v_or_b32_e32 v6, 3, v20
	v_cmpx_gt_i32_e64 s9, v6
	s_cbranch_execz .LBB472_29
; %bb.28:
	v_mul_lo_u32 v6, v6, s4
	v_ashrrev_i32_e32 v7, 31, v6
	v_lshlrev_b64 v[6:7], 1, v[6:7]
	v_add_co_u32 v6, s0, s18, v6
	v_add_co_ci_u32_e64 v7, null, s19, v7, s0
	global_load_ushort v6, v[6:7], off
	s_waitcnt vmcnt(0)
	v_cvt_f32_f16_e32 v10, v6
.LBB472_29:
	s_or_b32 exec_lo, exec_lo, s6
	s_waitcnt vmcnt(0)
	v_cvt_f32_f16_e32 v11, v5
.LBB472_30:
	s_or_b32 exec_lo, exec_lo, s3
	s_waitcnt vmcnt(0)
	v_cvt_f32_f16_e32 v12, v4
.LBB472_31:
	s_or_b32 exec_lo, exec_lo, s2
	s_waitcnt vmcnt(0)
	v_cvt_f32_f16_e32 v21, v3
.LBB472_32:
	s_or_b32 exec_lo, exec_lo, s1
	s_mov_b32 s1, exec_lo
	v_cmpx_gt_i32_e64 s8, v17
	s_cbranch_execz .LBB472_40
; %bb.33:
	v_mul_lo_u32 v3, v20, s17
	v_or_b32_e32 v4, 2, v20
	v_mul_lo_u32 v5, v2, s17
	v_or_b32_e32 v6, 3, v20
	s_mov_b32 s0, exec_lo
	v_mul_lo_u32 v7, v4, s17
	v_mul_lo_u32 v8, v6, s17
	v_cndmask_b32_e32 v3, 0, v3, vcc_lo
	v_cmp_gt_i32_e32 vcc_lo, s9, v2
	v_add_nc_u32_e32 v2, v3, v17
	v_cndmask_b32_e32 v5, 0, v5, vcc_lo
	v_cmp_gt_i32_e32 vcc_lo, s9, v4
	v_ashrrev_i32_e32 v3, 31, v2
	v_add_nc_u32_e32 v4, v5, v17
	v_cndmask_b32_e32 v7, 0, v7, vcc_lo
	v_cmp_gt_i32_e32 vcc_lo, s9, v6
	v_lshlrev_b64 v[2:3], 1, v[2:3]
	v_ashrrev_i32_e32 v5, 31, v4
	v_add_nc_u32_e32 v6, v7, v17
	v_cndmask_b32_e32 v8, 0, v8, vcc_lo
	v_lshlrev_b64 v[4:5], 1, v[4:5]
	v_ashrrev_i32_e32 v7, 31, v6
	v_add_nc_u32_e32 v8, v8, v17
	v_add_co_u32 v2, vcc_lo, s7, v2
	v_add_co_ci_u32_e64 v3, null, s16, v3, vcc_lo
	v_lshlrev_b64 v[6:7], 1, v[6:7]
	v_ashrrev_i32_e32 v9, 31, v8
	v_add_co_u32 v4, vcc_lo, s7, v4
	v_add_co_ci_u32_e64 v5, null, s16, v5, vcc_lo
	global_load_ushort v22, v[2:3], off
	v_add_co_u32 v6, vcc_lo, s7, v6
	v_add_co_ci_u32_e64 v7, null, s16, v7, vcc_lo
	v_lshlrev_b64 v[8:9], 1, v[8:9]
	s_clause 0x1
	global_load_ushort v23, v[4:5], off
	global_load_ushort v24, v[6:7], off
	v_add_co_u32 v8, vcc_lo, s7, v8
	v_add_co_ci_u32_e64 v9, null, s16, v9, vcc_lo
	global_load_ushort v20, v[8:9], off
	s_waitcnt vmcnt(3)
	v_fma_mix_f32 v19, v21, v22, v19 op_sel_hi:[0,1,0]
	v_add_nc_u32_e32 v22, 64, v17
	s_waitcnt vmcnt(2)
	v_fma_mix_f32 v19, v12, v23, v19 op_sel_hi:[0,1,0]
	s_waitcnt vmcnt(1)
	v_fma_mix_f32 v19, v11, v24, v19 op_sel_hi:[0,1,0]
	v_cmpx_gt_i32_e64 s8, v22
	s_cbranch_execz .LBB472_39
; %bb.34:
	s_clause 0x3
	global_load_ushort v23, v[2:3], off offset:128
	global_load_ushort v24, v[4:5], off offset:128
	;; [unrolled: 1-line block ×4, first 2 shown]
	s_mov_b32 s2, exec_lo
	s_waitcnt vmcnt(3)
	v_fma_mix_f32 v18, v21, v23, v18 op_sel_hi:[0,1,0]
	v_add_nc_u32_e32 v23, 0x80, v17
	s_waitcnt vmcnt(2)
	v_fma_mix_f32 v18, v12, v24, v18 op_sel_hi:[0,1,0]
	s_waitcnt vmcnt(1)
	v_fma_mix_f32 v18, v11, v25, v18 op_sel_hi:[0,1,0]
	v_cmpx_gt_i32_e64 s8, v23
	s_cbranch_execz .LBB472_38
; %bb.35:
	s_clause 0x3
	global_load_ushort v24, v[2:3], off offset:256
	global_load_ushort v25, v[4:5], off offset:256
	;; [unrolled: 1-line block ×4, first 2 shown]
	v_add_nc_u32_e32 v17, 0xc0, v17
	s_mov_b32 s3, exec_lo
	s_waitcnt vmcnt(3)
	v_fma_mix_f32 v16, v21, v24, v16 op_sel_hi:[0,1,0]
	s_waitcnt vmcnt(2)
	v_fma_mix_f32 v16, v12, v25, v16 op_sel_hi:[0,1,0]
	;; [unrolled: 2-line block ×3, first 2 shown]
	v_cmpx_gt_i32_e64 s8, v17
	s_cbranch_execz .LBB472_37
; %bb.36:
	s_clause 0x3
	global_load_ushort v2, v[2:3], off offset:384
	global_load_ushort v3, v[4:5], off offset:384
	;; [unrolled: 1-line block ×4, first 2 shown]
	s_waitcnt vmcnt(3)
	v_fma_mix_f32 v2, v21, v2, v15 op_sel_hi:[0,1,0]
	s_waitcnt vmcnt(2)
	v_fma_mix_f32 v2, v12, v3, v2 op_sel_hi:[0,1,0]
	;; [unrolled: 2-line block ×4, first 2 shown]
.LBB472_37:
	s_or_b32 exec_lo, exec_lo, s3
	s_waitcnt vmcnt(0)
	v_fma_mix_f32 v16, v10, v23, v16 op_sel_hi:[0,1,0]
.LBB472_38:
	s_or_b32 exec_lo, exec_lo, s2
	s_waitcnt vmcnt(0)
	v_fma_mix_f32 v18, v10, v22, v18 op_sel_hi:[0,1,0]
.LBB472_39:
	s_or_b32 exec_lo, exec_lo, s0
	s_waitcnt vmcnt(0)
	v_fma_mix_f32 v19, v10, v20, v19 op_sel_hi:[0,1,0]
.LBB472_40:
	s_or_b32 exec_lo, exec_lo, s1
.LBB472_41:
	v_lshlrev_b32_e32 v0, 2, v0
	s_mov_b32 s0, exec_lo
                                        ; implicit-def: $vgpr3
                                        ; implicit-def: $vgpr4_vgpr5
	v_lshl_or_b32 v1, v1, 10, v0
	ds_write2st64_b32 v1, v19, v18 offset1:1
	ds_write2st64_b32 v1, v16, v15 offset0:2 offset1:3
	s_waitcnt lgkmcnt(0)
	s_barrier
	buffer_gl0_inv
	v_cmpx_gt_u32_e32 0x100, v14
	s_cbranch_execz .LBB472_47
; %bb.42:
	v_lshl_add_u32 v4, v13, 2, v0
	s_mov_b32 s2, s14
	s_mov_b32 s1, exec_lo
	ds_read2st64_b32 v[0:1], v4 offset1:4
	ds_read2st64_b32 v[2:3], v4 offset0:8 offset1:12
	s_waitcnt lgkmcnt(1)
	v_add_f32_e32 v0, v0, v1
	v_or_b32_e32 v1, s5, v14
	s_waitcnt lgkmcnt(0)
	v_add_f32_e32 v0, v2, v0
	v_add_f32_e32 v0, v3, v0
                                        ; implicit-def: $vgpr3
	ds_write_b32 v4, v0
                                        ; implicit-def: $vgpr4_vgpr5
	v_cmpx_gt_i32_e64 s8, v1
	s_cbranch_execz .LBB472_46
; %bb.43:
	v_mul_lo_u32 v4, s15, v1
	v_cmp_eq_f32_e64 s2, s13, 0
	v_mul_f32_e32 v3, s10, v0
	s_and_b32 vcc_lo, exec_lo, s2
	v_ashrrev_i32_e32 v5, 31, v4
	s_cbranch_vccnz .LBB472_45
; %bb.44:
	v_lshlrev_b64 v[0:1], 2, v[4:5]
	v_add_co_u32 v0, vcc_lo, s11, v0
	v_add_co_ci_u32_e64 v1, null, s12, v1, vcc_lo
	global_load_dword v0, v[0:1], off
	s_waitcnt vmcnt(0)
	v_fmac_f32_e32 v3, s13, v0
.LBB472_45:
	s_or_b32 s2, s14, exec_lo
.LBB472_46:
	s_or_b32 exec_lo, exec_lo, s1
	s_andn2_b32 s1, s14, exec_lo
	s_and_b32 s2, s2, exec_lo
	s_or_b32 s14, s1, s2
.LBB472_47:
	s_or_b32 exec_lo, exec_lo, s0
.LBB472_48:
	s_and_saveexec_b32 s0, s14
	s_cbranch_execz .LBB472_50
; %bb.49:
	v_lshlrev_b64 v[0:1], 2, v[4:5]
	v_add_co_u32 v0, vcc_lo, s11, v0
	v_add_co_ci_u32_e64 v1, null, s12, v1, vcc_lo
	global_store_dword v[0:1], v3, off
.LBB472_50:
	s_endpgm
	.section	.rodata,"a",@progbits
	.p2align	6, 0x0
	.amdhsa_kernel _ZL20rocblas_gemvn_kernelILi64ELi4EiDF16_ffEviiT3_lPKT2_lT1_lS3_lS4_lS0_lPT4_lS4_li
		.amdhsa_group_segment_fixed_size 4096
		.amdhsa_private_segment_fixed_size 0
		.amdhsa_kernarg_size 400
		.amdhsa_user_sgpr_count 6
		.amdhsa_user_sgpr_private_segment_buffer 1
		.amdhsa_user_sgpr_dispatch_ptr 0
		.amdhsa_user_sgpr_queue_ptr 0
		.amdhsa_user_sgpr_kernarg_segment_ptr 1
		.amdhsa_user_sgpr_dispatch_id 0
		.amdhsa_user_sgpr_flat_scratch_init 0
		.amdhsa_user_sgpr_private_segment_size 0
		.amdhsa_wavefront_size32 1
		.amdhsa_uses_dynamic_stack 0
		.amdhsa_system_sgpr_private_segment_wavefront_offset 0
		.amdhsa_system_sgpr_workgroup_id_x 1
		.amdhsa_system_sgpr_workgroup_id_y 0
		.amdhsa_system_sgpr_workgroup_id_z 1
		.amdhsa_system_sgpr_workgroup_info 0
		.amdhsa_system_vgpr_workitem_id 1
		.amdhsa_next_free_vgpr 46
		.amdhsa_next_free_sgpr 28
		.amdhsa_reserve_vcc 1
		.amdhsa_reserve_flat_scratch 0
		.amdhsa_float_round_mode_32 0
		.amdhsa_float_round_mode_16_64 0
		.amdhsa_float_denorm_mode_32 3
		.amdhsa_float_denorm_mode_16_64 3
		.amdhsa_dx10_clamp 1
		.amdhsa_ieee_mode 1
		.amdhsa_fp16_overflow 0
		.amdhsa_workgroup_processor_mode 1
		.amdhsa_memory_ordered 1
		.amdhsa_forward_progress 1
		.amdhsa_shared_vgpr_count 0
		.amdhsa_exception_fp_ieee_invalid_op 0
		.amdhsa_exception_fp_denorm_src 0
		.amdhsa_exception_fp_ieee_div_zero 0
		.amdhsa_exception_fp_ieee_overflow 0
		.amdhsa_exception_fp_ieee_underflow 0
		.amdhsa_exception_fp_ieee_inexact 0
		.amdhsa_exception_int_div_zero 0
	.end_amdhsa_kernel
	.section	.text._ZL20rocblas_gemvn_kernelILi64ELi4EiDF16_ffEviiT3_lPKT2_lT1_lS3_lS4_lS0_lPT4_lS4_li,"axG",@progbits,_ZL20rocblas_gemvn_kernelILi64ELi4EiDF16_ffEviiT3_lPKT2_lT1_lS3_lS4_lS0_lPT4_lS4_li,comdat
.Lfunc_end472:
	.size	_ZL20rocblas_gemvn_kernelILi64ELi4EiDF16_ffEviiT3_lPKT2_lT1_lS3_lS4_lS0_lPT4_lS4_li, .Lfunc_end472-_ZL20rocblas_gemvn_kernelILi64ELi4EiDF16_ffEviiT3_lPKT2_lT1_lS3_lS4_lS0_lPT4_lS4_li
                                        ; -- End function
	.set _ZL20rocblas_gemvn_kernelILi64ELi4EiDF16_ffEviiT3_lPKT2_lT1_lS3_lS4_lS0_lPT4_lS4_li.num_vgpr, 46
	.set _ZL20rocblas_gemvn_kernelILi64ELi4EiDF16_ffEviiT3_lPKT2_lT1_lS3_lS4_lS0_lPT4_lS4_li.num_agpr, 0
	.set _ZL20rocblas_gemvn_kernelILi64ELi4EiDF16_ffEviiT3_lPKT2_lT1_lS3_lS4_lS0_lPT4_lS4_li.numbered_sgpr, 28
	.set _ZL20rocblas_gemvn_kernelILi64ELi4EiDF16_ffEviiT3_lPKT2_lT1_lS3_lS4_lS0_lPT4_lS4_li.num_named_barrier, 0
	.set _ZL20rocblas_gemvn_kernelILi64ELi4EiDF16_ffEviiT3_lPKT2_lT1_lS3_lS4_lS0_lPT4_lS4_li.private_seg_size, 0
	.set _ZL20rocblas_gemvn_kernelILi64ELi4EiDF16_ffEviiT3_lPKT2_lT1_lS3_lS4_lS0_lPT4_lS4_li.uses_vcc, 1
	.set _ZL20rocblas_gemvn_kernelILi64ELi4EiDF16_ffEviiT3_lPKT2_lT1_lS3_lS4_lS0_lPT4_lS4_li.uses_flat_scratch, 0
	.set _ZL20rocblas_gemvn_kernelILi64ELi4EiDF16_ffEviiT3_lPKT2_lT1_lS3_lS4_lS0_lPT4_lS4_li.has_dyn_sized_stack, 0
	.set _ZL20rocblas_gemvn_kernelILi64ELi4EiDF16_ffEviiT3_lPKT2_lT1_lS3_lS4_lS0_lPT4_lS4_li.has_recursion, 0
	.set _ZL20rocblas_gemvn_kernelILi64ELi4EiDF16_ffEviiT3_lPKT2_lT1_lS3_lS4_lS0_lPT4_lS4_li.has_indirect_call, 0
	.section	.AMDGPU.csdata,"",@progbits
; Kernel info:
; codeLenInByte = 2780
; TotalNumSgprs: 30
; NumVgprs: 46
; ScratchSize: 0
; MemoryBound: 0
; FloatMode: 240
; IeeeMode: 1
; LDSByteSize: 4096 bytes/workgroup (compile time only)
; SGPRBlocks: 0
; VGPRBlocks: 5
; NumSGPRsForWavesPerEU: 30
; NumVGPRsForWavesPerEU: 46
; Occupancy: 16
; WaveLimiterHint : 1
; COMPUTE_PGM_RSRC2:SCRATCH_EN: 0
; COMPUTE_PGM_RSRC2:USER_SGPR: 6
; COMPUTE_PGM_RSRC2:TRAP_HANDLER: 0
; COMPUTE_PGM_RSRC2:TGID_X_EN: 1
; COMPUTE_PGM_RSRC2:TGID_Y_EN: 0
; COMPUTE_PGM_RSRC2:TGID_Z_EN: 1
; COMPUTE_PGM_RSRC2:TIDIG_COMP_CNT: 1
	.section	.text._ZL20rocblas_gemvn_kernelILi64ELi4ElDF16_ffEviiT3_lPKT2_lT1_lS3_lS4_lS0_lPT4_lS4_li,"axG",@progbits,_ZL20rocblas_gemvn_kernelILi64ELi4ElDF16_ffEviiT3_lPKT2_lT1_lS3_lS4_lS0_lPT4_lS4_li,comdat
	.globl	_ZL20rocblas_gemvn_kernelILi64ELi4ElDF16_ffEviiT3_lPKT2_lT1_lS3_lS4_lS0_lPT4_lS4_li ; -- Begin function _ZL20rocblas_gemvn_kernelILi64ELi4ElDF16_ffEviiT3_lPKT2_lT1_lS3_lS4_lS0_lPT4_lS4_li
	.p2align	8
	.type	_ZL20rocblas_gemvn_kernelILi64ELi4ElDF16_ffEviiT3_lPKT2_lT1_lS3_lS4_lS0_lPT4_lS4_li,@function
_ZL20rocblas_gemvn_kernelILi64ELi4ElDF16_ffEviiT3_lPKT2_lT1_lS3_lS4_lS0_lPT4_lS4_li: ; @_ZL20rocblas_gemvn_kernelILi64ELi4ElDF16_ffEviiT3_lPKT2_lT1_lS3_lS4_lS0_lPT4_lS4_li
; %bb.0:
	s_load_dwordx2 s[0:1], s[4:5], 0x9c
	s_waitcnt lgkmcnt(0)
	s_lshr_b32 s2, s0, 16
	s_and_b32 s0, s0, 0xffff
	s_and_b32 s1, s1, 0xffff
	s_mul_i32 s0, s2, s0
	s_mul_i32 s0, s0, s1
	s_cmpk_lg_i32 s0, 0x100
	s_cbranch_scc1 .LBB473_50
; %bb.1:
	s_clause 0x1
	s_load_dwordx4 s[28:31], s[4:5], 0x0
	s_load_dword s36, s[4:5], 0x58
	s_mov_b32 s37, 0
	s_waitcnt lgkmcnt(0)
	v_cmp_eq_f32_e64 s0, s30, 0
	v_cmp_eq_f32_e64 s1, s36, 1.0
	s_and_b32 s0, s0, s1
	s_and_b32 vcc_lo, exec_lo, s0
	s_cbranch_vccnz .LBB473_50
; %bb.2:
	s_load_dwordx8 s[20:27], s[4:5], 0x68
	v_lshlrev_b32_e32 v13, 6, v1
	v_add_nc_u32_e32 v14, v13, v0
	s_waitcnt lgkmcnt(0)
	s_mul_i32 s1, s27, s7
	s_mul_hi_u32 s2, s26, s7
	s_mul_i32 s0, s26, s7
	s_add_i32 s1, s2, s1
	v_cmp_neq_f32_e64 s2, s30, 0
	s_lshl_b64 s[0:1], s[0:1], 2
	s_add_u32 s3, s20, s0
	s_addc_u32 s8, s21, s1
	s_lshl_b64 s[0:1], s[22:23], 2
	s_add_u32 s31, s3, s0
	v_cmp_gt_u32_e64 s0, 0x100, v14
	s_addc_u32 s33, s8, s1
	s_and_b32 vcc_lo, exec_lo, s2
	s_cbranch_vccnz .LBB473_9
; %bb.3:
	s_mov_b32 s1, 0
                                        ; implicit-def: $vgpr3
                                        ; implicit-def: $vgpr4_vgpr5
	s_and_saveexec_b32 s2, s0
	s_cbranch_execz .LBB473_10
; %bb.4:
	v_lshl_or_b32 v2, s6, 8, v14
	v_mov_b32_e32 v3, 0
	s_ashr_i32 s9, s28, 31
	s_mov_b32 s8, s28
	s_mov_b32 s3, 0
	s_mov_b32 s0, exec_lo
                                        ; implicit-def: $vgpr4_vgpr5
	v_cmpx_gt_i64_e64 s[8:9], v[2:3]
	s_cbranch_execz .LBB473_8
; %bb.5:
	v_mad_u64_u32 v[4:5], null, s24, v2, 0
	v_cmp_eq_f32_e64 s3, s36, 0
	s_and_b32 vcc_lo, exec_lo, s3
	v_mad_u64_u32 v[5:6], null, s25, v2, v[5:6]
	s_cbranch_vccnz .LBB473_7
; %bb.6:
	v_lshlrev_b64 v[2:3], 2, v[4:5]
	v_add_co_u32 v2, vcc_lo, s31, v2
	v_add_co_ci_u32_e64 v3, null, s33, v3, vcc_lo
	global_load_dword v2, v[2:3], off
	s_waitcnt vmcnt(0)
	v_mul_f32_e32 v3, s36, v2
.LBB473_7:
	s_mov_b32 s3, exec_lo
.LBB473_8:
	s_or_b32 exec_lo, exec_lo, s0
	s_and_b32 s37, s3, exec_lo
	s_or_b32 exec_lo, exec_lo, s2
	s_and_b32 vcc_lo, exec_lo, s1
	s_cbranch_vccnz .LBB473_11
	s_branch .LBB473_48
.LBB473_9:
                                        ; implicit-def: $vgpr3
                                        ; implicit-def: $vgpr4_vgpr5
	s_cbranch_execnz .LBB473_11
	s_branch .LBB473_48
.LBB473_10:
	s_or_b32 exec_lo, exec_lo, s2
	s_and_b32 vcc_lo, exec_lo, s1
	s_cbranch_vccz .LBB473_48
.LBB473_11:
	s_load_dwordx16 s[8:23], s[4:5], 0x18
	s_ashr_i32 s0, s29, 31
	s_lshl_b32 s5, s6, 8
	s_lshr_b32 s0, s0, 28
	v_lshlrev_b32_e32 v15, 2, v1
	s_add_i32 s0, s29, s0
	v_mov_b32_e32 v19, 0
	v_mov_b32_e32 v18, 0
	v_mov_b32_e32 v17, 0
	v_mov_b32_e32 v16, 0
	v_or_b32_e32 v2, s5, v0
	s_and_b32 s38, s0, -16
	s_mov_b32 s39, exec_lo
	s_waitcnt lgkmcnt(0)
	s_mul_i32 s0, s15, s7
	s_mul_hi_u32 s1, s14, s7
	s_mul_i32 s2, s23, s7
	s_mul_hi_u32 s3, s22, s7
	s_mul_i32 s14, s14, s7
	s_add_i32 s15, s1, s0
	s_add_i32 s23, s3, s2
	s_mul_i32 s22, s22, s7
	v_cmpx_gt_i32_e64 s38, v15
	s_cbranch_execz .LBB473_23
; %bb.12:
	v_lshlrev_b32_e32 v30, 2, v1
	v_mad_u64_u32 v[4:5], null, s20, v1, 0
	v_add_nc_u32_e32 v11, 64, v2
	v_add_nc_u32_e32 v12, 0x80, v2
	v_or_b32_e32 v16, 3, v30
	s_lshl_b64 s[0:1], s[22:23], 1
	s_lshl_b64 s[6:7], s[18:19], 1
	s_add_u32 s4, s16, s0
	s_addc_u32 s42, s17, s1
	v_mad_u64_u32 v[6:7], null, s12, v16, 0
	v_cmp_gt_i32_e64 s0, s28, v11
	v_cmp_gt_i32_e64 s1, s28, v12
	v_add_nc_u32_e32 v17, 0xc0, v2
	v_or_b32_e32 v24, 2, v30
	s_lshl_b64 s[34:35], s[10:11], 1
	s_lshl_b64 s[26:27], s[20:21], 5
	v_mad_u64_u32 v[8:9], null, s21, v1, v[5:6]
	v_mad_u64_u32 v[9:10], null, s20, v16, 0
	v_cmp_gt_i32_e64 s2, s28, v17
	s_lshl_b64 s[40:41], s[14:15], 1
	v_mad_u64_u32 v[28:29], null, s20, v24, 0
	v_mov_b32_e32 v5, v8
	v_mad_u64_u32 v[7:8], null, s13, v16, v[7:8]
	v_mad_u64_u32 v[32:33], null, s12, v30, s[12:13]
	v_lshlrev_b64 v[11:12], 3, v[4:5]
	v_mov_b32_e32 v5, v10
	v_mov_b32_e32 v8, v29
	v_ashrrev_i32_e32 v3, 31, v2
	v_lshlrev_b64 v[6:7], 1, v[6:7]
	v_cmp_gt_i32_e32 vcc_lo, s28, v2
	v_add_co_u32 v20, s3, s4, v11
	v_add_co_ci_u32_e64 v21, null, s42, v12, s3
	v_mad_u64_u32 v[16:17], null, s21, v16, v[5:6]
	v_mad_u64_u32 v[11:12], null, s12, v1, 0
	s_add_u32 s3, s8, s34
	s_addc_u32 s34, s9, s35
	s_add_u32 s35, s3, s40
	s_addc_u32 s34, s34, s41
	v_mov_b32_e32 v10, v16
	v_mad_u64_u32 v[16:17], null, s12, v24, 0
	v_mov_b32_e32 v5, v12
	v_add_co_u32 v22, s3, s35, v6
	v_add_co_ci_u32_e64 v23, null, s34, v7, s3
	v_mad_u64_u32 v[18:19], null, s13, v1, v[5:6]
	v_lshlrev_b64 v[6:7], 1, v[9:10]
	v_mov_b32_e32 v5, v17
	v_lshlrev_b64 v[3:4], 1, v[2:3]
	s_mov_b32 s40, 0
	v_mad_u64_u32 v[9:10], null, s13, v24, v[5:6]
	v_mov_b32_e32 v12, v18
	v_mad_u64_u32 v[18:19], null, s20, v30, s[20:21]
	v_mad_u64_u32 v[26:27], null, s21, v24, v[8:9]
	v_add_co_u32 v24, s3, s4, v6
	v_add_co_ci_u32_e64 v25, null, s42, v7, s3
	v_lshlrev_b64 v[6:7], 3, v[11:12]
	v_mov_b32_e32 v5, v19
	v_mov_b32_e32 v17, v9
	;; [unrolled: 1-line block ×3, first 2 shown]
	v_add_co_u32 v26, s3, s35, v6
	v_mad_u64_u32 v[8:9], null, s21, v30, v[5:6]
	v_add_co_ci_u32_e64 v27, null, s34, v7, s3
	v_lshlrev_b64 v[6:7], 1, v[16:17]
	v_mov_b32_e32 v5, v33
	v_mov_b32_e32 v17, 0
	;; [unrolled: 1-line block ×4, first 2 shown]
	v_mad_u64_u32 v[9:10], null, s13, v30, v[5:6]
	v_lshlrev_b64 v[10:11], 1, v[28:29]
	v_add_co_u32 v28, s3, s35, v6
	v_lshlrev_b64 v[5:6], 1, v[18:19]
	v_add_co_ci_u32_e64 v29, null, s34, v7, s3
	v_mov_b32_e32 v33, v9
	v_add_co_u32 v30, s3, s4, v10
	v_add_co_ci_u32_e64 v31, null, s42, v11, s3
	v_lshlrev_b64 v[7:8], 1, v[32:33]
	v_add_co_u32 v32, s3, s4, v5
	v_add_co_ci_u32_e64 v33, null, s42, v6, s3
	v_mov_b32_e32 v19, 0
	v_add_co_u32 v34, s3, s35, v7
	v_add_co_ci_u32_e64 v35, null, s34, v8, s3
	v_mov_b32_e32 v18, 0
	s_lshl_b64 s[34:35], s[12:13], 5
	s_branch .LBB473_17
.LBB473_13:                             ;   in Loop: Header=BB473_17 Depth=1
	s_or_b32 exec_lo, exec_lo, s42
	s_waitcnt vmcnt(3)
	v_fma_mix_f32 v5, v48, v52, v17 op_sel_hi:[0,1,0]
	s_waitcnt vmcnt(2)
	v_fma_mix_f32 v5, v49, v53, v5 op_sel_hi:[0,1,0]
	;; [unrolled: 2-line block ×4, first 2 shown]
.LBB473_14:                             ;   in Loop: Header=BB473_17 Depth=1
	s_or_b32 exec_lo, exec_lo, s41
	s_waitcnt vmcnt(3)
	v_fma_mix_f32 v5, v48, v44, v18 op_sel_hi:[0,1,0]
	s_waitcnt vmcnt(2)
	v_fma_mix_f32 v5, v49, v45, v5 op_sel_hi:[0,1,0]
	;; [unrolled: 2-line block ×4, first 2 shown]
.LBB473_15:                             ;   in Loop: Header=BB473_17 Depth=1
	s_or_b32 exec_lo, exec_lo, s3
	s_waitcnt vmcnt(3)
	v_fma_mix_f32 v5, v36, v40, v19 op_sel_hi:[1,1,0]
	s_waitcnt vmcnt(2)
	v_fma_mix_f32 v5, v37, v41, v5 op_sel_hi:[1,1,0]
	;; [unrolled: 2-line block ×4, first 2 shown]
.LBB473_16:                             ;   in Loop: Header=BB473_17 Depth=1
	s_or_b32 exec_lo, exec_lo, s4
	v_add_co_u32 v20, s3, v20, s26
	v_add_co_ci_u32_e64 v21, null, s27, v21, s3
	v_add_co_u32 v22, s3, v22, s34
	v_add_co_ci_u32_e64 v23, null, s35, v23, s3
	;; [unrolled: 2-line block ×4, first 2 shown]
	v_add_co_u32 v28, s3, v28, s34
	v_add_nc_u32_e32 v15, 16, v15
	v_add_co_ci_u32_e64 v29, null, s35, v29, s3
	v_add_co_u32 v30, s3, v30, s26
	v_add_co_ci_u32_e64 v31, null, s27, v31, s3
	v_add_co_u32 v32, s3, v32, s26
	v_add_co_ci_u32_e64 v33, null, s27, v33, s3
	v_cmp_le_i32_e64 s3, s38, v15
	v_add_co_u32 v34, s4, v34, s34
	v_add_co_ci_u32_e64 v35, null, s35, v35, s4
	s_or_b32 s40, s3, s40
	s_andn2_b32 exec_lo, exec_lo, s40
	s_cbranch_execz .LBB473_22
.LBB473_17:                             ; =>This Inner Loop Header: Depth=1
	s_and_saveexec_b32 s4, vcc_lo
	s_cbranch_execz .LBB473_16
; %bb.18:                               ;   in Loop: Header=BB473_17 Depth=1
	v_add_co_u32 v5, s3, v20, s6
	v_add_co_ci_u32_e64 v6, null, s7, v21, s3
	v_add_co_u32 v7, s3, v32, s6
	v_add_co_ci_u32_e64 v8, null, s7, v33, s3
	;; [unrolled: 2-line block ×3, first 2 shown]
	v_add_co_u32 v39, s3, v24, s6
	global_load_ushort v36, v[5:6], off
	global_load_ushort v37, v[7:8], off
	;; [unrolled: 1-line block ×3, first 2 shown]
	v_add_co_ci_u32_e64 v40, null, s7, v25, s3
	v_add_co_u32 v5, s3, v26, v3
	v_add_co_ci_u32_e64 v6, null, v27, v4, s3
	v_add_co_u32 v7, s3, v34, v3
	;; [unrolled: 2-line block ×4, first 2 shown]
	v_add_co_ci_u32_e64 v12, null, v23, v4, s3
	global_load_ushort v39, v[39:40], off
	global_load_ushort v40, v[5:6], off
	global_load_ushort v41, v[7:8], off
	global_load_ushort v42, v[9:10], off
	global_load_ushort v43, v[11:12], off
	s_and_saveexec_b32 s3, s0
	s_cbranch_execz .LBB473_15
; %bb.19:                               ;   in Loop: Header=BB473_17 Depth=1
	global_load_ushort v44, v[5:6], off offset:128
	global_load_ushort v45, v[7:8], off offset:128
	;; [unrolled: 1-line block ×4, first 2 shown]
	s_waitcnt vmcnt(11)
	v_cvt_f32_f16_e32 v48, v36
	s_waitcnt vmcnt(10)
	v_cvt_f32_f16_e32 v49, v37
	;; [unrolled: 2-line block ×4, first 2 shown]
	s_and_saveexec_b32 s41, s1
	s_cbranch_execz .LBB473_14
; %bb.20:                               ;   in Loop: Header=BB473_17 Depth=1
	global_load_ushort v52, v[5:6], off offset:256
	global_load_ushort v53, v[7:8], off offset:256
	;; [unrolled: 1-line block ×4, first 2 shown]
	s_and_saveexec_b32 s42, s2
	s_cbranch_execz .LBB473_13
; %bb.21:                               ;   in Loop: Header=BB473_17 Depth=1
	global_load_ushort v5, v[5:6], off offset:384
	global_load_ushort v6, v[7:8], off offset:384
	;; [unrolled: 1-line block ×4, first 2 shown]
	s_waitcnt vmcnt(3)
	v_fma_mix_f32 v5, v48, v5, v16 op_sel_hi:[0,1,0]
	s_waitcnt vmcnt(2)
	v_fma_mix_f32 v5, v49, v6, v5 op_sel_hi:[0,1,0]
	;; [unrolled: 2-line block ×4, first 2 shown]
	s_branch .LBB473_13
.LBB473_22:
	s_or_b32 exec_lo, exec_lo, s40
.LBB473_23:
	s_or_b32 exec_lo, exec_lo, s39
	s_sub_i32 s0, s29, s38
	s_cmp_lt_i32 s0, 1
	s_cbranch_scc1 .LBB473_41
; %bb.24:
	v_cmp_gt_i32_e32 vcc_lo, s29, v15
	v_mov_b32_e32 v11, 0
	v_or_b32_e32 v4, 1, v15
	v_mov_b32_e32 v12, 0
	v_mov_b32_e32 v20, 0
	v_mov_b32_e32 v21, 0
	s_and_saveexec_b32 s1, vcc_lo
	s_cbranch_execz .LBB473_32
; %bb.25:
	v_mad_u64_u32 v[5:6], null, s20, v15, 0
	s_lshl_b64 s[2:3], s[22:23], 1
	v_mov_b32_e32 v20, 0
	s_add_u32 s0, s16, s2
	s_addc_u32 s2, s17, s3
	s_lshl_b64 s[6:7], s[18:19], 1
	v_mov_b32_e32 v12, 0
	v_mov_b32_e32 v3, v6
	s_add_u32 s3, s0, s6
	s_addc_u32 s4, s2, s7
	v_mov_b32_e32 v11, 0
	s_mov_b32 s2, exec_lo
	v_mad_u64_u32 v[6:7], null, s21, v15, v[3:4]
	v_lshlrev_b64 v[5:6], 1, v[5:6]
	v_add_co_u32 v5, s0, s3, v5
	v_add_co_ci_u32_e64 v6, null, s4, v6, s0
	global_load_ushort v3, v[5:6], off
	v_cmpx_gt_i32_e64 s29, v4
	s_cbranch_execz .LBB473_31
; %bb.26:
	v_mad_u64_u32 v[5:6], null, s20, v4, 0
	v_mov_b32_e32 v12, 0
	v_mov_b32_e32 v11, 0
	s_mov_b32 s6, exec_lo
	v_mad_u64_u32 v[6:7], null, s21, v4, v[6:7]
	v_lshlrev_b64 v[5:6], 1, v[5:6]
	v_add_co_u32 v5, s0, s3, v5
	v_add_co_ci_u32_e64 v6, null, s4, v6, s0
	global_load_ushort v5, v[5:6], off
	v_or_b32_e32 v6, 2, v15
	v_cmpx_gt_i32_e64 s29, v6
	s_cbranch_execz .LBB473_30
; %bb.27:
	v_mad_u64_u32 v[7:8], null, s20, v6, 0
	v_mov_b32_e32 v11, 0
	s_mov_b32 s7, exec_lo
	v_mad_u64_u32 v[8:9], null, s21, v6, v[8:9]
	v_lshlrev_b64 v[6:7], 1, v[7:8]
	v_add_co_u32 v6, s0, s3, v6
	v_add_co_ci_u32_e64 v7, null, s4, v7, s0
	global_load_ushort v6, v[6:7], off
	v_or_b32_e32 v7, 3, v15
	v_cmpx_gt_i32_e64 s29, v7
	s_cbranch_execz .LBB473_29
; %bb.28:
	v_mad_u64_u32 v[8:9], null, s20, v7, 0
	v_mad_u64_u32 v[9:10], null, s21, v7, v[9:10]
	v_lshlrev_b64 v[7:8], 1, v[8:9]
	v_add_co_u32 v7, s0, s3, v7
	v_add_co_ci_u32_e64 v8, null, s4, v8, s0
	global_load_ushort v7, v[7:8], off
	s_waitcnt vmcnt(0)
	v_cvt_f32_f16_e32 v11, v7
.LBB473_29:
	s_or_b32 exec_lo, exec_lo, s7
	s_waitcnt vmcnt(0)
	v_cvt_f32_f16_e32 v12, v6
.LBB473_30:
	s_or_b32 exec_lo, exec_lo, s6
	s_waitcnt vmcnt(0)
	v_cvt_f32_f16_e32 v20, v5
.LBB473_31:
	s_or_b32 exec_lo, exec_lo, s2
	s_waitcnt vmcnt(0)
	v_cvt_f32_f16_e32 v21, v3
.LBB473_32:
	s_or_b32 exec_lo, exec_lo, s1
	s_mov_b32 s1, exec_lo
	v_cmpx_gt_i32_e64 s28, v2
	s_cbranch_execz .LBB473_40
; %bb.33:
	v_mad_u64_u32 v[5:6], null, s12, v15, 0
	v_mad_u64_u32 v[7:8], null, s12, v4, 0
	v_ashrrev_i32_e32 v3, 31, v2
	v_or_b32_e32 v29, 2, v15
	s_lshl_b64 s[2:3], s[14:15], 1
	s_add_u32 s0, s8, s2
	v_lshlrev_b64 v[22:23], 1, v[2:3]
	v_mad_u64_u32 v[9:10], null, s13, v15, v[6:7]
	v_mov_b32_e32 v3, v8
	v_cndmask_b32_e32 v5, 0, v5, vcc_lo
	v_or_b32_e32 v15, 3, v15
	v_mad_u64_u32 v[24:25], null, s12, v29, 0
	v_mad_u64_u32 v[26:27], null, s13, v4, v[3:4]
	v_cndmask_b32_e32 v6, 0, v9, vcc_lo
	v_cmp_gt_i32_e32 vcc_lo, s29, v4
	s_addc_u32 s4, s9, s3
	s_lshl_b64 s[2:3], s[10:11], 1
	v_mad_u64_u32 v[8:9], null, s12, v15, 0
	v_lshlrev_b64 v[5:6], 1, v[5:6]
	v_cndmask_b32_e32 v27, 0, v7, vcc_lo
	v_cndmask_b32_e32 v28, 0, v26, vcc_lo
	s_add_u32 s2, s0, s2
	v_mov_b32_e32 v7, v25
	s_addc_u32 s3, s4, s3
	v_add_co_u32 v3, s0, s2, v5
	v_add_co_ci_u32_e64 v4, null, s3, v6, s0
	v_lshlrev_b64 v[5:6], 1, v[27:28]
	v_mad_u64_u32 v[25:26], null, s13, v29, v[7:8]
	v_add_co_u32 v3, vcc_lo, v3, v22
	v_add_co_ci_u32_e64 v4, null, v4, v23, vcc_lo
	v_cmp_gt_i32_e32 vcc_lo, s29, v29
	v_mov_b32_e32 v7, v9
	v_add_co_u32 v5, s0, s2, v5
	v_add_co_ci_u32_e64 v6, null, s3, v6, s0
	v_cndmask_b32_e32 v9, 0, v24, vcc_lo
	v_cndmask_b32_e32 v10, 0, v25, vcc_lo
	v_mad_u64_u32 v[24:25], null, s13, v15, v[7:8]
	v_add_co_u32 v5, vcc_lo, v5, v22
	v_add_co_ci_u32_e64 v6, null, v6, v23, vcc_lo
	v_cmp_gt_i32_e32 vcc_lo, s29, v15
	v_lshlrev_b64 v[9:10], 1, v[9:10]
	s_clause 0x1
	global_load_ushort v25, v[3:4], off
	global_load_ushort v26, v[5:6], off
	s_mov_b32 s0, exec_lo
	v_cndmask_b32_e32 v7, 0, v8, vcc_lo
	v_cndmask_b32_e32 v8, 0, v24, vcc_lo
	v_add_co_u32 v15, vcc_lo, s2, v9
	v_add_co_ci_u32_e64 v24, null, s3, v10, vcc_lo
	v_lshlrev_b64 v[9:10], 1, v[7:8]
	v_add_co_u32 v7, vcc_lo, v15, v22
	v_add_co_ci_u32_e64 v8, null, v24, v23, vcc_lo
	v_add_co_u32 v9, vcc_lo, s2, v9
	v_add_co_ci_u32_e64 v10, null, s3, v10, vcc_lo
	global_load_ushort v24, v[7:8], off
	v_add_co_u32 v9, vcc_lo, v9, v22
	v_add_co_ci_u32_e64 v10, null, v10, v23, vcc_lo
	v_add_nc_u32_e32 v22, 64, v2
	global_load_ushort v15, v[9:10], off
	s_waitcnt vmcnt(3)
	v_fma_mix_f32 v19, v21, v25, v19 op_sel_hi:[0,1,0]
	s_waitcnt vmcnt(2)
	v_fma_mix_f32 v19, v20, v26, v19 op_sel_hi:[0,1,0]
	;; [unrolled: 2-line block ×3, first 2 shown]
	v_cmpx_gt_i32_e64 s28, v22
	s_cbranch_execz .LBB473_39
; %bb.34:
	s_clause 0x3
	global_load_ushort v23, v[3:4], off offset:128
	global_load_ushort v24, v[5:6], off offset:128
	;; [unrolled: 1-line block ×4, first 2 shown]
	s_mov_b32 s2, exec_lo
	s_waitcnt vmcnt(3)
	v_fma_mix_f32 v18, v21, v23, v18 op_sel_hi:[0,1,0]
	v_add_nc_u32_e32 v23, 0x80, v2
	s_waitcnt vmcnt(2)
	v_fma_mix_f32 v18, v20, v24, v18 op_sel_hi:[0,1,0]
	s_waitcnt vmcnt(1)
	v_fma_mix_f32 v18, v12, v25, v18 op_sel_hi:[0,1,0]
	v_cmpx_gt_i32_e64 s28, v23
	s_cbranch_execz .LBB473_38
; %bb.35:
	s_clause 0x3
	global_load_ushort v24, v[3:4], off offset:256
	global_load_ushort v25, v[5:6], off offset:256
	;; [unrolled: 1-line block ×4, first 2 shown]
	s_mov_b32 s3, exec_lo
	s_waitcnt vmcnt(3)
	v_fma_mix_f32 v17, v21, v24, v17 op_sel_hi:[0,1,0]
	v_add_nc_u32_e32 v24, 0xc0, v2
	s_waitcnt vmcnt(2)
	v_fma_mix_f32 v17, v20, v25, v17 op_sel_hi:[0,1,0]
	s_waitcnt vmcnt(1)
	v_fma_mix_f32 v2, v12, v26, v17 op_sel_hi:[0,1,0]
	v_cmpx_gt_i32_e64 s28, v24
	s_cbranch_execz .LBB473_37
; %bb.36:
	s_clause 0x3
	global_load_ushort v3, v[3:4], off offset:384
	global_load_ushort v4, v[5:6], off offset:384
	;; [unrolled: 1-line block ×4, first 2 shown]
	s_waitcnt vmcnt(3)
	v_fma_mix_f32 v3, v21, v3, v16 op_sel_hi:[0,1,0]
	s_waitcnt vmcnt(2)
	v_fma_mix_f32 v3, v20, v4, v3 op_sel_hi:[0,1,0]
	;; [unrolled: 2-line block ×4, first 2 shown]
.LBB473_37:
	s_or_b32 exec_lo, exec_lo, s3
	s_waitcnt vmcnt(0)
	v_fma_mix_f32 v17, v11, v23, v2 op_sel_hi:[0,1,0]
.LBB473_38:
	s_or_b32 exec_lo, exec_lo, s2
	s_waitcnt vmcnt(0)
	v_fma_mix_f32 v18, v11, v22, v18 op_sel_hi:[0,1,0]
.LBB473_39:
	s_or_b32 exec_lo, exec_lo, s0
	s_waitcnt vmcnt(0)
	v_fma_mix_f32 v19, v11, v15, v19 op_sel_hi:[0,1,0]
.LBB473_40:
	s_or_b32 exec_lo, exec_lo, s1
.LBB473_41:
	v_lshlrev_b32_e32 v0, 2, v0
	s_mov_b32 s0, exec_lo
                                        ; implicit-def: $vgpr3
                                        ; implicit-def: $vgpr4_vgpr5
	v_lshl_or_b32 v1, v1, 10, v0
	ds_write2st64_b32 v1, v19, v18 offset1:1
	ds_write2st64_b32 v1, v17, v16 offset0:2 offset1:3
	s_waitcnt lgkmcnt(0)
	s_barrier
	buffer_gl0_inv
	v_cmpx_gt_u32_e32 0x100, v14
	s_cbranch_execz .LBB473_47
; %bb.42:
	v_lshl_add_u32 v4, v13, 2, v0
	s_mov_b32 s2, s37
	s_mov_b32 s1, exec_lo
	ds_read2st64_b32 v[0:1], v4 offset1:4
	ds_read2st64_b32 v[2:3], v4 offset0:8 offset1:12
	s_waitcnt lgkmcnt(1)
	v_add_f32_e32 v0, v0, v1
	v_or_b32_e32 v1, s5, v14
	s_waitcnt lgkmcnt(0)
	v_add_f32_e32 v0, v2, v0
	v_add_f32_e32 v0, v3, v0
                                        ; implicit-def: $vgpr3
	ds_write_b32 v4, v0
                                        ; implicit-def: $vgpr4_vgpr5
	v_cmpx_gt_i32_e64 s28, v1
	s_cbranch_execz .LBB473_46
; %bb.43:
	v_ashrrev_i32_e32 v2, 31, v1
	v_mul_lo_u32 v6, s25, v1
	v_mad_u64_u32 v[4:5], null, s24, v1, 0
	v_cmp_eq_f32_e64 s2, s36, 0
	v_mul_lo_u32 v1, s24, v2
	v_mul_f32_e32 v3, s30, v0
	s_and_b32 vcc_lo, exec_lo, s2
	v_add3_u32 v5, v5, v1, v6
	s_cbranch_vccnz .LBB473_45
; %bb.44:
	v_lshlrev_b64 v[0:1], 2, v[4:5]
	v_add_co_u32 v0, vcc_lo, s31, v0
	v_add_co_ci_u32_e64 v1, null, s33, v1, vcc_lo
	global_load_dword v0, v[0:1], off
	s_waitcnt vmcnt(0)
	v_fmac_f32_e32 v3, s36, v0
.LBB473_45:
	s_or_b32 s2, s37, exec_lo
.LBB473_46:
	s_or_b32 exec_lo, exec_lo, s1
	s_andn2_b32 s1, s37, exec_lo
	s_and_b32 s2, s2, exec_lo
	s_or_b32 s37, s1, s2
.LBB473_47:
	s_or_b32 exec_lo, exec_lo, s0
.LBB473_48:
	s_and_saveexec_b32 s0, s37
	s_cbranch_execz .LBB473_50
; %bb.49:
	v_lshlrev_b64 v[0:1], 2, v[4:5]
	v_add_co_u32 v0, vcc_lo, s31, v0
	v_add_co_ci_u32_e64 v1, null, s33, v1, vcc_lo
	global_store_dword v[0:1], v3, off
.LBB473_50:
	s_endpgm
	.section	.rodata,"a",@progbits
	.p2align	6, 0x0
	.amdhsa_kernel _ZL20rocblas_gemvn_kernelILi64ELi4ElDF16_ffEviiT3_lPKT2_lT1_lS3_lS4_lS0_lPT4_lS4_li
		.amdhsa_group_segment_fixed_size 4096
		.amdhsa_private_segment_fixed_size 0
		.amdhsa_kernarg_size 400
		.amdhsa_user_sgpr_count 6
		.amdhsa_user_sgpr_private_segment_buffer 1
		.amdhsa_user_sgpr_dispatch_ptr 0
		.amdhsa_user_sgpr_queue_ptr 0
		.amdhsa_user_sgpr_kernarg_segment_ptr 1
		.amdhsa_user_sgpr_dispatch_id 0
		.amdhsa_user_sgpr_flat_scratch_init 0
		.amdhsa_user_sgpr_private_segment_size 0
		.amdhsa_wavefront_size32 1
		.amdhsa_uses_dynamic_stack 0
		.amdhsa_system_sgpr_private_segment_wavefront_offset 0
		.amdhsa_system_sgpr_workgroup_id_x 1
		.amdhsa_system_sgpr_workgroup_id_y 0
		.amdhsa_system_sgpr_workgroup_id_z 1
		.amdhsa_system_sgpr_workgroup_info 0
		.amdhsa_system_vgpr_workitem_id 1
		.amdhsa_next_free_vgpr 56
		.amdhsa_next_free_sgpr 43
		.amdhsa_reserve_vcc 1
		.amdhsa_reserve_flat_scratch 0
		.amdhsa_float_round_mode_32 0
		.amdhsa_float_round_mode_16_64 0
		.amdhsa_float_denorm_mode_32 3
		.amdhsa_float_denorm_mode_16_64 3
		.amdhsa_dx10_clamp 1
		.amdhsa_ieee_mode 1
		.amdhsa_fp16_overflow 0
		.amdhsa_workgroup_processor_mode 1
		.amdhsa_memory_ordered 1
		.amdhsa_forward_progress 1
		.amdhsa_shared_vgpr_count 0
		.amdhsa_exception_fp_ieee_invalid_op 0
		.amdhsa_exception_fp_denorm_src 0
		.amdhsa_exception_fp_ieee_div_zero 0
		.amdhsa_exception_fp_ieee_overflow 0
		.amdhsa_exception_fp_ieee_underflow 0
		.amdhsa_exception_fp_ieee_inexact 0
		.amdhsa_exception_int_div_zero 0
	.end_amdhsa_kernel
	.section	.text._ZL20rocblas_gemvn_kernelILi64ELi4ElDF16_ffEviiT3_lPKT2_lT1_lS3_lS4_lS0_lPT4_lS4_li,"axG",@progbits,_ZL20rocblas_gemvn_kernelILi64ELi4ElDF16_ffEviiT3_lPKT2_lT1_lS3_lS4_lS0_lPT4_lS4_li,comdat
.Lfunc_end473:
	.size	_ZL20rocblas_gemvn_kernelILi64ELi4ElDF16_ffEviiT3_lPKT2_lT1_lS3_lS4_lS0_lPT4_lS4_li, .Lfunc_end473-_ZL20rocblas_gemvn_kernelILi64ELi4ElDF16_ffEviiT3_lPKT2_lT1_lS3_lS4_lS0_lPT4_lS4_li
                                        ; -- End function
	.set _ZL20rocblas_gemvn_kernelILi64ELi4ElDF16_ffEviiT3_lPKT2_lT1_lS3_lS4_lS0_lPT4_lS4_li.num_vgpr, 56
	.set _ZL20rocblas_gemvn_kernelILi64ELi4ElDF16_ffEviiT3_lPKT2_lT1_lS3_lS4_lS0_lPT4_lS4_li.num_agpr, 0
	.set _ZL20rocblas_gemvn_kernelILi64ELi4ElDF16_ffEviiT3_lPKT2_lT1_lS3_lS4_lS0_lPT4_lS4_li.numbered_sgpr, 43
	.set _ZL20rocblas_gemvn_kernelILi64ELi4ElDF16_ffEviiT3_lPKT2_lT1_lS3_lS4_lS0_lPT4_lS4_li.num_named_barrier, 0
	.set _ZL20rocblas_gemvn_kernelILi64ELi4ElDF16_ffEviiT3_lPKT2_lT1_lS3_lS4_lS0_lPT4_lS4_li.private_seg_size, 0
	.set _ZL20rocblas_gemvn_kernelILi64ELi4ElDF16_ffEviiT3_lPKT2_lT1_lS3_lS4_lS0_lPT4_lS4_li.uses_vcc, 1
	.set _ZL20rocblas_gemvn_kernelILi64ELi4ElDF16_ffEviiT3_lPKT2_lT1_lS3_lS4_lS0_lPT4_lS4_li.uses_flat_scratch, 0
	.set _ZL20rocblas_gemvn_kernelILi64ELi4ElDF16_ffEviiT3_lPKT2_lT1_lS3_lS4_lS0_lPT4_lS4_li.has_dyn_sized_stack, 0
	.set _ZL20rocblas_gemvn_kernelILi64ELi4ElDF16_ffEviiT3_lPKT2_lT1_lS3_lS4_lS0_lPT4_lS4_li.has_recursion, 0
	.set _ZL20rocblas_gemvn_kernelILi64ELi4ElDF16_ffEviiT3_lPKT2_lT1_lS3_lS4_lS0_lPT4_lS4_li.has_indirect_call, 0
	.section	.AMDGPU.csdata,"",@progbits
; Kernel info:
; codeLenInByte = 3160
; TotalNumSgprs: 45
; NumVgprs: 56
; ScratchSize: 0
; MemoryBound: 0
; FloatMode: 240
; IeeeMode: 1
; LDSByteSize: 4096 bytes/workgroup (compile time only)
; SGPRBlocks: 0
; VGPRBlocks: 6
; NumSGPRsForWavesPerEU: 45
; NumVGPRsForWavesPerEU: 56
; Occupancy: 16
; WaveLimiterHint : 1
; COMPUTE_PGM_RSRC2:SCRATCH_EN: 0
; COMPUTE_PGM_RSRC2:USER_SGPR: 6
; COMPUTE_PGM_RSRC2:TRAP_HANDLER: 0
; COMPUTE_PGM_RSRC2:TGID_X_EN: 1
; COMPUTE_PGM_RSRC2:TGID_Y_EN: 0
; COMPUTE_PGM_RSRC2:TGID_Z_EN: 1
; COMPUTE_PGM_RSRC2:TIDIG_COMP_CNT: 1
	.section	.text._ZL20rocblas_gemvn_kernelILi32ELi16EiDF16_PKffEviiT3_lPKT2_lT1_lS5_lS6_lS2_lPT4_lS6_li,"axG",@progbits,_ZL20rocblas_gemvn_kernelILi32ELi16EiDF16_PKffEviiT3_lPKT2_lT1_lS5_lS6_lS2_lPT4_lS6_li,comdat
	.globl	_ZL20rocblas_gemvn_kernelILi32ELi16EiDF16_PKffEviiT3_lPKT2_lT1_lS5_lS6_lS2_lPT4_lS6_li ; -- Begin function _ZL20rocblas_gemvn_kernelILi32ELi16EiDF16_PKffEviiT3_lPKT2_lT1_lS5_lS6_lS2_lPT4_lS6_li
	.p2align	8
	.type	_ZL20rocblas_gemvn_kernelILi32ELi16EiDF16_PKffEviiT3_lPKT2_lT1_lS5_lS6_lS2_lPT4_lS6_li,@function
_ZL20rocblas_gemvn_kernelILi32ELi16EiDF16_PKffEviiT3_lPKT2_lT1_lS5_lS6_lS2_lPT4_lS6_li: ; @_ZL20rocblas_gemvn_kernelILi32ELi16EiDF16_PKffEviiT3_lPKT2_lT1_lS5_lS6_lS2_lPT4_lS6_li
; %bb.0:
	s_load_dwordx2 s[0:1], s[4:5], 0x9c
	s_waitcnt lgkmcnt(0)
	s_lshr_b32 s2, s0, 16
	s_and_b32 s0, s0, 0xffff
	s_and_b32 s1, s1, 0xffff
	s_mul_i32 s0, s2, s0
	s_mul_i32 s0, s0, s1
	s_cmpk_lg_i32 s0, 0x200
	s_cbranch_scc1 .LBB474_50
; %bb.1:
	s_clause 0x1
	s_load_dwordx8 s[16:23], s[4:5], 0x8
	s_load_dwordx8 s[8:15], s[4:5], 0x50
	s_waitcnt lgkmcnt(0)
	s_mul_i32 s1, s19, s7
	s_mul_hi_u32 s2, s18, s7
	s_mul_i32 s0, s18, s7
	s_add_i32 s1, s2, s1
	s_mul_i32 s2, s13, s7
	s_lshl_b64 s[0:1], s[0:1], 2
	s_mul_hi_u32 s3, s12, s7
	s_add_u32 s0, s16, s0
	s_addc_u32 s1, s17, s1
	s_add_i32 s3, s3, s2
	s_mul_i32 s2, s12, s7
	s_mov_b32 s18, 0
	s_lshl_b64 s[2:3], s[2:3], 2
	s_add_u32 s2, s10, s2
	s_addc_u32 s3, s11, s3
	s_load_dword s17, s[0:1], 0x0
	s_load_dword s16, s[2:3], 0x0
	s_waitcnt lgkmcnt(0)
	v_cmp_eq_f32_e64 s0, s17, 0
	v_cmp_eq_f32_e64 s1, s16, 1.0
	s_and_b32 s0, s0, s1
	s_and_b32 vcc_lo, exec_lo, s0
	s_cbranch_vccnz .LBB474_50
; %bb.2:
	s_clause 0x3
	s_load_dwordx2 s[0:1], s[4:5], 0x80
	s_load_dwordx2 s[2:3], s[4:5], 0x70
	s_load_dword s19, s[4:5], 0x78
	s_load_dwordx2 s[10:11], s[4:5], 0x0
	v_lshlrev_b32_e32 v14, 5, v1
	v_cmp_neq_f32_e64 s24, s17, 0
	v_add_nc_u32_e32 v13, v14, v0
	s_waitcnt lgkmcnt(0)
	s_mul_i32 s1, s1, s7
	s_mul_hi_u32 s12, s0, s7
	s_mul_i32 s0, s0, s7
	s_add_i32 s1, s12, s1
	s_lshl_b64 s[0:1], s[0:1], 2
	s_add_u32 s12, s14, s0
	s_addc_u32 s13, s15, s1
	s_lshl_b64 s[0:1], s[2:3], 2
	s_add_u32 s12, s12, s0
	v_cmp_gt_u32_e64 s0, 0x80, v13
	s_addc_u32 s13, s13, s1
	s_and_b32 vcc_lo, exec_lo, s24
	s_cbranch_vccnz .LBB474_9
; %bb.3:
	s_mov_b32 s1, 0
                                        ; implicit-def: $vgpr3
                                        ; implicit-def: $vgpr4_vgpr5
	s_and_saveexec_b32 s2, s0
	s_cbranch_execz .LBB474_10
; %bb.4:
	v_lshl_or_b32 v2, s6, 7, v13
	v_mov_b32_e32 v3, 0
	s_ashr_i32 s15, s10, 31
	s_mov_b32 s14, s10
	s_mov_b32 s3, 0
	s_mov_b32 s0, exec_lo
                                        ; implicit-def: $vgpr4_vgpr5
	v_cmpx_gt_i64_e64 s[14:15], v[2:3]
	s_cbranch_execz .LBB474_8
; %bb.5:
	v_mad_u64_u32 v[4:5], null, s19, v2, 0
	s_ashr_i32 s3, s19, 31
	v_mad_u64_u32 v[5:6], null, s3, v2, v[5:6]
	v_cmp_eq_f32_e64 s3, s16, 0
	s_and_b32 vcc_lo, exec_lo, s3
	s_cbranch_vccnz .LBB474_7
; %bb.6:
	v_lshlrev_b64 v[2:3], 2, v[4:5]
	v_add_co_u32 v2, vcc_lo, s12, v2
	v_add_co_ci_u32_e64 v3, null, s13, v3, vcc_lo
	global_load_dword v2, v[2:3], off
	s_waitcnt vmcnt(0)
	v_mul_f32_e32 v3, s16, v2
.LBB474_7:
	s_mov_b32 s3, exec_lo
.LBB474_8:
	s_or_b32 exec_lo, exec_lo, s0
	s_and_b32 s18, s3, exec_lo
	s_or_b32 exec_lo, exec_lo, s2
	s_and_b32 vcc_lo, exec_lo, s1
	s_cbranch_vccnz .LBB474_11
	s_branch .LBB474_48
.LBB474_9:
                                        ; implicit-def: $vgpr3
                                        ; implicit-def: $vgpr4_vgpr5
	s_cbranch_execnz .LBB474_11
	s_branch .LBB474_48
.LBB474_10:
	s_or_b32 exec_lo, exec_lo, s2
	s_and_b32 vcc_lo, exec_lo, s1
	s_cbranch_vccz .LBB474_48
.LBB474_11:
	s_clause 0x3
	s_load_dwordx4 s[0:3], s[4:5], 0x30
	s_load_dword s14, s[4:5], 0x28
	s_load_dwordx2 s[24:25], s[4:5], 0x40
	s_load_dword s4, s[4:5], 0x48
	s_mul_i32 s9, s9, s7
	v_lshlrev_b32_e32 v20, 2, v1
	v_mov_b32_e32 v19, 0
	v_mov_b32_e32 v18, 0
	;; [unrolled: 1-line block ×4, first 2 shown]
	s_waitcnt lgkmcnt(0)
	s_mul_i32 s1, s1, s7
	s_mul_hi_u32 s15, s0, s7
	s_mul_i32 s0, s0, s7
	s_add_i32 s1, s15, s1
	s_mul_hi_u32 s15, s8, s7
	s_lshl_b64 s[0:1], s[0:1], 1
	s_add_u32 s26, s20, s0
	s_addc_u32 s21, s21, s1
	s_lshl_b64 s[0:1], s[22:23], 1
	s_mul_i32 s20, s8, s7
	s_add_u32 s7, s26, s0
	s_addc_u32 s8, s21, s1
	s_add_i32 s21, s15, s9
	s_lshl_b64 s[0:1], s[20:21], 1
	s_mov_b32 s20, exec_lo
	s_add_u32 s2, s2, s0
	s_addc_u32 s3, s3, s1
	s_lshl_b64 s[0:1], s[24:25], 1
	s_add_u32 s9, s2, s0
	s_addc_u32 s15, s3, s1
	s_ashr_i32 s0, s11, 31
	s_lshl_b32 s5, s6, 7
	s_lshr_b32 s0, s0, 26
	v_add_nc_u32_e32 v17, s5, v0
	s_add_i32 s0, s11, s0
	s_and_b32 s6, s0, 0xffffffc0
	v_cmpx_gt_i32_e64 s6, v20
	s_cbranch_execz .LBB474_23
; %bb.12:
	v_add_nc_u32_e32 v5, 0x60, v17
	v_mul_lo_u32 v3, s14, v20
	v_add_nc_u32_e32 v2, 32, v17
	v_add_nc_u32_e32 v6, 2, v20
	;; [unrolled: 1-line block ×3, first 2 shown]
	v_cmp_gt_i32_e64 s2, s10, v5
	v_mul_lo_u32 v5, v1, s14
	v_add_nc_u32_e32 v7, 3, v20
	v_mul_lo_u32 v8, v1, s4
	v_cmp_gt_i32_e64 s0, s10, v2
	v_add3_u32 v21, v3, s14, v0
	v_mad_u64_u32 v[2:3], null, s14, v6, v[0:1]
	v_cmp_gt_i32_e64 s1, s10, v4
	v_mad_u64_u32 v[3:4], null, s14, v7, v[0:1]
	v_lshl_add_u32 v22, v5, 2, v0
	v_mad_u64_u32 v[4:5], null, s4, v20, s[4:5]
	v_mul_lo_u32 v23, s4, v6
	v_mul_lo_u32 v24, s4, v7
	v_lshlrev_b32_e32 v25, 2, v8
	v_mov_b32_e32 v19, 0
	v_mov_b32_e32 v18, 0
	;; [unrolled: 1-line block ×4, first 2 shown]
	s_lshl_b32 s21, s14, 6
	s_lshl_b32 s23, s4, 6
	s_mov_b32 s22, 0
	s_mov_b32 s24, 0
	v_cmp_gt_i32_e32 vcc_lo, s10, v17
	s_branch .LBB474_17
.LBB474_13:                             ;   in Loop: Header=BB474_17 Depth=1
	s_or_b32 exec_lo, exec_lo, s27
	s_waitcnt vmcnt(3)
	v_fma_mix_f32 v5, v38, v42, v16 op_sel_hi:[0,1,0]
	s_waitcnt vmcnt(2)
	v_fma_mix_f32 v5, v39, v43, v5 op_sel_hi:[0,1,0]
	;; [unrolled: 2-line block ×4, first 2 shown]
.LBB474_14:                             ;   in Loop: Header=BB474_17 Depth=1
	s_or_b32 exec_lo, exec_lo, s26
	s_waitcnt vmcnt(3)
	v_fma_mix_f32 v5, v38, v34, v18 op_sel_hi:[0,1,0]
	s_waitcnt vmcnt(2)
	v_fma_mix_f32 v5, v39, v35, v5 op_sel_hi:[0,1,0]
	;; [unrolled: 2-line block ×4, first 2 shown]
.LBB474_15:                             ;   in Loop: Header=BB474_17 Depth=1
	s_or_b32 exec_lo, exec_lo, s3
	s_waitcnt vmcnt(3)
	v_fma_mix_f32 v5, v26, v30, v19 op_sel_hi:[1,1,0]
	s_waitcnt vmcnt(2)
	v_fma_mix_f32 v5, v27, v31, v5 op_sel_hi:[1,1,0]
	;; [unrolled: 2-line block ×4, first 2 shown]
.LBB474_16:                             ;   in Loop: Header=BB474_17 Depth=1
	s_or_b32 exec_lo, exec_lo, s25
	v_add_nc_u32_e32 v20, 64, v20
	v_add_nc_u32_e32 v21, s21, v21
	;; [unrolled: 1-line block ×5, first 2 shown]
	v_cmp_le_i32_e64 s3, s6, v20
	s_add_i32 s24, s24, s23
	s_or_b32 s22, s3, s22
	s_andn2_b32 exec_lo, exec_lo, s22
	s_cbranch_execz .LBB474_22
.LBB474_17:                             ; =>This Inner Loop Header: Depth=1
	s_and_saveexec_b32 s25, vcc_lo
	s_cbranch_execz .LBB474_16
; %bb.18:                               ;   in Loop: Header=BB474_17 Depth=1
	v_add_nc_u32_e32 v5, s24, v25
	v_add_nc_u32_e32 v7, s24, v4
	;; [unrolled: 1-line block ×5, first 2 shown]
	v_ashrrev_i32_e32 v6, 31, v5
	v_ashrrev_i32_e32 v8, 31, v7
	;; [unrolled: 1-line block ×5, first 2 shown]
	v_lshlrev_b64 v[5:6], 1, v[5:6]
	v_lshlrev_b64 v[7:8], 1, v[7:8]
	;; [unrolled: 1-line block ×3, first 2 shown]
	v_add_co_u32 v28, s3, s9, v5
	v_add_co_ci_u32_e64 v29, null, s15, v6, s3
	v_add_co_u32 v30, s3, s9, v7
	v_add_nc_u32_e32 v7, s5, v21
	v_add_co_ci_u32_e64 v31, null, s15, v8, s3
	v_lshlrev_b64 v[5:6], 1, v[11:12]
	v_add_co_u32 v32, s3, s9, v9
	v_add_nc_u32_e32 v11, s5, v2
	v_add_co_ci_u32_e64 v33, null, s15, v10, s3
	v_lshlrev_b64 v[9:10], 1, v[26:27]
	v_add_nc_u32_e32 v26, s5, v3
	v_ashrrev_i32_e32 v8, 31, v7
	v_ashrrev_i32_e32 v12, 31, v11
	v_add_co_u32 v34, s3, s9, v5
	v_ashrrev_i32_e32 v27, 31, v26
	v_add_co_ci_u32_e64 v35, null, s15, v6, s3
	v_lshlrev_b64 v[7:8], 1, v[7:8]
	v_add_co_u32 v5, s3, s7, v9
	v_add_co_ci_u32_e64 v6, null, s8, v10, s3
	v_lshlrev_b64 v[9:10], 1, v[11:12]
	v_lshlrev_b64 v[11:12], 1, v[26:27]
	v_add_co_u32 v7, s3, s7, v7
	v_add_co_ci_u32_e64 v8, null, s8, v8, s3
	v_add_co_u32 v9, s3, s7, v9
	v_add_co_ci_u32_e64 v10, null, s8, v10, s3
	;; [unrolled: 2-line block ×3, first 2 shown]
	s_clause 0x3
	global_load_ushort v26, v[28:29], off
	global_load_ushort v27, v[30:31], off
	;; [unrolled: 1-line block ×4, first 2 shown]
	s_clause 0x3
	global_load_ushort v30, v[5:6], off
	global_load_ushort v31, v[7:8], off
	;; [unrolled: 1-line block ×4, first 2 shown]
	s_and_saveexec_b32 s3, s0
	s_cbranch_execz .LBB474_15
; %bb.19:                               ;   in Loop: Header=BB474_17 Depth=1
	s_clause 0x3
	global_load_ushort v34, v[5:6], off offset:64
	global_load_ushort v35, v[7:8], off offset:64
	;; [unrolled: 1-line block ×4, first 2 shown]
	s_waitcnt vmcnt(11)
	v_cvt_f32_f16_e32 v38, v26
	s_waitcnt vmcnt(10)
	v_cvt_f32_f16_e32 v39, v27
	;; [unrolled: 2-line block ×4, first 2 shown]
	s_and_saveexec_b32 s26, s1
	s_cbranch_execz .LBB474_14
; %bb.20:                               ;   in Loop: Header=BB474_17 Depth=1
	s_clause 0x3
	global_load_ushort v42, v[5:6], off offset:128
	global_load_ushort v43, v[7:8], off offset:128
	;; [unrolled: 1-line block ×4, first 2 shown]
	s_and_saveexec_b32 s27, s2
	s_cbranch_execz .LBB474_13
; %bb.21:                               ;   in Loop: Header=BB474_17 Depth=1
	s_clause 0x3
	global_load_ushort v5, v[5:6], off offset:192
	global_load_ushort v6, v[7:8], off offset:192
	;; [unrolled: 1-line block ×4, first 2 shown]
	s_waitcnt vmcnt(3)
	v_fma_mix_f32 v5, v38, v5, v15 op_sel_hi:[0,1,0]
	s_waitcnt vmcnt(2)
	v_fma_mix_f32 v5, v39, v6, v5 op_sel_hi:[0,1,0]
	;; [unrolled: 2-line block ×4, first 2 shown]
	s_branch .LBB474_13
.LBB474_22:
	s_or_b32 exec_lo, exec_lo, s22
.LBB474_23:
	s_or_b32 exec_lo, exec_lo, s20
	s_sub_i32 s0, s11, s6
	s_cmp_lt_i32 s0, 1
	s_cbranch_scc1 .LBB474_41
; %bb.24:
	v_cmp_gt_i32_e32 vcc_lo, s11, v20
	v_mov_b32_e32 v10, 0
	v_or_b32_e32 v2, 1, v20
	v_mov_b32_e32 v11, 0
	v_mov_b32_e32 v12, 0
	;; [unrolled: 1-line block ×3, first 2 shown]
	s_and_saveexec_b32 s1, vcc_lo
	s_cbranch_execz .LBB474_32
; %bb.25:
	v_mul_lo_u32 v3, v20, s4
	v_mov_b32_e32 v12, 0
	v_mov_b32_e32 v11, 0
	v_mov_b32_e32 v10, 0
	s_mov_b32 s2, exec_lo
	v_ashrrev_i32_e32 v4, 31, v3
	v_lshlrev_b64 v[3:4], 1, v[3:4]
	v_add_co_u32 v3, s0, s9, v3
	v_add_co_ci_u32_e64 v4, null, s15, v4, s0
	global_load_ushort v3, v[3:4], off
	v_cmpx_gt_i32_e64 s11, v2
	s_cbranch_execz .LBB474_31
; %bb.26:
	v_mul_lo_u32 v4, v2, s4
	v_mov_b32_e32 v11, 0
	v_mov_b32_e32 v10, 0
	s_mov_b32 s3, exec_lo
	v_ashrrev_i32_e32 v5, 31, v4
	v_lshlrev_b64 v[4:5], 1, v[4:5]
	v_add_co_u32 v4, s0, s9, v4
	v_add_co_ci_u32_e64 v5, null, s15, v5, s0
	global_load_ushort v4, v[4:5], off
	v_or_b32_e32 v5, 2, v20
	v_cmpx_gt_i32_e64 s11, v5
	s_cbranch_execz .LBB474_30
; %bb.27:
	v_mul_lo_u32 v5, v5, s4
	v_mov_b32_e32 v10, 0
	s_mov_b32 s6, exec_lo
	v_ashrrev_i32_e32 v6, 31, v5
	v_lshlrev_b64 v[5:6], 1, v[5:6]
	v_add_co_u32 v5, s0, s9, v5
	v_add_co_ci_u32_e64 v6, null, s15, v6, s0
	global_load_ushort v5, v[5:6], off
	v_or_b32_e32 v6, 3, v20
	v_cmpx_gt_i32_e64 s11, v6
	s_cbranch_execz .LBB474_29
; %bb.28:
	v_mul_lo_u32 v6, v6, s4
	v_ashrrev_i32_e32 v7, 31, v6
	v_lshlrev_b64 v[6:7], 1, v[6:7]
	v_add_co_u32 v6, s0, s9, v6
	v_add_co_ci_u32_e64 v7, null, s15, v7, s0
	global_load_ushort v6, v[6:7], off
	s_waitcnt vmcnt(0)
	v_cvt_f32_f16_e32 v10, v6
.LBB474_29:
	s_or_b32 exec_lo, exec_lo, s6
	s_waitcnt vmcnt(0)
	v_cvt_f32_f16_e32 v11, v5
.LBB474_30:
	s_or_b32 exec_lo, exec_lo, s3
	s_waitcnt vmcnt(0)
	v_cvt_f32_f16_e32 v12, v4
.LBB474_31:
	s_or_b32 exec_lo, exec_lo, s2
	s_waitcnt vmcnt(0)
	v_cvt_f32_f16_e32 v21, v3
.LBB474_32:
	s_or_b32 exec_lo, exec_lo, s1
	s_mov_b32 s1, exec_lo
	v_cmpx_gt_i32_e64 s10, v17
	s_cbranch_execz .LBB474_40
; %bb.33:
	v_mul_lo_u32 v3, v20, s14
	v_or_b32_e32 v4, 2, v20
	v_mul_lo_u32 v5, v2, s14
	v_or_b32_e32 v6, 3, v20
	s_mov_b32 s0, exec_lo
	v_mul_lo_u32 v7, v4, s14
	v_mul_lo_u32 v8, v6, s14
	v_cndmask_b32_e32 v3, 0, v3, vcc_lo
	v_cmp_gt_i32_e32 vcc_lo, s11, v2
	v_add_nc_u32_e32 v2, v3, v17
	v_cndmask_b32_e32 v5, 0, v5, vcc_lo
	v_cmp_gt_i32_e32 vcc_lo, s11, v4
	v_ashrrev_i32_e32 v3, 31, v2
	v_add_nc_u32_e32 v4, v5, v17
	v_cndmask_b32_e32 v7, 0, v7, vcc_lo
	v_cmp_gt_i32_e32 vcc_lo, s11, v6
	v_lshlrev_b64 v[2:3], 1, v[2:3]
	v_ashrrev_i32_e32 v5, 31, v4
	v_add_nc_u32_e32 v6, v7, v17
	v_cndmask_b32_e32 v8, 0, v8, vcc_lo
	v_lshlrev_b64 v[4:5], 1, v[4:5]
	v_ashrrev_i32_e32 v7, 31, v6
	v_add_nc_u32_e32 v8, v8, v17
	v_add_co_u32 v2, vcc_lo, s7, v2
	v_add_co_ci_u32_e64 v3, null, s8, v3, vcc_lo
	v_lshlrev_b64 v[6:7], 1, v[6:7]
	v_ashrrev_i32_e32 v9, 31, v8
	v_add_co_u32 v4, vcc_lo, s7, v4
	v_add_co_ci_u32_e64 v5, null, s8, v5, vcc_lo
	global_load_ushort v22, v[2:3], off
	v_add_co_u32 v6, vcc_lo, s7, v6
	v_add_co_ci_u32_e64 v7, null, s8, v7, vcc_lo
	v_lshlrev_b64 v[8:9], 1, v[8:9]
	s_clause 0x1
	global_load_ushort v23, v[4:5], off
	global_load_ushort v24, v[6:7], off
	v_add_co_u32 v8, vcc_lo, s7, v8
	v_add_co_ci_u32_e64 v9, null, s8, v9, vcc_lo
	global_load_ushort v20, v[8:9], off
	s_waitcnt vmcnt(3)
	v_fma_mix_f32 v19, v21, v22, v19 op_sel_hi:[0,1,0]
	v_add_nc_u32_e32 v22, 32, v17
	s_waitcnt vmcnt(2)
	v_fma_mix_f32 v19, v12, v23, v19 op_sel_hi:[0,1,0]
	s_waitcnt vmcnt(1)
	v_fma_mix_f32 v19, v11, v24, v19 op_sel_hi:[0,1,0]
	v_cmpx_gt_i32_e64 s10, v22
	s_cbranch_execz .LBB474_39
; %bb.34:
	s_clause 0x3
	global_load_ushort v23, v[2:3], off offset:64
	global_load_ushort v24, v[4:5], off offset:64
	;; [unrolled: 1-line block ×4, first 2 shown]
	s_mov_b32 s2, exec_lo
	s_waitcnt vmcnt(3)
	v_fma_mix_f32 v18, v21, v23, v18 op_sel_hi:[0,1,0]
	v_add_nc_u32_e32 v23, 64, v17
	s_waitcnt vmcnt(2)
	v_fma_mix_f32 v18, v12, v24, v18 op_sel_hi:[0,1,0]
	s_waitcnt vmcnt(1)
	v_fma_mix_f32 v18, v11, v25, v18 op_sel_hi:[0,1,0]
	v_cmpx_gt_i32_e64 s10, v23
	s_cbranch_execz .LBB474_38
; %bb.35:
	s_clause 0x3
	global_load_ushort v24, v[2:3], off offset:128
	global_load_ushort v25, v[4:5], off offset:128
	;; [unrolled: 1-line block ×4, first 2 shown]
	v_add_nc_u32_e32 v17, 0x60, v17
	s_mov_b32 s3, exec_lo
	s_waitcnt vmcnt(3)
	v_fma_mix_f32 v16, v21, v24, v16 op_sel_hi:[0,1,0]
	s_waitcnt vmcnt(2)
	v_fma_mix_f32 v16, v12, v25, v16 op_sel_hi:[0,1,0]
	;; [unrolled: 2-line block ×3, first 2 shown]
	v_cmpx_gt_i32_e64 s10, v17
	s_cbranch_execz .LBB474_37
; %bb.36:
	s_clause 0x3
	global_load_ushort v2, v[2:3], off offset:192
	global_load_ushort v3, v[4:5], off offset:192
	global_load_ushort v4, v[6:7], off offset:192
	global_load_ushort v5, v[8:9], off offset:192
	s_waitcnt vmcnt(3)
	v_fma_mix_f32 v2, v21, v2, v15 op_sel_hi:[0,1,0]
	s_waitcnt vmcnt(2)
	v_fma_mix_f32 v2, v12, v3, v2 op_sel_hi:[0,1,0]
	s_waitcnt vmcnt(1)
	v_fma_mix_f32 v2, v11, v4, v2 op_sel_hi:[0,1,0]
	s_waitcnt vmcnt(0)
	v_fma_mix_f32 v15, v10, v5, v2 op_sel_hi:[0,1,0]
.LBB474_37:
	s_or_b32 exec_lo, exec_lo, s3
	s_waitcnt vmcnt(0)
	v_fma_mix_f32 v16, v10, v23, v16 op_sel_hi:[0,1,0]
.LBB474_38:
	s_or_b32 exec_lo, exec_lo, s2
	s_waitcnt vmcnt(0)
	v_fma_mix_f32 v18, v10, v22, v18 op_sel_hi:[0,1,0]
.LBB474_39:
	s_or_b32 exec_lo, exec_lo, s0
	s_waitcnt vmcnt(0)
	v_fma_mix_f32 v19, v10, v20, v19 op_sel_hi:[0,1,0]
.LBB474_40:
	s_or_b32 exec_lo, exec_lo, s1
.LBB474_41:
	v_lshlrev_b32_e32 v0, 2, v0
	s_mov_b32 s0, exec_lo
                                        ; implicit-def: $vgpr3
                                        ; implicit-def: $vgpr4_vgpr5
	v_lshl_add_u32 v1, v1, 9, v0
	ds_write2_b32 v1, v19, v18 offset1:32
	ds_write2_b32 v1, v16, v15 offset0:64 offset1:96
	s_waitcnt lgkmcnt(0)
	s_barrier
	buffer_gl0_inv
	v_cmpx_gt_u32_e32 0x80, v13
	s_cbranch_execz .LBB474_47
; %bb.42:
	v_lshl_add_u32 v6, v14, 2, v0
	s_mov_b32 s2, s18
	s_mov_b32 s1, exec_lo
	ds_read2st64_b32 v[0:1], v6 offset1:2
	ds_read2st64_b32 v[2:3], v6 offset0:4 offset1:6
	ds_read2st64_b32 v[4:5], v6 offset0:8 offset1:10
	s_waitcnt lgkmcnt(2)
	v_add_f32_e32 v7, v0, v1
	ds_read2st64_b32 v[0:1], v6 offset0:12 offset1:14
	s_waitcnt lgkmcnt(2)
	v_add_f32_e32 v2, v2, v7
	v_add_f32_e32 v7, v3, v2
	ds_read2st64_b32 v[2:3], v6 offset0:16 offset1:18
	s_waitcnt lgkmcnt(2)
	v_add_f32_e32 v4, v4, v7
	;; [unrolled: 4-line block ×3, first 2 shown]
	v_add_f32_e32 v0, v1, v0
	s_waitcnt lgkmcnt(1)
	v_add_f32_e32 v2, v2, v0
	ds_read2st64_b32 v[0:1], v6 offset0:24 offset1:26
	v_add_f32_e32 v2, v3, v2
	s_waitcnt lgkmcnt(1)
	v_add_f32_e32 v4, v4, v2
	ds_read2st64_b32 v[2:3], v6 offset0:28 offset1:30
	v_add_f32_e32 v4, v5, v4
	s_waitcnt lgkmcnt(1)
	v_add_f32_e32 v0, v0, v4
                                        ; implicit-def: $vgpr4_vgpr5
	v_add_f32_e32 v0, v1, v0
	v_or_b32_e32 v1, s5, v13
	s_waitcnt lgkmcnt(0)
	v_add_f32_e32 v0, v2, v0
	v_add_f32_e32 v0, v3, v0
                                        ; implicit-def: $vgpr3
	ds_write_b32 v6, v0
	v_cmpx_gt_i32_e64 s10, v1
	s_cbranch_execz .LBB474_46
; %bb.43:
	v_mul_lo_u32 v4, s19, v1
	v_cmp_eq_f32_e64 s2, s16, 0
	v_mul_f32_e32 v3, s17, v0
	s_and_b32 vcc_lo, exec_lo, s2
	v_ashrrev_i32_e32 v5, 31, v4
	s_cbranch_vccnz .LBB474_45
; %bb.44:
	v_lshlrev_b64 v[0:1], 2, v[4:5]
	v_add_co_u32 v0, vcc_lo, s12, v0
	v_add_co_ci_u32_e64 v1, null, s13, v1, vcc_lo
	global_load_dword v0, v[0:1], off
	s_waitcnt vmcnt(0)
	v_fmac_f32_e32 v3, s16, v0
.LBB474_45:
	s_or_b32 s2, s18, exec_lo
.LBB474_46:
	s_or_b32 exec_lo, exec_lo, s1
	s_andn2_b32 s1, s18, exec_lo
	s_and_b32 s2, s2, exec_lo
	s_or_b32 s18, s1, s2
.LBB474_47:
	s_or_b32 exec_lo, exec_lo, s0
.LBB474_48:
	s_and_saveexec_b32 s0, s18
	s_cbranch_execz .LBB474_50
; %bb.49:
	v_lshlrev_b64 v[0:1], 2, v[4:5]
	v_add_co_u32 v0, vcc_lo, s12, v0
	v_add_co_ci_u32_e64 v1, null, s13, v1, vcc_lo
	global_store_dword v[0:1], v3, off
.LBB474_50:
	s_endpgm
	.section	.rodata,"a",@progbits
	.p2align	6, 0x0
	.amdhsa_kernel _ZL20rocblas_gemvn_kernelILi32ELi16EiDF16_PKffEviiT3_lPKT2_lT1_lS5_lS6_lS2_lPT4_lS6_li
		.amdhsa_group_segment_fixed_size 8192
		.amdhsa_private_segment_fixed_size 0
		.amdhsa_kernarg_size 400
		.amdhsa_user_sgpr_count 6
		.amdhsa_user_sgpr_private_segment_buffer 1
		.amdhsa_user_sgpr_dispatch_ptr 0
		.amdhsa_user_sgpr_queue_ptr 0
		.amdhsa_user_sgpr_kernarg_segment_ptr 1
		.amdhsa_user_sgpr_dispatch_id 0
		.amdhsa_user_sgpr_flat_scratch_init 0
		.amdhsa_user_sgpr_private_segment_size 0
		.amdhsa_wavefront_size32 1
		.amdhsa_uses_dynamic_stack 0
		.amdhsa_system_sgpr_private_segment_wavefront_offset 0
		.amdhsa_system_sgpr_workgroup_id_x 1
		.amdhsa_system_sgpr_workgroup_id_y 0
		.amdhsa_system_sgpr_workgroup_id_z 1
		.amdhsa_system_sgpr_workgroup_info 0
		.amdhsa_system_vgpr_workitem_id 1
		.amdhsa_next_free_vgpr 46
		.amdhsa_next_free_sgpr 28
		.amdhsa_reserve_vcc 1
		.amdhsa_reserve_flat_scratch 0
		.amdhsa_float_round_mode_32 0
		.amdhsa_float_round_mode_16_64 0
		.amdhsa_float_denorm_mode_32 3
		.amdhsa_float_denorm_mode_16_64 3
		.amdhsa_dx10_clamp 1
		.amdhsa_ieee_mode 1
		.amdhsa_fp16_overflow 0
		.amdhsa_workgroup_processor_mode 1
		.amdhsa_memory_ordered 1
		.amdhsa_forward_progress 1
		.amdhsa_shared_vgpr_count 0
		.amdhsa_exception_fp_ieee_invalid_op 0
		.amdhsa_exception_fp_denorm_src 0
		.amdhsa_exception_fp_ieee_div_zero 0
		.amdhsa_exception_fp_ieee_overflow 0
		.amdhsa_exception_fp_ieee_underflow 0
		.amdhsa_exception_fp_ieee_inexact 0
		.amdhsa_exception_int_div_zero 0
	.end_amdhsa_kernel
	.section	.text._ZL20rocblas_gemvn_kernelILi32ELi16EiDF16_PKffEviiT3_lPKT2_lT1_lS5_lS6_lS2_lPT4_lS6_li,"axG",@progbits,_ZL20rocblas_gemvn_kernelILi32ELi16EiDF16_PKffEviiT3_lPKT2_lT1_lS5_lS6_lS2_lPT4_lS6_li,comdat
.Lfunc_end474:
	.size	_ZL20rocblas_gemvn_kernelILi32ELi16EiDF16_PKffEviiT3_lPKT2_lT1_lS5_lS6_lS2_lPT4_lS6_li, .Lfunc_end474-_ZL20rocblas_gemvn_kernelILi32ELi16EiDF16_PKffEviiT3_lPKT2_lT1_lS5_lS6_lS2_lPT4_lS6_li
                                        ; -- End function
	.set _ZL20rocblas_gemvn_kernelILi32ELi16EiDF16_PKffEviiT3_lPKT2_lT1_lS5_lS6_lS2_lPT4_lS6_li.num_vgpr, 46
	.set _ZL20rocblas_gemvn_kernelILi32ELi16EiDF16_PKffEviiT3_lPKT2_lT1_lS5_lS6_lS2_lPT4_lS6_li.num_agpr, 0
	.set _ZL20rocblas_gemvn_kernelILi32ELi16EiDF16_PKffEviiT3_lPKT2_lT1_lS5_lS6_lS2_lPT4_lS6_li.numbered_sgpr, 28
	.set _ZL20rocblas_gemvn_kernelILi32ELi16EiDF16_PKffEviiT3_lPKT2_lT1_lS5_lS6_lS2_lPT4_lS6_li.num_named_barrier, 0
	.set _ZL20rocblas_gemvn_kernelILi32ELi16EiDF16_PKffEviiT3_lPKT2_lT1_lS5_lS6_lS2_lPT4_lS6_li.private_seg_size, 0
	.set _ZL20rocblas_gemvn_kernelILi32ELi16EiDF16_PKffEviiT3_lPKT2_lT1_lS5_lS6_lS2_lPT4_lS6_li.uses_vcc, 1
	.set _ZL20rocblas_gemvn_kernelILi32ELi16EiDF16_PKffEviiT3_lPKT2_lT1_lS5_lS6_lS2_lPT4_lS6_li.uses_flat_scratch, 0
	.set _ZL20rocblas_gemvn_kernelILi32ELi16EiDF16_PKffEviiT3_lPKT2_lT1_lS5_lS6_lS2_lPT4_lS6_li.has_dyn_sized_stack, 0
	.set _ZL20rocblas_gemvn_kernelILi32ELi16EiDF16_PKffEviiT3_lPKT2_lT1_lS5_lS6_lS2_lPT4_lS6_li.has_recursion, 0
	.set _ZL20rocblas_gemvn_kernelILi32ELi16EiDF16_PKffEviiT3_lPKT2_lT1_lS5_lS6_lS2_lPT4_lS6_li.has_indirect_call, 0
	.section	.AMDGPU.csdata,"",@progbits
; Kernel info:
; codeLenInByte = 2964
; TotalNumSgprs: 30
; NumVgprs: 46
; ScratchSize: 0
; MemoryBound: 0
; FloatMode: 240
; IeeeMode: 1
; LDSByteSize: 8192 bytes/workgroup (compile time only)
; SGPRBlocks: 0
; VGPRBlocks: 5
; NumSGPRsForWavesPerEU: 30
; NumVGPRsForWavesPerEU: 46
; Occupancy: 16
; WaveLimiterHint : 1
; COMPUTE_PGM_RSRC2:SCRATCH_EN: 0
; COMPUTE_PGM_RSRC2:USER_SGPR: 6
; COMPUTE_PGM_RSRC2:TRAP_HANDLER: 0
; COMPUTE_PGM_RSRC2:TGID_X_EN: 1
; COMPUTE_PGM_RSRC2:TGID_Y_EN: 0
; COMPUTE_PGM_RSRC2:TGID_Z_EN: 1
; COMPUTE_PGM_RSRC2:TIDIG_COMP_CNT: 1
	.section	.text._ZL20rocblas_gemvn_kernelILi32ELi16ElDF16_PKffEviiT3_lPKT2_lT1_lS5_lS6_lS2_lPT4_lS6_li,"axG",@progbits,_ZL20rocblas_gemvn_kernelILi32ELi16ElDF16_PKffEviiT3_lPKT2_lT1_lS5_lS6_lS2_lPT4_lS6_li,comdat
	.globl	_ZL20rocblas_gemvn_kernelILi32ELi16ElDF16_PKffEviiT3_lPKT2_lT1_lS5_lS6_lS2_lPT4_lS6_li ; -- Begin function _ZL20rocblas_gemvn_kernelILi32ELi16ElDF16_PKffEviiT3_lPKT2_lT1_lS5_lS6_lS2_lPT4_lS6_li
	.p2align	8
	.type	_ZL20rocblas_gemvn_kernelILi32ELi16ElDF16_PKffEviiT3_lPKT2_lT1_lS5_lS6_lS2_lPT4_lS6_li,@function
_ZL20rocblas_gemvn_kernelILi32ELi16ElDF16_PKffEviiT3_lPKT2_lT1_lS5_lS6_lS2_lPT4_lS6_li: ; @_ZL20rocblas_gemvn_kernelILi32ELi16ElDF16_PKffEviiT3_lPKT2_lT1_lS5_lS6_lS2_lPT4_lS6_li
; %bb.0:
	s_load_dwordx2 s[0:1], s[4:5], 0x9c
	s_waitcnt lgkmcnt(0)
	s_lshr_b32 s2, s0, 16
	s_and_b32 s0, s0, 0xffff
	s_and_b32 s1, s1, 0xffff
	s_mul_i32 s0, s2, s0
	s_mul_i32 s0, s0, s1
	s_cmpk_lg_i32 s0, 0x200
	s_cbranch_scc1 .LBB475_50
; %bb.1:
	s_clause 0x1
	s_load_dwordx16 s[36:51], s[4:5], 0x8
	s_load_dwordx16 s[8:23], s[4:5], 0x48
	s_mov_b32 s26, 0
	s_waitcnt lgkmcnt(0)
	s_mul_i32 s1, s39, s7
	s_mul_hi_u32 s2, s38, s7
	s_mul_i32 s0, s38, s7
	s_add_i32 s1, s2, s1
	s_mul_i32 s2, s15, s7
	s_lshl_b64 s[0:1], s[0:1], 2
	s_mul_hi_u32 s3, s14, s7
	s_add_u32 s0, s36, s0
	s_addc_u32 s1, s37, s1
	s_add_i32 s3, s3, s2
	s_mul_i32 s2, s14, s7
	s_lshl_b64 s[2:3], s[2:3], 2
	s_add_u32 s2, s12, s2
	s_addc_u32 s3, s13, s3
	s_load_dword s25, s[0:1], 0x0
	s_load_dword s24, s[2:3], 0x0
	s_waitcnt lgkmcnt(0)
	v_cmp_eq_f32_e64 s0, s25, 0
	v_cmp_eq_f32_e64 s1, s24, 1.0
	s_and_b32 s0, s0, s1
	s_and_b32 vcc_lo, exec_lo, s0
	s_cbranch_vccnz .LBB475_50
; %bb.2:
	s_load_dwordx2 s[12:13], s[4:5], 0x0
	v_lshlrev_b32_e32 v14, 5, v1
	s_mul_i32 s0, s23, s7
	s_mul_hi_u32 s1, s22, s7
	v_cmp_neq_f32_e64 s4, s25, 0
	s_add_i32 s1, s1, s0
	s_mul_i32 s0, s22, s7
	v_add_nc_u32_e32 v13, v14, v0
	s_lshl_b64 s[0:1], s[0:1], 2
	s_add_u32 s2, s16, s0
	s_addc_u32 s3, s17, s1
	s_lshl_b64 s[0:1], s[18:19], 2
	s_add_u32 s5, s2, s0
	v_cmp_gt_u32_e64 s0, 0x80, v13
	s_addc_u32 s22, s3, s1
	s_and_b32 vcc_lo, exec_lo, s4
	s_cbranch_vccnz .LBB475_9
; %bb.3:
	s_mov_b32 s1, 0
                                        ; implicit-def: $vgpr3
                                        ; implicit-def: $vgpr4_vgpr5
	s_and_saveexec_b32 s2, s0
	s_cbranch_execz .LBB475_10
; %bb.4:
	v_lshl_or_b32 v2, s6, 7, v13
	v_mov_b32_e32 v3, 0
	s_waitcnt lgkmcnt(0)
	s_ashr_i32 s15, s12, 31
	s_mov_b32 s14, s12
	s_mov_b32 s3, 0
	s_mov_b32 s0, exec_lo
                                        ; implicit-def: $vgpr4_vgpr5
	v_cmpx_gt_i64_e64 s[14:15], v[2:3]
	s_cbranch_execz .LBB475_8
; %bb.5:
	v_mad_u64_u32 v[4:5], null, s20, v2, 0
	v_cmp_eq_f32_e64 s3, s24, 0
	s_and_b32 vcc_lo, exec_lo, s3
	v_mad_u64_u32 v[5:6], null, s21, v2, v[5:6]
	s_cbranch_vccnz .LBB475_7
; %bb.6:
	v_lshlrev_b64 v[2:3], 2, v[4:5]
	v_add_co_u32 v2, vcc_lo, s5, v2
	v_add_co_ci_u32_e64 v3, null, s22, v3, vcc_lo
	global_load_dword v2, v[2:3], off
	s_waitcnt vmcnt(0)
	v_mul_f32_e32 v3, s24, v2
.LBB475_7:
	s_mov_b32 s3, exec_lo
.LBB475_8:
	s_or_b32 exec_lo, exec_lo, s0
	s_and_b32 s26, s3, exec_lo
	s_or_b32 exec_lo, exec_lo, s2
	s_and_b32 vcc_lo, exec_lo, s1
	s_cbranch_vccnz .LBB475_11
	s_branch .LBB475_48
.LBB475_9:
                                        ; implicit-def: $vgpr3
                                        ; implicit-def: $vgpr4_vgpr5
	s_cbranch_execnz .LBB475_11
	s_branch .LBB475_48
.LBB475_10:
	s_or_b32 exec_lo, exec_lo, s2
	s_and_b32 vcc_lo, exec_lo, s1
	s_cbranch_vccz .LBB475_48
.LBB475_11:
	s_mul_i32 s0, s47, s7
	s_mul_hi_u32 s1, s46, s7
	s_lshl_b32 s23, s6, 7
	s_add_i32 s15, s1, s0
	s_waitcnt lgkmcnt(0)
	s_ashr_i32 s1, s13, 31
	v_lshlrev_b32_e32 v15, 2, v1
	s_lshr_b32 s1, s1, 26
	v_add_nc_u32_e32 v2, s23, v0
	v_mov_b32_e32 v19, 0
	v_mov_b32_e32 v18, 0
	;; [unrolled: 1-line block ×4, first 2 shown]
	s_mul_i32 s0, s11, s7
	s_mul_hi_u32 s2, s10, s7
	s_add_i32 s27, s13, s1
	s_mul_i32 s14, s46, s7
	s_andn2_b32 s27, s27, 63
	s_add_i32 s11, s2, s0
	s_mul_i32 s10, s10, s7
	s_mov_b32 s28, exec_lo
	v_cmpx_gt_i32_e64 s27, v15
	s_cbranch_execz .LBB475_23
; %bb.12:
	v_lshlrev_b32_e32 v30, 2, v1
	v_mad_u64_u32 v[4:5], null, s8, v1, 0
	v_add_nc_u32_e32 v11, 32, v2
	v_add_nc_u32_e32 v12, 64, v2
	v_or_b32_e32 v16, 3, v30
	s_lshl_b64 s[0:1], s[10:11], 1
	s_lshl_b64 s[6:7], s[50:51], 1
	s_add_u32 s4, s48, s0
	s_addc_u32 s29, s49, s1
	v_mad_u64_u32 v[6:7], null, s44, v16, 0
	v_cmp_gt_i32_e64 s0, s12, v11
	v_cmp_gt_i32_e64 s1, s12, v12
	v_add_nc_u32_e32 v17, 0x60, v2
	v_or_b32_e32 v24, 2, v30
	s_lshl_b64 s[18:19], s[42:43], 1
	s_lshl_b64 s[16:17], s[8:9], 7
	v_mad_u64_u32 v[8:9], null, s9, v1, v[5:6]
	v_mad_u64_u32 v[9:10], null, s8, v16, 0
	v_cmp_gt_i32_e64 s2, s12, v17
	s_lshl_b64 s[30:31], s[14:15], 1
	v_mad_u64_u32 v[28:29], null, s8, v24, 0
	v_mov_b32_e32 v5, v8
	v_mad_u64_u32 v[7:8], null, s45, v16, v[7:8]
	v_mad_u64_u32 v[32:33], null, s44, v30, s[44:45]
	v_lshlrev_b64 v[11:12], 3, v[4:5]
	v_mov_b32_e32 v5, v10
	v_mov_b32_e32 v8, v29
	v_ashrrev_i32_e32 v3, 31, v2
	v_lshlrev_b64 v[6:7], 1, v[6:7]
	v_cmp_gt_i32_e32 vcc_lo, s12, v2
	v_add_co_u32 v20, s3, s4, v11
	v_add_co_ci_u32_e64 v21, null, s29, v12, s3
	v_mad_u64_u32 v[16:17], null, s9, v16, v[5:6]
	v_mad_u64_u32 v[11:12], null, s44, v1, 0
	s_add_u32 s3, s40, s18
	s_addc_u32 s18, s41, s19
	s_add_u32 s19, s3, s30
	s_addc_u32 s18, s18, s31
	v_mov_b32_e32 v10, v16
	v_mad_u64_u32 v[16:17], null, s44, v24, 0
	v_mov_b32_e32 v5, v12
	v_add_co_u32 v22, s3, s19, v6
	v_add_co_ci_u32_e64 v23, null, s18, v7, s3
	v_mad_u64_u32 v[18:19], null, s45, v1, v[5:6]
	v_lshlrev_b64 v[6:7], 1, v[9:10]
	v_mov_b32_e32 v5, v17
	v_lshlrev_b64 v[3:4], 1, v[2:3]
	v_mad_u64_u32 v[9:10], null, s45, v24, v[5:6]
	v_mov_b32_e32 v12, v18
	v_mad_u64_u32 v[18:19], null, s8, v30, s[8:9]
	v_mad_u64_u32 v[26:27], null, s9, v24, v[8:9]
	v_add_co_u32 v24, s3, s4, v6
	v_add_co_ci_u32_e64 v25, null, s29, v7, s3
	v_lshlrev_b64 v[6:7], 3, v[11:12]
	v_mov_b32_e32 v5, v19
	v_mov_b32_e32 v17, v9
	;; [unrolled: 1-line block ×3, first 2 shown]
	v_add_co_u32 v26, s3, s19, v6
	v_mad_u64_u32 v[8:9], null, s9, v30, v[5:6]
	v_add_co_ci_u32_e64 v27, null, s18, v7, s3
	v_lshlrev_b64 v[6:7], 1, v[16:17]
	v_mov_b32_e32 v5, v33
	v_mov_b32_e32 v17, 0
	;; [unrolled: 1-line block ×4, first 2 shown]
	v_mad_u64_u32 v[9:10], null, s45, v30, v[5:6]
	v_lshlrev_b64 v[10:11], 1, v[28:29]
	v_add_co_u32 v28, s3, s19, v6
	v_lshlrev_b64 v[5:6], 1, v[18:19]
	v_add_co_ci_u32_e64 v29, null, s18, v7, s3
	v_mov_b32_e32 v33, v9
	v_add_co_u32 v30, s3, s4, v10
	v_add_co_ci_u32_e64 v31, null, s29, v11, s3
	v_lshlrev_b64 v[7:8], 1, v[32:33]
	v_add_co_u32 v32, s3, s4, v5
	v_add_co_ci_u32_e64 v33, null, s29, v6, s3
	v_mov_b32_e32 v19, 0
	v_add_co_u32 v34, s3, s19, v7
	v_add_co_ci_u32_e64 v35, null, s18, v8, s3
	v_mov_b32_e32 v18, 0
	s_lshl_b64 s[18:19], s[44:45], 7
	s_mov_b32 s29, 0
	s_branch .LBB475_17
.LBB475_13:                             ;   in Loop: Header=BB475_17 Depth=1
	s_or_b32 exec_lo, exec_lo, s31
	s_waitcnt vmcnt(3)
	v_fma_mix_f32 v5, v48, v52, v17 op_sel_hi:[0,1,0]
	s_waitcnt vmcnt(2)
	v_fma_mix_f32 v5, v49, v53, v5 op_sel_hi:[0,1,0]
	;; [unrolled: 2-line block ×4, first 2 shown]
.LBB475_14:                             ;   in Loop: Header=BB475_17 Depth=1
	s_or_b32 exec_lo, exec_lo, s30
	s_waitcnt vmcnt(3)
	v_fma_mix_f32 v5, v48, v44, v18 op_sel_hi:[0,1,0]
	s_waitcnt vmcnt(2)
	v_fma_mix_f32 v5, v49, v45, v5 op_sel_hi:[0,1,0]
	;; [unrolled: 2-line block ×4, first 2 shown]
.LBB475_15:                             ;   in Loop: Header=BB475_17 Depth=1
	s_or_b32 exec_lo, exec_lo, s3
	s_waitcnt vmcnt(3)
	v_fma_mix_f32 v5, v36, v40, v19 op_sel_hi:[1,1,0]
	s_waitcnt vmcnt(2)
	v_fma_mix_f32 v5, v37, v41, v5 op_sel_hi:[1,1,0]
	;; [unrolled: 2-line block ×4, first 2 shown]
.LBB475_16:                             ;   in Loop: Header=BB475_17 Depth=1
	s_or_b32 exec_lo, exec_lo, s4
	v_add_co_u32 v20, s3, v20, s16
	v_add_co_ci_u32_e64 v21, null, s17, v21, s3
	v_add_co_u32 v22, s3, v22, s18
	v_add_co_ci_u32_e64 v23, null, s19, v23, s3
	;; [unrolled: 2-line block ×4, first 2 shown]
	v_add_co_u32 v28, s3, v28, s18
	v_add_nc_u32_e32 v15, 64, v15
	v_add_co_ci_u32_e64 v29, null, s19, v29, s3
	v_add_co_u32 v30, s3, v30, s16
	v_add_co_ci_u32_e64 v31, null, s17, v31, s3
	v_add_co_u32 v32, s3, v32, s16
	v_add_co_ci_u32_e64 v33, null, s17, v33, s3
	v_cmp_le_i32_e64 s3, s27, v15
	v_add_co_u32 v34, s4, v34, s18
	v_add_co_ci_u32_e64 v35, null, s19, v35, s4
	s_or_b32 s29, s3, s29
	s_andn2_b32 exec_lo, exec_lo, s29
	s_cbranch_execz .LBB475_22
.LBB475_17:                             ; =>This Inner Loop Header: Depth=1
	s_and_saveexec_b32 s4, vcc_lo
	s_cbranch_execz .LBB475_16
; %bb.18:                               ;   in Loop: Header=BB475_17 Depth=1
	v_add_co_u32 v5, s3, v20, s6
	v_add_co_ci_u32_e64 v6, null, s7, v21, s3
	v_add_co_u32 v7, s3, v32, s6
	v_add_co_ci_u32_e64 v8, null, s7, v33, s3
	;; [unrolled: 2-line block ×3, first 2 shown]
	v_add_co_u32 v39, s3, v24, s6
	global_load_ushort v36, v[5:6], off
	global_load_ushort v37, v[7:8], off
	global_load_ushort v38, v[9:10], off
	v_add_co_ci_u32_e64 v40, null, s7, v25, s3
	v_add_co_u32 v5, s3, v26, v3
	v_add_co_ci_u32_e64 v6, null, v27, v4, s3
	v_add_co_u32 v7, s3, v34, v3
	;; [unrolled: 2-line block ×4, first 2 shown]
	v_add_co_ci_u32_e64 v12, null, v23, v4, s3
	global_load_ushort v39, v[39:40], off
	global_load_ushort v40, v[5:6], off
	;; [unrolled: 1-line block ×5, first 2 shown]
	s_and_saveexec_b32 s3, s0
	s_cbranch_execz .LBB475_15
; %bb.19:                               ;   in Loop: Header=BB475_17 Depth=1
	global_load_ushort v44, v[5:6], off offset:64
	global_load_ushort v45, v[7:8], off offset:64
	;; [unrolled: 1-line block ×4, first 2 shown]
	s_waitcnt vmcnt(11)
	v_cvt_f32_f16_e32 v48, v36
	s_waitcnt vmcnt(10)
	v_cvt_f32_f16_e32 v49, v37
	;; [unrolled: 2-line block ×4, first 2 shown]
	s_and_saveexec_b32 s30, s1
	s_cbranch_execz .LBB475_14
; %bb.20:                               ;   in Loop: Header=BB475_17 Depth=1
	global_load_ushort v52, v[5:6], off offset:128
	global_load_ushort v53, v[7:8], off offset:128
	;; [unrolled: 1-line block ×4, first 2 shown]
	s_and_saveexec_b32 s31, s2
	s_cbranch_execz .LBB475_13
; %bb.21:                               ;   in Loop: Header=BB475_17 Depth=1
	global_load_ushort v5, v[5:6], off offset:192
	global_load_ushort v6, v[7:8], off offset:192
	;; [unrolled: 1-line block ×4, first 2 shown]
	s_waitcnt vmcnt(3)
	v_fma_mix_f32 v5, v48, v5, v16 op_sel_hi:[0,1,0]
	s_waitcnt vmcnt(2)
	v_fma_mix_f32 v5, v49, v6, v5 op_sel_hi:[0,1,0]
	;; [unrolled: 2-line block ×4, first 2 shown]
	s_branch .LBB475_13
.LBB475_22:
	s_or_b32 exec_lo, exec_lo, s29
.LBB475_23:
	s_or_b32 exec_lo, exec_lo, s28
	s_sub_i32 s0, s13, s27
	s_cmp_lt_i32 s0, 1
	s_cbranch_scc1 .LBB475_41
; %bb.24:
	v_cmp_gt_i32_e32 vcc_lo, s13, v15
	v_mov_b32_e32 v11, 0
	v_or_b32_e32 v4, 1, v15
	v_mov_b32_e32 v12, 0
	v_mov_b32_e32 v20, 0
	;; [unrolled: 1-line block ×3, first 2 shown]
	s_and_saveexec_b32 s1, vcc_lo
	s_cbranch_execz .LBB475_32
; %bb.25:
	v_mad_u64_u32 v[5:6], null, s8, v15, 0
	s_lshl_b64 s[2:3], s[10:11], 1
	v_mov_b32_e32 v20, 0
	s_add_u32 s0, s48, s2
	s_addc_u32 s2, s49, s3
	s_lshl_b64 s[6:7], s[50:51], 1
	v_mov_b32_e32 v12, 0
	v_mov_b32_e32 v3, v6
	s_add_u32 s3, s0, s6
	s_addc_u32 s4, s2, s7
	v_mov_b32_e32 v11, 0
	s_mov_b32 s2, exec_lo
	v_mad_u64_u32 v[6:7], null, s9, v15, v[3:4]
	v_lshlrev_b64 v[5:6], 1, v[5:6]
	v_add_co_u32 v5, s0, s3, v5
	v_add_co_ci_u32_e64 v6, null, s4, v6, s0
	global_load_ushort v3, v[5:6], off
	v_cmpx_gt_i32_e64 s13, v4
	s_cbranch_execz .LBB475_31
; %bb.26:
	v_mad_u64_u32 v[5:6], null, s8, v4, 0
	v_mov_b32_e32 v12, 0
	v_mov_b32_e32 v11, 0
	s_mov_b32 s6, exec_lo
	v_mad_u64_u32 v[6:7], null, s9, v4, v[6:7]
	v_lshlrev_b64 v[5:6], 1, v[5:6]
	v_add_co_u32 v5, s0, s3, v5
	v_add_co_ci_u32_e64 v6, null, s4, v6, s0
	global_load_ushort v5, v[5:6], off
	v_or_b32_e32 v6, 2, v15
	v_cmpx_gt_i32_e64 s13, v6
	s_cbranch_execz .LBB475_30
; %bb.27:
	v_mad_u64_u32 v[7:8], null, s8, v6, 0
	v_mov_b32_e32 v11, 0
	s_mov_b32 s7, exec_lo
	v_mad_u64_u32 v[8:9], null, s9, v6, v[8:9]
	v_lshlrev_b64 v[6:7], 1, v[7:8]
	v_add_co_u32 v6, s0, s3, v6
	v_add_co_ci_u32_e64 v7, null, s4, v7, s0
	global_load_ushort v6, v[6:7], off
	v_or_b32_e32 v7, 3, v15
	v_cmpx_gt_i32_e64 s13, v7
	s_cbranch_execz .LBB475_29
; %bb.28:
	v_mad_u64_u32 v[8:9], null, s8, v7, 0
	v_mad_u64_u32 v[9:10], null, s9, v7, v[9:10]
	v_lshlrev_b64 v[7:8], 1, v[8:9]
	v_add_co_u32 v7, s0, s3, v7
	v_add_co_ci_u32_e64 v8, null, s4, v8, s0
	global_load_ushort v7, v[7:8], off
	s_waitcnt vmcnt(0)
	v_cvt_f32_f16_e32 v11, v7
.LBB475_29:
	s_or_b32 exec_lo, exec_lo, s7
	s_waitcnt vmcnt(0)
	v_cvt_f32_f16_e32 v12, v6
.LBB475_30:
	s_or_b32 exec_lo, exec_lo, s6
	s_waitcnt vmcnt(0)
	v_cvt_f32_f16_e32 v20, v5
.LBB475_31:
	s_or_b32 exec_lo, exec_lo, s2
	s_waitcnt vmcnt(0)
	v_cvt_f32_f16_e32 v21, v3
.LBB475_32:
	s_or_b32 exec_lo, exec_lo, s1
	s_mov_b32 s1, exec_lo
	v_cmpx_gt_i32_e64 s12, v2
	s_cbranch_execz .LBB475_40
; %bb.33:
	v_mad_u64_u32 v[5:6], null, s44, v15, 0
	v_mad_u64_u32 v[7:8], null, s44, v4, 0
	v_ashrrev_i32_e32 v3, 31, v2
	v_or_b32_e32 v29, 2, v15
	s_lshl_b64 s[2:3], s[14:15], 1
	s_add_u32 s0, s40, s2
	v_lshlrev_b64 v[22:23], 1, v[2:3]
	v_mad_u64_u32 v[9:10], null, s45, v15, v[6:7]
	v_mov_b32_e32 v3, v8
	v_cndmask_b32_e32 v5, 0, v5, vcc_lo
	v_or_b32_e32 v15, 3, v15
	v_mad_u64_u32 v[24:25], null, s44, v29, 0
	v_mad_u64_u32 v[26:27], null, s45, v4, v[3:4]
	v_cndmask_b32_e32 v6, 0, v9, vcc_lo
	v_cmp_gt_i32_e32 vcc_lo, s13, v4
	s_addc_u32 s4, s41, s3
	s_lshl_b64 s[2:3], s[42:43], 1
	v_mad_u64_u32 v[8:9], null, s44, v15, 0
	v_lshlrev_b64 v[5:6], 1, v[5:6]
	v_cndmask_b32_e32 v27, 0, v7, vcc_lo
	v_cndmask_b32_e32 v28, 0, v26, vcc_lo
	s_add_u32 s2, s0, s2
	v_mov_b32_e32 v7, v25
	s_addc_u32 s3, s4, s3
	v_add_co_u32 v3, s0, s2, v5
	v_add_co_ci_u32_e64 v4, null, s3, v6, s0
	v_lshlrev_b64 v[5:6], 1, v[27:28]
	v_mad_u64_u32 v[25:26], null, s45, v29, v[7:8]
	v_add_co_u32 v3, vcc_lo, v3, v22
	v_add_co_ci_u32_e64 v4, null, v4, v23, vcc_lo
	v_cmp_gt_i32_e32 vcc_lo, s13, v29
	v_mov_b32_e32 v7, v9
	v_add_co_u32 v5, s0, s2, v5
	v_add_co_ci_u32_e64 v6, null, s3, v6, s0
	v_cndmask_b32_e32 v9, 0, v24, vcc_lo
	v_cndmask_b32_e32 v10, 0, v25, vcc_lo
	v_mad_u64_u32 v[24:25], null, s45, v15, v[7:8]
	v_add_co_u32 v5, vcc_lo, v5, v22
	v_add_co_ci_u32_e64 v6, null, v6, v23, vcc_lo
	v_cmp_gt_i32_e32 vcc_lo, s13, v15
	v_lshlrev_b64 v[9:10], 1, v[9:10]
	s_clause 0x1
	global_load_ushort v25, v[3:4], off
	global_load_ushort v26, v[5:6], off
	s_mov_b32 s0, exec_lo
	v_cndmask_b32_e32 v7, 0, v8, vcc_lo
	v_cndmask_b32_e32 v8, 0, v24, vcc_lo
	v_add_co_u32 v15, vcc_lo, s2, v9
	v_add_co_ci_u32_e64 v24, null, s3, v10, vcc_lo
	v_lshlrev_b64 v[9:10], 1, v[7:8]
	v_add_co_u32 v7, vcc_lo, v15, v22
	v_add_co_ci_u32_e64 v8, null, v24, v23, vcc_lo
	v_add_co_u32 v9, vcc_lo, s2, v9
	v_add_co_ci_u32_e64 v10, null, s3, v10, vcc_lo
	global_load_ushort v24, v[7:8], off
	v_add_co_u32 v9, vcc_lo, v9, v22
	v_add_co_ci_u32_e64 v10, null, v10, v23, vcc_lo
	v_add_nc_u32_e32 v22, 32, v2
	global_load_ushort v15, v[9:10], off
	s_waitcnt vmcnt(3)
	v_fma_mix_f32 v19, v21, v25, v19 op_sel_hi:[0,1,0]
	s_waitcnt vmcnt(2)
	v_fma_mix_f32 v19, v20, v26, v19 op_sel_hi:[0,1,0]
	;; [unrolled: 2-line block ×3, first 2 shown]
	v_cmpx_gt_i32_e64 s12, v22
	s_cbranch_execz .LBB475_39
; %bb.34:
	s_clause 0x3
	global_load_ushort v23, v[3:4], off offset:64
	global_load_ushort v24, v[5:6], off offset:64
	;; [unrolled: 1-line block ×4, first 2 shown]
	s_mov_b32 s2, exec_lo
	s_waitcnt vmcnt(3)
	v_fma_mix_f32 v18, v21, v23, v18 op_sel_hi:[0,1,0]
	v_add_nc_u32_e32 v23, 64, v2
	s_waitcnt vmcnt(2)
	v_fma_mix_f32 v18, v20, v24, v18 op_sel_hi:[0,1,0]
	s_waitcnt vmcnt(1)
	v_fma_mix_f32 v18, v12, v25, v18 op_sel_hi:[0,1,0]
	v_cmpx_gt_i32_e64 s12, v23
	s_cbranch_execz .LBB475_38
; %bb.35:
	s_clause 0x3
	global_load_ushort v24, v[3:4], off offset:128
	global_load_ushort v25, v[5:6], off offset:128
	;; [unrolled: 1-line block ×4, first 2 shown]
	s_mov_b32 s3, exec_lo
	s_waitcnt vmcnt(3)
	v_fma_mix_f32 v17, v21, v24, v17 op_sel_hi:[0,1,0]
	v_add_nc_u32_e32 v24, 0x60, v2
	s_waitcnt vmcnt(2)
	v_fma_mix_f32 v17, v20, v25, v17 op_sel_hi:[0,1,0]
	s_waitcnt vmcnt(1)
	v_fma_mix_f32 v2, v12, v26, v17 op_sel_hi:[0,1,0]
	v_cmpx_gt_i32_e64 s12, v24
	s_cbranch_execz .LBB475_37
; %bb.36:
	s_clause 0x3
	global_load_ushort v3, v[3:4], off offset:192
	global_load_ushort v4, v[5:6], off offset:192
	;; [unrolled: 1-line block ×4, first 2 shown]
	s_waitcnt vmcnt(3)
	v_fma_mix_f32 v3, v21, v3, v16 op_sel_hi:[0,1,0]
	s_waitcnt vmcnt(2)
	v_fma_mix_f32 v3, v20, v4, v3 op_sel_hi:[0,1,0]
	;; [unrolled: 2-line block ×4, first 2 shown]
.LBB475_37:
	s_or_b32 exec_lo, exec_lo, s3
	s_waitcnt vmcnt(0)
	v_fma_mix_f32 v17, v11, v23, v2 op_sel_hi:[0,1,0]
.LBB475_38:
	s_or_b32 exec_lo, exec_lo, s2
	s_waitcnt vmcnt(0)
	v_fma_mix_f32 v18, v11, v22, v18 op_sel_hi:[0,1,0]
.LBB475_39:
	s_or_b32 exec_lo, exec_lo, s0
	s_waitcnt vmcnt(0)
	v_fma_mix_f32 v19, v11, v15, v19 op_sel_hi:[0,1,0]
.LBB475_40:
	s_or_b32 exec_lo, exec_lo, s1
.LBB475_41:
	v_lshlrev_b32_e32 v0, 2, v0
	s_mov_b32 s0, exec_lo
                                        ; implicit-def: $vgpr3
                                        ; implicit-def: $vgpr4_vgpr5
	v_lshl_add_u32 v1, v1, 9, v0
	ds_write2_b32 v1, v19, v18 offset1:32
	ds_write2_b32 v1, v17, v16 offset0:64 offset1:96
	s_waitcnt lgkmcnt(0)
	s_barrier
	buffer_gl0_inv
	v_cmpx_gt_u32_e32 0x80, v13
	s_cbranch_execz .LBB475_47
; %bb.42:
	v_lshl_add_u32 v6, v14, 2, v0
	s_mov_b32 s2, s26
	s_mov_b32 s1, exec_lo
	ds_read2st64_b32 v[0:1], v6 offset1:2
	ds_read2st64_b32 v[2:3], v6 offset0:4 offset1:6
	ds_read2st64_b32 v[4:5], v6 offset0:8 offset1:10
	s_waitcnt lgkmcnt(2)
	v_add_f32_e32 v7, v0, v1
	ds_read2st64_b32 v[0:1], v6 offset0:12 offset1:14
	s_waitcnt lgkmcnt(2)
	v_add_f32_e32 v2, v2, v7
	v_add_f32_e32 v7, v3, v2
	ds_read2st64_b32 v[2:3], v6 offset0:16 offset1:18
	s_waitcnt lgkmcnt(2)
	v_add_f32_e32 v4, v4, v7
	;; [unrolled: 4-line block ×3, first 2 shown]
	v_add_f32_e32 v0, v1, v0
	s_waitcnt lgkmcnt(1)
	v_add_f32_e32 v2, v2, v0
	ds_read2st64_b32 v[0:1], v6 offset0:24 offset1:26
	v_add_f32_e32 v2, v3, v2
	s_waitcnt lgkmcnt(1)
	v_add_f32_e32 v4, v4, v2
	ds_read2st64_b32 v[2:3], v6 offset0:28 offset1:30
	v_add_f32_e32 v4, v5, v4
	s_waitcnt lgkmcnt(1)
	v_add_f32_e32 v0, v0, v4
                                        ; implicit-def: $vgpr4_vgpr5
	v_add_f32_e32 v0, v1, v0
	v_or_b32_e32 v1, s23, v13
	s_waitcnt lgkmcnt(0)
	v_add_f32_e32 v0, v2, v0
	v_add_f32_e32 v0, v3, v0
                                        ; implicit-def: $vgpr3
	ds_write_b32 v6, v0
	v_cmpx_gt_i32_e64 s12, v1
	s_cbranch_execz .LBB475_46
; %bb.43:
	v_ashrrev_i32_e32 v2, 31, v1
	v_mul_lo_u32 v6, s21, v1
	v_mad_u64_u32 v[4:5], null, s20, v1, 0
	v_cmp_eq_f32_e64 s2, s24, 0
	v_mul_lo_u32 v1, s20, v2
	v_mul_f32_e32 v3, s25, v0
	s_and_b32 vcc_lo, exec_lo, s2
	v_add3_u32 v5, v5, v1, v6
	s_cbranch_vccnz .LBB475_45
; %bb.44:
	v_lshlrev_b64 v[0:1], 2, v[4:5]
	v_add_co_u32 v0, vcc_lo, s5, v0
	v_add_co_ci_u32_e64 v1, null, s22, v1, vcc_lo
	global_load_dword v0, v[0:1], off
	s_waitcnt vmcnt(0)
	v_fmac_f32_e32 v3, s24, v0
.LBB475_45:
	s_or_b32 s2, s26, exec_lo
.LBB475_46:
	s_or_b32 exec_lo, exec_lo, s1
	s_andn2_b32 s1, s26, exec_lo
	s_and_b32 s2, s2, exec_lo
	s_or_b32 s26, s1, s2
.LBB475_47:
	s_or_b32 exec_lo, exec_lo, s0
.LBB475_48:
	s_and_saveexec_b32 s0, s26
	s_cbranch_execz .LBB475_50
; %bb.49:
	v_lshlrev_b64 v[0:1], 2, v[4:5]
	v_add_co_u32 v0, vcc_lo, s5, v0
	v_add_co_ci_u32_e64 v1, null, s22, v1, vcc_lo
	global_store_dword v[0:1], v3, off
.LBB475_50:
	s_endpgm
	.section	.rodata,"a",@progbits
	.p2align	6, 0x0
	.amdhsa_kernel _ZL20rocblas_gemvn_kernelILi32ELi16ElDF16_PKffEviiT3_lPKT2_lT1_lS5_lS6_lS2_lPT4_lS6_li
		.amdhsa_group_segment_fixed_size 8192
		.amdhsa_private_segment_fixed_size 0
		.amdhsa_kernarg_size 400
		.amdhsa_user_sgpr_count 6
		.amdhsa_user_sgpr_private_segment_buffer 1
		.amdhsa_user_sgpr_dispatch_ptr 0
		.amdhsa_user_sgpr_queue_ptr 0
		.amdhsa_user_sgpr_kernarg_segment_ptr 1
		.amdhsa_user_sgpr_dispatch_id 0
		.amdhsa_user_sgpr_flat_scratch_init 0
		.amdhsa_user_sgpr_private_segment_size 0
		.amdhsa_wavefront_size32 1
		.amdhsa_uses_dynamic_stack 0
		.amdhsa_system_sgpr_private_segment_wavefront_offset 0
		.amdhsa_system_sgpr_workgroup_id_x 1
		.amdhsa_system_sgpr_workgroup_id_y 0
		.amdhsa_system_sgpr_workgroup_id_z 1
		.amdhsa_system_sgpr_workgroup_info 0
		.amdhsa_system_vgpr_workitem_id 1
		.amdhsa_next_free_vgpr 56
		.amdhsa_next_free_sgpr 52
		.amdhsa_reserve_vcc 1
		.amdhsa_reserve_flat_scratch 0
		.amdhsa_float_round_mode_32 0
		.amdhsa_float_round_mode_16_64 0
		.amdhsa_float_denorm_mode_32 3
		.amdhsa_float_denorm_mode_16_64 3
		.amdhsa_dx10_clamp 1
		.amdhsa_ieee_mode 1
		.amdhsa_fp16_overflow 0
		.amdhsa_workgroup_processor_mode 1
		.amdhsa_memory_ordered 1
		.amdhsa_forward_progress 1
		.amdhsa_shared_vgpr_count 0
		.amdhsa_exception_fp_ieee_invalid_op 0
		.amdhsa_exception_fp_denorm_src 0
		.amdhsa_exception_fp_ieee_div_zero 0
		.amdhsa_exception_fp_ieee_overflow 0
		.amdhsa_exception_fp_ieee_underflow 0
		.amdhsa_exception_fp_ieee_inexact 0
		.amdhsa_exception_int_div_zero 0
	.end_amdhsa_kernel
	.section	.text._ZL20rocblas_gemvn_kernelILi32ELi16ElDF16_PKffEviiT3_lPKT2_lT1_lS5_lS6_lS2_lPT4_lS6_li,"axG",@progbits,_ZL20rocblas_gemvn_kernelILi32ELi16ElDF16_PKffEviiT3_lPKT2_lT1_lS5_lS6_lS2_lPT4_lS6_li,comdat
.Lfunc_end475:
	.size	_ZL20rocblas_gemvn_kernelILi32ELi16ElDF16_PKffEviiT3_lPKT2_lT1_lS5_lS6_lS2_lPT4_lS6_li, .Lfunc_end475-_ZL20rocblas_gemvn_kernelILi32ELi16ElDF16_PKffEviiT3_lPKT2_lT1_lS5_lS6_lS2_lPT4_lS6_li
                                        ; -- End function
	.set _ZL20rocblas_gemvn_kernelILi32ELi16ElDF16_PKffEviiT3_lPKT2_lT1_lS5_lS6_lS2_lPT4_lS6_li.num_vgpr, 56
	.set _ZL20rocblas_gemvn_kernelILi32ELi16ElDF16_PKffEviiT3_lPKT2_lT1_lS5_lS6_lS2_lPT4_lS6_li.num_agpr, 0
	.set _ZL20rocblas_gemvn_kernelILi32ELi16ElDF16_PKffEviiT3_lPKT2_lT1_lS5_lS6_lS2_lPT4_lS6_li.numbered_sgpr, 52
	.set _ZL20rocblas_gemvn_kernelILi32ELi16ElDF16_PKffEviiT3_lPKT2_lT1_lS5_lS6_lS2_lPT4_lS6_li.num_named_barrier, 0
	.set _ZL20rocblas_gemvn_kernelILi32ELi16ElDF16_PKffEviiT3_lPKT2_lT1_lS5_lS6_lS2_lPT4_lS6_li.private_seg_size, 0
	.set _ZL20rocblas_gemvn_kernelILi32ELi16ElDF16_PKffEviiT3_lPKT2_lT1_lS5_lS6_lS2_lPT4_lS6_li.uses_vcc, 1
	.set _ZL20rocblas_gemvn_kernelILi32ELi16ElDF16_PKffEviiT3_lPKT2_lT1_lS5_lS6_lS2_lPT4_lS6_li.uses_flat_scratch, 0
	.set _ZL20rocblas_gemvn_kernelILi32ELi16ElDF16_PKffEviiT3_lPKT2_lT1_lS5_lS6_lS2_lPT4_lS6_li.has_dyn_sized_stack, 0
	.set _ZL20rocblas_gemvn_kernelILi32ELi16ElDF16_PKffEviiT3_lPKT2_lT1_lS5_lS6_lS2_lPT4_lS6_li.has_recursion, 0
	.set _ZL20rocblas_gemvn_kernelILi32ELi16ElDF16_PKffEviiT3_lPKT2_lT1_lS5_lS6_lS2_lPT4_lS6_li.has_indirect_call, 0
	.section	.AMDGPU.csdata,"",@progbits
; Kernel info:
; codeLenInByte = 3340
; TotalNumSgprs: 54
; NumVgprs: 56
; ScratchSize: 0
; MemoryBound: 0
; FloatMode: 240
; IeeeMode: 1
; LDSByteSize: 8192 bytes/workgroup (compile time only)
; SGPRBlocks: 0
; VGPRBlocks: 6
; NumSGPRsForWavesPerEU: 54
; NumVGPRsForWavesPerEU: 56
; Occupancy: 16
; WaveLimiterHint : 0
; COMPUTE_PGM_RSRC2:SCRATCH_EN: 0
; COMPUTE_PGM_RSRC2:USER_SGPR: 6
; COMPUTE_PGM_RSRC2:TRAP_HANDLER: 0
; COMPUTE_PGM_RSRC2:TGID_X_EN: 1
; COMPUTE_PGM_RSRC2:TGID_Y_EN: 0
; COMPUTE_PGM_RSRC2:TGID_Z_EN: 1
; COMPUTE_PGM_RSRC2:TIDIG_COMP_CNT: 1
	.section	.text._ZL20rocblas_gemvn_kernelILi32ELi16EiDF16_ffEviiT3_lPKT2_lT1_lS3_lS4_lS0_lPT4_lS4_li,"axG",@progbits,_ZL20rocblas_gemvn_kernelILi32ELi16EiDF16_ffEviiT3_lPKT2_lT1_lS3_lS4_lS0_lPT4_lS4_li,comdat
	.globl	_ZL20rocblas_gemvn_kernelILi32ELi16EiDF16_ffEviiT3_lPKT2_lT1_lS3_lS4_lS0_lPT4_lS4_li ; -- Begin function _ZL20rocblas_gemvn_kernelILi32ELi16EiDF16_ffEviiT3_lPKT2_lT1_lS3_lS4_lS0_lPT4_lS4_li
	.p2align	8
	.type	_ZL20rocblas_gemvn_kernelILi32ELi16EiDF16_ffEviiT3_lPKT2_lT1_lS3_lS4_lS0_lPT4_lS4_li,@function
_ZL20rocblas_gemvn_kernelILi32ELi16EiDF16_ffEviiT3_lPKT2_lT1_lS3_lS4_lS0_lPT4_lS4_li: ; @_ZL20rocblas_gemvn_kernelILi32ELi16EiDF16_ffEviiT3_lPKT2_lT1_lS3_lS4_lS0_lPT4_lS4_li
; %bb.0:
	s_load_dwordx2 s[0:1], s[4:5], 0x9c
	s_waitcnt lgkmcnt(0)
	s_lshr_b32 s2, s0, 16
	s_and_b32 s0, s0, 0xffff
	s_and_b32 s1, s1, 0xffff
	s_mul_i32 s0, s2, s0
	s_mul_i32 s0, s0, s1
	s_cmpk_lg_i32 s0, 0x200
	s_cbranch_scc1 .LBB476_50
; %bb.1:
	s_clause 0x1
	s_load_dwordx4 s[8:11], s[4:5], 0x0
	s_load_dword s13, s[4:5], 0x58
	s_mov_b32 s14, 0
	s_waitcnt lgkmcnt(0)
	v_cmp_eq_f32_e64 s0, s10, 0
	v_cmp_eq_f32_e64 s1, s13, 1.0
	s_and_b32 s0, s0, s1
	s_and_b32 vcc_lo, exec_lo, s0
	s_cbranch_vccnz .LBB476_50
; %bb.2:
	s_clause 0x2
	s_load_dwordx2 s[16:17], s[4:5], 0x80
	s_load_dwordx4 s[0:3], s[4:5], 0x68
	s_load_dword s15, s[4:5], 0x78
	v_lshlrev_b32_e32 v14, 5, v1
	v_cmp_neq_f32_e64 s18, s10, 0
	v_add_nc_u32_e32 v13, v14, v0
	s_waitcnt lgkmcnt(0)
	s_mul_i32 s11, s17, s7
	s_mul_hi_u32 s12, s16, s7
	s_mul_i32 s16, s16, s7
	s_add_i32 s17, s12, s11
	s_lshl_b64 s[16:17], s[16:17], 2
	s_add_u32 s11, s0, s16
	s_addc_u32 s12, s1, s17
	s_lshl_b64 s[0:1], s[2:3], 2
	s_add_u32 s11, s11, s0
	v_cmp_gt_u32_e64 s0, 0x80, v13
	s_addc_u32 s12, s12, s1
	s_and_b32 vcc_lo, exec_lo, s18
	s_cbranch_vccnz .LBB476_9
; %bb.3:
	s_mov_b32 s1, 0
                                        ; implicit-def: $vgpr3
                                        ; implicit-def: $vgpr4_vgpr5
	s_and_saveexec_b32 s2, s0
	s_cbranch_execz .LBB476_10
; %bb.4:
	v_lshl_or_b32 v2, s6, 7, v13
	v_mov_b32_e32 v3, 0
	s_ashr_i32 s17, s8, 31
	s_mov_b32 s16, s8
	s_mov_b32 s3, 0
	s_mov_b32 s0, exec_lo
                                        ; implicit-def: $vgpr4_vgpr5
	v_cmpx_gt_i64_e64 s[16:17], v[2:3]
	s_cbranch_execz .LBB476_8
; %bb.5:
	v_mad_u64_u32 v[4:5], null, s15, v2, 0
	s_ashr_i32 s3, s15, 31
	v_mad_u64_u32 v[5:6], null, s3, v2, v[5:6]
	v_cmp_eq_f32_e64 s3, s13, 0
	s_and_b32 vcc_lo, exec_lo, s3
	s_cbranch_vccnz .LBB476_7
; %bb.6:
	v_lshlrev_b64 v[2:3], 2, v[4:5]
	v_add_co_u32 v2, vcc_lo, s11, v2
	v_add_co_ci_u32_e64 v3, null, s12, v3, vcc_lo
	global_load_dword v2, v[2:3], off
	s_waitcnt vmcnt(0)
	v_mul_f32_e32 v3, s13, v2
.LBB476_7:
	s_mov_b32 s3, exec_lo
.LBB476_8:
	s_or_b32 exec_lo, exec_lo, s0
	s_and_b32 s14, s3, exec_lo
	s_or_b32 exec_lo, exec_lo, s2
	s_and_b32 vcc_lo, exec_lo, s1
	s_cbranch_vccnz .LBB476_11
	s_branch .LBB476_48
.LBB476_9:
                                        ; implicit-def: $vgpr3
                                        ; implicit-def: $vgpr4_vgpr5
	s_cbranch_execnz .LBB476_11
	s_branch .LBB476_48
.LBB476_10:
	s_or_b32 exec_lo, exec_lo, s2
	s_and_b32 vcc_lo, exec_lo, s1
	s_cbranch_vccz .LBB476_48
.LBB476_11:
	s_clause 0x5
	s_load_dwordx4 s[0:3], s[4:5], 0x30
	s_load_dwordx2 s[18:19], s[4:5], 0x50
	s_load_dwordx4 s[20:23], s[4:5], 0x18
	s_load_dword s17, s[4:5], 0x28
	s_load_dwordx2 s[24:25], s[4:5], 0x40
	s_load_dword s4, s[4:5], 0x48
	v_lshlrev_b32_e32 v20, 2, v1
	v_mov_b32_e32 v19, 0
	v_mov_b32_e32 v18, 0
	;; [unrolled: 1-line block ×4, first 2 shown]
	s_waitcnt lgkmcnt(0)
	s_mul_i32 s1, s1, s7
	s_mul_hi_u32 s16, s0, s7
	s_mul_i32 s0, s0, s7
	s_add_i32 s1, s16, s1
	s_mul_i32 s19, s19, s7
	s_lshl_b64 s[0:1], s[0:1], 1
	s_mul_hi_u32 s26, s18, s7
	s_add_u32 s16, s20, s0
	s_addc_u32 s20, s21, s1
	s_lshl_b64 s[0:1], s[22:23], 1
	s_mul_i32 s18, s18, s7
	s_add_u32 s7, s16, s0
	s_addc_u32 s16, s20, s1
	s_add_i32 s19, s26, s19
	s_mov_b32 s20, exec_lo
	s_lshl_b64 s[0:1], s[18:19], 1
	s_add_u32 s2, s2, s0
	s_addc_u32 s3, s3, s1
	s_lshl_b64 s[0:1], s[24:25], 1
	s_add_u32 s18, s2, s0
	s_addc_u32 s19, s3, s1
	s_ashr_i32 s0, s9, 31
	s_lshl_b32 s5, s6, 7
	s_lshr_b32 s0, s0, 26
	v_add_nc_u32_e32 v17, s5, v0
	s_add_i32 s0, s9, s0
	s_and_b32 s6, s0, 0xffffffc0
	v_cmpx_gt_i32_e64 s6, v20
	s_cbranch_execz .LBB476_23
; %bb.12:
	v_add_nc_u32_e32 v5, 0x60, v17
	v_mul_lo_u32 v3, s17, v20
	v_add_nc_u32_e32 v2, 32, v17
	v_add_nc_u32_e32 v6, 2, v20
	;; [unrolled: 1-line block ×3, first 2 shown]
	v_cmp_gt_i32_e64 s2, s8, v5
	v_mul_lo_u32 v5, v1, s17
	v_add_nc_u32_e32 v7, 3, v20
	v_mul_lo_u32 v8, v1, s4
	v_cmp_gt_i32_e64 s0, s8, v2
	v_add3_u32 v21, v3, s17, v0
	v_mad_u64_u32 v[2:3], null, s17, v6, v[0:1]
	v_cmp_gt_i32_e64 s1, s8, v4
	v_mad_u64_u32 v[3:4], null, s17, v7, v[0:1]
	v_lshl_add_u32 v22, v5, 2, v0
	v_mad_u64_u32 v[4:5], null, s4, v20, s[4:5]
	v_mul_lo_u32 v23, s4, v6
	v_mul_lo_u32 v24, s4, v7
	v_lshlrev_b32_e32 v25, 2, v8
	v_mov_b32_e32 v19, 0
	v_mov_b32_e32 v18, 0
	;; [unrolled: 1-line block ×4, first 2 shown]
	s_lshl_b32 s21, s17, 6
	s_lshl_b32 s23, s4, 6
	s_mov_b32 s22, 0
	s_mov_b32 s24, 0
	v_cmp_gt_i32_e32 vcc_lo, s8, v17
	s_branch .LBB476_17
.LBB476_13:                             ;   in Loop: Header=BB476_17 Depth=1
	s_or_b32 exec_lo, exec_lo, s27
	s_waitcnt vmcnt(3)
	v_fma_mix_f32 v5, v38, v42, v16 op_sel_hi:[0,1,0]
	s_waitcnt vmcnt(2)
	v_fma_mix_f32 v5, v39, v43, v5 op_sel_hi:[0,1,0]
	;; [unrolled: 2-line block ×4, first 2 shown]
.LBB476_14:                             ;   in Loop: Header=BB476_17 Depth=1
	s_or_b32 exec_lo, exec_lo, s26
	s_waitcnt vmcnt(3)
	v_fma_mix_f32 v5, v38, v34, v18 op_sel_hi:[0,1,0]
	s_waitcnt vmcnt(2)
	v_fma_mix_f32 v5, v39, v35, v5 op_sel_hi:[0,1,0]
	;; [unrolled: 2-line block ×4, first 2 shown]
.LBB476_15:                             ;   in Loop: Header=BB476_17 Depth=1
	s_or_b32 exec_lo, exec_lo, s3
	s_waitcnt vmcnt(3)
	v_fma_mix_f32 v5, v26, v30, v19 op_sel_hi:[1,1,0]
	s_waitcnt vmcnt(2)
	v_fma_mix_f32 v5, v27, v31, v5 op_sel_hi:[1,1,0]
	;; [unrolled: 2-line block ×4, first 2 shown]
.LBB476_16:                             ;   in Loop: Header=BB476_17 Depth=1
	s_or_b32 exec_lo, exec_lo, s25
	v_add_nc_u32_e32 v20, 64, v20
	v_add_nc_u32_e32 v21, s21, v21
	;; [unrolled: 1-line block ×5, first 2 shown]
	v_cmp_le_i32_e64 s3, s6, v20
	s_add_i32 s24, s24, s23
	s_or_b32 s22, s3, s22
	s_andn2_b32 exec_lo, exec_lo, s22
	s_cbranch_execz .LBB476_22
.LBB476_17:                             ; =>This Inner Loop Header: Depth=1
	s_and_saveexec_b32 s25, vcc_lo
	s_cbranch_execz .LBB476_16
; %bb.18:                               ;   in Loop: Header=BB476_17 Depth=1
	v_add_nc_u32_e32 v5, s24, v25
	v_add_nc_u32_e32 v7, s24, v4
	v_add_nc_u32_e32 v9, s24, v23
	v_add_nc_u32_e32 v11, s24, v24
	v_add_nc_u32_e32 v26, s5, v22
	v_ashrrev_i32_e32 v6, 31, v5
	v_ashrrev_i32_e32 v8, 31, v7
	;; [unrolled: 1-line block ×5, first 2 shown]
	v_lshlrev_b64 v[5:6], 1, v[5:6]
	v_lshlrev_b64 v[7:8], 1, v[7:8]
	;; [unrolled: 1-line block ×3, first 2 shown]
	v_add_co_u32 v28, s3, s18, v5
	v_add_co_ci_u32_e64 v29, null, s19, v6, s3
	v_add_co_u32 v30, s3, s18, v7
	v_add_nc_u32_e32 v7, s5, v21
	v_add_co_ci_u32_e64 v31, null, s19, v8, s3
	v_lshlrev_b64 v[5:6], 1, v[11:12]
	v_add_co_u32 v32, s3, s18, v9
	v_add_nc_u32_e32 v11, s5, v2
	v_add_co_ci_u32_e64 v33, null, s19, v10, s3
	v_lshlrev_b64 v[9:10], 1, v[26:27]
	v_add_nc_u32_e32 v26, s5, v3
	v_ashrrev_i32_e32 v8, 31, v7
	v_ashrrev_i32_e32 v12, 31, v11
	v_add_co_u32 v34, s3, s18, v5
	v_ashrrev_i32_e32 v27, 31, v26
	v_add_co_ci_u32_e64 v35, null, s19, v6, s3
	v_lshlrev_b64 v[7:8], 1, v[7:8]
	v_add_co_u32 v5, s3, s7, v9
	v_add_co_ci_u32_e64 v6, null, s16, v10, s3
	v_lshlrev_b64 v[9:10], 1, v[11:12]
	v_lshlrev_b64 v[11:12], 1, v[26:27]
	v_add_co_u32 v7, s3, s7, v7
	v_add_co_ci_u32_e64 v8, null, s16, v8, s3
	v_add_co_u32 v9, s3, s7, v9
	v_add_co_ci_u32_e64 v10, null, s16, v10, s3
	v_add_co_u32 v11, s3, s7, v11
	v_add_co_ci_u32_e64 v12, null, s16, v12, s3
	s_clause 0x3
	global_load_ushort v26, v[28:29], off
	global_load_ushort v27, v[30:31], off
	;; [unrolled: 1-line block ×4, first 2 shown]
	s_clause 0x3
	global_load_ushort v30, v[5:6], off
	global_load_ushort v31, v[7:8], off
	;; [unrolled: 1-line block ×4, first 2 shown]
	s_and_saveexec_b32 s3, s0
	s_cbranch_execz .LBB476_15
; %bb.19:                               ;   in Loop: Header=BB476_17 Depth=1
	s_clause 0x3
	global_load_ushort v34, v[5:6], off offset:64
	global_load_ushort v35, v[7:8], off offset:64
	;; [unrolled: 1-line block ×4, first 2 shown]
	s_waitcnt vmcnt(11)
	v_cvt_f32_f16_e32 v38, v26
	s_waitcnt vmcnt(10)
	v_cvt_f32_f16_e32 v39, v27
	;; [unrolled: 2-line block ×4, first 2 shown]
	s_and_saveexec_b32 s26, s1
	s_cbranch_execz .LBB476_14
; %bb.20:                               ;   in Loop: Header=BB476_17 Depth=1
	s_clause 0x3
	global_load_ushort v42, v[5:6], off offset:128
	global_load_ushort v43, v[7:8], off offset:128
	;; [unrolled: 1-line block ×4, first 2 shown]
	s_and_saveexec_b32 s27, s2
	s_cbranch_execz .LBB476_13
; %bb.21:                               ;   in Loop: Header=BB476_17 Depth=1
	s_clause 0x3
	global_load_ushort v5, v[5:6], off offset:192
	global_load_ushort v6, v[7:8], off offset:192
	;; [unrolled: 1-line block ×4, first 2 shown]
	s_waitcnt vmcnt(3)
	v_fma_mix_f32 v5, v38, v5, v15 op_sel_hi:[0,1,0]
	s_waitcnt vmcnt(2)
	v_fma_mix_f32 v5, v39, v6, v5 op_sel_hi:[0,1,0]
	;; [unrolled: 2-line block ×4, first 2 shown]
	s_branch .LBB476_13
.LBB476_22:
	s_or_b32 exec_lo, exec_lo, s22
.LBB476_23:
	s_or_b32 exec_lo, exec_lo, s20
	s_sub_i32 s0, s9, s6
	s_cmp_lt_i32 s0, 1
	s_cbranch_scc1 .LBB476_41
; %bb.24:
	v_cmp_gt_i32_e32 vcc_lo, s9, v20
	v_mov_b32_e32 v10, 0
	v_or_b32_e32 v2, 1, v20
	v_mov_b32_e32 v11, 0
	v_mov_b32_e32 v12, 0
	;; [unrolled: 1-line block ×3, first 2 shown]
	s_and_saveexec_b32 s1, vcc_lo
	s_cbranch_execz .LBB476_32
; %bb.25:
	v_mul_lo_u32 v3, v20, s4
	v_mov_b32_e32 v12, 0
	v_mov_b32_e32 v11, 0
	;; [unrolled: 1-line block ×3, first 2 shown]
	s_mov_b32 s2, exec_lo
	v_ashrrev_i32_e32 v4, 31, v3
	v_lshlrev_b64 v[3:4], 1, v[3:4]
	v_add_co_u32 v3, s0, s18, v3
	v_add_co_ci_u32_e64 v4, null, s19, v4, s0
	global_load_ushort v3, v[3:4], off
	v_cmpx_gt_i32_e64 s9, v2
	s_cbranch_execz .LBB476_31
; %bb.26:
	v_mul_lo_u32 v4, v2, s4
	v_mov_b32_e32 v11, 0
	v_mov_b32_e32 v10, 0
	s_mov_b32 s3, exec_lo
	v_ashrrev_i32_e32 v5, 31, v4
	v_lshlrev_b64 v[4:5], 1, v[4:5]
	v_add_co_u32 v4, s0, s18, v4
	v_add_co_ci_u32_e64 v5, null, s19, v5, s0
	global_load_ushort v4, v[4:5], off
	v_or_b32_e32 v5, 2, v20
	v_cmpx_gt_i32_e64 s9, v5
	s_cbranch_execz .LBB476_30
; %bb.27:
	v_mul_lo_u32 v5, v5, s4
	v_mov_b32_e32 v10, 0
	s_mov_b32 s6, exec_lo
	v_ashrrev_i32_e32 v6, 31, v5
	v_lshlrev_b64 v[5:6], 1, v[5:6]
	v_add_co_u32 v5, s0, s18, v5
	v_add_co_ci_u32_e64 v6, null, s19, v6, s0
	global_load_ushort v5, v[5:6], off
	v_or_b32_e32 v6, 3, v20
	v_cmpx_gt_i32_e64 s9, v6
	s_cbranch_execz .LBB476_29
; %bb.28:
	v_mul_lo_u32 v6, v6, s4
	v_ashrrev_i32_e32 v7, 31, v6
	v_lshlrev_b64 v[6:7], 1, v[6:7]
	v_add_co_u32 v6, s0, s18, v6
	v_add_co_ci_u32_e64 v7, null, s19, v7, s0
	global_load_ushort v6, v[6:7], off
	s_waitcnt vmcnt(0)
	v_cvt_f32_f16_e32 v10, v6
.LBB476_29:
	s_or_b32 exec_lo, exec_lo, s6
	s_waitcnt vmcnt(0)
	v_cvt_f32_f16_e32 v11, v5
.LBB476_30:
	s_or_b32 exec_lo, exec_lo, s3
	s_waitcnt vmcnt(0)
	v_cvt_f32_f16_e32 v12, v4
.LBB476_31:
	s_or_b32 exec_lo, exec_lo, s2
	s_waitcnt vmcnt(0)
	v_cvt_f32_f16_e32 v21, v3
.LBB476_32:
	s_or_b32 exec_lo, exec_lo, s1
	s_mov_b32 s1, exec_lo
	v_cmpx_gt_i32_e64 s8, v17
	s_cbranch_execz .LBB476_40
; %bb.33:
	v_mul_lo_u32 v3, v20, s17
	v_or_b32_e32 v4, 2, v20
	v_mul_lo_u32 v5, v2, s17
	v_or_b32_e32 v6, 3, v20
	s_mov_b32 s0, exec_lo
	v_mul_lo_u32 v7, v4, s17
	v_mul_lo_u32 v8, v6, s17
	v_cndmask_b32_e32 v3, 0, v3, vcc_lo
	v_cmp_gt_i32_e32 vcc_lo, s9, v2
	v_add_nc_u32_e32 v2, v3, v17
	v_cndmask_b32_e32 v5, 0, v5, vcc_lo
	v_cmp_gt_i32_e32 vcc_lo, s9, v4
	v_ashrrev_i32_e32 v3, 31, v2
	v_add_nc_u32_e32 v4, v5, v17
	v_cndmask_b32_e32 v7, 0, v7, vcc_lo
	v_cmp_gt_i32_e32 vcc_lo, s9, v6
	v_lshlrev_b64 v[2:3], 1, v[2:3]
	v_ashrrev_i32_e32 v5, 31, v4
	v_add_nc_u32_e32 v6, v7, v17
	v_cndmask_b32_e32 v8, 0, v8, vcc_lo
	v_lshlrev_b64 v[4:5], 1, v[4:5]
	v_ashrrev_i32_e32 v7, 31, v6
	v_add_nc_u32_e32 v8, v8, v17
	v_add_co_u32 v2, vcc_lo, s7, v2
	v_add_co_ci_u32_e64 v3, null, s16, v3, vcc_lo
	v_lshlrev_b64 v[6:7], 1, v[6:7]
	v_ashrrev_i32_e32 v9, 31, v8
	v_add_co_u32 v4, vcc_lo, s7, v4
	v_add_co_ci_u32_e64 v5, null, s16, v5, vcc_lo
	global_load_ushort v22, v[2:3], off
	v_add_co_u32 v6, vcc_lo, s7, v6
	v_add_co_ci_u32_e64 v7, null, s16, v7, vcc_lo
	v_lshlrev_b64 v[8:9], 1, v[8:9]
	s_clause 0x1
	global_load_ushort v23, v[4:5], off
	global_load_ushort v24, v[6:7], off
	v_add_co_u32 v8, vcc_lo, s7, v8
	v_add_co_ci_u32_e64 v9, null, s16, v9, vcc_lo
	global_load_ushort v20, v[8:9], off
	s_waitcnt vmcnt(3)
	v_fma_mix_f32 v19, v21, v22, v19 op_sel_hi:[0,1,0]
	v_add_nc_u32_e32 v22, 32, v17
	s_waitcnt vmcnt(2)
	v_fma_mix_f32 v19, v12, v23, v19 op_sel_hi:[0,1,0]
	s_waitcnt vmcnt(1)
	v_fma_mix_f32 v19, v11, v24, v19 op_sel_hi:[0,1,0]
	v_cmpx_gt_i32_e64 s8, v22
	s_cbranch_execz .LBB476_39
; %bb.34:
	s_clause 0x3
	global_load_ushort v23, v[2:3], off offset:64
	global_load_ushort v24, v[4:5], off offset:64
	;; [unrolled: 1-line block ×4, first 2 shown]
	s_mov_b32 s2, exec_lo
	s_waitcnt vmcnt(3)
	v_fma_mix_f32 v18, v21, v23, v18 op_sel_hi:[0,1,0]
	v_add_nc_u32_e32 v23, 64, v17
	s_waitcnt vmcnt(2)
	v_fma_mix_f32 v18, v12, v24, v18 op_sel_hi:[0,1,0]
	s_waitcnt vmcnt(1)
	v_fma_mix_f32 v18, v11, v25, v18 op_sel_hi:[0,1,0]
	v_cmpx_gt_i32_e64 s8, v23
	s_cbranch_execz .LBB476_38
; %bb.35:
	s_clause 0x3
	global_load_ushort v24, v[2:3], off offset:128
	global_load_ushort v25, v[4:5], off offset:128
	;; [unrolled: 1-line block ×4, first 2 shown]
	v_add_nc_u32_e32 v17, 0x60, v17
	s_mov_b32 s3, exec_lo
	s_waitcnt vmcnt(3)
	v_fma_mix_f32 v16, v21, v24, v16 op_sel_hi:[0,1,0]
	s_waitcnt vmcnt(2)
	v_fma_mix_f32 v16, v12, v25, v16 op_sel_hi:[0,1,0]
	;; [unrolled: 2-line block ×3, first 2 shown]
	v_cmpx_gt_i32_e64 s8, v17
	s_cbranch_execz .LBB476_37
; %bb.36:
	s_clause 0x3
	global_load_ushort v2, v[2:3], off offset:192
	global_load_ushort v3, v[4:5], off offset:192
	;; [unrolled: 1-line block ×4, first 2 shown]
	s_waitcnt vmcnt(3)
	v_fma_mix_f32 v2, v21, v2, v15 op_sel_hi:[0,1,0]
	s_waitcnt vmcnt(2)
	v_fma_mix_f32 v2, v12, v3, v2 op_sel_hi:[0,1,0]
	;; [unrolled: 2-line block ×4, first 2 shown]
.LBB476_37:
	s_or_b32 exec_lo, exec_lo, s3
	s_waitcnt vmcnt(0)
	v_fma_mix_f32 v16, v10, v23, v16 op_sel_hi:[0,1,0]
.LBB476_38:
	s_or_b32 exec_lo, exec_lo, s2
	s_waitcnt vmcnt(0)
	v_fma_mix_f32 v18, v10, v22, v18 op_sel_hi:[0,1,0]
.LBB476_39:
	s_or_b32 exec_lo, exec_lo, s0
	s_waitcnt vmcnt(0)
	v_fma_mix_f32 v19, v10, v20, v19 op_sel_hi:[0,1,0]
.LBB476_40:
	s_or_b32 exec_lo, exec_lo, s1
.LBB476_41:
	v_lshlrev_b32_e32 v0, 2, v0
	s_mov_b32 s0, exec_lo
                                        ; implicit-def: $vgpr3
                                        ; implicit-def: $vgpr4_vgpr5
	v_lshl_add_u32 v1, v1, 9, v0
	ds_write2_b32 v1, v19, v18 offset1:32
	ds_write2_b32 v1, v16, v15 offset0:64 offset1:96
	s_waitcnt lgkmcnt(0)
	s_barrier
	buffer_gl0_inv
	v_cmpx_gt_u32_e32 0x80, v13
	s_cbranch_execz .LBB476_47
; %bb.42:
	v_lshl_add_u32 v6, v14, 2, v0
	s_mov_b32 s2, s14
	s_mov_b32 s1, exec_lo
	ds_read2st64_b32 v[0:1], v6 offset1:2
	ds_read2st64_b32 v[2:3], v6 offset0:4 offset1:6
	ds_read2st64_b32 v[4:5], v6 offset0:8 offset1:10
	s_waitcnt lgkmcnt(2)
	v_add_f32_e32 v7, v0, v1
	ds_read2st64_b32 v[0:1], v6 offset0:12 offset1:14
	s_waitcnt lgkmcnt(2)
	v_add_f32_e32 v2, v2, v7
	v_add_f32_e32 v7, v3, v2
	ds_read2st64_b32 v[2:3], v6 offset0:16 offset1:18
	s_waitcnt lgkmcnt(2)
	v_add_f32_e32 v4, v4, v7
	;; [unrolled: 4-line block ×3, first 2 shown]
	v_add_f32_e32 v0, v1, v0
	s_waitcnt lgkmcnt(1)
	v_add_f32_e32 v2, v2, v0
	ds_read2st64_b32 v[0:1], v6 offset0:24 offset1:26
	v_add_f32_e32 v2, v3, v2
	s_waitcnt lgkmcnt(1)
	v_add_f32_e32 v4, v4, v2
	ds_read2st64_b32 v[2:3], v6 offset0:28 offset1:30
	v_add_f32_e32 v4, v5, v4
	s_waitcnt lgkmcnt(1)
	v_add_f32_e32 v0, v0, v4
                                        ; implicit-def: $vgpr4_vgpr5
	v_add_f32_e32 v0, v1, v0
	v_or_b32_e32 v1, s5, v13
	s_waitcnt lgkmcnt(0)
	v_add_f32_e32 v0, v2, v0
	v_add_f32_e32 v0, v3, v0
                                        ; implicit-def: $vgpr3
	ds_write_b32 v6, v0
	v_cmpx_gt_i32_e64 s8, v1
	s_cbranch_execz .LBB476_46
; %bb.43:
	v_mul_lo_u32 v4, s15, v1
	v_cmp_eq_f32_e64 s2, s13, 0
	v_mul_f32_e32 v3, s10, v0
	s_and_b32 vcc_lo, exec_lo, s2
	v_ashrrev_i32_e32 v5, 31, v4
	s_cbranch_vccnz .LBB476_45
; %bb.44:
	v_lshlrev_b64 v[0:1], 2, v[4:5]
	v_add_co_u32 v0, vcc_lo, s11, v0
	v_add_co_ci_u32_e64 v1, null, s12, v1, vcc_lo
	global_load_dword v0, v[0:1], off
	s_waitcnt vmcnt(0)
	v_fmac_f32_e32 v3, s13, v0
.LBB476_45:
	s_or_b32 s2, s14, exec_lo
.LBB476_46:
	s_or_b32 exec_lo, exec_lo, s1
	s_andn2_b32 s1, s14, exec_lo
	s_and_b32 s2, s2, exec_lo
	s_or_b32 s14, s1, s2
.LBB476_47:
	s_or_b32 exec_lo, exec_lo, s0
.LBB476_48:
	s_and_saveexec_b32 s0, s14
	s_cbranch_execz .LBB476_50
; %bb.49:
	v_lshlrev_b64 v[0:1], 2, v[4:5]
	v_add_co_u32 v0, vcc_lo, s11, v0
	v_add_co_ci_u32_e64 v1, null, s12, v1, vcc_lo
	global_store_dword v[0:1], v3, off
.LBB476_50:
	s_endpgm
	.section	.rodata,"a",@progbits
	.p2align	6, 0x0
	.amdhsa_kernel _ZL20rocblas_gemvn_kernelILi32ELi16EiDF16_ffEviiT3_lPKT2_lT1_lS3_lS4_lS0_lPT4_lS4_li
		.amdhsa_group_segment_fixed_size 8192
		.amdhsa_private_segment_fixed_size 0
		.amdhsa_kernarg_size 400
		.amdhsa_user_sgpr_count 6
		.amdhsa_user_sgpr_private_segment_buffer 1
		.amdhsa_user_sgpr_dispatch_ptr 0
		.amdhsa_user_sgpr_queue_ptr 0
		.amdhsa_user_sgpr_kernarg_segment_ptr 1
		.amdhsa_user_sgpr_dispatch_id 0
		.amdhsa_user_sgpr_flat_scratch_init 0
		.amdhsa_user_sgpr_private_segment_size 0
		.amdhsa_wavefront_size32 1
		.amdhsa_uses_dynamic_stack 0
		.amdhsa_system_sgpr_private_segment_wavefront_offset 0
		.amdhsa_system_sgpr_workgroup_id_x 1
		.amdhsa_system_sgpr_workgroup_id_y 0
		.amdhsa_system_sgpr_workgroup_id_z 1
		.amdhsa_system_sgpr_workgroup_info 0
		.amdhsa_system_vgpr_workitem_id 1
		.amdhsa_next_free_vgpr 46
		.amdhsa_next_free_sgpr 28
		.amdhsa_reserve_vcc 1
		.amdhsa_reserve_flat_scratch 0
		.amdhsa_float_round_mode_32 0
		.amdhsa_float_round_mode_16_64 0
		.amdhsa_float_denorm_mode_32 3
		.amdhsa_float_denorm_mode_16_64 3
		.amdhsa_dx10_clamp 1
		.amdhsa_ieee_mode 1
		.amdhsa_fp16_overflow 0
		.amdhsa_workgroup_processor_mode 1
		.amdhsa_memory_ordered 1
		.amdhsa_forward_progress 1
		.amdhsa_shared_vgpr_count 0
		.amdhsa_exception_fp_ieee_invalid_op 0
		.amdhsa_exception_fp_denorm_src 0
		.amdhsa_exception_fp_ieee_div_zero 0
		.amdhsa_exception_fp_ieee_overflow 0
		.amdhsa_exception_fp_ieee_underflow 0
		.amdhsa_exception_fp_ieee_inexact 0
		.amdhsa_exception_int_div_zero 0
	.end_amdhsa_kernel
	.section	.text._ZL20rocblas_gemvn_kernelILi32ELi16EiDF16_ffEviiT3_lPKT2_lT1_lS3_lS4_lS0_lPT4_lS4_li,"axG",@progbits,_ZL20rocblas_gemvn_kernelILi32ELi16EiDF16_ffEviiT3_lPKT2_lT1_lS3_lS4_lS0_lPT4_lS4_li,comdat
.Lfunc_end476:
	.size	_ZL20rocblas_gemvn_kernelILi32ELi16EiDF16_ffEviiT3_lPKT2_lT1_lS3_lS4_lS0_lPT4_lS4_li, .Lfunc_end476-_ZL20rocblas_gemvn_kernelILi32ELi16EiDF16_ffEviiT3_lPKT2_lT1_lS3_lS4_lS0_lPT4_lS4_li
                                        ; -- End function
	.set _ZL20rocblas_gemvn_kernelILi32ELi16EiDF16_ffEviiT3_lPKT2_lT1_lS3_lS4_lS0_lPT4_lS4_li.num_vgpr, 46
	.set _ZL20rocblas_gemvn_kernelILi32ELi16EiDF16_ffEviiT3_lPKT2_lT1_lS3_lS4_lS0_lPT4_lS4_li.num_agpr, 0
	.set _ZL20rocblas_gemvn_kernelILi32ELi16EiDF16_ffEviiT3_lPKT2_lT1_lS3_lS4_lS0_lPT4_lS4_li.numbered_sgpr, 28
	.set _ZL20rocblas_gemvn_kernelILi32ELi16EiDF16_ffEviiT3_lPKT2_lT1_lS3_lS4_lS0_lPT4_lS4_li.num_named_barrier, 0
	.set _ZL20rocblas_gemvn_kernelILi32ELi16EiDF16_ffEviiT3_lPKT2_lT1_lS3_lS4_lS0_lPT4_lS4_li.private_seg_size, 0
	.set _ZL20rocblas_gemvn_kernelILi32ELi16EiDF16_ffEviiT3_lPKT2_lT1_lS3_lS4_lS0_lPT4_lS4_li.uses_vcc, 1
	.set _ZL20rocblas_gemvn_kernelILi32ELi16EiDF16_ffEviiT3_lPKT2_lT1_lS3_lS4_lS0_lPT4_lS4_li.uses_flat_scratch, 0
	.set _ZL20rocblas_gemvn_kernelILi32ELi16EiDF16_ffEviiT3_lPKT2_lT1_lS3_lS4_lS0_lPT4_lS4_li.has_dyn_sized_stack, 0
	.set _ZL20rocblas_gemvn_kernelILi32ELi16EiDF16_ffEviiT3_lPKT2_lT1_lS3_lS4_lS0_lPT4_lS4_li.has_recursion, 0
	.set _ZL20rocblas_gemvn_kernelILi32ELi16EiDF16_ffEviiT3_lPKT2_lT1_lS3_lS4_lS0_lPT4_lS4_li.has_indirect_call, 0
	.section	.AMDGPU.csdata,"",@progbits
; Kernel info:
; codeLenInByte = 2896
; TotalNumSgprs: 30
; NumVgprs: 46
; ScratchSize: 0
; MemoryBound: 0
; FloatMode: 240
; IeeeMode: 1
; LDSByteSize: 8192 bytes/workgroup (compile time only)
; SGPRBlocks: 0
; VGPRBlocks: 5
; NumSGPRsForWavesPerEU: 30
; NumVGPRsForWavesPerEU: 46
; Occupancy: 16
; WaveLimiterHint : 1
; COMPUTE_PGM_RSRC2:SCRATCH_EN: 0
; COMPUTE_PGM_RSRC2:USER_SGPR: 6
; COMPUTE_PGM_RSRC2:TRAP_HANDLER: 0
; COMPUTE_PGM_RSRC2:TGID_X_EN: 1
; COMPUTE_PGM_RSRC2:TGID_Y_EN: 0
; COMPUTE_PGM_RSRC2:TGID_Z_EN: 1
; COMPUTE_PGM_RSRC2:TIDIG_COMP_CNT: 1
	.section	.text._ZL20rocblas_gemvn_kernelILi32ELi16ElDF16_ffEviiT3_lPKT2_lT1_lS3_lS4_lS0_lPT4_lS4_li,"axG",@progbits,_ZL20rocblas_gemvn_kernelILi32ELi16ElDF16_ffEviiT3_lPKT2_lT1_lS3_lS4_lS0_lPT4_lS4_li,comdat
	.globl	_ZL20rocblas_gemvn_kernelILi32ELi16ElDF16_ffEviiT3_lPKT2_lT1_lS3_lS4_lS0_lPT4_lS4_li ; -- Begin function _ZL20rocblas_gemvn_kernelILi32ELi16ElDF16_ffEviiT3_lPKT2_lT1_lS3_lS4_lS0_lPT4_lS4_li
	.p2align	8
	.type	_ZL20rocblas_gemvn_kernelILi32ELi16ElDF16_ffEviiT3_lPKT2_lT1_lS3_lS4_lS0_lPT4_lS4_li,@function
_ZL20rocblas_gemvn_kernelILi32ELi16ElDF16_ffEviiT3_lPKT2_lT1_lS3_lS4_lS0_lPT4_lS4_li: ; @_ZL20rocblas_gemvn_kernelILi32ELi16ElDF16_ffEviiT3_lPKT2_lT1_lS3_lS4_lS0_lPT4_lS4_li
; %bb.0:
	s_load_dwordx2 s[0:1], s[4:5], 0x9c
	s_waitcnt lgkmcnt(0)
	s_lshr_b32 s2, s0, 16
	s_and_b32 s0, s0, 0xffff
	s_and_b32 s1, s1, 0xffff
	s_mul_i32 s0, s2, s0
	s_mul_i32 s0, s0, s1
	s_cmpk_lg_i32 s0, 0x200
	s_cbranch_scc1 .LBB477_50
; %bb.1:
	s_clause 0x1
	s_load_dwordx4 s[28:31], s[4:5], 0x0
	s_load_dword s36, s[4:5], 0x58
	s_mov_b32 s37, 0
	s_waitcnt lgkmcnt(0)
	v_cmp_eq_f32_e64 s0, s30, 0
	v_cmp_eq_f32_e64 s1, s36, 1.0
	s_and_b32 s0, s0, s1
	s_and_b32 vcc_lo, exec_lo, s0
	s_cbranch_vccnz .LBB477_50
; %bb.2:
	s_load_dwordx8 s[20:27], s[4:5], 0x68
	v_lshlrev_b32_e32 v14, 5, v1
	v_add_nc_u32_e32 v13, v14, v0
	s_waitcnt lgkmcnt(0)
	s_mul_i32 s1, s27, s7
	s_mul_hi_u32 s2, s26, s7
	s_mul_i32 s0, s26, s7
	s_add_i32 s1, s2, s1
	v_cmp_neq_f32_e64 s2, s30, 0
	s_lshl_b64 s[0:1], s[0:1], 2
	s_add_u32 s3, s20, s0
	s_addc_u32 s8, s21, s1
	s_lshl_b64 s[0:1], s[22:23], 2
	s_add_u32 s31, s3, s0
	v_cmp_gt_u32_e64 s0, 0x80, v13
	s_addc_u32 s33, s8, s1
	s_and_b32 vcc_lo, exec_lo, s2
	s_cbranch_vccnz .LBB477_9
; %bb.3:
	s_mov_b32 s1, 0
                                        ; implicit-def: $vgpr3
                                        ; implicit-def: $vgpr4_vgpr5
	s_and_saveexec_b32 s2, s0
	s_cbranch_execz .LBB477_10
; %bb.4:
	v_lshl_or_b32 v2, s6, 7, v13
	v_mov_b32_e32 v3, 0
	s_ashr_i32 s9, s28, 31
	s_mov_b32 s8, s28
	s_mov_b32 s3, 0
	s_mov_b32 s0, exec_lo
                                        ; implicit-def: $vgpr4_vgpr5
	v_cmpx_gt_i64_e64 s[8:9], v[2:3]
	s_cbranch_execz .LBB477_8
; %bb.5:
	v_mad_u64_u32 v[4:5], null, s24, v2, 0
	v_cmp_eq_f32_e64 s3, s36, 0
	s_and_b32 vcc_lo, exec_lo, s3
	v_mad_u64_u32 v[5:6], null, s25, v2, v[5:6]
	s_cbranch_vccnz .LBB477_7
; %bb.6:
	v_lshlrev_b64 v[2:3], 2, v[4:5]
	v_add_co_u32 v2, vcc_lo, s31, v2
	v_add_co_ci_u32_e64 v3, null, s33, v3, vcc_lo
	global_load_dword v2, v[2:3], off
	s_waitcnt vmcnt(0)
	v_mul_f32_e32 v3, s36, v2
.LBB477_7:
	s_mov_b32 s3, exec_lo
.LBB477_8:
	s_or_b32 exec_lo, exec_lo, s0
	s_and_b32 s37, s3, exec_lo
	s_or_b32 exec_lo, exec_lo, s2
	s_and_b32 vcc_lo, exec_lo, s1
	s_cbranch_vccnz .LBB477_11
	s_branch .LBB477_48
.LBB477_9:
                                        ; implicit-def: $vgpr3
                                        ; implicit-def: $vgpr4_vgpr5
	s_cbranch_execnz .LBB477_11
	s_branch .LBB477_48
.LBB477_10:
	s_or_b32 exec_lo, exec_lo, s2
	s_and_b32 vcc_lo, exec_lo, s1
	s_cbranch_vccz .LBB477_48
.LBB477_11:
	s_load_dwordx16 s[8:23], s[4:5], 0x18
	s_ashr_i32 s0, s29, 31
	s_lshl_b32 s5, s6, 7
	s_lshr_b32 s0, s0, 26
	v_lshlrev_b32_e32 v15, 2, v1
	v_mov_b32_e32 v19, 0
	v_mov_b32_e32 v18, 0
	;; [unrolled: 1-line block ×4, first 2 shown]
	v_add_nc_u32_e32 v2, s5, v0
	s_add_i32 s38, s29, s0
	s_mov_b32 s39, exec_lo
	s_andn2_b32 s38, s38, 63
	s_waitcnt lgkmcnt(0)
	s_mul_i32 s0, s15, s7
	s_mul_hi_u32 s1, s14, s7
	s_mul_i32 s2, s23, s7
	s_mul_hi_u32 s3, s22, s7
	s_mul_i32 s14, s14, s7
	s_add_i32 s15, s1, s0
	s_add_i32 s23, s3, s2
	s_mul_i32 s22, s22, s7
	v_cmpx_gt_i32_e64 s38, v15
	s_cbranch_execz .LBB477_23
; %bb.12:
	v_lshlrev_b32_e32 v30, 2, v1
	v_mad_u64_u32 v[4:5], null, s20, v1, 0
	v_add_nc_u32_e32 v11, 32, v2
	v_add_nc_u32_e32 v12, 64, v2
	v_or_b32_e32 v16, 3, v30
	s_lshl_b64 s[0:1], s[22:23], 1
	s_lshl_b64 s[6:7], s[18:19], 1
	s_add_u32 s4, s16, s0
	s_addc_u32 s42, s17, s1
	v_mad_u64_u32 v[6:7], null, s12, v16, 0
	v_cmp_gt_i32_e64 s0, s28, v11
	v_cmp_gt_i32_e64 s1, s28, v12
	v_add_nc_u32_e32 v17, 0x60, v2
	v_or_b32_e32 v24, 2, v30
	s_lshl_b64 s[34:35], s[10:11], 1
	s_lshl_b64 s[26:27], s[20:21], 7
	v_mad_u64_u32 v[8:9], null, s21, v1, v[5:6]
	v_mad_u64_u32 v[9:10], null, s20, v16, 0
	v_cmp_gt_i32_e64 s2, s28, v17
	s_lshl_b64 s[40:41], s[14:15], 1
	v_mad_u64_u32 v[28:29], null, s20, v24, 0
	v_mov_b32_e32 v5, v8
	v_mad_u64_u32 v[7:8], null, s13, v16, v[7:8]
	v_mad_u64_u32 v[32:33], null, s12, v30, s[12:13]
	v_lshlrev_b64 v[11:12], 3, v[4:5]
	v_mov_b32_e32 v5, v10
	v_mov_b32_e32 v8, v29
	v_ashrrev_i32_e32 v3, 31, v2
	v_lshlrev_b64 v[6:7], 1, v[6:7]
	v_cmp_gt_i32_e32 vcc_lo, s28, v2
	v_add_co_u32 v20, s3, s4, v11
	v_add_co_ci_u32_e64 v21, null, s42, v12, s3
	v_mad_u64_u32 v[16:17], null, s21, v16, v[5:6]
	v_mad_u64_u32 v[11:12], null, s12, v1, 0
	s_add_u32 s3, s8, s34
	s_addc_u32 s34, s9, s35
	s_add_u32 s35, s3, s40
	s_addc_u32 s34, s34, s41
	v_mov_b32_e32 v10, v16
	v_mad_u64_u32 v[16:17], null, s12, v24, 0
	v_mov_b32_e32 v5, v12
	v_add_co_u32 v22, s3, s35, v6
	v_add_co_ci_u32_e64 v23, null, s34, v7, s3
	v_mad_u64_u32 v[18:19], null, s13, v1, v[5:6]
	v_lshlrev_b64 v[6:7], 1, v[9:10]
	v_mov_b32_e32 v5, v17
	v_lshlrev_b64 v[3:4], 1, v[2:3]
	s_mov_b32 s40, 0
	v_mad_u64_u32 v[9:10], null, s13, v24, v[5:6]
	v_mov_b32_e32 v12, v18
	v_mad_u64_u32 v[18:19], null, s20, v30, s[20:21]
	v_mad_u64_u32 v[26:27], null, s21, v24, v[8:9]
	v_add_co_u32 v24, s3, s4, v6
	v_add_co_ci_u32_e64 v25, null, s42, v7, s3
	v_lshlrev_b64 v[6:7], 3, v[11:12]
	v_mov_b32_e32 v5, v19
	v_mov_b32_e32 v17, v9
	;; [unrolled: 1-line block ×3, first 2 shown]
	v_add_co_u32 v26, s3, s35, v6
	v_mad_u64_u32 v[8:9], null, s21, v30, v[5:6]
	v_add_co_ci_u32_e64 v27, null, s34, v7, s3
	v_lshlrev_b64 v[6:7], 1, v[16:17]
	v_mov_b32_e32 v5, v33
	v_mov_b32_e32 v17, 0
	;; [unrolled: 1-line block ×4, first 2 shown]
	v_mad_u64_u32 v[9:10], null, s13, v30, v[5:6]
	v_lshlrev_b64 v[10:11], 1, v[28:29]
	v_add_co_u32 v28, s3, s35, v6
	v_lshlrev_b64 v[5:6], 1, v[18:19]
	v_add_co_ci_u32_e64 v29, null, s34, v7, s3
	v_mov_b32_e32 v33, v9
	v_add_co_u32 v30, s3, s4, v10
	v_add_co_ci_u32_e64 v31, null, s42, v11, s3
	v_lshlrev_b64 v[7:8], 1, v[32:33]
	v_add_co_u32 v32, s3, s4, v5
	v_add_co_ci_u32_e64 v33, null, s42, v6, s3
	v_mov_b32_e32 v19, 0
	v_add_co_u32 v34, s3, s35, v7
	v_add_co_ci_u32_e64 v35, null, s34, v8, s3
	v_mov_b32_e32 v18, 0
	s_lshl_b64 s[34:35], s[12:13], 7
	s_branch .LBB477_17
.LBB477_13:                             ;   in Loop: Header=BB477_17 Depth=1
	s_or_b32 exec_lo, exec_lo, s42
	s_waitcnt vmcnt(3)
	v_fma_mix_f32 v5, v48, v52, v17 op_sel_hi:[0,1,0]
	s_waitcnt vmcnt(2)
	v_fma_mix_f32 v5, v49, v53, v5 op_sel_hi:[0,1,0]
	;; [unrolled: 2-line block ×4, first 2 shown]
.LBB477_14:                             ;   in Loop: Header=BB477_17 Depth=1
	s_or_b32 exec_lo, exec_lo, s41
	s_waitcnt vmcnt(3)
	v_fma_mix_f32 v5, v48, v44, v18 op_sel_hi:[0,1,0]
	s_waitcnt vmcnt(2)
	v_fma_mix_f32 v5, v49, v45, v5 op_sel_hi:[0,1,0]
	;; [unrolled: 2-line block ×4, first 2 shown]
.LBB477_15:                             ;   in Loop: Header=BB477_17 Depth=1
	s_or_b32 exec_lo, exec_lo, s3
	s_waitcnt vmcnt(3)
	v_fma_mix_f32 v5, v36, v40, v19 op_sel_hi:[1,1,0]
	s_waitcnt vmcnt(2)
	v_fma_mix_f32 v5, v37, v41, v5 op_sel_hi:[1,1,0]
	;; [unrolled: 2-line block ×4, first 2 shown]
.LBB477_16:                             ;   in Loop: Header=BB477_17 Depth=1
	s_or_b32 exec_lo, exec_lo, s4
	v_add_co_u32 v20, s3, v20, s26
	v_add_co_ci_u32_e64 v21, null, s27, v21, s3
	v_add_co_u32 v22, s3, v22, s34
	v_add_co_ci_u32_e64 v23, null, s35, v23, s3
	;; [unrolled: 2-line block ×4, first 2 shown]
	v_add_co_u32 v28, s3, v28, s34
	v_add_nc_u32_e32 v15, 64, v15
	v_add_co_ci_u32_e64 v29, null, s35, v29, s3
	v_add_co_u32 v30, s3, v30, s26
	v_add_co_ci_u32_e64 v31, null, s27, v31, s3
	v_add_co_u32 v32, s3, v32, s26
	v_add_co_ci_u32_e64 v33, null, s27, v33, s3
	v_cmp_le_i32_e64 s3, s38, v15
	v_add_co_u32 v34, s4, v34, s34
	v_add_co_ci_u32_e64 v35, null, s35, v35, s4
	s_or_b32 s40, s3, s40
	s_andn2_b32 exec_lo, exec_lo, s40
	s_cbranch_execz .LBB477_22
.LBB477_17:                             ; =>This Inner Loop Header: Depth=1
	s_and_saveexec_b32 s4, vcc_lo
	s_cbranch_execz .LBB477_16
; %bb.18:                               ;   in Loop: Header=BB477_17 Depth=1
	v_add_co_u32 v5, s3, v20, s6
	v_add_co_ci_u32_e64 v6, null, s7, v21, s3
	v_add_co_u32 v7, s3, v32, s6
	v_add_co_ci_u32_e64 v8, null, s7, v33, s3
	;; [unrolled: 2-line block ×3, first 2 shown]
	v_add_co_u32 v39, s3, v24, s6
	global_load_ushort v36, v[5:6], off
	global_load_ushort v37, v[7:8], off
	;; [unrolled: 1-line block ×3, first 2 shown]
	v_add_co_ci_u32_e64 v40, null, s7, v25, s3
	v_add_co_u32 v5, s3, v26, v3
	v_add_co_ci_u32_e64 v6, null, v27, v4, s3
	v_add_co_u32 v7, s3, v34, v3
	;; [unrolled: 2-line block ×4, first 2 shown]
	v_add_co_ci_u32_e64 v12, null, v23, v4, s3
	global_load_ushort v39, v[39:40], off
	global_load_ushort v40, v[5:6], off
	;; [unrolled: 1-line block ×5, first 2 shown]
	s_and_saveexec_b32 s3, s0
	s_cbranch_execz .LBB477_15
; %bb.19:                               ;   in Loop: Header=BB477_17 Depth=1
	global_load_ushort v44, v[5:6], off offset:64
	global_load_ushort v45, v[7:8], off offset:64
	;; [unrolled: 1-line block ×4, first 2 shown]
	s_waitcnt vmcnt(11)
	v_cvt_f32_f16_e32 v48, v36
	s_waitcnt vmcnt(10)
	v_cvt_f32_f16_e32 v49, v37
	;; [unrolled: 2-line block ×4, first 2 shown]
	s_and_saveexec_b32 s41, s1
	s_cbranch_execz .LBB477_14
; %bb.20:                               ;   in Loop: Header=BB477_17 Depth=1
	global_load_ushort v52, v[5:6], off offset:128
	global_load_ushort v53, v[7:8], off offset:128
	;; [unrolled: 1-line block ×4, first 2 shown]
	s_and_saveexec_b32 s42, s2
	s_cbranch_execz .LBB477_13
; %bb.21:                               ;   in Loop: Header=BB477_17 Depth=1
	global_load_ushort v5, v[5:6], off offset:192
	global_load_ushort v6, v[7:8], off offset:192
	;; [unrolled: 1-line block ×4, first 2 shown]
	s_waitcnt vmcnt(3)
	v_fma_mix_f32 v5, v48, v5, v16 op_sel_hi:[0,1,0]
	s_waitcnt vmcnt(2)
	v_fma_mix_f32 v5, v49, v6, v5 op_sel_hi:[0,1,0]
	;; [unrolled: 2-line block ×4, first 2 shown]
	s_branch .LBB477_13
.LBB477_22:
	s_or_b32 exec_lo, exec_lo, s40
.LBB477_23:
	s_or_b32 exec_lo, exec_lo, s39
	s_sub_i32 s0, s29, s38
	s_cmp_lt_i32 s0, 1
	s_cbranch_scc1 .LBB477_41
; %bb.24:
	v_cmp_gt_i32_e32 vcc_lo, s29, v15
	v_mov_b32_e32 v11, 0
	v_or_b32_e32 v4, 1, v15
	v_mov_b32_e32 v12, 0
	v_mov_b32_e32 v20, 0
	;; [unrolled: 1-line block ×3, first 2 shown]
	s_and_saveexec_b32 s1, vcc_lo
	s_cbranch_execz .LBB477_32
; %bb.25:
	v_mad_u64_u32 v[5:6], null, s20, v15, 0
	s_lshl_b64 s[2:3], s[22:23], 1
	v_mov_b32_e32 v20, 0
	s_add_u32 s0, s16, s2
	s_addc_u32 s2, s17, s3
	s_lshl_b64 s[6:7], s[18:19], 1
	v_mov_b32_e32 v12, 0
	v_mov_b32_e32 v3, v6
	s_add_u32 s3, s0, s6
	s_addc_u32 s4, s2, s7
	v_mov_b32_e32 v11, 0
	s_mov_b32 s2, exec_lo
	v_mad_u64_u32 v[6:7], null, s21, v15, v[3:4]
	v_lshlrev_b64 v[5:6], 1, v[5:6]
	v_add_co_u32 v5, s0, s3, v5
	v_add_co_ci_u32_e64 v6, null, s4, v6, s0
	global_load_ushort v3, v[5:6], off
	v_cmpx_gt_i32_e64 s29, v4
	s_cbranch_execz .LBB477_31
; %bb.26:
	v_mad_u64_u32 v[5:6], null, s20, v4, 0
	v_mov_b32_e32 v12, 0
	v_mov_b32_e32 v11, 0
	s_mov_b32 s6, exec_lo
	v_mad_u64_u32 v[6:7], null, s21, v4, v[6:7]
	v_lshlrev_b64 v[5:6], 1, v[5:6]
	v_add_co_u32 v5, s0, s3, v5
	v_add_co_ci_u32_e64 v6, null, s4, v6, s0
	global_load_ushort v5, v[5:6], off
	v_or_b32_e32 v6, 2, v15
	v_cmpx_gt_i32_e64 s29, v6
	s_cbranch_execz .LBB477_30
; %bb.27:
	v_mad_u64_u32 v[7:8], null, s20, v6, 0
	v_mov_b32_e32 v11, 0
	s_mov_b32 s7, exec_lo
	v_mad_u64_u32 v[8:9], null, s21, v6, v[8:9]
	v_lshlrev_b64 v[6:7], 1, v[7:8]
	v_add_co_u32 v6, s0, s3, v6
	v_add_co_ci_u32_e64 v7, null, s4, v7, s0
	global_load_ushort v6, v[6:7], off
	v_or_b32_e32 v7, 3, v15
	v_cmpx_gt_i32_e64 s29, v7
	s_cbranch_execz .LBB477_29
; %bb.28:
	v_mad_u64_u32 v[8:9], null, s20, v7, 0
	v_mad_u64_u32 v[9:10], null, s21, v7, v[9:10]
	v_lshlrev_b64 v[7:8], 1, v[8:9]
	v_add_co_u32 v7, s0, s3, v7
	v_add_co_ci_u32_e64 v8, null, s4, v8, s0
	global_load_ushort v7, v[7:8], off
	s_waitcnt vmcnt(0)
	v_cvt_f32_f16_e32 v11, v7
.LBB477_29:
	s_or_b32 exec_lo, exec_lo, s7
	s_waitcnt vmcnt(0)
	v_cvt_f32_f16_e32 v12, v6
.LBB477_30:
	s_or_b32 exec_lo, exec_lo, s6
	s_waitcnt vmcnt(0)
	v_cvt_f32_f16_e32 v20, v5
.LBB477_31:
	s_or_b32 exec_lo, exec_lo, s2
	s_waitcnt vmcnt(0)
	v_cvt_f32_f16_e32 v21, v3
.LBB477_32:
	s_or_b32 exec_lo, exec_lo, s1
	s_mov_b32 s1, exec_lo
	v_cmpx_gt_i32_e64 s28, v2
	s_cbranch_execz .LBB477_40
; %bb.33:
	v_mad_u64_u32 v[5:6], null, s12, v15, 0
	v_mad_u64_u32 v[7:8], null, s12, v4, 0
	v_ashrrev_i32_e32 v3, 31, v2
	v_or_b32_e32 v29, 2, v15
	s_lshl_b64 s[2:3], s[14:15], 1
	s_add_u32 s0, s8, s2
	v_lshlrev_b64 v[22:23], 1, v[2:3]
	v_mad_u64_u32 v[9:10], null, s13, v15, v[6:7]
	v_mov_b32_e32 v3, v8
	v_cndmask_b32_e32 v5, 0, v5, vcc_lo
	v_or_b32_e32 v15, 3, v15
	v_mad_u64_u32 v[24:25], null, s12, v29, 0
	v_mad_u64_u32 v[26:27], null, s13, v4, v[3:4]
	v_cndmask_b32_e32 v6, 0, v9, vcc_lo
	v_cmp_gt_i32_e32 vcc_lo, s29, v4
	s_addc_u32 s4, s9, s3
	s_lshl_b64 s[2:3], s[10:11], 1
	v_mad_u64_u32 v[8:9], null, s12, v15, 0
	v_lshlrev_b64 v[5:6], 1, v[5:6]
	v_cndmask_b32_e32 v27, 0, v7, vcc_lo
	v_cndmask_b32_e32 v28, 0, v26, vcc_lo
	s_add_u32 s2, s0, s2
	v_mov_b32_e32 v7, v25
	s_addc_u32 s3, s4, s3
	v_add_co_u32 v3, s0, s2, v5
	v_add_co_ci_u32_e64 v4, null, s3, v6, s0
	v_lshlrev_b64 v[5:6], 1, v[27:28]
	v_mad_u64_u32 v[25:26], null, s13, v29, v[7:8]
	v_add_co_u32 v3, vcc_lo, v3, v22
	v_add_co_ci_u32_e64 v4, null, v4, v23, vcc_lo
	v_cmp_gt_i32_e32 vcc_lo, s29, v29
	v_mov_b32_e32 v7, v9
	v_add_co_u32 v5, s0, s2, v5
	v_add_co_ci_u32_e64 v6, null, s3, v6, s0
	v_cndmask_b32_e32 v9, 0, v24, vcc_lo
	v_cndmask_b32_e32 v10, 0, v25, vcc_lo
	v_mad_u64_u32 v[24:25], null, s13, v15, v[7:8]
	v_add_co_u32 v5, vcc_lo, v5, v22
	v_add_co_ci_u32_e64 v6, null, v6, v23, vcc_lo
	v_cmp_gt_i32_e32 vcc_lo, s29, v15
	v_lshlrev_b64 v[9:10], 1, v[9:10]
	s_clause 0x1
	global_load_ushort v25, v[3:4], off
	global_load_ushort v26, v[5:6], off
	s_mov_b32 s0, exec_lo
	v_cndmask_b32_e32 v7, 0, v8, vcc_lo
	v_cndmask_b32_e32 v8, 0, v24, vcc_lo
	v_add_co_u32 v15, vcc_lo, s2, v9
	v_add_co_ci_u32_e64 v24, null, s3, v10, vcc_lo
	v_lshlrev_b64 v[9:10], 1, v[7:8]
	v_add_co_u32 v7, vcc_lo, v15, v22
	v_add_co_ci_u32_e64 v8, null, v24, v23, vcc_lo
	v_add_co_u32 v9, vcc_lo, s2, v9
	v_add_co_ci_u32_e64 v10, null, s3, v10, vcc_lo
	global_load_ushort v24, v[7:8], off
	v_add_co_u32 v9, vcc_lo, v9, v22
	v_add_co_ci_u32_e64 v10, null, v10, v23, vcc_lo
	v_add_nc_u32_e32 v22, 32, v2
	global_load_ushort v15, v[9:10], off
	s_waitcnt vmcnt(3)
	v_fma_mix_f32 v19, v21, v25, v19 op_sel_hi:[0,1,0]
	s_waitcnt vmcnt(2)
	v_fma_mix_f32 v19, v20, v26, v19 op_sel_hi:[0,1,0]
	;; [unrolled: 2-line block ×3, first 2 shown]
	v_cmpx_gt_i32_e64 s28, v22
	s_cbranch_execz .LBB477_39
; %bb.34:
	s_clause 0x3
	global_load_ushort v23, v[3:4], off offset:64
	global_load_ushort v24, v[5:6], off offset:64
	;; [unrolled: 1-line block ×4, first 2 shown]
	s_mov_b32 s2, exec_lo
	s_waitcnt vmcnt(3)
	v_fma_mix_f32 v18, v21, v23, v18 op_sel_hi:[0,1,0]
	v_add_nc_u32_e32 v23, 64, v2
	s_waitcnt vmcnt(2)
	v_fma_mix_f32 v18, v20, v24, v18 op_sel_hi:[0,1,0]
	s_waitcnt vmcnt(1)
	v_fma_mix_f32 v18, v12, v25, v18 op_sel_hi:[0,1,0]
	v_cmpx_gt_i32_e64 s28, v23
	s_cbranch_execz .LBB477_38
; %bb.35:
	s_clause 0x3
	global_load_ushort v24, v[3:4], off offset:128
	global_load_ushort v25, v[5:6], off offset:128
	;; [unrolled: 1-line block ×4, first 2 shown]
	s_mov_b32 s3, exec_lo
	s_waitcnt vmcnt(3)
	v_fma_mix_f32 v17, v21, v24, v17 op_sel_hi:[0,1,0]
	v_add_nc_u32_e32 v24, 0x60, v2
	s_waitcnt vmcnt(2)
	v_fma_mix_f32 v17, v20, v25, v17 op_sel_hi:[0,1,0]
	s_waitcnt vmcnt(1)
	v_fma_mix_f32 v2, v12, v26, v17 op_sel_hi:[0,1,0]
	v_cmpx_gt_i32_e64 s28, v24
	s_cbranch_execz .LBB477_37
; %bb.36:
	s_clause 0x3
	global_load_ushort v3, v[3:4], off offset:192
	global_load_ushort v4, v[5:6], off offset:192
	;; [unrolled: 1-line block ×4, first 2 shown]
	s_waitcnt vmcnt(3)
	v_fma_mix_f32 v3, v21, v3, v16 op_sel_hi:[0,1,0]
	s_waitcnt vmcnt(2)
	v_fma_mix_f32 v3, v20, v4, v3 op_sel_hi:[0,1,0]
	;; [unrolled: 2-line block ×4, first 2 shown]
.LBB477_37:
	s_or_b32 exec_lo, exec_lo, s3
	s_waitcnt vmcnt(0)
	v_fma_mix_f32 v17, v11, v23, v2 op_sel_hi:[0,1,0]
.LBB477_38:
	s_or_b32 exec_lo, exec_lo, s2
	s_waitcnt vmcnt(0)
	v_fma_mix_f32 v18, v11, v22, v18 op_sel_hi:[0,1,0]
.LBB477_39:
	s_or_b32 exec_lo, exec_lo, s0
	s_waitcnt vmcnt(0)
	v_fma_mix_f32 v19, v11, v15, v19 op_sel_hi:[0,1,0]
.LBB477_40:
	s_or_b32 exec_lo, exec_lo, s1
.LBB477_41:
	v_lshlrev_b32_e32 v0, 2, v0
	s_mov_b32 s0, exec_lo
                                        ; implicit-def: $vgpr3
                                        ; implicit-def: $vgpr4_vgpr5
	v_lshl_add_u32 v1, v1, 9, v0
	ds_write2_b32 v1, v19, v18 offset1:32
	ds_write2_b32 v1, v17, v16 offset0:64 offset1:96
	s_waitcnt lgkmcnt(0)
	s_barrier
	buffer_gl0_inv
	v_cmpx_gt_u32_e32 0x80, v13
	s_cbranch_execz .LBB477_47
; %bb.42:
	v_lshl_add_u32 v6, v14, 2, v0
	s_mov_b32 s2, s37
	s_mov_b32 s1, exec_lo
	ds_read2st64_b32 v[0:1], v6 offset1:2
	ds_read2st64_b32 v[2:3], v6 offset0:4 offset1:6
	ds_read2st64_b32 v[4:5], v6 offset0:8 offset1:10
	s_waitcnt lgkmcnt(2)
	v_add_f32_e32 v7, v0, v1
	ds_read2st64_b32 v[0:1], v6 offset0:12 offset1:14
	s_waitcnt lgkmcnt(2)
	v_add_f32_e32 v2, v2, v7
	v_add_f32_e32 v7, v3, v2
	ds_read2st64_b32 v[2:3], v6 offset0:16 offset1:18
	s_waitcnt lgkmcnt(2)
	v_add_f32_e32 v4, v4, v7
	;; [unrolled: 4-line block ×3, first 2 shown]
	v_add_f32_e32 v0, v1, v0
	s_waitcnt lgkmcnt(1)
	v_add_f32_e32 v2, v2, v0
	ds_read2st64_b32 v[0:1], v6 offset0:24 offset1:26
	v_add_f32_e32 v2, v3, v2
	s_waitcnt lgkmcnt(1)
	v_add_f32_e32 v4, v4, v2
	ds_read2st64_b32 v[2:3], v6 offset0:28 offset1:30
	v_add_f32_e32 v4, v5, v4
	s_waitcnt lgkmcnt(1)
	v_add_f32_e32 v0, v0, v4
                                        ; implicit-def: $vgpr4_vgpr5
	v_add_f32_e32 v0, v1, v0
	v_or_b32_e32 v1, s5, v13
	s_waitcnt lgkmcnt(0)
	v_add_f32_e32 v0, v2, v0
	v_add_f32_e32 v0, v3, v0
                                        ; implicit-def: $vgpr3
	ds_write_b32 v6, v0
	v_cmpx_gt_i32_e64 s28, v1
	s_cbranch_execz .LBB477_46
; %bb.43:
	v_ashrrev_i32_e32 v2, 31, v1
	v_mul_lo_u32 v6, s25, v1
	v_mad_u64_u32 v[4:5], null, s24, v1, 0
	v_cmp_eq_f32_e64 s2, s36, 0
	v_mul_lo_u32 v1, s24, v2
	v_mul_f32_e32 v3, s30, v0
	s_and_b32 vcc_lo, exec_lo, s2
	v_add3_u32 v5, v5, v1, v6
	s_cbranch_vccnz .LBB477_45
; %bb.44:
	v_lshlrev_b64 v[0:1], 2, v[4:5]
	v_add_co_u32 v0, vcc_lo, s31, v0
	v_add_co_ci_u32_e64 v1, null, s33, v1, vcc_lo
	global_load_dword v0, v[0:1], off
	s_waitcnt vmcnt(0)
	v_fmac_f32_e32 v3, s36, v0
.LBB477_45:
	s_or_b32 s2, s37, exec_lo
.LBB477_46:
	s_or_b32 exec_lo, exec_lo, s1
	s_andn2_b32 s1, s37, exec_lo
	s_and_b32 s2, s2, exec_lo
	s_or_b32 s37, s1, s2
.LBB477_47:
	s_or_b32 exec_lo, exec_lo, s0
.LBB477_48:
	s_and_saveexec_b32 s0, s37
	s_cbranch_execz .LBB477_50
; %bb.49:
	v_lshlrev_b64 v[0:1], 2, v[4:5]
	v_add_co_u32 v0, vcc_lo, s31, v0
	v_add_co_ci_u32_e64 v1, null, s33, v1, vcc_lo
	global_store_dword v[0:1], v3, off
.LBB477_50:
	s_endpgm
	.section	.rodata,"a",@progbits
	.p2align	6, 0x0
	.amdhsa_kernel _ZL20rocblas_gemvn_kernelILi32ELi16ElDF16_ffEviiT3_lPKT2_lT1_lS3_lS4_lS0_lPT4_lS4_li
		.amdhsa_group_segment_fixed_size 8192
		.amdhsa_private_segment_fixed_size 0
		.amdhsa_kernarg_size 400
		.amdhsa_user_sgpr_count 6
		.amdhsa_user_sgpr_private_segment_buffer 1
		.amdhsa_user_sgpr_dispatch_ptr 0
		.amdhsa_user_sgpr_queue_ptr 0
		.amdhsa_user_sgpr_kernarg_segment_ptr 1
		.amdhsa_user_sgpr_dispatch_id 0
		.amdhsa_user_sgpr_flat_scratch_init 0
		.amdhsa_user_sgpr_private_segment_size 0
		.amdhsa_wavefront_size32 1
		.amdhsa_uses_dynamic_stack 0
		.amdhsa_system_sgpr_private_segment_wavefront_offset 0
		.amdhsa_system_sgpr_workgroup_id_x 1
		.amdhsa_system_sgpr_workgroup_id_y 0
		.amdhsa_system_sgpr_workgroup_id_z 1
		.amdhsa_system_sgpr_workgroup_info 0
		.amdhsa_system_vgpr_workitem_id 1
		.amdhsa_next_free_vgpr 56
		.amdhsa_next_free_sgpr 43
		.amdhsa_reserve_vcc 1
		.amdhsa_reserve_flat_scratch 0
		.amdhsa_float_round_mode_32 0
		.amdhsa_float_round_mode_16_64 0
		.amdhsa_float_denorm_mode_32 3
		.amdhsa_float_denorm_mode_16_64 3
		.amdhsa_dx10_clamp 1
		.amdhsa_ieee_mode 1
		.amdhsa_fp16_overflow 0
		.amdhsa_workgroup_processor_mode 1
		.amdhsa_memory_ordered 1
		.amdhsa_forward_progress 1
		.amdhsa_shared_vgpr_count 0
		.amdhsa_exception_fp_ieee_invalid_op 0
		.amdhsa_exception_fp_denorm_src 0
		.amdhsa_exception_fp_ieee_div_zero 0
		.amdhsa_exception_fp_ieee_overflow 0
		.amdhsa_exception_fp_ieee_underflow 0
		.amdhsa_exception_fp_ieee_inexact 0
		.amdhsa_exception_int_div_zero 0
	.end_amdhsa_kernel
	.section	.text._ZL20rocblas_gemvn_kernelILi32ELi16ElDF16_ffEviiT3_lPKT2_lT1_lS3_lS4_lS0_lPT4_lS4_li,"axG",@progbits,_ZL20rocblas_gemvn_kernelILi32ELi16ElDF16_ffEviiT3_lPKT2_lT1_lS3_lS4_lS0_lPT4_lS4_li,comdat
.Lfunc_end477:
	.size	_ZL20rocblas_gemvn_kernelILi32ELi16ElDF16_ffEviiT3_lPKT2_lT1_lS3_lS4_lS0_lPT4_lS4_li, .Lfunc_end477-_ZL20rocblas_gemvn_kernelILi32ELi16ElDF16_ffEviiT3_lPKT2_lT1_lS3_lS4_lS0_lPT4_lS4_li
                                        ; -- End function
	.set _ZL20rocblas_gemvn_kernelILi32ELi16ElDF16_ffEviiT3_lPKT2_lT1_lS3_lS4_lS0_lPT4_lS4_li.num_vgpr, 56
	.set _ZL20rocblas_gemvn_kernelILi32ELi16ElDF16_ffEviiT3_lPKT2_lT1_lS3_lS4_lS0_lPT4_lS4_li.num_agpr, 0
	.set _ZL20rocblas_gemvn_kernelILi32ELi16ElDF16_ffEviiT3_lPKT2_lT1_lS3_lS4_lS0_lPT4_lS4_li.numbered_sgpr, 43
	.set _ZL20rocblas_gemvn_kernelILi32ELi16ElDF16_ffEviiT3_lPKT2_lT1_lS3_lS4_lS0_lPT4_lS4_li.num_named_barrier, 0
	.set _ZL20rocblas_gemvn_kernelILi32ELi16ElDF16_ffEviiT3_lPKT2_lT1_lS3_lS4_lS0_lPT4_lS4_li.private_seg_size, 0
	.set _ZL20rocblas_gemvn_kernelILi32ELi16ElDF16_ffEviiT3_lPKT2_lT1_lS3_lS4_lS0_lPT4_lS4_li.uses_vcc, 1
	.set _ZL20rocblas_gemvn_kernelILi32ELi16ElDF16_ffEviiT3_lPKT2_lT1_lS3_lS4_lS0_lPT4_lS4_li.uses_flat_scratch, 0
	.set _ZL20rocblas_gemvn_kernelILi32ELi16ElDF16_ffEviiT3_lPKT2_lT1_lS3_lS4_lS0_lPT4_lS4_li.has_dyn_sized_stack, 0
	.set _ZL20rocblas_gemvn_kernelILi32ELi16ElDF16_ffEviiT3_lPKT2_lT1_lS3_lS4_lS0_lPT4_lS4_li.has_recursion, 0
	.set _ZL20rocblas_gemvn_kernelILi32ELi16ElDF16_ffEviiT3_lPKT2_lT1_lS3_lS4_lS0_lPT4_lS4_li.has_indirect_call, 0
	.section	.AMDGPU.csdata,"",@progbits
; Kernel info:
; codeLenInByte = 3272
; TotalNumSgprs: 45
; NumVgprs: 56
; ScratchSize: 0
; MemoryBound: 0
; FloatMode: 240
; IeeeMode: 1
; LDSByteSize: 8192 bytes/workgroup (compile time only)
; SGPRBlocks: 0
; VGPRBlocks: 6
; NumSGPRsForWavesPerEU: 45
; NumVGPRsForWavesPerEU: 56
; Occupancy: 16
; WaveLimiterHint : 1
; COMPUTE_PGM_RSRC2:SCRATCH_EN: 0
; COMPUTE_PGM_RSRC2:USER_SGPR: 6
; COMPUTE_PGM_RSRC2:TRAP_HANDLER: 0
; COMPUTE_PGM_RSRC2:TGID_X_EN: 1
; COMPUTE_PGM_RSRC2:TGID_Y_EN: 0
; COMPUTE_PGM_RSRC2:TGID_Z_EN: 1
; COMPUTE_PGM_RSRC2:TIDIG_COMP_CNT: 1
	.section	.text._ZL20rocblas_gemvn_kernelILi64ELi16EiDF16_PKffEviiT3_lPKT2_lT1_lS5_lS6_lS2_lPT4_lS6_li,"axG",@progbits,_ZL20rocblas_gemvn_kernelILi64ELi16EiDF16_PKffEviiT3_lPKT2_lT1_lS5_lS6_lS2_lPT4_lS6_li,comdat
	.globl	_ZL20rocblas_gemvn_kernelILi64ELi16EiDF16_PKffEviiT3_lPKT2_lT1_lS5_lS6_lS2_lPT4_lS6_li ; -- Begin function _ZL20rocblas_gemvn_kernelILi64ELi16EiDF16_PKffEviiT3_lPKT2_lT1_lS5_lS6_lS2_lPT4_lS6_li
	.p2align	8
	.type	_ZL20rocblas_gemvn_kernelILi64ELi16EiDF16_PKffEviiT3_lPKT2_lT1_lS5_lS6_lS2_lPT4_lS6_li,@function
_ZL20rocblas_gemvn_kernelILi64ELi16EiDF16_PKffEviiT3_lPKT2_lT1_lS5_lS6_lS2_lPT4_lS6_li: ; @_ZL20rocblas_gemvn_kernelILi64ELi16EiDF16_PKffEviiT3_lPKT2_lT1_lS5_lS6_lS2_lPT4_lS6_li
; %bb.0:
	s_load_dwordx2 s[0:1], s[4:5], 0x9c
	s_waitcnt lgkmcnt(0)
	s_lshr_b32 s2, s0, 16
	s_and_b32 s0, s0, 0xffff
	s_and_b32 s1, s1, 0xffff
	s_mul_i32 s0, s2, s0
	s_mul_i32 s0, s0, s1
	s_cmpk_lg_i32 s0, 0x400
	s_cbranch_scc1 .LBB478_50
; %bb.1:
	s_clause 0x1
	s_load_dwordx8 s[16:23], s[4:5], 0x8
	s_load_dwordx8 s[8:15], s[4:5], 0x50
	s_waitcnt lgkmcnt(0)
	s_mul_i32 s1, s19, s7
	s_mul_hi_u32 s2, s18, s7
	s_mul_i32 s0, s18, s7
	s_add_i32 s1, s2, s1
	s_mul_i32 s2, s13, s7
	s_lshl_b64 s[0:1], s[0:1], 2
	s_mul_hi_u32 s3, s12, s7
	s_add_u32 s0, s16, s0
	s_addc_u32 s1, s17, s1
	s_add_i32 s3, s3, s2
	s_mul_i32 s2, s12, s7
	s_mov_b32 s18, 0
	s_lshl_b64 s[2:3], s[2:3], 2
	s_add_u32 s2, s10, s2
	s_addc_u32 s3, s11, s3
	s_load_dword s17, s[0:1], 0x0
	s_load_dword s16, s[2:3], 0x0
	s_waitcnt lgkmcnt(0)
	v_cmp_eq_f32_e64 s0, s17, 0
	v_cmp_eq_f32_e64 s1, s16, 1.0
	s_and_b32 s0, s0, s1
	s_and_b32 vcc_lo, exec_lo, s0
	s_cbranch_vccnz .LBB478_50
; %bb.2:
	s_clause 0x3
	s_load_dwordx2 s[0:1], s[4:5], 0x80
	s_load_dwordx2 s[2:3], s[4:5], 0x70
	s_load_dword s19, s[4:5], 0x78
	s_load_dwordx2 s[10:11], s[4:5], 0x0
	v_lshlrev_b32_e32 v14, 6, v1
	v_cmp_neq_f32_e64 s24, s17, 0
	v_add_nc_u32_e32 v13, v14, v0
	s_waitcnt lgkmcnt(0)
	s_mul_i32 s1, s1, s7
	s_mul_hi_u32 s12, s0, s7
	s_mul_i32 s0, s0, s7
	s_add_i32 s1, s12, s1
	s_lshl_b64 s[0:1], s[0:1], 2
	s_add_u32 s12, s14, s0
	s_addc_u32 s13, s15, s1
	s_lshl_b64 s[0:1], s[2:3], 2
	s_add_u32 s12, s12, s0
	v_cmp_gt_u32_e64 s0, 0x100, v13
	s_addc_u32 s13, s13, s1
	s_and_b32 vcc_lo, exec_lo, s24
	s_cbranch_vccnz .LBB478_9
; %bb.3:
	s_mov_b32 s1, 0
                                        ; implicit-def: $vgpr3
                                        ; implicit-def: $vgpr4_vgpr5
	s_and_saveexec_b32 s2, s0
	s_cbranch_execz .LBB478_10
; %bb.4:
	v_lshl_or_b32 v2, s6, 8, v13
	v_mov_b32_e32 v3, 0
	s_ashr_i32 s15, s10, 31
	s_mov_b32 s14, s10
	s_mov_b32 s3, 0
	s_mov_b32 s0, exec_lo
                                        ; implicit-def: $vgpr4_vgpr5
	v_cmpx_gt_i64_e64 s[14:15], v[2:3]
	s_cbranch_execz .LBB478_8
; %bb.5:
	v_mad_u64_u32 v[4:5], null, s19, v2, 0
	s_ashr_i32 s3, s19, 31
	v_mad_u64_u32 v[5:6], null, s3, v2, v[5:6]
	v_cmp_eq_f32_e64 s3, s16, 0
	s_and_b32 vcc_lo, exec_lo, s3
	s_cbranch_vccnz .LBB478_7
; %bb.6:
	v_lshlrev_b64 v[2:3], 2, v[4:5]
	v_add_co_u32 v2, vcc_lo, s12, v2
	v_add_co_ci_u32_e64 v3, null, s13, v3, vcc_lo
	global_load_dword v2, v[2:3], off
	s_waitcnt vmcnt(0)
	v_mul_f32_e32 v3, s16, v2
.LBB478_7:
	s_mov_b32 s3, exec_lo
.LBB478_8:
	s_or_b32 exec_lo, exec_lo, s0
	s_and_b32 s18, s3, exec_lo
	s_or_b32 exec_lo, exec_lo, s2
	s_and_b32 vcc_lo, exec_lo, s1
	s_cbranch_vccnz .LBB478_11
	s_branch .LBB478_48
.LBB478_9:
                                        ; implicit-def: $vgpr3
                                        ; implicit-def: $vgpr4_vgpr5
	s_cbranch_execnz .LBB478_11
	s_branch .LBB478_48
.LBB478_10:
	s_or_b32 exec_lo, exec_lo, s2
	s_and_b32 vcc_lo, exec_lo, s1
	s_cbranch_vccz .LBB478_48
.LBB478_11:
	s_clause 0x3
	s_load_dwordx4 s[0:3], s[4:5], 0x30
	s_load_dword s14, s[4:5], 0x28
	s_load_dwordx2 s[24:25], s[4:5], 0x40
	s_load_dword s4, s[4:5], 0x48
	s_mul_i32 s9, s9, s7
	v_lshlrev_b32_e32 v20, 2, v1
	v_mov_b32_e32 v19, 0
	v_mov_b32_e32 v18, 0
	;; [unrolled: 1-line block ×4, first 2 shown]
	s_waitcnt lgkmcnt(0)
	s_mul_i32 s1, s1, s7
	s_mul_hi_u32 s15, s0, s7
	s_mul_i32 s0, s0, s7
	s_add_i32 s1, s15, s1
	s_mul_hi_u32 s15, s8, s7
	s_lshl_b64 s[0:1], s[0:1], 1
	s_add_u32 s26, s20, s0
	s_addc_u32 s21, s21, s1
	s_lshl_b64 s[0:1], s[22:23], 1
	s_mul_i32 s20, s8, s7
	s_add_u32 s7, s26, s0
	s_addc_u32 s8, s21, s1
	s_add_i32 s21, s15, s9
	s_lshl_b64 s[0:1], s[20:21], 1
	s_mov_b32 s20, exec_lo
	s_add_u32 s2, s2, s0
	s_addc_u32 s3, s3, s1
	s_lshl_b64 s[0:1], s[24:25], 1
	s_add_u32 s9, s2, s0
	s_addc_u32 s15, s3, s1
	s_ashr_i32 s0, s11, 31
	s_lshl_b32 s5, s6, 8
	s_lshr_b32 s0, s0, 26
	v_add_nc_u32_e32 v17, s5, v0
	s_add_i32 s0, s11, s0
	s_and_b32 s6, s0, 0xffffffc0
	v_cmpx_gt_i32_e64 s6, v20
	s_cbranch_execz .LBB478_23
; %bb.12:
	v_add_nc_u32_e32 v5, 0xc0, v17
	v_mul_lo_u32 v3, s14, v20
	v_add_nc_u32_e32 v2, 64, v17
	v_add_nc_u32_e32 v6, 2, v20
	;; [unrolled: 1-line block ×3, first 2 shown]
	v_cmp_gt_i32_e64 s2, s10, v5
	v_mul_lo_u32 v5, v1, s14
	v_add_nc_u32_e32 v7, 3, v20
	v_mul_lo_u32 v8, v1, s4
	v_cmp_gt_i32_e64 s0, s10, v2
	v_add3_u32 v21, v3, s14, v0
	v_mad_u64_u32 v[2:3], null, s14, v6, v[0:1]
	v_cmp_gt_i32_e64 s1, s10, v4
	v_mad_u64_u32 v[3:4], null, s14, v7, v[0:1]
	v_lshl_add_u32 v22, v5, 2, v0
	v_mad_u64_u32 v[4:5], null, s4, v20, s[4:5]
	v_mul_lo_u32 v23, s4, v6
	v_mul_lo_u32 v24, s4, v7
	v_lshlrev_b32_e32 v25, 2, v8
	v_mov_b32_e32 v19, 0
	v_mov_b32_e32 v18, 0
	;; [unrolled: 1-line block ×4, first 2 shown]
	s_lshl_b32 s21, s14, 6
	s_lshl_b32 s23, s4, 6
	s_mov_b32 s22, 0
	s_mov_b32 s24, 0
	v_cmp_gt_i32_e32 vcc_lo, s10, v17
	s_branch .LBB478_17
.LBB478_13:                             ;   in Loop: Header=BB478_17 Depth=1
	s_or_b32 exec_lo, exec_lo, s27
	s_waitcnt vmcnt(3)
	v_fma_mix_f32 v5, v38, v42, v16 op_sel_hi:[0,1,0]
	s_waitcnt vmcnt(2)
	v_fma_mix_f32 v5, v39, v43, v5 op_sel_hi:[0,1,0]
	;; [unrolled: 2-line block ×4, first 2 shown]
.LBB478_14:                             ;   in Loop: Header=BB478_17 Depth=1
	s_or_b32 exec_lo, exec_lo, s26
	s_waitcnt vmcnt(3)
	v_fma_mix_f32 v5, v38, v34, v18 op_sel_hi:[0,1,0]
	s_waitcnt vmcnt(2)
	v_fma_mix_f32 v5, v39, v35, v5 op_sel_hi:[0,1,0]
	;; [unrolled: 2-line block ×4, first 2 shown]
.LBB478_15:                             ;   in Loop: Header=BB478_17 Depth=1
	s_or_b32 exec_lo, exec_lo, s3
	s_waitcnt vmcnt(3)
	v_fma_mix_f32 v5, v26, v30, v19 op_sel_hi:[1,1,0]
	s_waitcnt vmcnt(2)
	v_fma_mix_f32 v5, v27, v31, v5 op_sel_hi:[1,1,0]
	;; [unrolled: 2-line block ×4, first 2 shown]
.LBB478_16:                             ;   in Loop: Header=BB478_17 Depth=1
	s_or_b32 exec_lo, exec_lo, s25
	v_add_nc_u32_e32 v20, 64, v20
	v_add_nc_u32_e32 v21, s21, v21
	;; [unrolled: 1-line block ×5, first 2 shown]
	v_cmp_le_i32_e64 s3, s6, v20
	s_add_i32 s24, s24, s23
	s_or_b32 s22, s3, s22
	s_andn2_b32 exec_lo, exec_lo, s22
	s_cbranch_execz .LBB478_22
.LBB478_17:                             ; =>This Inner Loop Header: Depth=1
	s_and_saveexec_b32 s25, vcc_lo
	s_cbranch_execz .LBB478_16
; %bb.18:                               ;   in Loop: Header=BB478_17 Depth=1
	v_add_nc_u32_e32 v5, s24, v25
	v_add_nc_u32_e32 v7, s24, v4
	;; [unrolled: 1-line block ×5, first 2 shown]
	v_ashrrev_i32_e32 v6, 31, v5
	v_ashrrev_i32_e32 v8, 31, v7
	v_ashrrev_i32_e32 v10, 31, v9
	v_ashrrev_i32_e32 v12, 31, v11
	v_ashrrev_i32_e32 v27, 31, v26
	v_lshlrev_b64 v[5:6], 1, v[5:6]
	v_lshlrev_b64 v[7:8], 1, v[7:8]
	;; [unrolled: 1-line block ×3, first 2 shown]
	v_add_co_u32 v28, s3, s9, v5
	v_add_co_ci_u32_e64 v29, null, s15, v6, s3
	v_add_co_u32 v30, s3, s9, v7
	v_add_nc_u32_e32 v7, s5, v21
	v_add_co_ci_u32_e64 v31, null, s15, v8, s3
	v_lshlrev_b64 v[5:6], 1, v[11:12]
	v_add_co_u32 v32, s3, s9, v9
	v_add_nc_u32_e32 v11, s5, v2
	v_add_co_ci_u32_e64 v33, null, s15, v10, s3
	v_lshlrev_b64 v[9:10], 1, v[26:27]
	v_add_nc_u32_e32 v26, s5, v3
	v_ashrrev_i32_e32 v8, 31, v7
	v_ashrrev_i32_e32 v12, 31, v11
	v_add_co_u32 v34, s3, s9, v5
	v_ashrrev_i32_e32 v27, 31, v26
	v_add_co_ci_u32_e64 v35, null, s15, v6, s3
	v_lshlrev_b64 v[7:8], 1, v[7:8]
	v_add_co_u32 v5, s3, s7, v9
	v_add_co_ci_u32_e64 v6, null, s8, v10, s3
	v_lshlrev_b64 v[9:10], 1, v[11:12]
	v_lshlrev_b64 v[11:12], 1, v[26:27]
	v_add_co_u32 v7, s3, s7, v7
	v_add_co_ci_u32_e64 v8, null, s8, v8, s3
	v_add_co_u32 v9, s3, s7, v9
	v_add_co_ci_u32_e64 v10, null, s8, v10, s3
	;; [unrolled: 2-line block ×3, first 2 shown]
	s_clause 0x3
	global_load_ushort v26, v[28:29], off
	global_load_ushort v27, v[30:31], off
	;; [unrolled: 1-line block ×4, first 2 shown]
	s_clause 0x3
	global_load_ushort v30, v[5:6], off
	global_load_ushort v31, v[7:8], off
	global_load_ushort v32, v[9:10], off
	global_load_ushort v33, v[11:12], off
	s_and_saveexec_b32 s3, s0
	s_cbranch_execz .LBB478_15
; %bb.19:                               ;   in Loop: Header=BB478_17 Depth=1
	s_clause 0x3
	global_load_ushort v34, v[5:6], off offset:128
	global_load_ushort v35, v[7:8], off offset:128
	;; [unrolled: 1-line block ×4, first 2 shown]
	s_waitcnt vmcnt(11)
	v_cvt_f32_f16_e32 v38, v26
	s_waitcnt vmcnt(10)
	v_cvt_f32_f16_e32 v39, v27
	;; [unrolled: 2-line block ×4, first 2 shown]
	s_and_saveexec_b32 s26, s1
	s_cbranch_execz .LBB478_14
; %bb.20:                               ;   in Loop: Header=BB478_17 Depth=1
	s_clause 0x3
	global_load_ushort v42, v[5:6], off offset:256
	global_load_ushort v43, v[7:8], off offset:256
	;; [unrolled: 1-line block ×4, first 2 shown]
	s_and_saveexec_b32 s27, s2
	s_cbranch_execz .LBB478_13
; %bb.21:                               ;   in Loop: Header=BB478_17 Depth=1
	s_clause 0x3
	global_load_ushort v5, v[5:6], off offset:384
	global_load_ushort v6, v[7:8], off offset:384
	;; [unrolled: 1-line block ×4, first 2 shown]
	s_waitcnt vmcnt(3)
	v_fma_mix_f32 v5, v38, v5, v15 op_sel_hi:[0,1,0]
	s_waitcnt vmcnt(2)
	v_fma_mix_f32 v5, v39, v6, v5 op_sel_hi:[0,1,0]
	;; [unrolled: 2-line block ×4, first 2 shown]
	s_branch .LBB478_13
.LBB478_22:
	s_or_b32 exec_lo, exec_lo, s22
.LBB478_23:
	s_or_b32 exec_lo, exec_lo, s20
	s_sub_i32 s0, s11, s6
	s_cmp_lt_i32 s0, 1
	s_cbranch_scc1 .LBB478_41
; %bb.24:
	v_cmp_gt_i32_e32 vcc_lo, s11, v20
	v_mov_b32_e32 v10, 0
	v_or_b32_e32 v2, 1, v20
	v_mov_b32_e32 v11, 0
	v_mov_b32_e32 v12, 0
	;; [unrolled: 1-line block ×3, first 2 shown]
	s_and_saveexec_b32 s1, vcc_lo
	s_cbranch_execz .LBB478_32
; %bb.25:
	v_mul_lo_u32 v3, v20, s4
	v_mov_b32_e32 v12, 0
	v_mov_b32_e32 v11, 0
	;; [unrolled: 1-line block ×3, first 2 shown]
	s_mov_b32 s2, exec_lo
	v_ashrrev_i32_e32 v4, 31, v3
	v_lshlrev_b64 v[3:4], 1, v[3:4]
	v_add_co_u32 v3, s0, s9, v3
	v_add_co_ci_u32_e64 v4, null, s15, v4, s0
	global_load_ushort v3, v[3:4], off
	v_cmpx_gt_i32_e64 s11, v2
	s_cbranch_execz .LBB478_31
; %bb.26:
	v_mul_lo_u32 v4, v2, s4
	v_mov_b32_e32 v11, 0
	v_mov_b32_e32 v10, 0
	s_mov_b32 s3, exec_lo
	v_ashrrev_i32_e32 v5, 31, v4
	v_lshlrev_b64 v[4:5], 1, v[4:5]
	v_add_co_u32 v4, s0, s9, v4
	v_add_co_ci_u32_e64 v5, null, s15, v5, s0
	global_load_ushort v4, v[4:5], off
	v_or_b32_e32 v5, 2, v20
	v_cmpx_gt_i32_e64 s11, v5
	s_cbranch_execz .LBB478_30
; %bb.27:
	v_mul_lo_u32 v5, v5, s4
	v_mov_b32_e32 v10, 0
	s_mov_b32 s6, exec_lo
	v_ashrrev_i32_e32 v6, 31, v5
	v_lshlrev_b64 v[5:6], 1, v[5:6]
	v_add_co_u32 v5, s0, s9, v5
	v_add_co_ci_u32_e64 v6, null, s15, v6, s0
	global_load_ushort v5, v[5:6], off
	v_or_b32_e32 v6, 3, v20
	v_cmpx_gt_i32_e64 s11, v6
	s_cbranch_execz .LBB478_29
; %bb.28:
	v_mul_lo_u32 v6, v6, s4
	v_ashrrev_i32_e32 v7, 31, v6
	v_lshlrev_b64 v[6:7], 1, v[6:7]
	v_add_co_u32 v6, s0, s9, v6
	v_add_co_ci_u32_e64 v7, null, s15, v7, s0
	global_load_ushort v6, v[6:7], off
	s_waitcnt vmcnt(0)
	v_cvt_f32_f16_e32 v10, v6
.LBB478_29:
	s_or_b32 exec_lo, exec_lo, s6
	s_waitcnt vmcnt(0)
	v_cvt_f32_f16_e32 v11, v5
.LBB478_30:
	s_or_b32 exec_lo, exec_lo, s3
	s_waitcnt vmcnt(0)
	v_cvt_f32_f16_e32 v12, v4
.LBB478_31:
	s_or_b32 exec_lo, exec_lo, s2
	s_waitcnt vmcnt(0)
	v_cvt_f32_f16_e32 v21, v3
.LBB478_32:
	s_or_b32 exec_lo, exec_lo, s1
	s_mov_b32 s1, exec_lo
	v_cmpx_gt_i32_e64 s10, v17
	s_cbranch_execz .LBB478_40
; %bb.33:
	v_mul_lo_u32 v3, v20, s14
	v_or_b32_e32 v4, 2, v20
	v_mul_lo_u32 v5, v2, s14
	v_or_b32_e32 v6, 3, v20
	s_mov_b32 s0, exec_lo
	v_mul_lo_u32 v7, v4, s14
	v_mul_lo_u32 v8, v6, s14
	v_cndmask_b32_e32 v3, 0, v3, vcc_lo
	v_cmp_gt_i32_e32 vcc_lo, s11, v2
	v_add_nc_u32_e32 v2, v3, v17
	v_cndmask_b32_e32 v5, 0, v5, vcc_lo
	v_cmp_gt_i32_e32 vcc_lo, s11, v4
	v_ashrrev_i32_e32 v3, 31, v2
	v_add_nc_u32_e32 v4, v5, v17
	v_cndmask_b32_e32 v7, 0, v7, vcc_lo
	v_cmp_gt_i32_e32 vcc_lo, s11, v6
	v_lshlrev_b64 v[2:3], 1, v[2:3]
	v_ashrrev_i32_e32 v5, 31, v4
	v_add_nc_u32_e32 v6, v7, v17
	v_cndmask_b32_e32 v8, 0, v8, vcc_lo
	v_lshlrev_b64 v[4:5], 1, v[4:5]
	v_ashrrev_i32_e32 v7, 31, v6
	v_add_nc_u32_e32 v8, v8, v17
	v_add_co_u32 v2, vcc_lo, s7, v2
	v_add_co_ci_u32_e64 v3, null, s8, v3, vcc_lo
	v_lshlrev_b64 v[6:7], 1, v[6:7]
	v_ashrrev_i32_e32 v9, 31, v8
	v_add_co_u32 v4, vcc_lo, s7, v4
	v_add_co_ci_u32_e64 v5, null, s8, v5, vcc_lo
	global_load_ushort v22, v[2:3], off
	v_add_co_u32 v6, vcc_lo, s7, v6
	v_add_co_ci_u32_e64 v7, null, s8, v7, vcc_lo
	v_lshlrev_b64 v[8:9], 1, v[8:9]
	s_clause 0x1
	global_load_ushort v23, v[4:5], off
	global_load_ushort v24, v[6:7], off
	v_add_co_u32 v8, vcc_lo, s7, v8
	v_add_co_ci_u32_e64 v9, null, s8, v9, vcc_lo
	global_load_ushort v20, v[8:9], off
	s_waitcnt vmcnt(3)
	v_fma_mix_f32 v19, v21, v22, v19 op_sel_hi:[0,1,0]
	v_add_nc_u32_e32 v22, 64, v17
	s_waitcnt vmcnt(2)
	v_fma_mix_f32 v19, v12, v23, v19 op_sel_hi:[0,1,0]
	s_waitcnt vmcnt(1)
	v_fma_mix_f32 v19, v11, v24, v19 op_sel_hi:[0,1,0]
	v_cmpx_gt_i32_e64 s10, v22
	s_cbranch_execz .LBB478_39
; %bb.34:
	s_clause 0x3
	global_load_ushort v23, v[2:3], off offset:128
	global_load_ushort v24, v[4:5], off offset:128
	;; [unrolled: 1-line block ×4, first 2 shown]
	s_mov_b32 s2, exec_lo
	s_waitcnt vmcnt(3)
	v_fma_mix_f32 v18, v21, v23, v18 op_sel_hi:[0,1,0]
	v_add_nc_u32_e32 v23, 0x80, v17
	s_waitcnt vmcnt(2)
	v_fma_mix_f32 v18, v12, v24, v18 op_sel_hi:[0,1,0]
	s_waitcnt vmcnt(1)
	v_fma_mix_f32 v18, v11, v25, v18 op_sel_hi:[0,1,0]
	v_cmpx_gt_i32_e64 s10, v23
	s_cbranch_execz .LBB478_38
; %bb.35:
	s_clause 0x3
	global_load_ushort v24, v[2:3], off offset:256
	global_load_ushort v25, v[4:5], off offset:256
	;; [unrolled: 1-line block ×4, first 2 shown]
	v_add_nc_u32_e32 v17, 0xc0, v17
	s_mov_b32 s3, exec_lo
	s_waitcnt vmcnt(3)
	v_fma_mix_f32 v16, v21, v24, v16 op_sel_hi:[0,1,0]
	s_waitcnt vmcnt(2)
	v_fma_mix_f32 v16, v12, v25, v16 op_sel_hi:[0,1,0]
	;; [unrolled: 2-line block ×3, first 2 shown]
	v_cmpx_gt_i32_e64 s10, v17
	s_cbranch_execz .LBB478_37
; %bb.36:
	s_clause 0x3
	global_load_ushort v2, v[2:3], off offset:384
	global_load_ushort v3, v[4:5], off offset:384
	;; [unrolled: 1-line block ×4, first 2 shown]
	s_waitcnt vmcnt(3)
	v_fma_mix_f32 v2, v21, v2, v15 op_sel_hi:[0,1,0]
	s_waitcnt vmcnt(2)
	v_fma_mix_f32 v2, v12, v3, v2 op_sel_hi:[0,1,0]
	;; [unrolled: 2-line block ×4, first 2 shown]
.LBB478_37:
	s_or_b32 exec_lo, exec_lo, s3
	s_waitcnt vmcnt(0)
	v_fma_mix_f32 v16, v10, v23, v16 op_sel_hi:[0,1,0]
.LBB478_38:
	s_or_b32 exec_lo, exec_lo, s2
	s_waitcnt vmcnt(0)
	v_fma_mix_f32 v18, v10, v22, v18 op_sel_hi:[0,1,0]
.LBB478_39:
	s_or_b32 exec_lo, exec_lo, s0
	s_waitcnt vmcnt(0)
	v_fma_mix_f32 v19, v10, v20, v19 op_sel_hi:[0,1,0]
.LBB478_40:
	s_or_b32 exec_lo, exec_lo, s1
.LBB478_41:
	v_lshlrev_b32_e32 v0, 2, v0
	s_mov_b32 s0, exec_lo
                                        ; implicit-def: $vgpr3
                                        ; implicit-def: $vgpr4_vgpr5
	v_lshl_add_u32 v1, v1, 10, v0
	ds_write2st64_b32 v1, v19, v18 offset1:1
	ds_write2st64_b32 v1, v16, v15 offset0:2 offset1:3
	s_waitcnt lgkmcnt(0)
	s_barrier
	buffer_gl0_inv
	v_cmpx_gt_u32_e32 0x100, v13
	s_cbranch_execz .LBB478_47
; %bb.42:
	v_lshl_add_u32 v6, v14, 2, v0
	s_mov_b32 s2, s18
	s_mov_b32 s1, exec_lo
	ds_read2st64_b32 v[0:1], v6 offset1:4
	ds_read2st64_b32 v[2:3], v6 offset0:8 offset1:12
	ds_read2st64_b32 v[4:5], v6 offset0:16 offset1:20
	s_waitcnt lgkmcnt(2)
	v_add_f32_e32 v7, v0, v1
	ds_read2st64_b32 v[0:1], v6 offset0:24 offset1:28
	s_waitcnt lgkmcnt(2)
	v_add_f32_e32 v2, v2, v7
	v_add_f32_e32 v7, v3, v2
	ds_read2st64_b32 v[2:3], v6 offset0:32 offset1:36
	s_waitcnt lgkmcnt(2)
	v_add_f32_e32 v4, v4, v7
	;; [unrolled: 4-line block ×3, first 2 shown]
	v_add_f32_e32 v0, v1, v0
	s_waitcnt lgkmcnt(1)
	v_add_f32_e32 v2, v2, v0
	ds_read2st64_b32 v[0:1], v6 offset0:48 offset1:52
	v_add_f32_e32 v2, v3, v2
	s_waitcnt lgkmcnt(1)
	v_add_f32_e32 v4, v4, v2
	ds_read2st64_b32 v[2:3], v6 offset0:56 offset1:60
	v_add_f32_e32 v4, v5, v4
	s_waitcnt lgkmcnt(1)
	v_add_f32_e32 v0, v0, v4
                                        ; implicit-def: $vgpr4_vgpr5
	v_add_f32_e32 v0, v1, v0
	v_or_b32_e32 v1, s5, v13
	s_waitcnt lgkmcnt(0)
	v_add_f32_e32 v0, v2, v0
	v_add_f32_e32 v0, v3, v0
                                        ; implicit-def: $vgpr3
	ds_write_b32 v6, v0
	v_cmpx_gt_i32_e64 s10, v1
	s_cbranch_execz .LBB478_46
; %bb.43:
	v_mul_lo_u32 v4, s19, v1
	v_cmp_eq_f32_e64 s2, s16, 0
	v_mul_f32_e32 v3, s17, v0
	s_and_b32 vcc_lo, exec_lo, s2
	v_ashrrev_i32_e32 v5, 31, v4
	s_cbranch_vccnz .LBB478_45
; %bb.44:
	v_lshlrev_b64 v[0:1], 2, v[4:5]
	v_add_co_u32 v0, vcc_lo, s12, v0
	v_add_co_ci_u32_e64 v1, null, s13, v1, vcc_lo
	global_load_dword v0, v[0:1], off
	s_waitcnt vmcnt(0)
	v_fmac_f32_e32 v3, s16, v0
.LBB478_45:
	s_or_b32 s2, s18, exec_lo
.LBB478_46:
	s_or_b32 exec_lo, exec_lo, s1
	s_andn2_b32 s1, s18, exec_lo
	s_and_b32 s2, s2, exec_lo
	s_or_b32 s18, s1, s2
.LBB478_47:
	s_or_b32 exec_lo, exec_lo, s0
.LBB478_48:
	s_and_saveexec_b32 s0, s18
	s_cbranch_execz .LBB478_50
; %bb.49:
	v_lshlrev_b64 v[0:1], 2, v[4:5]
	v_add_co_u32 v0, vcc_lo, s12, v0
	v_add_co_ci_u32_e64 v1, null, s13, v1, vcc_lo
	global_store_dword v[0:1], v3, off
.LBB478_50:
	s_endpgm
	.section	.rodata,"a",@progbits
	.p2align	6, 0x0
	.amdhsa_kernel _ZL20rocblas_gemvn_kernelILi64ELi16EiDF16_PKffEviiT3_lPKT2_lT1_lS5_lS6_lS2_lPT4_lS6_li
		.amdhsa_group_segment_fixed_size 16384
		.amdhsa_private_segment_fixed_size 0
		.amdhsa_kernarg_size 400
		.amdhsa_user_sgpr_count 6
		.amdhsa_user_sgpr_private_segment_buffer 1
		.amdhsa_user_sgpr_dispatch_ptr 0
		.amdhsa_user_sgpr_queue_ptr 0
		.amdhsa_user_sgpr_kernarg_segment_ptr 1
		.amdhsa_user_sgpr_dispatch_id 0
		.amdhsa_user_sgpr_flat_scratch_init 0
		.amdhsa_user_sgpr_private_segment_size 0
		.amdhsa_wavefront_size32 1
		.amdhsa_uses_dynamic_stack 0
		.amdhsa_system_sgpr_private_segment_wavefront_offset 0
		.amdhsa_system_sgpr_workgroup_id_x 1
		.amdhsa_system_sgpr_workgroup_id_y 0
		.amdhsa_system_sgpr_workgroup_id_z 1
		.amdhsa_system_sgpr_workgroup_info 0
		.amdhsa_system_vgpr_workitem_id 1
		.amdhsa_next_free_vgpr 46
		.amdhsa_next_free_sgpr 28
		.amdhsa_reserve_vcc 1
		.amdhsa_reserve_flat_scratch 0
		.amdhsa_float_round_mode_32 0
		.amdhsa_float_round_mode_16_64 0
		.amdhsa_float_denorm_mode_32 3
		.amdhsa_float_denorm_mode_16_64 3
		.amdhsa_dx10_clamp 1
		.amdhsa_ieee_mode 1
		.amdhsa_fp16_overflow 0
		.amdhsa_workgroup_processor_mode 1
		.amdhsa_memory_ordered 1
		.amdhsa_forward_progress 1
		.amdhsa_shared_vgpr_count 0
		.amdhsa_exception_fp_ieee_invalid_op 0
		.amdhsa_exception_fp_denorm_src 0
		.amdhsa_exception_fp_ieee_div_zero 0
		.amdhsa_exception_fp_ieee_overflow 0
		.amdhsa_exception_fp_ieee_underflow 0
		.amdhsa_exception_fp_ieee_inexact 0
		.amdhsa_exception_int_div_zero 0
	.end_amdhsa_kernel
	.section	.text._ZL20rocblas_gemvn_kernelILi64ELi16EiDF16_PKffEviiT3_lPKT2_lT1_lS5_lS6_lS2_lPT4_lS6_li,"axG",@progbits,_ZL20rocblas_gemvn_kernelILi64ELi16EiDF16_PKffEviiT3_lPKT2_lT1_lS5_lS6_lS2_lPT4_lS6_li,comdat
.Lfunc_end478:
	.size	_ZL20rocblas_gemvn_kernelILi64ELi16EiDF16_PKffEviiT3_lPKT2_lT1_lS5_lS6_lS2_lPT4_lS6_li, .Lfunc_end478-_ZL20rocblas_gemvn_kernelILi64ELi16EiDF16_PKffEviiT3_lPKT2_lT1_lS5_lS6_lS2_lPT4_lS6_li
                                        ; -- End function
	.set _ZL20rocblas_gemvn_kernelILi64ELi16EiDF16_PKffEviiT3_lPKT2_lT1_lS5_lS6_lS2_lPT4_lS6_li.num_vgpr, 46
	.set _ZL20rocblas_gemvn_kernelILi64ELi16EiDF16_PKffEviiT3_lPKT2_lT1_lS5_lS6_lS2_lPT4_lS6_li.num_agpr, 0
	.set _ZL20rocblas_gemvn_kernelILi64ELi16EiDF16_PKffEviiT3_lPKT2_lT1_lS5_lS6_lS2_lPT4_lS6_li.numbered_sgpr, 28
	.set _ZL20rocblas_gemvn_kernelILi64ELi16EiDF16_PKffEviiT3_lPKT2_lT1_lS5_lS6_lS2_lPT4_lS6_li.num_named_barrier, 0
	.set _ZL20rocblas_gemvn_kernelILi64ELi16EiDF16_PKffEviiT3_lPKT2_lT1_lS5_lS6_lS2_lPT4_lS6_li.private_seg_size, 0
	.set _ZL20rocblas_gemvn_kernelILi64ELi16EiDF16_PKffEviiT3_lPKT2_lT1_lS5_lS6_lS2_lPT4_lS6_li.uses_vcc, 1
	.set _ZL20rocblas_gemvn_kernelILi64ELi16EiDF16_PKffEviiT3_lPKT2_lT1_lS5_lS6_lS2_lPT4_lS6_li.uses_flat_scratch, 0
	.set _ZL20rocblas_gemvn_kernelILi64ELi16EiDF16_PKffEviiT3_lPKT2_lT1_lS5_lS6_lS2_lPT4_lS6_li.has_dyn_sized_stack, 0
	.set _ZL20rocblas_gemvn_kernelILi64ELi16EiDF16_PKffEviiT3_lPKT2_lT1_lS5_lS6_lS2_lPT4_lS6_li.has_recursion, 0
	.set _ZL20rocblas_gemvn_kernelILi64ELi16EiDF16_PKffEviiT3_lPKT2_lT1_lS5_lS6_lS2_lPT4_lS6_li.has_indirect_call, 0
	.section	.AMDGPU.csdata,"",@progbits
; Kernel info:
; codeLenInByte = 2972
; TotalNumSgprs: 30
; NumVgprs: 46
; ScratchSize: 0
; MemoryBound: 0
; FloatMode: 240
; IeeeMode: 1
; LDSByteSize: 16384 bytes/workgroup (compile time only)
; SGPRBlocks: 0
; VGPRBlocks: 5
; NumSGPRsForWavesPerEU: 30
; NumVGPRsForWavesPerEU: 46
; Occupancy: 16
; WaveLimiterHint : 1
; COMPUTE_PGM_RSRC2:SCRATCH_EN: 0
; COMPUTE_PGM_RSRC2:USER_SGPR: 6
; COMPUTE_PGM_RSRC2:TRAP_HANDLER: 0
; COMPUTE_PGM_RSRC2:TGID_X_EN: 1
; COMPUTE_PGM_RSRC2:TGID_Y_EN: 0
; COMPUTE_PGM_RSRC2:TGID_Z_EN: 1
; COMPUTE_PGM_RSRC2:TIDIG_COMP_CNT: 1
	.section	.text._ZL20rocblas_gemvn_kernelILi64ELi16ElDF16_PKffEviiT3_lPKT2_lT1_lS5_lS6_lS2_lPT4_lS6_li,"axG",@progbits,_ZL20rocblas_gemvn_kernelILi64ELi16ElDF16_PKffEviiT3_lPKT2_lT1_lS5_lS6_lS2_lPT4_lS6_li,comdat
	.globl	_ZL20rocblas_gemvn_kernelILi64ELi16ElDF16_PKffEviiT3_lPKT2_lT1_lS5_lS6_lS2_lPT4_lS6_li ; -- Begin function _ZL20rocblas_gemvn_kernelILi64ELi16ElDF16_PKffEviiT3_lPKT2_lT1_lS5_lS6_lS2_lPT4_lS6_li
	.p2align	8
	.type	_ZL20rocblas_gemvn_kernelILi64ELi16ElDF16_PKffEviiT3_lPKT2_lT1_lS5_lS6_lS2_lPT4_lS6_li,@function
_ZL20rocblas_gemvn_kernelILi64ELi16ElDF16_PKffEviiT3_lPKT2_lT1_lS5_lS6_lS2_lPT4_lS6_li: ; @_ZL20rocblas_gemvn_kernelILi64ELi16ElDF16_PKffEviiT3_lPKT2_lT1_lS5_lS6_lS2_lPT4_lS6_li
; %bb.0:
	s_load_dwordx2 s[0:1], s[4:5], 0x9c
	s_waitcnt lgkmcnt(0)
	s_lshr_b32 s2, s0, 16
	s_and_b32 s0, s0, 0xffff
	s_and_b32 s1, s1, 0xffff
	s_mul_i32 s0, s2, s0
	s_mul_i32 s0, s0, s1
	s_cmpk_lg_i32 s0, 0x400
	s_cbranch_scc1 .LBB479_50
; %bb.1:
	s_clause 0x1
	s_load_dwordx16 s[36:51], s[4:5], 0x8
	s_load_dwordx16 s[8:23], s[4:5], 0x48
	s_mov_b32 s26, 0
	s_waitcnt lgkmcnt(0)
	s_mul_i32 s1, s39, s7
	s_mul_hi_u32 s2, s38, s7
	s_mul_i32 s0, s38, s7
	s_add_i32 s1, s2, s1
	s_mul_i32 s2, s15, s7
	s_lshl_b64 s[0:1], s[0:1], 2
	s_mul_hi_u32 s3, s14, s7
	s_add_u32 s0, s36, s0
	s_addc_u32 s1, s37, s1
	s_add_i32 s3, s3, s2
	s_mul_i32 s2, s14, s7
	s_lshl_b64 s[2:3], s[2:3], 2
	s_add_u32 s2, s12, s2
	s_addc_u32 s3, s13, s3
	s_load_dword s25, s[0:1], 0x0
	s_load_dword s24, s[2:3], 0x0
	s_waitcnt lgkmcnt(0)
	v_cmp_eq_f32_e64 s0, s25, 0
	v_cmp_eq_f32_e64 s1, s24, 1.0
	s_and_b32 s0, s0, s1
	s_and_b32 vcc_lo, exec_lo, s0
	s_cbranch_vccnz .LBB479_50
; %bb.2:
	s_load_dwordx2 s[12:13], s[4:5], 0x0
	v_lshlrev_b32_e32 v14, 6, v1
	s_mul_i32 s0, s23, s7
	s_mul_hi_u32 s1, s22, s7
	v_cmp_neq_f32_e64 s4, s25, 0
	s_add_i32 s1, s1, s0
	s_mul_i32 s0, s22, s7
	v_add_nc_u32_e32 v13, v14, v0
	s_lshl_b64 s[0:1], s[0:1], 2
	s_add_u32 s2, s16, s0
	s_addc_u32 s3, s17, s1
	s_lshl_b64 s[0:1], s[18:19], 2
	s_add_u32 s5, s2, s0
	v_cmp_gt_u32_e64 s0, 0x100, v13
	s_addc_u32 s22, s3, s1
	s_and_b32 vcc_lo, exec_lo, s4
	s_cbranch_vccnz .LBB479_9
; %bb.3:
	s_mov_b32 s1, 0
                                        ; implicit-def: $vgpr3
                                        ; implicit-def: $vgpr4_vgpr5
	s_and_saveexec_b32 s2, s0
	s_cbranch_execz .LBB479_10
; %bb.4:
	v_lshl_or_b32 v2, s6, 8, v13
	v_mov_b32_e32 v3, 0
	s_waitcnt lgkmcnt(0)
	s_ashr_i32 s15, s12, 31
	s_mov_b32 s14, s12
	s_mov_b32 s3, 0
	s_mov_b32 s0, exec_lo
                                        ; implicit-def: $vgpr4_vgpr5
	v_cmpx_gt_i64_e64 s[14:15], v[2:3]
	s_cbranch_execz .LBB479_8
; %bb.5:
	v_mad_u64_u32 v[4:5], null, s20, v2, 0
	v_cmp_eq_f32_e64 s3, s24, 0
	s_and_b32 vcc_lo, exec_lo, s3
	v_mad_u64_u32 v[5:6], null, s21, v2, v[5:6]
	s_cbranch_vccnz .LBB479_7
; %bb.6:
	v_lshlrev_b64 v[2:3], 2, v[4:5]
	v_add_co_u32 v2, vcc_lo, s5, v2
	v_add_co_ci_u32_e64 v3, null, s22, v3, vcc_lo
	global_load_dword v2, v[2:3], off
	s_waitcnt vmcnt(0)
	v_mul_f32_e32 v3, s24, v2
.LBB479_7:
	s_mov_b32 s3, exec_lo
.LBB479_8:
	s_or_b32 exec_lo, exec_lo, s0
	s_and_b32 s26, s3, exec_lo
	s_or_b32 exec_lo, exec_lo, s2
	s_and_b32 vcc_lo, exec_lo, s1
	s_cbranch_vccnz .LBB479_11
	s_branch .LBB479_48
.LBB479_9:
                                        ; implicit-def: $vgpr3
                                        ; implicit-def: $vgpr4_vgpr5
	s_cbranch_execnz .LBB479_11
	s_branch .LBB479_48
.LBB479_10:
	s_or_b32 exec_lo, exec_lo, s2
	s_and_b32 vcc_lo, exec_lo, s1
	s_cbranch_vccz .LBB479_48
.LBB479_11:
	s_mul_i32 s0, s47, s7
	s_mul_hi_u32 s1, s46, s7
	s_lshl_b32 s23, s6, 8
	s_add_i32 s15, s1, s0
	s_waitcnt lgkmcnt(0)
	s_ashr_i32 s1, s13, 31
	v_lshlrev_b32_e32 v15, 2, v1
	s_lshr_b32 s1, s1, 26
	v_add_nc_u32_e32 v2, s23, v0
	v_mov_b32_e32 v19, 0
	v_mov_b32_e32 v18, 0
	;; [unrolled: 1-line block ×4, first 2 shown]
	s_mul_i32 s0, s11, s7
	s_mul_hi_u32 s2, s10, s7
	s_add_i32 s27, s13, s1
	s_mul_i32 s14, s46, s7
	s_andn2_b32 s27, s27, 63
	s_add_i32 s11, s2, s0
	s_mul_i32 s10, s10, s7
	s_mov_b32 s28, exec_lo
	v_cmpx_gt_i32_e64 s27, v15
	s_cbranch_execz .LBB479_23
; %bb.12:
	v_lshlrev_b32_e32 v30, 2, v1
	v_mad_u64_u32 v[4:5], null, s8, v1, 0
	v_add_nc_u32_e32 v11, 64, v2
	v_add_nc_u32_e32 v12, 0x80, v2
	v_or_b32_e32 v16, 3, v30
	s_lshl_b64 s[0:1], s[10:11], 1
	s_lshl_b64 s[6:7], s[50:51], 1
	s_add_u32 s4, s48, s0
	s_addc_u32 s29, s49, s1
	v_mad_u64_u32 v[6:7], null, s44, v16, 0
	v_cmp_gt_i32_e64 s0, s12, v11
	v_cmp_gt_i32_e64 s1, s12, v12
	v_add_nc_u32_e32 v17, 0xc0, v2
	v_or_b32_e32 v24, 2, v30
	s_lshl_b64 s[18:19], s[42:43], 1
	s_lshl_b64 s[16:17], s[8:9], 7
	v_mad_u64_u32 v[8:9], null, s9, v1, v[5:6]
	v_mad_u64_u32 v[9:10], null, s8, v16, 0
	v_cmp_gt_i32_e64 s2, s12, v17
	s_lshl_b64 s[30:31], s[14:15], 1
	v_mad_u64_u32 v[28:29], null, s8, v24, 0
	v_mov_b32_e32 v5, v8
	v_mad_u64_u32 v[7:8], null, s45, v16, v[7:8]
	v_mad_u64_u32 v[32:33], null, s44, v30, s[44:45]
	v_lshlrev_b64 v[11:12], 3, v[4:5]
	v_mov_b32_e32 v5, v10
	v_mov_b32_e32 v8, v29
	v_ashrrev_i32_e32 v3, 31, v2
	v_lshlrev_b64 v[6:7], 1, v[6:7]
	v_cmp_gt_i32_e32 vcc_lo, s12, v2
	v_add_co_u32 v20, s3, s4, v11
	v_add_co_ci_u32_e64 v21, null, s29, v12, s3
	v_mad_u64_u32 v[16:17], null, s9, v16, v[5:6]
	v_mad_u64_u32 v[11:12], null, s44, v1, 0
	s_add_u32 s3, s40, s18
	s_addc_u32 s18, s41, s19
	s_add_u32 s19, s3, s30
	s_addc_u32 s18, s18, s31
	v_mov_b32_e32 v10, v16
	v_mad_u64_u32 v[16:17], null, s44, v24, 0
	v_mov_b32_e32 v5, v12
	v_add_co_u32 v22, s3, s19, v6
	v_add_co_ci_u32_e64 v23, null, s18, v7, s3
	v_mad_u64_u32 v[18:19], null, s45, v1, v[5:6]
	v_lshlrev_b64 v[6:7], 1, v[9:10]
	v_mov_b32_e32 v5, v17
	v_lshlrev_b64 v[3:4], 1, v[2:3]
	v_mad_u64_u32 v[9:10], null, s45, v24, v[5:6]
	v_mov_b32_e32 v12, v18
	v_mad_u64_u32 v[18:19], null, s8, v30, s[8:9]
	v_mad_u64_u32 v[26:27], null, s9, v24, v[8:9]
	v_add_co_u32 v24, s3, s4, v6
	v_add_co_ci_u32_e64 v25, null, s29, v7, s3
	v_lshlrev_b64 v[6:7], 3, v[11:12]
	v_mov_b32_e32 v5, v19
	v_mov_b32_e32 v17, v9
	;; [unrolled: 1-line block ×3, first 2 shown]
	v_add_co_u32 v26, s3, s19, v6
	v_mad_u64_u32 v[8:9], null, s9, v30, v[5:6]
	v_add_co_ci_u32_e64 v27, null, s18, v7, s3
	v_lshlrev_b64 v[6:7], 1, v[16:17]
	v_mov_b32_e32 v5, v33
	v_mov_b32_e32 v17, 0
	;; [unrolled: 1-line block ×4, first 2 shown]
	v_mad_u64_u32 v[9:10], null, s45, v30, v[5:6]
	v_lshlrev_b64 v[10:11], 1, v[28:29]
	v_add_co_u32 v28, s3, s19, v6
	v_lshlrev_b64 v[5:6], 1, v[18:19]
	v_add_co_ci_u32_e64 v29, null, s18, v7, s3
	v_mov_b32_e32 v33, v9
	v_add_co_u32 v30, s3, s4, v10
	v_add_co_ci_u32_e64 v31, null, s29, v11, s3
	v_lshlrev_b64 v[7:8], 1, v[32:33]
	v_add_co_u32 v32, s3, s4, v5
	v_add_co_ci_u32_e64 v33, null, s29, v6, s3
	v_mov_b32_e32 v19, 0
	v_add_co_u32 v34, s3, s19, v7
	v_add_co_ci_u32_e64 v35, null, s18, v8, s3
	v_mov_b32_e32 v18, 0
	s_lshl_b64 s[18:19], s[44:45], 7
	s_mov_b32 s29, 0
	s_branch .LBB479_17
.LBB479_13:                             ;   in Loop: Header=BB479_17 Depth=1
	s_or_b32 exec_lo, exec_lo, s31
	s_waitcnt vmcnt(3)
	v_fma_mix_f32 v5, v48, v52, v17 op_sel_hi:[0,1,0]
	s_waitcnt vmcnt(2)
	v_fma_mix_f32 v5, v49, v53, v5 op_sel_hi:[0,1,0]
	;; [unrolled: 2-line block ×4, first 2 shown]
.LBB479_14:                             ;   in Loop: Header=BB479_17 Depth=1
	s_or_b32 exec_lo, exec_lo, s30
	s_waitcnt vmcnt(3)
	v_fma_mix_f32 v5, v48, v44, v18 op_sel_hi:[0,1,0]
	s_waitcnt vmcnt(2)
	v_fma_mix_f32 v5, v49, v45, v5 op_sel_hi:[0,1,0]
	;; [unrolled: 2-line block ×4, first 2 shown]
.LBB479_15:                             ;   in Loop: Header=BB479_17 Depth=1
	s_or_b32 exec_lo, exec_lo, s3
	s_waitcnt vmcnt(3)
	v_fma_mix_f32 v5, v36, v40, v19 op_sel_hi:[1,1,0]
	s_waitcnt vmcnt(2)
	v_fma_mix_f32 v5, v37, v41, v5 op_sel_hi:[1,1,0]
	;; [unrolled: 2-line block ×4, first 2 shown]
.LBB479_16:                             ;   in Loop: Header=BB479_17 Depth=1
	s_or_b32 exec_lo, exec_lo, s4
	v_add_co_u32 v20, s3, v20, s16
	v_add_co_ci_u32_e64 v21, null, s17, v21, s3
	v_add_co_u32 v22, s3, v22, s18
	v_add_co_ci_u32_e64 v23, null, s19, v23, s3
	;; [unrolled: 2-line block ×4, first 2 shown]
	v_add_co_u32 v28, s3, v28, s18
	v_add_nc_u32_e32 v15, 64, v15
	v_add_co_ci_u32_e64 v29, null, s19, v29, s3
	v_add_co_u32 v30, s3, v30, s16
	v_add_co_ci_u32_e64 v31, null, s17, v31, s3
	v_add_co_u32 v32, s3, v32, s16
	v_add_co_ci_u32_e64 v33, null, s17, v33, s3
	v_cmp_le_i32_e64 s3, s27, v15
	v_add_co_u32 v34, s4, v34, s18
	v_add_co_ci_u32_e64 v35, null, s19, v35, s4
	s_or_b32 s29, s3, s29
	s_andn2_b32 exec_lo, exec_lo, s29
	s_cbranch_execz .LBB479_22
.LBB479_17:                             ; =>This Inner Loop Header: Depth=1
	s_and_saveexec_b32 s4, vcc_lo
	s_cbranch_execz .LBB479_16
; %bb.18:                               ;   in Loop: Header=BB479_17 Depth=1
	v_add_co_u32 v5, s3, v20, s6
	v_add_co_ci_u32_e64 v6, null, s7, v21, s3
	v_add_co_u32 v7, s3, v32, s6
	v_add_co_ci_u32_e64 v8, null, s7, v33, s3
	;; [unrolled: 2-line block ×3, first 2 shown]
	v_add_co_u32 v39, s3, v24, s6
	global_load_ushort v36, v[5:6], off
	global_load_ushort v37, v[7:8], off
	global_load_ushort v38, v[9:10], off
	v_add_co_ci_u32_e64 v40, null, s7, v25, s3
	v_add_co_u32 v5, s3, v26, v3
	v_add_co_ci_u32_e64 v6, null, v27, v4, s3
	v_add_co_u32 v7, s3, v34, v3
	;; [unrolled: 2-line block ×4, first 2 shown]
	v_add_co_ci_u32_e64 v12, null, v23, v4, s3
	global_load_ushort v39, v[39:40], off
	global_load_ushort v40, v[5:6], off
	;; [unrolled: 1-line block ×5, first 2 shown]
	s_and_saveexec_b32 s3, s0
	s_cbranch_execz .LBB479_15
; %bb.19:                               ;   in Loop: Header=BB479_17 Depth=1
	global_load_ushort v44, v[5:6], off offset:128
	global_load_ushort v45, v[7:8], off offset:128
	;; [unrolled: 1-line block ×4, first 2 shown]
	s_waitcnt vmcnt(11)
	v_cvt_f32_f16_e32 v48, v36
	s_waitcnt vmcnt(10)
	v_cvt_f32_f16_e32 v49, v37
	;; [unrolled: 2-line block ×4, first 2 shown]
	s_and_saveexec_b32 s30, s1
	s_cbranch_execz .LBB479_14
; %bb.20:                               ;   in Loop: Header=BB479_17 Depth=1
	global_load_ushort v52, v[5:6], off offset:256
	global_load_ushort v53, v[7:8], off offset:256
	;; [unrolled: 1-line block ×4, first 2 shown]
	s_and_saveexec_b32 s31, s2
	s_cbranch_execz .LBB479_13
; %bb.21:                               ;   in Loop: Header=BB479_17 Depth=1
	global_load_ushort v5, v[5:6], off offset:384
	global_load_ushort v6, v[7:8], off offset:384
	;; [unrolled: 1-line block ×4, first 2 shown]
	s_waitcnt vmcnt(3)
	v_fma_mix_f32 v5, v48, v5, v16 op_sel_hi:[0,1,0]
	s_waitcnt vmcnt(2)
	v_fma_mix_f32 v5, v49, v6, v5 op_sel_hi:[0,1,0]
	;; [unrolled: 2-line block ×4, first 2 shown]
	s_branch .LBB479_13
.LBB479_22:
	s_or_b32 exec_lo, exec_lo, s29
.LBB479_23:
	s_or_b32 exec_lo, exec_lo, s28
	s_sub_i32 s0, s13, s27
	s_cmp_lt_i32 s0, 1
	s_cbranch_scc1 .LBB479_41
; %bb.24:
	v_cmp_gt_i32_e32 vcc_lo, s13, v15
	v_mov_b32_e32 v11, 0
	v_or_b32_e32 v4, 1, v15
	v_mov_b32_e32 v12, 0
	v_mov_b32_e32 v20, 0
	v_mov_b32_e32 v21, 0
	s_and_saveexec_b32 s1, vcc_lo
	s_cbranch_execz .LBB479_32
; %bb.25:
	v_mad_u64_u32 v[5:6], null, s8, v15, 0
	s_lshl_b64 s[2:3], s[10:11], 1
	v_mov_b32_e32 v20, 0
	s_add_u32 s0, s48, s2
	s_addc_u32 s2, s49, s3
	s_lshl_b64 s[6:7], s[50:51], 1
	v_mov_b32_e32 v12, 0
	v_mov_b32_e32 v3, v6
	s_add_u32 s3, s0, s6
	s_addc_u32 s4, s2, s7
	v_mov_b32_e32 v11, 0
	s_mov_b32 s2, exec_lo
	v_mad_u64_u32 v[6:7], null, s9, v15, v[3:4]
	v_lshlrev_b64 v[5:6], 1, v[5:6]
	v_add_co_u32 v5, s0, s3, v5
	v_add_co_ci_u32_e64 v6, null, s4, v6, s0
	global_load_ushort v3, v[5:6], off
	v_cmpx_gt_i32_e64 s13, v4
	s_cbranch_execz .LBB479_31
; %bb.26:
	v_mad_u64_u32 v[5:6], null, s8, v4, 0
	v_mov_b32_e32 v12, 0
	v_mov_b32_e32 v11, 0
	s_mov_b32 s6, exec_lo
	v_mad_u64_u32 v[6:7], null, s9, v4, v[6:7]
	v_lshlrev_b64 v[5:6], 1, v[5:6]
	v_add_co_u32 v5, s0, s3, v5
	v_add_co_ci_u32_e64 v6, null, s4, v6, s0
	global_load_ushort v5, v[5:6], off
	v_or_b32_e32 v6, 2, v15
	v_cmpx_gt_i32_e64 s13, v6
	s_cbranch_execz .LBB479_30
; %bb.27:
	v_mad_u64_u32 v[7:8], null, s8, v6, 0
	v_mov_b32_e32 v11, 0
	s_mov_b32 s7, exec_lo
	v_mad_u64_u32 v[8:9], null, s9, v6, v[8:9]
	v_lshlrev_b64 v[6:7], 1, v[7:8]
	v_add_co_u32 v6, s0, s3, v6
	v_add_co_ci_u32_e64 v7, null, s4, v7, s0
	global_load_ushort v6, v[6:7], off
	v_or_b32_e32 v7, 3, v15
	v_cmpx_gt_i32_e64 s13, v7
	s_cbranch_execz .LBB479_29
; %bb.28:
	v_mad_u64_u32 v[8:9], null, s8, v7, 0
	v_mad_u64_u32 v[9:10], null, s9, v7, v[9:10]
	v_lshlrev_b64 v[7:8], 1, v[8:9]
	v_add_co_u32 v7, s0, s3, v7
	v_add_co_ci_u32_e64 v8, null, s4, v8, s0
	global_load_ushort v7, v[7:8], off
	s_waitcnt vmcnt(0)
	v_cvt_f32_f16_e32 v11, v7
.LBB479_29:
	s_or_b32 exec_lo, exec_lo, s7
	s_waitcnt vmcnt(0)
	v_cvt_f32_f16_e32 v12, v6
.LBB479_30:
	s_or_b32 exec_lo, exec_lo, s6
	s_waitcnt vmcnt(0)
	v_cvt_f32_f16_e32 v20, v5
.LBB479_31:
	s_or_b32 exec_lo, exec_lo, s2
	s_waitcnt vmcnt(0)
	v_cvt_f32_f16_e32 v21, v3
.LBB479_32:
	s_or_b32 exec_lo, exec_lo, s1
	s_mov_b32 s1, exec_lo
	v_cmpx_gt_i32_e64 s12, v2
	s_cbranch_execz .LBB479_40
; %bb.33:
	v_mad_u64_u32 v[5:6], null, s44, v15, 0
	v_mad_u64_u32 v[7:8], null, s44, v4, 0
	v_ashrrev_i32_e32 v3, 31, v2
	v_or_b32_e32 v29, 2, v15
	s_lshl_b64 s[2:3], s[14:15], 1
	s_add_u32 s0, s40, s2
	v_lshlrev_b64 v[22:23], 1, v[2:3]
	v_mad_u64_u32 v[9:10], null, s45, v15, v[6:7]
	v_mov_b32_e32 v3, v8
	v_cndmask_b32_e32 v5, 0, v5, vcc_lo
	v_or_b32_e32 v15, 3, v15
	v_mad_u64_u32 v[24:25], null, s44, v29, 0
	v_mad_u64_u32 v[26:27], null, s45, v4, v[3:4]
	v_cndmask_b32_e32 v6, 0, v9, vcc_lo
	v_cmp_gt_i32_e32 vcc_lo, s13, v4
	s_addc_u32 s4, s41, s3
	s_lshl_b64 s[2:3], s[42:43], 1
	v_mad_u64_u32 v[8:9], null, s44, v15, 0
	v_lshlrev_b64 v[5:6], 1, v[5:6]
	v_cndmask_b32_e32 v27, 0, v7, vcc_lo
	v_cndmask_b32_e32 v28, 0, v26, vcc_lo
	s_add_u32 s2, s0, s2
	v_mov_b32_e32 v7, v25
	s_addc_u32 s3, s4, s3
	v_add_co_u32 v3, s0, s2, v5
	v_add_co_ci_u32_e64 v4, null, s3, v6, s0
	v_lshlrev_b64 v[5:6], 1, v[27:28]
	v_mad_u64_u32 v[25:26], null, s45, v29, v[7:8]
	v_add_co_u32 v3, vcc_lo, v3, v22
	v_add_co_ci_u32_e64 v4, null, v4, v23, vcc_lo
	v_cmp_gt_i32_e32 vcc_lo, s13, v29
	v_mov_b32_e32 v7, v9
	v_add_co_u32 v5, s0, s2, v5
	v_add_co_ci_u32_e64 v6, null, s3, v6, s0
	v_cndmask_b32_e32 v9, 0, v24, vcc_lo
	v_cndmask_b32_e32 v10, 0, v25, vcc_lo
	v_mad_u64_u32 v[24:25], null, s45, v15, v[7:8]
	v_add_co_u32 v5, vcc_lo, v5, v22
	v_add_co_ci_u32_e64 v6, null, v6, v23, vcc_lo
	v_cmp_gt_i32_e32 vcc_lo, s13, v15
	v_lshlrev_b64 v[9:10], 1, v[9:10]
	s_clause 0x1
	global_load_ushort v25, v[3:4], off
	global_load_ushort v26, v[5:6], off
	s_mov_b32 s0, exec_lo
	v_cndmask_b32_e32 v7, 0, v8, vcc_lo
	v_cndmask_b32_e32 v8, 0, v24, vcc_lo
	v_add_co_u32 v15, vcc_lo, s2, v9
	v_add_co_ci_u32_e64 v24, null, s3, v10, vcc_lo
	v_lshlrev_b64 v[9:10], 1, v[7:8]
	v_add_co_u32 v7, vcc_lo, v15, v22
	v_add_co_ci_u32_e64 v8, null, v24, v23, vcc_lo
	v_add_co_u32 v9, vcc_lo, s2, v9
	v_add_co_ci_u32_e64 v10, null, s3, v10, vcc_lo
	global_load_ushort v24, v[7:8], off
	v_add_co_u32 v9, vcc_lo, v9, v22
	v_add_co_ci_u32_e64 v10, null, v10, v23, vcc_lo
	v_add_nc_u32_e32 v22, 64, v2
	global_load_ushort v15, v[9:10], off
	s_waitcnt vmcnt(3)
	v_fma_mix_f32 v19, v21, v25, v19 op_sel_hi:[0,1,0]
	s_waitcnt vmcnt(2)
	v_fma_mix_f32 v19, v20, v26, v19 op_sel_hi:[0,1,0]
	s_waitcnt vmcnt(1)
	v_fma_mix_f32 v19, v12, v24, v19 op_sel_hi:[0,1,0]
	v_cmpx_gt_i32_e64 s12, v22
	s_cbranch_execz .LBB479_39
; %bb.34:
	s_clause 0x3
	global_load_ushort v23, v[3:4], off offset:128
	global_load_ushort v24, v[5:6], off offset:128
	;; [unrolled: 1-line block ×4, first 2 shown]
	s_mov_b32 s2, exec_lo
	s_waitcnt vmcnt(3)
	v_fma_mix_f32 v18, v21, v23, v18 op_sel_hi:[0,1,0]
	v_add_nc_u32_e32 v23, 0x80, v2
	s_waitcnt vmcnt(2)
	v_fma_mix_f32 v18, v20, v24, v18 op_sel_hi:[0,1,0]
	s_waitcnt vmcnt(1)
	v_fma_mix_f32 v18, v12, v25, v18 op_sel_hi:[0,1,0]
	v_cmpx_gt_i32_e64 s12, v23
	s_cbranch_execz .LBB479_38
; %bb.35:
	s_clause 0x3
	global_load_ushort v24, v[3:4], off offset:256
	global_load_ushort v25, v[5:6], off offset:256
	;; [unrolled: 1-line block ×4, first 2 shown]
	s_mov_b32 s3, exec_lo
	s_waitcnt vmcnt(3)
	v_fma_mix_f32 v17, v21, v24, v17 op_sel_hi:[0,1,0]
	v_add_nc_u32_e32 v24, 0xc0, v2
	s_waitcnt vmcnt(2)
	v_fma_mix_f32 v17, v20, v25, v17 op_sel_hi:[0,1,0]
	s_waitcnt vmcnt(1)
	v_fma_mix_f32 v2, v12, v26, v17 op_sel_hi:[0,1,0]
	v_cmpx_gt_i32_e64 s12, v24
	s_cbranch_execz .LBB479_37
; %bb.36:
	s_clause 0x3
	global_load_ushort v3, v[3:4], off offset:384
	global_load_ushort v4, v[5:6], off offset:384
	;; [unrolled: 1-line block ×4, first 2 shown]
	s_waitcnt vmcnt(3)
	v_fma_mix_f32 v3, v21, v3, v16 op_sel_hi:[0,1,0]
	s_waitcnt vmcnt(2)
	v_fma_mix_f32 v3, v20, v4, v3 op_sel_hi:[0,1,0]
	;; [unrolled: 2-line block ×4, first 2 shown]
.LBB479_37:
	s_or_b32 exec_lo, exec_lo, s3
	s_waitcnt vmcnt(0)
	v_fma_mix_f32 v17, v11, v23, v2 op_sel_hi:[0,1,0]
.LBB479_38:
	s_or_b32 exec_lo, exec_lo, s2
	s_waitcnt vmcnt(0)
	v_fma_mix_f32 v18, v11, v22, v18 op_sel_hi:[0,1,0]
.LBB479_39:
	s_or_b32 exec_lo, exec_lo, s0
	s_waitcnt vmcnt(0)
	v_fma_mix_f32 v19, v11, v15, v19 op_sel_hi:[0,1,0]
.LBB479_40:
	s_or_b32 exec_lo, exec_lo, s1
.LBB479_41:
	v_lshlrev_b32_e32 v0, 2, v0
	s_mov_b32 s0, exec_lo
                                        ; implicit-def: $vgpr3
                                        ; implicit-def: $vgpr4_vgpr5
	v_lshl_add_u32 v1, v1, 10, v0
	ds_write2st64_b32 v1, v19, v18 offset1:1
	ds_write2st64_b32 v1, v17, v16 offset0:2 offset1:3
	s_waitcnt lgkmcnt(0)
	s_barrier
	buffer_gl0_inv
	v_cmpx_gt_u32_e32 0x100, v13
	s_cbranch_execz .LBB479_47
; %bb.42:
	v_lshl_add_u32 v6, v14, 2, v0
	s_mov_b32 s2, s26
	s_mov_b32 s1, exec_lo
	ds_read2st64_b32 v[0:1], v6 offset1:4
	ds_read2st64_b32 v[2:3], v6 offset0:8 offset1:12
	ds_read2st64_b32 v[4:5], v6 offset0:16 offset1:20
	s_waitcnt lgkmcnt(2)
	v_add_f32_e32 v7, v0, v1
	ds_read2st64_b32 v[0:1], v6 offset0:24 offset1:28
	s_waitcnt lgkmcnt(2)
	v_add_f32_e32 v2, v2, v7
	v_add_f32_e32 v7, v3, v2
	ds_read2st64_b32 v[2:3], v6 offset0:32 offset1:36
	s_waitcnt lgkmcnt(2)
	v_add_f32_e32 v4, v4, v7
	;; [unrolled: 4-line block ×3, first 2 shown]
	v_add_f32_e32 v0, v1, v0
	s_waitcnt lgkmcnt(1)
	v_add_f32_e32 v2, v2, v0
	ds_read2st64_b32 v[0:1], v6 offset0:48 offset1:52
	v_add_f32_e32 v2, v3, v2
	s_waitcnt lgkmcnt(1)
	v_add_f32_e32 v4, v4, v2
	ds_read2st64_b32 v[2:3], v6 offset0:56 offset1:60
	v_add_f32_e32 v4, v5, v4
	s_waitcnt lgkmcnt(1)
	v_add_f32_e32 v0, v0, v4
                                        ; implicit-def: $vgpr4_vgpr5
	v_add_f32_e32 v0, v1, v0
	v_or_b32_e32 v1, s23, v13
	s_waitcnt lgkmcnt(0)
	v_add_f32_e32 v0, v2, v0
	v_add_f32_e32 v0, v3, v0
                                        ; implicit-def: $vgpr3
	ds_write_b32 v6, v0
	v_cmpx_gt_i32_e64 s12, v1
	s_cbranch_execz .LBB479_46
; %bb.43:
	v_ashrrev_i32_e32 v2, 31, v1
	v_mul_lo_u32 v6, s21, v1
	v_mad_u64_u32 v[4:5], null, s20, v1, 0
	v_cmp_eq_f32_e64 s2, s24, 0
	v_mul_lo_u32 v1, s20, v2
	v_mul_f32_e32 v3, s25, v0
	s_and_b32 vcc_lo, exec_lo, s2
	v_add3_u32 v5, v5, v1, v6
	s_cbranch_vccnz .LBB479_45
; %bb.44:
	v_lshlrev_b64 v[0:1], 2, v[4:5]
	v_add_co_u32 v0, vcc_lo, s5, v0
	v_add_co_ci_u32_e64 v1, null, s22, v1, vcc_lo
	global_load_dword v0, v[0:1], off
	s_waitcnt vmcnt(0)
	v_fmac_f32_e32 v3, s24, v0
.LBB479_45:
	s_or_b32 s2, s26, exec_lo
.LBB479_46:
	s_or_b32 exec_lo, exec_lo, s1
	s_andn2_b32 s1, s26, exec_lo
	s_and_b32 s2, s2, exec_lo
	s_or_b32 s26, s1, s2
.LBB479_47:
	s_or_b32 exec_lo, exec_lo, s0
.LBB479_48:
	s_and_saveexec_b32 s0, s26
	s_cbranch_execz .LBB479_50
; %bb.49:
	v_lshlrev_b64 v[0:1], 2, v[4:5]
	v_add_co_u32 v0, vcc_lo, s5, v0
	v_add_co_ci_u32_e64 v1, null, s22, v1, vcc_lo
	global_store_dword v[0:1], v3, off
.LBB479_50:
	s_endpgm
	.section	.rodata,"a",@progbits
	.p2align	6, 0x0
	.amdhsa_kernel _ZL20rocblas_gemvn_kernelILi64ELi16ElDF16_PKffEviiT3_lPKT2_lT1_lS5_lS6_lS2_lPT4_lS6_li
		.amdhsa_group_segment_fixed_size 16384
		.amdhsa_private_segment_fixed_size 0
		.amdhsa_kernarg_size 400
		.amdhsa_user_sgpr_count 6
		.amdhsa_user_sgpr_private_segment_buffer 1
		.amdhsa_user_sgpr_dispatch_ptr 0
		.amdhsa_user_sgpr_queue_ptr 0
		.amdhsa_user_sgpr_kernarg_segment_ptr 1
		.amdhsa_user_sgpr_dispatch_id 0
		.amdhsa_user_sgpr_flat_scratch_init 0
		.amdhsa_user_sgpr_private_segment_size 0
		.amdhsa_wavefront_size32 1
		.amdhsa_uses_dynamic_stack 0
		.amdhsa_system_sgpr_private_segment_wavefront_offset 0
		.amdhsa_system_sgpr_workgroup_id_x 1
		.amdhsa_system_sgpr_workgroup_id_y 0
		.amdhsa_system_sgpr_workgroup_id_z 1
		.amdhsa_system_sgpr_workgroup_info 0
		.amdhsa_system_vgpr_workitem_id 1
		.amdhsa_next_free_vgpr 56
		.amdhsa_next_free_sgpr 52
		.amdhsa_reserve_vcc 1
		.amdhsa_reserve_flat_scratch 0
		.amdhsa_float_round_mode_32 0
		.amdhsa_float_round_mode_16_64 0
		.amdhsa_float_denorm_mode_32 3
		.amdhsa_float_denorm_mode_16_64 3
		.amdhsa_dx10_clamp 1
		.amdhsa_ieee_mode 1
		.amdhsa_fp16_overflow 0
		.amdhsa_workgroup_processor_mode 1
		.amdhsa_memory_ordered 1
		.amdhsa_forward_progress 1
		.amdhsa_shared_vgpr_count 0
		.amdhsa_exception_fp_ieee_invalid_op 0
		.amdhsa_exception_fp_denorm_src 0
		.amdhsa_exception_fp_ieee_div_zero 0
		.amdhsa_exception_fp_ieee_overflow 0
		.amdhsa_exception_fp_ieee_underflow 0
		.amdhsa_exception_fp_ieee_inexact 0
		.amdhsa_exception_int_div_zero 0
	.end_amdhsa_kernel
	.section	.text._ZL20rocblas_gemvn_kernelILi64ELi16ElDF16_PKffEviiT3_lPKT2_lT1_lS5_lS6_lS2_lPT4_lS6_li,"axG",@progbits,_ZL20rocblas_gemvn_kernelILi64ELi16ElDF16_PKffEviiT3_lPKT2_lT1_lS5_lS6_lS2_lPT4_lS6_li,comdat
.Lfunc_end479:
	.size	_ZL20rocblas_gemvn_kernelILi64ELi16ElDF16_PKffEviiT3_lPKT2_lT1_lS5_lS6_lS2_lPT4_lS6_li, .Lfunc_end479-_ZL20rocblas_gemvn_kernelILi64ELi16ElDF16_PKffEviiT3_lPKT2_lT1_lS5_lS6_lS2_lPT4_lS6_li
                                        ; -- End function
	.set _ZL20rocblas_gemvn_kernelILi64ELi16ElDF16_PKffEviiT3_lPKT2_lT1_lS5_lS6_lS2_lPT4_lS6_li.num_vgpr, 56
	.set _ZL20rocblas_gemvn_kernelILi64ELi16ElDF16_PKffEviiT3_lPKT2_lT1_lS5_lS6_lS2_lPT4_lS6_li.num_agpr, 0
	.set _ZL20rocblas_gemvn_kernelILi64ELi16ElDF16_PKffEviiT3_lPKT2_lT1_lS5_lS6_lS2_lPT4_lS6_li.numbered_sgpr, 52
	.set _ZL20rocblas_gemvn_kernelILi64ELi16ElDF16_PKffEviiT3_lPKT2_lT1_lS5_lS6_lS2_lPT4_lS6_li.num_named_barrier, 0
	.set _ZL20rocblas_gemvn_kernelILi64ELi16ElDF16_PKffEviiT3_lPKT2_lT1_lS5_lS6_lS2_lPT4_lS6_li.private_seg_size, 0
	.set _ZL20rocblas_gemvn_kernelILi64ELi16ElDF16_PKffEviiT3_lPKT2_lT1_lS5_lS6_lS2_lPT4_lS6_li.uses_vcc, 1
	.set _ZL20rocblas_gemvn_kernelILi64ELi16ElDF16_PKffEviiT3_lPKT2_lT1_lS5_lS6_lS2_lPT4_lS6_li.uses_flat_scratch, 0
	.set _ZL20rocblas_gemvn_kernelILi64ELi16ElDF16_PKffEviiT3_lPKT2_lT1_lS5_lS6_lS2_lPT4_lS6_li.has_dyn_sized_stack, 0
	.set _ZL20rocblas_gemvn_kernelILi64ELi16ElDF16_PKffEviiT3_lPKT2_lT1_lS5_lS6_lS2_lPT4_lS6_li.has_recursion, 0
	.set _ZL20rocblas_gemvn_kernelILi64ELi16ElDF16_PKffEviiT3_lPKT2_lT1_lS5_lS6_lS2_lPT4_lS6_li.has_indirect_call, 0
	.section	.AMDGPU.csdata,"",@progbits
; Kernel info:
; codeLenInByte = 3348
; TotalNumSgprs: 54
; NumVgprs: 56
; ScratchSize: 0
; MemoryBound: 0
; FloatMode: 240
; IeeeMode: 1
; LDSByteSize: 16384 bytes/workgroup (compile time only)
; SGPRBlocks: 0
; VGPRBlocks: 6
; NumSGPRsForWavesPerEU: 54
; NumVGPRsForWavesPerEU: 56
; Occupancy: 16
; WaveLimiterHint : 0
; COMPUTE_PGM_RSRC2:SCRATCH_EN: 0
; COMPUTE_PGM_RSRC2:USER_SGPR: 6
; COMPUTE_PGM_RSRC2:TRAP_HANDLER: 0
; COMPUTE_PGM_RSRC2:TGID_X_EN: 1
; COMPUTE_PGM_RSRC2:TGID_Y_EN: 0
; COMPUTE_PGM_RSRC2:TGID_Z_EN: 1
; COMPUTE_PGM_RSRC2:TIDIG_COMP_CNT: 1
	.section	.text._ZL20rocblas_gemvn_kernelILi64ELi16EiDF16_ffEviiT3_lPKT2_lT1_lS3_lS4_lS0_lPT4_lS4_li,"axG",@progbits,_ZL20rocblas_gemvn_kernelILi64ELi16EiDF16_ffEviiT3_lPKT2_lT1_lS3_lS4_lS0_lPT4_lS4_li,comdat
	.globl	_ZL20rocblas_gemvn_kernelILi64ELi16EiDF16_ffEviiT3_lPKT2_lT1_lS3_lS4_lS0_lPT4_lS4_li ; -- Begin function _ZL20rocblas_gemvn_kernelILi64ELi16EiDF16_ffEviiT3_lPKT2_lT1_lS3_lS4_lS0_lPT4_lS4_li
	.p2align	8
	.type	_ZL20rocblas_gemvn_kernelILi64ELi16EiDF16_ffEviiT3_lPKT2_lT1_lS3_lS4_lS0_lPT4_lS4_li,@function
_ZL20rocblas_gemvn_kernelILi64ELi16EiDF16_ffEviiT3_lPKT2_lT1_lS3_lS4_lS0_lPT4_lS4_li: ; @_ZL20rocblas_gemvn_kernelILi64ELi16EiDF16_ffEviiT3_lPKT2_lT1_lS3_lS4_lS0_lPT4_lS4_li
; %bb.0:
	s_load_dwordx2 s[0:1], s[4:5], 0x9c
	s_waitcnt lgkmcnt(0)
	s_lshr_b32 s2, s0, 16
	s_and_b32 s0, s0, 0xffff
	s_and_b32 s1, s1, 0xffff
	s_mul_i32 s0, s2, s0
	s_mul_i32 s0, s0, s1
	s_cmpk_lg_i32 s0, 0x400
	s_cbranch_scc1 .LBB480_50
; %bb.1:
	s_clause 0x1
	s_load_dwordx4 s[8:11], s[4:5], 0x0
	s_load_dword s13, s[4:5], 0x58
	s_mov_b32 s14, 0
	s_waitcnt lgkmcnt(0)
	v_cmp_eq_f32_e64 s0, s10, 0
	v_cmp_eq_f32_e64 s1, s13, 1.0
	s_and_b32 s0, s0, s1
	s_and_b32 vcc_lo, exec_lo, s0
	s_cbranch_vccnz .LBB480_50
; %bb.2:
	s_clause 0x2
	s_load_dwordx2 s[16:17], s[4:5], 0x80
	s_load_dwordx4 s[0:3], s[4:5], 0x68
	s_load_dword s15, s[4:5], 0x78
	v_lshlrev_b32_e32 v14, 6, v1
	v_cmp_neq_f32_e64 s18, s10, 0
	v_add_nc_u32_e32 v13, v14, v0
	s_waitcnt lgkmcnt(0)
	s_mul_i32 s11, s17, s7
	s_mul_hi_u32 s12, s16, s7
	s_mul_i32 s16, s16, s7
	s_add_i32 s17, s12, s11
	s_lshl_b64 s[16:17], s[16:17], 2
	s_add_u32 s11, s0, s16
	s_addc_u32 s12, s1, s17
	s_lshl_b64 s[0:1], s[2:3], 2
	s_add_u32 s11, s11, s0
	v_cmp_gt_u32_e64 s0, 0x100, v13
	s_addc_u32 s12, s12, s1
	s_and_b32 vcc_lo, exec_lo, s18
	s_cbranch_vccnz .LBB480_9
; %bb.3:
	s_mov_b32 s1, 0
                                        ; implicit-def: $vgpr3
                                        ; implicit-def: $vgpr4_vgpr5
	s_and_saveexec_b32 s2, s0
	s_cbranch_execz .LBB480_10
; %bb.4:
	v_lshl_or_b32 v2, s6, 8, v13
	v_mov_b32_e32 v3, 0
	s_ashr_i32 s17, s8, 31
	s_mov_b32 s16, s8
	s_mov_b32 s3, 0
	s_mov_b32 s0, exec_lo
                                        ; implicit-def: $vgpr4_vgpr5
	v_cmpx_gt_i64_e64 s[16:17], v[2:3]
	s_cbranch_execz .LBB480_8
; %bb.5:
	v_mad_u64_u32 v[4:5], null, s15, v2, 0
	s_ashr_i32 s3, s15, 31
	v_mad_u64_u32 v[5:6], null, s3, v2, v[5:6]
	v_cmp_eq_f32_e64 s3, s13, 0
	s_and_b32 vcc_lo, exec_lo, s3
	s_cbranch_vccnz .LBB480_7
; %bb.6:
	v_lshlrev_b64 v[2:3], 2, v[4:5]
	v_add_co_u32 v2, vcc_lo, s11, v2
	v_add_co_ci_u32_e64 v3, null, s12, v3, vcc_lo
	global_load_dword v2, v[2:3], off
	s_waitcnt vmcnt(0)
	v_mul_f32_e32 v3, s13, v2
.LBB480_7:
	s_mov_b32 s3, exec_lo
.LBB480_8:
	s_or_b32 exec_lo, exec_lo, s0
	s_and_b32 s14, s3, exec_lo
	s_or_b32 exec_lo, exec_lo, s2
	s_and_b32 vcc_lo, exec_lo, s1
	s_cbranch_vccnz .LBB480_11
	s_branch .LBB480_48
.LBB480_9:
                                        ; implicit-def: $vgpr3
                                        ; implicit-def: $vgpr4_vgpr5
	s_cbranch_execnz .LBB480_11
	s_branch .LBB480_48
.LBB480_10:
	s_or_b32 exec_lo, exec_lo, s2
	s_and_b32 vcc_lo, exec_lo, s1
	s_cbranch_vccz .LBB480_48
.LBB480_11:
	s_clause 0x5
	s_load_dwordx4 s[0:3], s[4:5], 0x30
	s_load_dwordx2 s[18:19], s[4:5], 0x50
	s_load_dwordx4 s[20:23], s[4:5], 0x18
	s_load_dword s17, s[4:5], 0x28
	s_load_dwordx2 s[24:25], s[4:5], 0x40
	s_load_dword s4, s[4:5], 0x48
	v_lshlrev_b32_e32 v20, 2, v1
	v_mov_b32_e32 v19, 0
	v_mov_b32_e32 v18, 0
	v_mov_b32_e32 v16, 0
	v_mov_b32_e32 v15, 0
	s_waitcnt lgkmcnt(0)
	s_mul_i32 s1, s1, s7
	s_mul_hi_u32 s16, s0, s7
	s_mul_i32 s0, s0, s7
	s_add_i32 s1, s16, s1
	s_mul_i32 s19, s19, s7
	s_lshl_b64 s[0:1], s[0:1], 1
	s_mul_hi_u32 s26, s18, s7
	s_add_u32 s16, s20, s0
	s_addc_u32 s20, s21, s1
	s_lshl_b64 s[0:1], s[22:23], 1
	s_mul_i32 s18, s18, s7
	s_add_u32 s7, s16, s0
	s_addc_u32 s16, s20, s1
	s_add_i32 s19, s26, s19
	s_mov_b32 s20, exec_lo
	s_lshl_b64 s[0:1], s[18:19], 1
	s_add_u32 s2, s2, s0
	s_addc_u32 s3, s3, s1
	s_lshl_b64 s[0:1], s[24:25], 1
	s_add_u32 s18, s2, s0
	s_addc_u32 s19, s3, s1
	s_ashr_i32 s0, s9, 31
	s_lshl_b32 s5, s6, 8
	s_lshr_b32 s0, s0, 26
	v_add_nc_u32_e32 v17, s5, v0
	s_add_i32 s0, s9, s0
	s_and_b32 s6, s0, 0xffffffc0
	v_cmpx_gt_i32_e64 s6, v20
	s_cbranch_execz .LBB480_23
; %bb.12:
	v_add_nc_u32_e32 v5, 0xc0, v17
	v_mul_lo_u32 v3, s17, v20
	v_add_nc_u32_e32 v2, 64, v17
	v_add_nc_u32_e32 v6, 2, v20
	;; [unrolled: 1-line block ×3, first 2 shown]
	v_cmp_gt_i32_e64 s2, s8, v5
	v_mul_lo_u32 v5, v1, s17
	v_add_nc_u32_e32 v7, 3, v20
	v_mul_lo_u32 v8, v1, s4
	v_cmp_gt_i32_e64 s0, s8, v2
	v_add3_u32 v21, v3, s17, v0
	v_mad_u64_u32 v[2:3], null, s17, v6, v[0:1]
	v_cmp_gt_i32_e64 s1, s8, v4
	v_mad_u64_u32 v[3:4], null, s17, v7, v[0:1]
	v_lshl_add_u32 v22, v5, 2, v0
	v_mad_u64_u32 v[4:5], null, s4, v20, s[4:5]
	v_mul_lo_u32 v23, s4, v6
	v_mul_lo_u32 v24, s4, v7
	v_lshlrev_b32_e32 v25, 2, v8
	v_mov_b32_e32 v19, 0
	v_mov_b32_e32 v18, 0
	;; [unrolled: 1-line block ×4, first 2 shown]
	s_lshl_b32 s21, s17, 6
	s_lshl_b32 s23, s4, 6
	s_mov_b32 s22, 0
	s_mov_b32 s24, 0
	v_cmp_gt_i32_e32 vcc_lo, s8, v17
	s_branch .LBB480_17
.LBB480_13:                             ;   in Loop: Header=BB480_17 Depth=1
	s_or_b32 exec_lo, exec_lo, s27
	s_waitcnt vmcnt(3)
	v_fma_mix_f32 v5, v38, v42, v16 op_sel_hi:[0,1,0]
	s_waitcnt vmcnt(2)
	v_fma_mix_f32 v5, v39, v43, v5 op_sel_hi:[0,1,0]
	;; [unrolled: 2-line block ×4, first 2 shown]
.LBB480_14:                             ;   in Loop: Header=BB480_17 Depth=1
	s_or_b32 exec_lo, exec_lo, s26
	s_waitcnt vmcnt(3)
	v_fma_mix_f32 v5, v38, v34, v18 op_sel_hi:[0,1,0]
	s_waitcnt vmcnt(2)
	v_fma_mix_f32 v5, v39, v35, v5 op_sel_hi:[0,1,0]
	;; [unrolled: 2-line block ×4, first 2 shown]
.LBB480_15:                             ;   in Loop: Header=BB480_17 Depth=1
	s_or_b32 exec_lo, exec_lo, s3
	s_waitcnt vmcnt(3)
	v_fma_mix_f32 v5, v26, v30, v19 op_sel_hi:[1,1,0]
	s_waitcnt vmcnt(2)
	v_fma_mix_f32 v5, v27, v31, v5 op_sel_hi:[1,1,0]
	;; [unrolled: 2-line block ×4, first 2 shown]
.LBB480_16:                             ;   in Loop: Header=BB480_17 Depth=1
	s_or_b32 exec_lo, exec_lo, s25
	v_add_nc_u32_e32 v20, 64, v20
	v_add_nc_u32_e32 v21, s21, v21
	;; [unrolled: 1-line block ×5, first 2 shown]
	v_cmp_le_i32_e64 s3, s6, v20
	s_add_i32 s24, s24, s23
	s_or_b32 s22, s3, s22
	s_andn2_b32 exec_lo, exec_lo, s22
	s_cbranch_execz .LBB480_22
.LBB480_17:                             ; =>This Inner Loop Header: Depth=1
	s_and_saveexec_b32 s25, vcc_lo
	s_cbranch_execz .LBB480_16
; %bb.18:                               ;   in Loop: Header=BB480_17 Depth=1
	v_add_nc_u32_e32 v5, s24, v25
	v_add_nc_u32_e32 v7, s24, v4
	;; [unrolled: 1-line block ×5, first 2 shown]
	v_ashrrev_i32_e32 v6, 31, v5
	v_ashrrev_i32_e32 v8, 31, v7
	;; [unrolled: 1-line block ×5, first 2 shown]
	v_lshlrev_b64 v[5:6], 1, v[5:6]
	v_lshlrev_b64 v[7:8], 1, v[7:8]
	;; [unrolled: 1-line block ×3, first 2 shown]
	v_add_co_u32 v28, s3, s18, v5
	v_add_co_ci_u32_e64 v29, null, s19, v6, s3
	v_add_co_u32 v30, s3, s18, v7
	v_add_nc_u32_e32 v7, s5, v21
	v_add_co_ci_u32_e64 v31, null, s19, v8, s3
	v_lshlrev_b64 v[5:6], 1, v[11:12]
	v_add_co_u32 v32, s3, s18, v9
	v_add_nc_u32_e32 v11, s5, v2
	v_add_co_ci_u32_e64 v33, null, s19, v10, s3
	v_lshlrev_b64 v[9:10], 1, v[26:27]
	v_add_nc_u32_e32 v26, s5, v3
	v_ashrrev_i32_e32 v8, 31, v7
	v_ashrrev_i32_e32 v12, 31, v11
	v_add_co_u32 v34, s3, s18, v5
	v_ashrrev_i32_e32 v27, 31, v26
	v_add_co_ci_u32_e64 v35, null, s19, v6, s3
	v_lshlrev_b64 v[7:8], 1, v[7:8]
	v_add_co_u32 v5, s3, s7, v9
	v_add_co_ci_u32_e64 v6, null, s16, v10, s3
	v_lshlrev_b64 v[9:10], 1, v[11:12]
	v_lshlrev_b64 v[11:12], 1, v[26:27]
	v_add_co_u32 v7, s3, s7, v7
	v_add_co_ci_u32_e64 v8, null, s16, v8, s3
	v_add_co_u32 v9, s3, s7, v9
	v_add_co_ci_u32_e64 v10, null, s16, v10, s3
	v_add_co_u32 v11, s3, s7, v11
	v_add_co_ci_u32_e64 v12, null, s16, v12, s3
	s_clause 0x3
	global_load_ushort v26, v[28:29], off
	global_load_ushort v27, v[30:31], off
	;; [unrolled: 1-line block ×4, first 2 shown]
	s_clause 0x3
	global_load_ushort v30, v[5:6], off
	global_load_ushort v31, v[7:8], off
	;; [unrolled: 1-line block ×4, first 2 shown]
	s_and_saveexec_b32 s3, s0
	s_cbranch_execz .LBB480_15
; %bb.19:                               ;   in Loop: Header=BB480_17 Depth=1
	s_clause 0x3
	global_load_ushort v34, v[5:6], off offset:128
	global_load_ushort v35, v[7:8], off offset:128
	;; [unrolled: 1-line block ×4, first 2 shown]
	s_waitcnt vmcnt(11)
	v_cvt_f32_f16_e32 v38, v26
	s_waitcnt vmcnt(10)
	v_cvt_f32_f16_e32 v39, v27
	;; [unrolled: 2-line block ×4, first 2 shown]
	s_and_saveexec_b32 s26, s1
	s_cbranch_execz .LBB480_14
; %bb.20:                               ;   in Loop: Header=BB480_17 Depth=1
	s_clause 0x3
	global_load_ushort v42, v[5:6], off offset:256
	global_load_ushort v43, v[7:8], off offset:256
	;; [unrolled: 1-line block ×4, first 2 shown]
	s_and_saveexec_b32 s27, s2
	s_cbranch_execz .LBB480_13
; %bb.21:                               ;   in Loop: Header=BB480_17 Depth=1
	s_clause 0x3
	global_load_ushort v5, v[5:6], off offset:384
	global_load_ushort v6, v[7:8], off offset:384
	global_load_ushort v7, v[9:10], off offset:384
	global_load_ushort v8, v[11:12], off offset:384
	s_waitcnt vmcnt(3)
	v_fma_mix_f32 v5, v38, v5, v15 op_sel_hi:[0,1,0]
	s_waitcnt vmcnt(2)
	v_fma_mix_f32 v5, v39, v6, v5 op_sel_hi:[0,1,0]
	s_waitcnt vmcnt(1)
	v_fma_mix_f32 v5, v40, v7, v5 op_sel_hi:[0,1,0]
	s_waitcnt vmcnt(0)
	v_fma_mix_f32 v15, v41, v8, v5 op_sel_hi:[0,1,0]
	s_branch .LBB480_13
.LBB480_22:
	s_or_b32 exec_lo, exec_lo, s22
.LBB480_23:
	s_or_b32 exec_lo, exec_lo, s20
	s_sub_i32 s0, s9, s6
	s_cmp_lt_i32 s0, 1
	s_cbranch_scc1 .LBB480_41
; %bb.24:
	v_cmp_gt_i32_e32 vcc_lo, s9, v20
	v_mov_b32_e32 v10, 0
	v_or_b32_e32 v2, 1, v20
	v_mov_b32_e32 v11, 0
	v_mov_b32_e32 v12, 0
	;; [unrolled: 1-line block ×3, first 2 shown]
	s_and_saveexec_b32 s1, vcc_lo
	s_cbranch_execz .LBB480_32
; %bb.25:
	v_mul_lo_u32 v3, v20, s4
	v_mov_b32_e32 v12, 0
	v_mov_b32_e32 v11, 0
	;; [unrolled: 1-line block ×3, first 2 shown]
	s_mov_b32 s2, exec_lo
	v_ashrrev_i32_e32 v4, 31, v3
	v_lshlrev_b64 v[3:4], 1, v[3:4]
	v_add_co_u32 v3, s0, s18, v3
	v_add_co_ci_u32_e64 v4, null, s19, v4, s0
	global_load_ushort v3, v[3:4], off
	v_cmpx_gt_i32_e64 s9, v2
	s_cbranch_execz .LBB480_31
; %bb.26:
	v_mul_lo_u32 v4, v2, s4
	v_mov_b32_e32 v11, 0
	v_mov_b32_e32 v10, 0
	s_mov_b32 s3, exec_lo
	v_ashrrev_i32_e32 v5, 31, v4
	v_lshlrev_b64 v[4:5], 1, v[4:5]
	v_add_co_u32 v4, s0, s18, v4
	v_add_co_ci_u32_e64 v5, null, s19, v5, s0
	global_load_ushort v4, v[4:5], off
	v_or_b32_e32 v5, 2, v20
	v_cmpx_gt_i32_e64 s9, v5
	s_cbranch_execz .LBB480_30
; %bb.27:
	v_mul_lo_u32 v5, v5, s4
	v_mov_b32_e32 v10, 0
	s_mov_b32 s6, exec_lo
	v_ashrrev_i32_e32 v6, 31, v5
	v_lshlrev_b64 v[5:6], 1, v[5:6]
	v_add_co_u32 v5, s0, s18, v5
	v_add_co_ci_u32_e64 v6, null, s19, v6, s0
	global_load_ushort v5, v[5:6], off
	v_or_b32_e32 v6, 3, v20
	v_cmpx_gt_i32_e64 s9, v6
	s_cbranch_execz .LBB480_29
; %bb.28:
	v_mul_lo_u32 v6, v6, s4
	v_ashrrev_i32_e32 v7, 31, v6
	v_lshlrev_b64 v[6:7], 1, v[6:7]
	v_add_co_u32 v6, s0, s18, v6
	v_add_co_ci_u32_e64 v7, null, s19, v7, s0
	global_load_ushort v6, v[6:7], off
	s_waitcnt vmcnt(0)
	v_cvt_f32_f16_e32 v10, v6
.LBB480_29:
	s_or_b32 exec_lo, exec_lo, s6
	s_waitcnt vmcnt(0)
	v_cvt_f32_f16_e32 v11, v5
.LBB480_30:
	s_or_b32 exec_lo, exec_lo, s3
	s_waitcnt vmcnt(0)
	v_cvt_f32_f16_e32 v12, v4
.LBB480_31:
	s_or_b32 exec_lo, exec_lo, s2
	s_waitcnt vmcnt(0)
	v_cvt_f32_f16_e32 v21, v3
.LBB480_32:
	s_or_b32 exec_lo, exec_lo, s1
	s_mov_b32 s1, exec_lo
	v_cmpx_gt_i32_e64 s8, v17
	s_cbranch_execz .LBB480_40
; %bb.33:
	v_mul_lo_u32 v3, v20, s17
	v_or_b32_e32 v4, 2, v20
	v_mul_lo_u32 v5, v2, s17
	v_or_b32_e32 v6, 3, v20
	s_mov_b32 s0, exec_lo
	v_mul_lo_u32 v7, v4, s17
	v_mul_lo_u32 v8, v6, s17
	v_cndmask_b32_e32 v3, 0, v3, vcc_lo
	v_cmp_gt_i32_e32 vcc_lo, s9, v2
	v_add_nc_u32_e32 v2, v3, v17
	v_cndmask_b32_e32 v5, 0, v5, vcc_lo
	v_cmp_gt_i32_e32 vcc_lo, s9, v4
	v_ashrrev_i32_e32 v3, 31, v2
	v_add_nc_u32_e32 v4, v5, v17
	v_cndmask_b32_e32 v7, 0, v7, vcc_lo
	v_cmp_gt_i32_e32 vcc_lo, s9, v6
	v_lshlrev_b64 v[2:3], 1, v[2:3]
	v_ashrrev_i32_e32 v5, 31, v4
	v_add_nc_u32_e32 v6, v7, v17
	v_cndmask_b32_e32 v8, 0, v8, vcc_lo
	v_lshlrev_b64 v[4:5], 1, v[4:5]
	v_ashrrev_i32_e32 v7, 31, v6
	v_add_nc_u32_e32 v8, v8, v17
	v_add_co_u32 v2, vcc_lo, s7, v2
	v_add_co_ci_u32_e64 v3, null, s16, v3, vcc_lo
	v_lshlrev_b64 v[6:7], 1, v[6:7]
	v_ashrrev_i32_e32 v9, 31, v8
	v_add_co_u32 v4, vcc_lo, s7, v4
	v_add_co_ci_u32_e64 v5, null, s16, v5, vcc_lo
	global_load_ushort v22, v[2:3], off
	v_add_co_u32 v6, vcc_lo, s7, v6
	v_add_co_ci_u32_e64 v7, null, s16, v7, vcc_lo
	v_lshlrev_b64 v[8:9], 1, v[8:9]
	s_clause 0x1
	global_load_ushort v23, v[4:5], off
	global_load_ushort v24, v[6:7], off
	v_add_co_u32 v8, vcc_lo, s7, v8
	v_add_co_ci_u32_e64 v9, null, s16, v9, vcc_lo
	global_load_ushort v20, v[8:9], off
	s_waitcnt vmcnt(3)
	v_fma_mix_f32 v19, v21, v22, v19 op_sel_hi:[0,1,0]
	v_add_nc_u32_e32 v22, 64, v17
	s_waitcnt vmcnt(2)
	v_fma_mix_f32 v19, v12, v23, v19 op_sel_hi:[0,1,0]
	s_waitcnt vmcnt(1)
	v_fma_mix_f32 v19, v11, v24, v19 op_sel_hi:[0,1,0]
	v_cmpx_gt_i32_e64 s8, v22
	s_cbranch_execz .LBB480_39
; %bb.34:
	s_clause 0x3
	global_load_ushort v23, v[2:3], off offset:128
	global_load_ushort v24, v[4:5], off offset:128
	;; [unrolled: 1-line block ×4, first 2 shown]
	s_mov_b32 s2, exec_lo
	s_waitcnt vmcnt(3)
	v_fma_mix_f32 v18, v21, v23, v18 op_sel_hi:[0,1,0]
	v_add_nc_u32_e32 v23, 0x80, v17
	s_waitcnt vmcnt(2)
	v_fma_mix_f32 v18, v12, v24, v18 op_sel_hi:[0,1,0]
	s_waitcnt vmcnt(1)
	v_fma_mix_f32 v18, v11, v25, v18 op_sel_hi:[0,1,0]
	v_cmpx_gt_i32_e64 s8, v23
	s_cbranch_execz .LBB480_38
; %bb.35:
	s_clause 0x3
	global_load_ushort v24, v[2:3], off offset:256
	global_load_ushort v25, v[4:5], off offset:256
	global_load_ushort v26, v[6:7], off offset:256
	global_load_ushort v23, v[8:9], off offset:256
	v_add_nc_u32_e32 v17, 0xc0, v17
	s_mov_b32 s3, exec_lo
	s_waitcnt vmcnt(3)
	v_fma_mix_f32 v16, v21, v24, v16 op_sel_hi:[0,1,0]
	s_waitcnt vmcnt(2)
	v_fma_mix_f32 v16, v12, v25, v16 op_sel_hi:[0,1,0]
	;; [unrolled: 2-line block ×3, first 2 shown]
	v_cmpx_gt_i32_e64 s8, v17
	s_cbranch_execz .LBB480_37
; %bb.36:
	s_clause 0x3
	global_load_ushort v2, v[2:3], off offset:384
	global_load_ushort v3, v[4:5], off offset:384
	;; [unrolled: 1-line block ×4, first 2 shown]
	s_waitcnt vmcnt(3)
	v_fma_mix_f32 v2, v21, v2, v15 op_sel_hi:[0,1,0]
	s_waitcnt vmcnt(2)
	v_fma_mix_f32 v2, v12, v3, v2 op_sel_hi:[0,1,0]
	;; [unrolled: 2-line block ×4, first 2 shown]
.LBB480_37:
	s_or_b32 exec_lo, exec_lo, s3
	s_waitcnt vmcnt(0)
	v_fma_mix_f32 v16, v10, v23, v16 op_sel_hi:[0,1,0]
.LBB480_38:
	s_or_b32 exec_lo, exec_lo, s2
	s_waitcnt vmcnt(0)
	v_fma_mix_f32 v18, v10, v22, v18 op_sel_hi:[0,1,0]
.LBB480_39:
	s_or_b32 exec_lo, exec_lo, s0
	s_waitcnt vmcnt(0)
	v_fma_mix_f32 v19, v10, v20, v19 op_sel_hi:[0,1,0]
.LBB480_40:
	s_or_b32 exec_lo, exec_lo, s1
.LBB480_41:
	v_lshlrev_b32_e32 v0, 2, v0
	s_mov_b32 s0, exec_lo
                                        ; implicit-def: $vgpr3
                                        ; implicit-def: $vgpr4_vgpr5
	v_lshl_add_u32 v1, v1, 10, v0
	ds_write2st64_b32 v1, v19, v18 offset1:1
	ds_write2st64_b32 v1, v16, v15 offset0:2 offset1:3
	s_waitcnt lgkmcnt(0)
	s_barrier
	buffer_gl0_inv
	v_cmpx_gt_u32_e32 0x100, v13
	s_cbranch_execz .LBB480_47
; %bb.42:
	v_lshl_add_u32 v6, v14, 2, v0
	s_mov_b32 s2, s14
	s_mov_b32 s1, exec_lo
	ds_read2st64_b32 v[0:1], v6 offset1:4
	ds_read2st64_b32 v[2:3], v6 offset0:8 offset1:12
	ds_read2st64_b32 v[4:5], v6 offset0:16 offset1:20
	s_waitcnt lgkmcnt(2)
	v_add_f32_e32 v7, v0, v1
	ds_read2st64_b32 v[0:1], v6 offset0:24 offset1:28
	s_waitcnt lgkmcnt(2)
	v_add_f32_e32 v2, v2, v7
	v_add_f32_e32 v7, v3, v2
	ds_read2st64_b32 v[2:3], v6 offset0:32 offset1:36
	s_waitcnt lgkmcnt(2)
	v_add_f32_e32 v4, v4, v7
	;; [unrolled: 4-line block ×3, first 2 shown]
	v_add_f32_e32 v0, v1, v0
	s_waitcnt lgkmcnt(1)
	v_add_f32_e32 v2, v2, v0
	ds_read2st64_b32 v[0:1], v6 offset0:48 offset1:52
	v_add_f32_e32 v2, v3, v2
	s_waitcnt lgkmcnt(1)
	v_add_f32_e32 v4, v4, v2
	ds_read2st64_b32 v[2:3], v6 offset0:56 offset1:60
	v_add_f32_e32 v4, v5, v4
	s_waitcnt lgkmcnt(1)
	v_add_f32_e32 v0, v0, v4
                                        ; implicit-def: $vgpr4_vgpr5
	v_add_f32_e32 v0, v1, v0
	v_or_b32_e32 v1, s5, v13
	s_waitcnt lgkmcnt(0)
	v_add_f32_e32 v0, v2, v0
	v_add_f32_e32 v0, v3, v0
                                        ; implicit-def: $vgpr3
	ds_write_b32 v6, v0
	v_cmpx_gt_i32_e64 s8, v1
	s_cbranch_execz .LBB480_46
; %bb.43:
	v_mul_lo_u32 v4, s15, v1
	v_cmp_eq_f32_e64 s2, s13, 0
	v_mul_f32_e32 v3, s10, v0
	s_and_b32 vcc_lo, exec_lo, s2
	v_ashrrev_i32_e32 v5, 31, v4
	s_cbranch_vccnz .LBB480_45
; %bb.44:
	v_lshlrev_b64 v[0:1], 2, v[4:5]
	v_add_co_u32 v0, vcc_lo, s11, v0
	v_add_co_ci_u32_e64 v1, null, s12, v1, vcc_lo
	global_load_dword v0, v[0:1], off
	s_waitcnt vmcnt(0)
	v_fmac_f32_e32 v3, s13, v0
.LBB480_45:
	s_or_b32 s2, s14, exec_lo
.LBB480_46:
	s_or_b32 exec_lo, exec_lo, s1
	s_andn2_b32 s1, s14, exec_lo
	s_and_b32 s2, s2, exec_lo
	s_or_b32 s14, s1, s2
.LBB480_47:
	s_or_b32 exec_lo, exec_lo, s0
.LBB480_48:
	s_and_saveexec_b32 s0, s14
	s_cbranch_execz .LBB480_50
; %bb.49:
	v_lshlrev_b64 v[0:1], 2, v[4:5]
	v_add_co_u32 v0, vcc_lo, s11, v0
	v_add_co_ci_u32_e64 v1, null, s12, v1, vcc_lo
	global_store_dword v[0:1], v3, off
.LBB480_50:
	s_endpgm
	.section	.rodata,"a",@progbits
	.p2align	6, 0x0
	.amdhsa_kernel _ZL20rocblas_gemvn_kernelILi64ELi16EiDF16_ffEviiT3_lPKT2_lT1_lS3_lS4_lS0_lPT4_lS4_li
		.amdhsa_group_segment_fixed_size 16384
		.amdhsa_private_segment_fixed_size 0
		.amdhsa_kernarg_size 400
		.amdhsa_user_sgpr_count 6
		.amdhsa_user_sgpr_private_segment_buffer 1
		.amdhsa_user_sgpr_dispatch_ptr 0
		.amdhsa_user_sgpr_queue_ptr 0
		.amdhsa_user_sgpr_kernarg_segment_ptr 1
		.amdhsa_user_sgpr_dispatch_id 0
		.amdhsa_user_sgpr_flat_scratch_init 0
		.amdhsa_user_sgpr_private_segment_size 0
		.amdhsa_wavefront_size32 1
		.amdhsa_uses_dynamic_stack 0
		.amdhsa_system_sgpr_private_segment_wavefront_offset 0
		.amdhsa_system_sgpr_workgroup_id_x 1
		.amdhsa_system_sgpr_workgroup_id_y 0
		.amdhsa_system_sgpr_workgroup_id_z 1
		.amdhsa_system_sgpr_workgroup_info 0
		.amdhsa_system_vgpr_workitem_id 1
		.amdhsa_next_free_vgpr 46
		.amdhsa_next_free_sgpr 28
		.amdhsa_reserve_vcc 1
		.amdhsa_reserve_flat_scratch 0
		.amdhsa_float_round_mode_32 0
		.amdhsa_float_round_mode_16_64 0
		.amdhsa_float_denorm_mode_32 3
		.amdhsa_float_denorm_mode_16_64 3
		.amdhsa_dx10_clamp 1
		.amdhsa_ieee_mode 1
		.amdhsa_fp16_overflow 0
		.amdhsa_workgroup_processor_mode 1
		.amdhsa_memory_ordered 1
		.amdhsa_forward_progress 1
		.amdhsa_shared_vgpr_count 0
		.amdhsa_exception_fp_ieee_invalid_op 0
		.amdhsa_exception_fp_denorm_src 0
		.amdhsa_exception_fp_ieee_div_zero 0
		.amdhsa_exception_fp_ieee_overflow 0
		.amdhsa_exception_fp_ieee_underflow 0
		.amdhsa_exception_fp_ieee_inexact 0
		.amdhsa_exception_int_div_zero 0
	.end_amdhsa_kernel
	.section	.text._ZL20rocblas_gemvn_kernelILi64ELi16EiDF16_ffEviiT3_lPKT2_lT1_lS3_lS4_lS0_lPT4_lS4_li,"axG",@progbits,_ZL20rocblas_gemvn_kernelILi64ELi16EiDF16_ffEviiT3_lPKT2_lT1_lS3_lS4_lS0_lPT4_lS4_li,comdat
.Lfunc_end480:
	.size	_ZL20rocblas_gemvn_kernelILi64ELi16EiDF16_ffEviiT3_lPKT2_lT1_lS3_lS4_lS0_lPT4_lS4_li, .Lfunc_end480-_ZL20rocblas_gemvn_kernelILi64ELi16EiDF16_ffEviiT3_lPKT2_lT1_lS3_lS4_lS0_lPT4_lS4_li
                                        ; -- End function
	.set _ZL20rocblas_gemvn_kernelILi64ELi16EiDF16_ffEviiT3_lPKT2_lT1_lS3_lS4_lS0_lPT4_lS4_li.num_vgpr, 46
	.set _ZL20rocblas_gemvn_kernelILi64ELi16EiDF16_ffEviiT3_lPKT2_lT1_lS3_lS4_lS0_lPT4_lS4_li.num_agpr, 0
	.set _ZL20rocblas_gemvn_kernelILi64ELi16EiDF16_ffEviiT3_lPKT2_lT1_lS3_lS4_lS0_lPT4_lS4_li.numbered_sgpr, 28
	.set _ZL20rocblas_gemvn_kernelILi64ELi16EiDF16_ffEviiT3_lPKT2_lT1_lS3_lS4_lS0_lPT4_lS4_li.num_named_barrier, 0
	.set _ZL20rocblas_gemvn_kernelILi64ELi16EiDF16_ffEviiT3_lPKT2_lT1_lS3_lS4_lS0_lPT4_lS4_li.private_seg_size, 0
	.set _ZL20rocblas_gemvn_kernelILi64ELi16EiDF16_ffEviiT3_lPKT2_lT1_lS3_lS4_lS0_lPT4_lS4_li.uses_vcc, 1
	.set _ZL20rocblas_gemvn_kernelILi64ELi16EiDF16_ffEviiT3_lPKT2_lT1_lS3_lS4_lS0_lPT4_lS4_li.uses_flat_scratch, 0
	.set _ZL20rocblas_gemvn_kernelILi64ELi16EiDF16_ffEviiT3_lPKT2_lT1_lS3_lS4_lS0_lPT4_lS4_li.has_dyn_sized_stack, 0
	.set _ZL20rocblas_gemvn_kernelILi64ELi16EiDF16_ffEviiT3_lPKT2_lT1_lS3_lS4_lS0_lPT4_lS4_li.has_recursion, 0
	.set _ZL20rocblas_gemvn_kernelILi64ELi16EiDF16_ffEviiT3_lPKT2_lT1_lS3_lS4_lS0_lPT4_lS4_li.has_indirect_call, 0
	.section	.AMDGPU.csdata,"",@progbits
; Kernel info:
; codeLenInByte = 2904
; TotalNumSgprs: 30
; NumVgprs: 46
; ScratchSize: 0
; MemoryBound: 0
; FloatMode: 240
; IeeeMode: 1
; LDSByteSize: 16384 bytes/workgroup (compile time only)
; SGPRBlocks: 0
; VGPRBlocks: 5
; NumSGPRsForWavesPerEU: 30
; NumVGPRsForWavesPerEU: 46
; Occupancy: 16
; WaveLimiterHint : 1
; COMPUTE_PGM_RSRC2:SCRATCH_EN: 0
; COMPUTE_PGM_RSRC2:USER_SGPR: 6
; COMPUTE_PGM_RSRC2:TRAP_HANDLER: 0
; COMPUTE_PGM_RSRC2:TGID_X_EN: 1
; COMPUTE_PGM_RSRC2:TGID_Y_EN: 0
; COMPUTE_PGM_RSRC2:TGID_Z_EN: 1
; COMPUTE_PGM_RSRC2:TIDIG_COMP_CNT: 1
	.section	.text._ZL20rocblas_gemvn_kernelILi64ELi16ElDF16_ffEviiT3_lPKT2_lT1_lS3_lS4_lS0_lPT4_lS4_li,"axG",@progbits,_ZL20rocblas_gemvn_kernelILi64ELi16ElDF16_ffEviiT3_lPKT2_lT1_lS3_lS4_lS0_lPT4_lS4_li,comdat
	.globl	_ZL20rocblas_gemvn_kernelILi64ELi16ElDF16_ffEviiT3_lPKT2_lT1_lS3_lS4_lS0_lPT4_lS4_li ; -- Begin function _ZL20rocblas_gemvn_kernelILi64ELi16ElDF16_ffEviiT3_lPKT2_lT1_lS3_lS4_lS0_lPT4_lS4_li
	.p2align	8
	.type	_ZL20rocblas_gemvn_kernelILi64ELi16ElDF16_ffEviiT3_lPKT2_lT1_lS3_lS4_lS0_lPT4_lS4_li,@function
_ZL20rocblas_gemvn_kernelILi64ELi16ElDF16_ffEviiT3_lPKT2_lT1_lS3_lS4_lS0_lPT4_lS4_li: ; @_ZL20rocblas_gemvn_kernelILi64ELi16ElDF16_ffEviiT3_lPKT2_lT1_lS3_lS4_lS0_lPT4_lS4_li
; %bb.0:
	s_load_dwordx2 s[0:1], s[4:5], 0x9c
	s_waitcnt lgkmcnt(0)
	s_lshr_b32 s2, s0, 16
	s_and_b32 s0, s0, 0xffff
	s_and_b32 s1, s1, 0xffff
	s_mul_i32 s0, s2, s0
	s_mul_i32 s0, s0, s1
	s_cmpk_lg_i32 s0, 0x400
	s_cbranch_scc1 .LBB481_50
; %bb.1:
	s_clause 0x1
	s_load_dwordx4 s[28:31], s[4:5], 0x0
	s_load_dword s36, s[4:5], 0x58
	s_mov_b32 s37, 0
	s_waitcnt lgkmcnt(0)
	v_cmp_eq_f32_e64 s0, s30, 0
	v_cmp_eq_f32_e64 s1, s36, 1.0
	s_and_b32 s0, s0, s1
	s_and_b32 vcc_lo, exec_lo, s0
	s_cbranch_vccnz .LBB481_50
; %bb.2:
	s_load_dwordx8 s[20:27], s[4:5], 0x68
	v_lshlrev_b32_e32 v14, 6, v1
	v_add_nc_u32_e32 v13, v14, v0
	s_waitcnt lgkmcnt(0)
	s_mul_i32 s1, s27, s7
	s_mul_hi_u32 s2, s26, s7
	s_mul_i32 s0, s26, s7
	s_add_i32 s1, s2, s1
	v_cmp_neq_f32_e64 s2, s30, 0
	s_lshl_b64 s[0:1], s[0:1], 2
	s_add_u32 s3, s20, s0
	s_addc_u32 s8, s21, s1
	s_lshl_b64 s[0:1], s[22:23], 2
	s_add_u32 s31, s3, s0
	v_cmp_gt_u32_e64 s0, 0x100, v13
	s_addc_u32 s33, s8, s1
	s_and_b32 vcc_lo, exec_lo, s2
	s_cbranch_vccnz .LBB481_9
; %bb.3:
	s_mov_b32 s1, 0
                                        ; implicit-def: $vgpr3
                                        ; implicit-def: $vgpr4_vgpr5
	s_and_saveexec_b32 s2, s0
	s_cbranch_execz .LBB481_10
; %bb.4:
	v_lshl_or_b32 v2, s6, 8, v13
	v_mov_b32_e32 v3, 0
	s_ashr_i32 s9, s28, 31
	s_mov_b32 s8, s28
	s_mov_b32 s3, 0
	s_mov_b32 s0, exec_lo
                                        ; implicit-def: $vgpr4_vgpr5
	v_cmpx_gt_i64_e64 s[8:9], v[2:3]
	s_cbranch_execz .LBB481_8
; %bb.5:
	v_mad_u64_u32 v[4:5], null, s24, v2, 0
	v_cmp_eq_f32_e64 s3, s36, 0
	s_and_b32 vcc_lo, exec_lo, s3
	v_mad_u64_u32 v[5:6], null, s25, v2, v[5:6]
	s_cbranch_vccnz .LBB481_7
; %bb.6:
	v_lshlrev_b64 v[2:3], 2, v[4:5]
	v_add_co_u32 v2, vcc_lo, s31, v2
	v_add_co_ci_u32_e64 v3, null, s33, v3, vcc_lo
	global_load_dword v2, v[2:3], off
	s_waitcnt vmcnt(0)
	v_mul_f32_e32 v3, s36, v2
.LBB481_7:
	s_mov_b32 s3, exec_lo
.LBB481_8:
	s_or_b32 exec_lo, exec_lo, s0
	s_and_b32 s37, s3, exec_lo
	s_or_b32 exec_lo, exec_lo, s2
	s_and_b32 vcc_lo, exec_lo, s1
	s_cbranch_vccnz .LBB481_11
	s_branch .LBB481_48
.LBB481_9:
                                        ; implicit-def: $vgpr3
                                        ; implicit-def: $vgpr4_vgpr5
	s_cbranch_execnz .LBB481_11
	s_branch .LBB481_48
.LBB481_10:
	s_or_b32 exec_lo, exec_lo, s2
	s_and_b32 vcc_lo, exec_lo, s1
	s_cbranch_vccz .LBB481_48
.LBB481_11:
	s_load_dwordx16 s[8:23], s[4:5], 0x18
	s_ashr_i32 s0, s29, 31
	s_lshl_b32 s5, s6, 8
	s_lshr_b32 s0, s0, 26
	v_lshlrev_b32_e32 v15, 2, v1
	v_mov_b32_e32 v19, 0
	v_mov_b32_e32 v18, 0
	;; [unrolled: 1-line block ×4, first 2 shown]
	v_add_nc_u32_e32 v2, s5, v0
	s_add_i32 s38, s29, s0
	s_mov_b32 s39, exec_lo
	s_andn2_b32 s38, s38, 63
	s_waitcnt lgkmcnt(0)
	s_mul_i32 s0, s15, s7
	s_mul_hi_u32 s1, s14, s7
	s_mul_i32 s2, s23, s7
	s_mul_hi_u32 s3, s22, s7
	s_mul_i32 s14, s14, s7
	s_add_i32 s15, s1, s0
	s_add_i32 s23, s3, s2
	s_mul_i32 s22, s22, s7
	v_cmpx_gt_i32_e64 s38, v15
	s_cbranch_execz .LBB481_23
; %bb.12:
	v_lshlrev_b32_e32 v30, 2, v1
	v_mad_u64_u32 v[4:5], null, s20, v1, 0
	v_add_nc_u32_e32 v11, 64, v2
	v_add_nc_u32_e32 v12, 0x80, v2
	v_or_b32_e32 v16, 3, v30
	s_lshl_b64 s[0:1], s[22:23], 1
	s_lshl_b64 s[6:7], s[18:19], 1
	s_add_u32 s4, s16, s0
	s_addc_u32 s42, s17, s1
	v_mad_u64_u32 v[6:7], null, s12, v16, 0
	v_cmp_gt_i32_e64 s0, s28, v11
	v_cmp_gt_i32_e64 s1, s28, v12
	v_add_nc_u32_e32 v17, 0xc0, v2
	v_or_b32_e32 v24, 2, v30
	s_lshl_b64 s[34:35], s[10:11], 1
	s_lshl_b64 s[26:27], s[20:21], 7
	v_mad_u64_u32 v[8:9], null, s21, v1, v[5:6]
	v_mad_u64_u32 v[9:10], null, s20, v16, 0
	v_cmp_gt_i32_e64 s2, s28, v17
	s_lshl_b64 s[40:41], s[14:15], 1
	v_mad_u64_u32 v[28:29], null, s20, v24, 0
	v_mov_b32_e32 v5, v8
	v_mad_u64_u32 v[7:8], null, s13, v16, v[7:8]
	v_mad_u64_u32 v[32:33], null, s12, v30, s[12:13]
	v_lshlrev_b64 v[11:12], 3, v[4:5]
	v_mov_b32_e32 v5, v10
	v_mov_b32_e32 v8, v29
	v_ashrrev_i32_e32 v3, 31, v2
	v_lshlrev_b64 v[6:7], 1, v[6:7]
	v_cmp_gt_i32_e32 vcc_lo, s28, v2
	v_add_co_u32 v20, s3, s4, v11
	v_add_co_ci_u32_e64 v21, null, s42, v12, s3
	v_mad_u64_u32 v[16:17], null, s21, v16, v[5:6]
	v_mad_u64_u32 v[11:12], null, s12, v1, 0
	s_add_u32 s3, s8, s34
	s_addc_u32 s34, s9, s35
	s_add_u32 s35, s3, s40
	s_addc_u32 s34, s34, s41
	v_mov_b32_e32 v10, v16
	v_mad_u64_u32 v[16:17], null, s12, v24, 0
	v_mov_b32_e32 v5, v12
	v_add_co_u32 v22, s3, s35, v6
	v_add_co_ci_u32_e64 v23, null, s34, v7, s3
	v_mad_u64_u32 v[18:19], null, s13, v1, v[5:6]
	v_lshlrev_b64 v[6:7], 1, v[9:10]
	v_mov_b32_e32 v5, v17
	v_lshlrev_b64 v[3:4], 1, v[2:3]
	s_mov_b32 s40, 0
	v_mad_u64_u32 v[9:10], null, s13, v24, v[5:6]
	v_mov_b32_e32 v12, v18
	v_mad_u64_u32 v[18:19], null, s20, v30, s[20:21]
	v_mad_u64_u32 v[26:27], null, s21, v24, v[8:9]
	v_add_co_u32 v24, s3, s4, v6
	v_add_co_ci_u32_e64 v25, null, s42, v7, s3
	v_lshlrev_b64 v[6:7], 3, v[11:12]
	v_mov_b32_e32 v5, v19
	v_mov_b32_e32 v17, v9
	v_mov_b32_e32 v29, v26
	v_add_co_u32 v26, s3, s35, v6
	v_mad_u64_u32 v[8:9], null, s21, v30, v[5:6]
	v_add_co_ci_u32_e64 v27, null, s34, v7, s3
	v_lshlrev_b64 v[6:7], 1, v[16:17]
	v_mov_b32_e32 v5, v33
	v_mov_b32_e32 v17, 0
	;; [unrolled: 1-line block ×4, first 2 shown]
	v_mad_u64_u32 v[9:10], null, s13, v30, v[5:6]
	v_lshlrev_b64 v[10:11], 1, v[28:29]
	v_add_co_u32 v28, s3, s35, v6
	v_lshlrev_b64 v[5:6], 1, v[18:19]
	v_add_co_ci_u32_e64 v29, null, s34, v7, s3
	v_mov_b32_e32 v33, v9
	v_add_co_u32 v30, s3, s4, v10
	v_add_co_ci_u32_e64 v31, null, s42, v11, s3
	v_lshlrev_b64 v[7:8], 1, v[32:33]
	v_add_co_u32 v32, s3, s4, v5
	v_add_co_ci_u32_e64 v33, null, s42, v6, s3
	v_mov_b32_e32 v19, 0
	v_add_co_u32 v34, s3, s35, v7
	v_add_co_ci_u32_e64 v35, null, s34, v8, s3
	v_mov_b32_e32 v18, 0
	s_lshl_b64 s[34:35], s[12:13], 7
	s_branch .LBB481_17
.LBB481_13:                             ;   in Loop: Header=BB481_17 Depth=1
	s_or_b32 exec_lo, exec_lo, s42
	s_waitcnt vmcnt(3)
	v_fma_mix_f32 v5, v48, v52, v17 op_sel_hi:[0,1,0]
	s_waitcnt vmcnt(2)
	v_fma_mix_f32 v5, v49, v53, v5 op_sel_hi:[0,1,0]
	;; [unrolled: 2-line block ×4, first 2 shown]
.LBB481_14:                             ;   in Loop: Header=BB481_17 Depth=1
	s_or_b32 exec_lo, exec_lo, s41
	s_waitcnt vmcnt(3)
	v_fma_mix_f32 v5, v48, v44, v18 op_sel_hi:[0,1,0]
	s_waitcnt vmcnt(2)
	v_fma_mix_f32 v5, v49, v45, v5 op_sel_hi:[0,1,0]
	;; [unrolled: 2-line block ×4, first 2 shown]
.LBB481_15:                             ;   in Loop: Header=BB481_17 Depth=1
	s_or_b32 exec_lo, exec_lo, s3
	s_waitcnt vmcnt(3)
	v_fma_mix_f32 v5, v36, v40, v19 op_sel_hi:[1,1,0]
	s_waitcnt vmcnt(2)
	v_fma_mix_f32 v5, v37, v41, v5 op_sel_hi:[1,1,0]
	;; [unrolled: 2-line block ×4, first 2 shown]
.LBB481_16:                             ;   in Loop: Header=BB481_17 Depth=1
	s_or_b32 exec_lo, exec_lo, s4
	v_add_co_u32 v20, s3, v20, s26
	v_add_co_ci_u32_e64 v21, null, s27, v21, s3
	v_add_co_u32 v22, s3, v22, s34
	v_add_co_ci_u32_e64 v23, null, s35, v23, s3
	;; [unrolled: 2-line block ×4, first 2 shown]
	v_add_co_u32 v28, s3, v28, s34
	v_add_nc_u32_e32 v15, 64, v15
	v_add_co_ci_u32_e64 v29, null, s35, v29, s3
	v_add_co_u32 v30, s3, v30, s26
	v_add_co_ci_u32_e64 v31, null, s27, v31, s3
	v_add_co_u32 v32, s3, v32, s26
	v_add_co_ci_u32_e64 v33, null, s27, v33, s3
	v_cmp_le_i32_e64 s3, s38, v15
	v_add_co_u32 v34, s4, v34, s34
	v_add_co_ci_u32_e64 v35, null, s35, v35, s4
	s_or_b32 s40, s3, s40
	s_andn2_b32 exec_lo, exec_lo, s40
	s_cbranch_execz .LBB481_22
.LBB481_17:                             ; =>This Inner Loop Header: Depth=1
	s_and_saveexec_b32 s4, vcc_lo
	s_cbranch_execz .LBB481_16
; %bb.18:                               ;   in Loop: Header=BB481_17 Depth=1
	v_add_co_u32 v5, s3, v20, s6
	v_add_co_ci_u32_e64 v6, null, s7, v21, s3
	v_add_co_u32 v7, s3, v32, s6
	v_add_co_ci_u32_e64 v8, null, s7, v33, s3
	v_add_co_u32 v9, s3, v30, s6
	v_add_co_ci_u32_e64 v10, null, s7, v31, s3
	v_add_co_u32 v39, s3, v24, s6
	global_load_ushort v36, v[5:6], off
	global_load_ushort v37, v[7:8], off
	global_load_ushort v38, v[9:10], off
	v_add_co_ci_u32_e64 v40, null, s7, v25, s3
	v_add_co_u32 v5, s3, v26, v3
	v_add_co_ci_u32_e64 v6, null, v27, v4, s3
	v_add_co_u32 v7, s3, v34, v3
	;; [unrolled: 2-line block ×4, first 2 shown]
	v_add_co_ci_u32_e64 v12, null, v23, v4, s3
	global_load_ushort v39, v[39:40], off
	global_load_ushort v40, v[5:6], off
	;; [unrolled: 1-line block ×5, first 2 shown]
	s_and_saveexec_b32 s3, s0
	s_cbranch_execz .LBB481_15
; %bb.19:                               ;   in Loop: Header=BB481_17 Depth=1
	global_load_ushort v44, v[5:6], off offset:128
	global_load_ushort v45, v[7:8], off offset:128
	;; [unrolled: 1-line block ×4, first 2 shown]
	s_waitcnt vmcnt(11)
	v_cvt_f32_f16_e32 v48, v36
	s_waitcnt vmcnt(10)
	v_cvt_f32_f16_e32 v49, v37
	;; [unrolled: 2-line block ×4, first 2 shown]
	s_and_saveexec_b32 s41, s1
	s_cbranch_execz .LBB481_14
; %bb.20:                               ;   in Loop: Header=BB481_17 Depth=1
	global_load_ushort v52, v[5:6], off offset:256
	global_load_ushort v53, v[7:8], off offset:256
	;; [unrolled: 1-line block ×4, first 2 shown]
	s_and_saveexec_b32 s42, s2
	s_cbranch_execz .LBB481_13
; %bb.21:                               ;   in Loop: Header=BB481_17 Depth=1
	global_load_ushort v5, v[5:6], off offset:384
	global_load_ushort v6, v[7:8], off offset:384
	;; [unrolled: 1-line block ×4, first 2 shown]
	s_waitcnt vmcnt(3)
	v_fma_mix_f32 v5, v48, v5, v16 op_sel_hi:[0,1,0]
	s_waitcnt vmcnt(2)
	v_fma_mix_f32 v5, v49, v6, v5 op_sel_hi:[0,1,0]
	;; [unrolled: 2-line block ×4, first 2 shown]
	s_branch .LBB481_13
.LBB481_22:
	s_or_b32 exec_lo, exec_lo, s40
.LBB481_23:
	s_or_b32 exec_lo, exec_lo, s39
	s_sub_i32 s0, s29, s38
	s_cmp_lt_i32 s0, 1
	s_cbranch_scc1 .LBB481_41
; %bb.24:
	v_cmp_gt_i32_e32 vcc_lo, s29, v15
	v_mov_b32_e32 v11, 0
	v_or_b32_e32 v4, 1, v15
	v_mov_b32_e32 v12, 0
	v_mov_b32_e32 v20, 0
	;; [unrolled: 1-line block ×3, first 2 shown]
	s_and_saveexec_b32 s1, vcc_lo
	s_cbranch_execz .LBB481_32
; %bb.25:
	v_mad_u64_u32 v[5:6], null, s20, v15, 0
	s_lshl_b64 s[2:3], s[22:23], 1
	v_mov_b32_e32 v20, 0
	s_add_u32 s0, s16, s2
	s_addc_u32 s2, s17, s3
	s_lshl_b64 s[6:7], s[18:19], 1
	v_mov_b32_e32 v12, 0
	v_mov_b32_e32 v3, v6
	s_add_u32 s3, s0, s6
	s_addc_u32 s4, s2, s7
	v_mov_b32_e32 v11, 0
	s_mov_b32 s2, exec_lo
	v_mad_u64_u32 v[6:7], null, s21, v15, v[3:4]
	v_lshlrev_b64 v[5:6], 1, v[5:6]
	v_add_co_u32 v5, s0, s3, v5
	v_add_co_ci_u32_e64 v6, null, s4, v6, s0
	global_load_ushort v3, v[5:6], off
	v_cmpx_gt_i32_e64 s29, v4
	s_cbranch_execz .LBB481_31
; %bb.26:
	v_mad_u64_u32 v[5:6], null, s20, v4, 0
	v_mov_b32_e32 v12, 0
	v_mov_b32_e32 v11, 0
	s_mov_b32 s6, exec_lo
	v_mad_u64_u32 v[6:7], null, s21, v4, v[6:7]
	v_lshlrev_b64 v[5:6], 1, v[5:6]
	v_add_co_u32 v5, s0, s3, v5
	v_add_co_ci_u32_e64 v6, null, s4, v6, s0
	global_load_ushort v5, v[5:6], off
	v_or_b32_e32 v6, 2, v15
	v_cmpx_gt_i32_e64 s29, v6
	s_cbranch_execz .LBB481_30
; %bb.27:
	v_mad_u64_u32 v[7:8], null, s20, v6, 0
	v_mov_b32_e32 v11, 0
	s_mov_b32 s7, exec_lo
	v_mad_u64_u32 v[8:9], null, s21, v6, v[8:9]
	v_lshlrev_b64 v[6:7], 1, v[7:8]
	v_add_co_u32 v6, s0, s3, v6
	v_add_co_ci_u32_e64 v7, null, s4, v7, s0
	global_load_ushort v6, v[6:7], off
	v_or_b32_e32 v7, 3, v15
	v_cmpx_gt_i32_e64 s29, v7
	s_cbranch_execz .LBB481_29
; %bb.28:
	v_mad_u64_u32 v[8:9], null, s20, v7, 0
	v_mad_u64_u32 v[9:10], null, s21, v7, v[9:10]
	v_lshlrev_b64 v[7:8], 1, v[8:9]
	v_add_co_u32 v7, s0, s3, v7
	v_add_co_ci_u32_e64 v8, null, s4, v8, s0
	global_load_ushort v7, v[7:8], off
	s_waitcnt vmcnt(0)
	v_cvt_f32_f16_e32 v11, v7
.LBB481_29:
	s_or_b32 exec_lo, exec_lo, s7
	s_waitcnt vmcnt(0)
	v_cvt_f32_f16_e32 v12, v6
.LBB481_30:
	s_or_b32 exec_lo, exec_lo, s6
	s_waitcnt vmcnt(0)
	v_cvt_f32_f16_e32 v20, v5
.LBB481_31:
	s_or_b32 exec_lo, exec_lo, s2
	s_waitcnt vmcnt(0)
	v_cvt_f32_f16_e32 v21, v3
.LBB481_32:
	s_or_b32 exec_lo, exec_lo, s1
	s_mov_b32 s1, exec_lo
	v_cmpx_gt_i32_e64 s28, v2
	s_cbranch_execz .LBB481_40
; %bb.33:
	v_mad_u64_u32 v[5:6], null, s12, v15, 0
	v_mad_u64_u32 v[7:8], null, s12, v4, 0
	v_ashrrev_i32_e32 v3, 31, v2
	v_or_b32_e32 v29, 2, v15
	s_lshl_b64 s[2:3], s[14:15], 1
	s_add_u32 s0, s8, s2
	v_lshlrev_b64 v[22:23], 1, v[2:3]
	v_mad_u64_u32 v[9:10], null, s13, v15, v[6:7]
	v_mov_b32_e32 v3, v8
	v_cndmask_b32_e32 v5, 0, v5, vcc_lo
	v_or_b32_e32 v15, 3, v15
	v_mad_u64_u32 v[24:25], null, s12, v29, 0
	v_mad_u64_u32 v[26:27], null, s13, v4, v[3:4]
	v_cndmask_b32_e32 v6, 0, v9, vcc_lo
	v_cmp_gt_i32_e32 vcc_lo, s29, v4
	s_addc_u32 s4, s9, s3
	s_lshl_b64 s[2:3], s[10:11], 1
	v_mad_u64_u32 v[8:9], null, s12, v15, 0
	v_lshlrev_b64 v[5:6], 1, v[5:6]
	v_cndmask_b32_e32 v27, 0, v7, vcc_lo
	v_cndmask_b32_e32 v28, 0, v26, vcc_lo
	s_add_u32 s2, s0, s2
	v_mov_b32_e32 v7, v25
	s_addc_u32 s3, s4, s3
	v_add_co_u32 v3, s0, s2, v5
	v_add_co_ci_u32_e64 v4, null, s3, v6, s0
	v_lshlrev_b64 v[5:6], 1, v[27:28]
	v_mad_u64_u32 v[25:26], null, s13, v29, v[7:8]
	v_add_co_u32 v3, vcc_lo, v3, v22
	v_add_co_ci_u32_e64 v4, null, v4, v23, vcc_lo
	v_cmp_gt_i32_e32 vcc_lo, s29, v29
	v_mov_b32_e32 v7, v9
	v_add_co_u32 v5, s0, s2, v5
	v_add_co_ci_u32_e64 v6, null, s3, v6, s0
	v_cndmask_b32_e32 v9, 0, v24, vcc_lo
	v_cndmask_b32_e32 v10, 0, v25, vcc_lo
	v_mad_u64_u32 v[24:25], null, s13, v15, v[7:8]
	v_add_co_u32 v5, vcc_lo, v5, v22
	v_add_co_ci_u32_e64 v6, null, v6, v23, vcc_lo
	v_cmp_gt_i32_e32 vcc_lo, s29, v15
	v_lshlrev_b64 v[9:10], 1, v[9:10]
	s_clause 0x1
	global_load_ushort v25, v[3:4], off
	global_load_ushort v26, v[5:6], off
	s_mov_b32 s0, exec_lo
	v_cndmask_b32_e32 v7, 0, v8, vcc_lo
	v_cndmask_b32_e32 v8, 0, v24, vcc_lo
	v_add_co_u32 v15, vcc_lo, s2, v9
	v_add_co_ci_u32_e64 v24, null, s3, v10, vcc_lo
	v_lshlrev_b64 v[9:10], 1, v[7:8]
	v_add_co_u32 v7, vcc_lo, v15, v22
	v_add_co_ci_u32_e64 v8, null, v24, v23, vcc_lo
	v_add_co_u32 v9, vcc_lo, s2, v9
	v_add_co_ci_u32_e64 v10, null, s3, v10, vcc_lo
	global_load_ushort v24, v[7:8], off
	v_add_co_u32 v9, vcc_lo, v9, v22
	v_add_co_ci_u32_e64 v10, null, v10, v23, vcc_lo
	v_add_nc_u32_e32 v22, 64, v2
	global_load_ushort v15, v[9:10], off
	s_waitcnt vmcnt(3)
	v_fma_mix_f32 v19, v21, v25, v19 op_sel_hi:[0,1,0]
	s_waitcnt vmcnt(2)
	v_fma_mix_f32 v19, v20, v26, v19 op_sel_hi:[0,1,0]
	;; [unrolled: 2-line block ×3, first 2 shown]
	v_cmpx_gt_i32_e64 s28, v22
	s_cbranch_execz .LBB481_39
; %bb.34:
	s_clause 0x3
	global_load_ushort v23, v[3:4], off offset:128
	global_load_ushort v24, v[5:6], off offset:128
	;; [unrolled: 1-line block ×4, first 2 shown]
	s_mov_b32 s2, exec_lo
	s_waitcnt vmcnt(3)
	v_fma_mix_f32 v18, v21, v23, v18 op_sel_hi:[0,1,0]
	v_add_nc_u32_e32 v23, 0x80, v2
	s_waitcnt vmcnt(2)
	v_fma_mix_f32 v18, v20, v24, v18 op_sel_hi:[0,1,0]
	s_waitcnt vmcnt(1)
	v_fma_mix_f32 v18, v12, v25, v18 op_sel_hi:[0,1,0]
	v_cmpx_gt_i32_e64 s28, v23
	s_cbranch_execz .LBB481_38
; %bb.35:
	s_clause 0x3
	global_load_ushort v24, v[3:4], off offset:256
	global_load_ushort v25, v[5:6], off offset:256
	;; [unrolled: 1-line block ×4, first 2 shown]
	s_mov_b32 s3, exec_lo
	s_waitcnt vmcnt(3)
	v_fma_mix_f32 v17, v21, v24, v17 op_sel_hi:[0,1,0]
	v_add_nc_u32_e32 v24, 0xc0, v2
	s_waitcnt vmcnt(2)
	v_fma_mix_f32 v17, v20, v25, v17 op_sel_hi:[0,1,0]
	s_waitcnt vmcnt(1)
	v_fma_mix_f32 v2, v12, v26, v17 op_sel_hi:[0,1,0]
	v_cmpx_gt_i32_e64 s28, v24
	s_cbranch_execz .LBB481_37
; %bb.36:
	s_clause 0x3
	global_load_ushort v3, v[3:4], off offset:384
	global_load_ushort v4, v[5:6], off offset:384
	;; [unrolled: 1-line block ×4, first 2 shown]
	s_waitcnt vmcnt(3)
	v_fma_mix_f32 v3, v21, v3, v16 op_sel_hi:[0,1,0]
	s_waitcnt vmcnt(2)
	v_fma_mix_f32 v3, v20, v4, v3 op_sel_hi:[0,1,0]
	;; [unrolled: 2-line block ×4, first 2 shown]
.LBB481_37:
	s_or_b32 exec_lo, exec_lo, s3
	s_waitcnt vmcnt(0)
	v_fma_mix_f32 v17, v11, v23, v2 op_sel_hi:[0,1,0]
.LBB481_38:
	s_or_b32 exec_lo, exec_lo, s2
	s_waitcnt vmcnt(0)
	v_fma_mix_f32 v18, v11, v22, v18 op_sel_hi:[0,1,0]
.LBB481_39:
	s_or_b32 exec_lo, exec_lo, s0
	s_waitcnt vmcnt(0)
	v_fma_mix_f32 v19, v11, v15, v19 op_sel_hi:[0,1,0]
.LBB481_40:
	s_or_b32 exec_lo, exec_lo, s1
.LBB481_41:
	v_lshlrev_b32_e32 v0, 2, v0
	s_mov_b32 s0, exec_lo
                                        ; implicit-def: $vgpr3
                                        ; implicit-def: $vgpr4_vgpr5
	v_lshl_add_u32 v1, v1, 10, v0
	ds_write2st64_b32 v1, v19, v18 offset1:1
	ds_write2st64_b32 v1, v17, v16 offset0:2 offset1:3
	s_waitcnt lgkmcnt(0)
	s_barrier
	buffer_gl0_inv
	v_cmpx_gt_u32_e32 0x100, v13
	s_cbranch_execz .LBB481_47
; %bb.42:
	v_lshl_add_u32 v6, v14, 2, v0
	s_mov_b32 s2, s37
	s_mov_b32 s1, exec_lo
	ds_read2st64_b32 v[0:1], v6 offset1:4
	ds_read2st64_b32 v[2:3], v6 offset0:8 offset1:12
	ds_read2st64_b32 v[4:5], v6 offset0:16 offset1:20
	s_waitcnt lgkmcnt(2)
	v_add_f32_e32 v7, v0, v1
	ds_read2st64_b32 v[0:1], v6 offset0:24 offset1:28
	s_waitcnt lgkmcnt(2)
	v_add_f32_e32 v2, v2, v7
	v_add_f32_e32 v7, v3, v2
	ds_read2st64_b32 v[2:3], v6 offset0:32 offset1:36
	s_waitcnt lgkmcnt(2)
	v_add_f32_e32 v4, v4, v7
	;; [unrolled: 4-line block ×3, first 2 shown]
	v_add_f32_e32 v0, v1, v0
	s_waitcnt lgkmcnt(1)
	v_add_f32_e32 v2, v2, v0
	ds_read2st64_b32 v[0:1], v6 offset0:48 offset1:52
	v_add_f32_e32 v2, v3, v2
	s_waitcnt lgkmcnt(1)
	v_add_f32_e32 v4, v4, v2
	ds_read2st64_b32 v[2:3], v6 offset0:56 offset1:60
	v_add_f32_e32 v4, v5, v4
	s_waitcnt lgkmcnt(1)
	v_add_f32_e32 v0, v0, v4
                                        ; implicit-def: $vgpr4_vgpr5
	v_add_f32_e32 v0, v1, v0
	v_or_b32_e32 v1, s5, v13
	s_waitcnt lgkmcnt(0)
	v_add_f32_e32 v0, v2, v0
	v_add_f32_e32 v0, v3, v0
                                        ; implicit-def: $vgpr3
	ds_write_b32 v6, v0
	v_cmpx_gt_i32_e64 s28, v1
	s_cbranch_execz .LBB481_46
; %bb.43:
	v_ashrrev_i32_e32 v2, 31, v1
	v_mul_lo_u32 v6, s25, v1
	v_mad_u64_u32 v[4:5], null, s24, v1, 0
	v_cmp_eq_f32_e64 s2, s36, 0
	v_mul_lo_u32 v1, s24, v2
	v_mul_f32_e32 v3, s30, v0
	s_and_b32 vcc_lo, exec_lo, s2
	v_add3_u32 v5, v5, v1, v6
	s_cbranch_vccnz .LBB481_45
; %bb.44:
	v_lshlrev_b64 v[0:1], 2, v[4:5]
	v_add_co_u32 v0, vcc_lo, s31, v0
	v_add_co_ci_u32_e64 v1, null, s33, v1, vcc_lo
	global_load_dword v0, v[0:1], off
	s_waitcnt vmcnt(0)
	v_fmac_f32_e32 v3, s36, v0
.LBB481_45:
	s_or_b32 s2, s37, exec_lo
.LBB481_46:
	s_or_b32 exec_lo, exec_lo, s1
	s_andn2_b32 s1, s37, exec_lo
	s_and_b32 s2, s2, exec_lo
	s_or_b32 s37, s1, s2
.LBB481_47:
	s_or_b32 exec_lo, exec_lo, s0
.LBB481_48:
	s_and_saveexec_b32 s0, s37
	s_cbranch_execz .LBB481_50
; %bb.49:
	v_lshlrev_b64 v[0:1], 2, v[4:5]
	v_add_co_u32 v0, vcc_lo, s31, v0
	v_add_co_ci_u32_e64 v1, null, s33, v1, vcc_lo
	global_store_dword v[0:1], v3, off
.LBB481_50:
	s_endpgm
	.section	.rodata,"a",@progbits
	.p2align	6, 0x0
	.amdhsa_kernel _ZL20rocblas_gemvn_kernelILi64ELi16ElDF16_ffEviiT3_lPKT2_lT1_lS3_lS4_lS0_lPT4_lS4_li
		.amdhsa_group_segment_fixed_size 16384
		.amdhsa_private_segment_fixed_size 0
		.amdhsa_kernarg_size 400
		.amdhsa_user_sgpr_count 6
		.amdhsa_user_sgpr_private_segment_buffer 1
		.amdhsa_user_sgpr_dispatch_ptr 0
		.amdhsa_user_sgpr_queue_ptr 0
		.amdhsa_user_sgpr_kernarg_segment_ptr 1
		.amdhsa_user_sgpr_dispatch_id 0
		.amdhsa_user_sgpr_flat_scratch_init 0
		.amdhsa_user_sgpr_private_segment_size 0
		.amdhsa_wavefront_size32 1
		.amdhsa_uses_dynamic_stack 0
		.amdhsa_system_sgpr_private_segment_wavefront_offset 0
		.amdhsa_system_sgpr_workgroup_id_x 1
		.amdhsa_system_sgpr_workgroup_id_y 0
		.amdhsa_system_sgpr_workgroup_id_z 1
		.amdhsa_system_sgpr_workgroup_info 0
		.amdhsa_system_vgpr_workitem_id 1
		.amdhsa_next_free_vgpr 56
		.amdhsa_next_free_sgpr 43
		.amdhsa_reserve_vcc 1
		.amdhsa_reserve_flat_scratch 0
		.amdhsa_float_round_mode_32 0
		.amdhsa_float_round_mode_16_64 0
		.amdhsa_float_denorm_mode_32 3
		.amdhsa_float_denorm_mode_16_64 3
		.amdhsa_dx10_clamp 1
		.amdhsa_ieee_mode 1
		.amdhsa_fp16_overflow 0
		.amdhsa_workgroup_processor_mode 1
		.amdhsa_memory_ordered 1
		.amdhsa_forward_progress 1
		.amdhsa_shared_vgpr_count 0
		.amdhsa_exception_fp_ieee_invalid_op 0
		.amdhsa_exception_fp_denorm_src 0
		.amdhsa_exception_fp_ieee_div_zero 0
		.amdhsa_exception_fp_ieee_overflow 0
		.amdhsa_exception_fp_ieee_underflow 0
		.amdhsa_exception_fp_ieee_inexact 0
		.amdhsa_exception_int_div_zero 0
	.end_amdhsa_kernel
	.section	.text._ZL20rocblas_gemvn_kernelILi64ELi16ElDF16_ffEviiT3_lPKT2_lT1_lS3_lS4_lS0_lPT4_lS4_li,"axG",@progbits,_ZL20rocblas_gemvn_kernelILi64ELi16ElDF16_ffEviiT3_lPKT2_lT1_lS3_lS4_lS0_lPT4_lS4_li,comdat
.Lfunc_end481:
	.size	_ZL20rocblas_gemvn_kernelILi64ELi16ElDF16_ffEviiT3_lPKT2_lT1_lS3_lS4_lS0_lPT4_lS4_li, .Lfunc_end481-_ZL20rocblas_gemvn_kernelILi64ELi16ElDF16_ffEviiT3_lPKT2_lT1_lS3_lS4_lS0_lPT4_lS4_li
                                        ; -- End function
	.set _ZL20rocblas_gemvn_kernelILi64ELi16ElDF16_ffEviiT3_lPKT2_lT1_lS3_lS4_lS0_lPT4_lS4_li.num_vgpr, 56
	.set _ZL20rocblas_gemvn_kernelILi64ELi16ElDF16_ffEviiT3_lPKT2_lT1_lS3_lS4_lS0_lPT4_lS4_li.num_agpr, 0
	.set _ZL20rocblas_gemvn_kernelILi64ELi16ElDF16_ffEviiT3_lPKT2_lT1_lS3_lS4_lS0_lPT4_lS4_li.numbered_sgpr, 43
	.set _ZL20rocblas_gemvn_kernelILi64ELi16ElDF16_ffEviiT3_lPKT2_lT1_lS3_lS4_lS0_lPT4_lS4_li.num_named_barrier, 0
	.set _ZL20rocblas_gemvn_kernelILi64ELi16ElDF16_ffEviiT3_lPKT2_lT1_lS3_lS4_lS0_lPT4_lS4_li.private_seg_size, 0
	.set _ZL20rocblas_gemvn_kernelILi64ELi16ElDF16_ffEviiT3_lPKT2_lT1_lS3_lS4_lS0_lPT4_lS4_li.uses_vcc, 1
	.set _ZL20rocblas_gemvn_kernelILi64ELi16ElDF16_ffEviiT3_lPKT2_lT1_lS3_lS4_lS0_lPT4_lS4_li.uses_flat_scratch, 0
	.set _ZL20rocblas_gemvn_kernelILi64ELi16ElDF16_ffEviiT3_lPKT2_lT1_lS3_lS4_lS0_lPT4_lS4_li.has_dyn_sized_stack, 0
	.set _ZL20rocblas_gemvn_kernelILi64ELi16ElDF16_ffEviiT3_lPKT2_lT1_lS3_lS4_lS0_lPT4_lS4_li.has_recursion, 0
	.set _ZL20rocblas_gemvn_kernelILi64ELi16ElDF16_ffEviiT3_lPKT2_lT1_lS3_lS4_lS0_lPT4_lS4_li.has_indirect_call, 0
	.section	.AMDGPU.csdata,"",@progbits
; Kernel info:
; codeLenInByte = 3280
; TotalNumSgprs: 45
; NumVgprs: 56
; ScratchSize: 0
; MemoryBound: 0
; FloatMode: 240
; IeeeMode: 1
; LDSByteSize: 16384 bytes/workgroup (compile time only)
; SGPRBlocks: 0
; VGPRBlocks: 6
; NumSGPRsForWavesPerEU: 45
; NumVGPRsForWavesPerEU: 56
; Occupancy: 16
; WaveLimiterHint : 1
; COMPUTE_PGM_RSRC2:SCRATCH_EN: 0
; COMPUTE_PGM_RSRC2:USER_SGPR: 6
; COMPUTE_PGM_RSRC2:TRAP_HANDLER: 0
; COMPUTE_PGM_RSRC2:TGID_X_EN: 1
; COMPUTE_PGM_RSRC2:TGID_Y_EN: 0
; COMPUTE_PGM_RSRC2:TGID_Z_EN: 1
; COMPUTE_PGM_RSRC2:TIDIG_COMP_CNT: 1
	.section	.text._ZL22rocblas_gemvtsm_kernelILb0ELi256EDF16_PKffEviiT2_lPKT1_lilS5_lilS2_lPT3_lil,"axG",@progbits,_ZL22rocblas_gemvtsm_kernelILb0ELi256EDF16_PKffEviiT2_lPKT1_lilS5_lilS2_lPT3_lil,comdat
	.globl	_ZL22rocblas_gemvtsm_kernelILb0ELi256EDF16_PKffEviiT2_lPKT1_lilS5_lilS2_lPT3_lil ; -- Begin function _ZL22rocblas_gemvtsm_kernelILb0ELi256EDF16_PKffEviiT2_lPKT1_lilS5_lilS2_lPT3_lil
	.p2align	8
	.type	_ZL22rocblas_gemvtsm_kernelILb0ELi256EDF16_PKffEviiT2_lPKT1_lilS5_lilS2_lPT3_lil,@function
_ZL22rocblas_gemvtsm_kernelILb0ELi256EDF16_PKffEviiT2_lPKT1_lilS5_lilS2_lPT3_lil: ; @_ZL22rocblas_gemvtsm_kernelILb0ELi256EDF16_PKffEviiT2_lPKT1_lilS5_lilS2_lPT3_lil
; %bb.0:
	s_clause 0x1
	s_load_dwordx8 s[8:15], s[4:5], 0x8
	s_load_dwordx8 s[16:23], s[4:5], 0x50
	s_waitcnt lgkmcnt(0)
	s_mul_i32 s1, s11, s6
	s_mul_hi_u32 s2, s10, s6
	s_mul_i32 s0, s10, s6
	s_add_i32 s1, s2, s1
	s_mul_i32 s2, s21, s6
	s_lshl_b64 s[0:1], s[0:1], 2
	s_mul_hi_u32 s3, s20, s6
	s_add_u32 s0, s8, s0
	s_addc_u32 s1, s9, s1
	s_add_i32 s3, s3, s2
	s_mul_i32 s2, s20, s6
	s_lshl_b64 s[2:3], s[2:3], 2
	s_add_u32 s2, s18, s2
	s_addc_u32 s3, s19, s3
	s_load_dword s26, s[0:1], 0x0
	s_load_dword s7, s[2:3], 0x0
	s_waitcnt lgkmcnt(0)
	v_cmp_eq_f32_e64 s0, s26, 0
	v_cmp_eq_f32_e64 s1, s7, 1.0
	s_and_b32 s0, s0, s1
	s_and_b32 vcc_lo, exec_lo, s0
	s_cbranch_vccnz .LBB482_34
; %bb.1:
	s_clause 0x3
	s_load_dwordx2 s[0:1], s[4:5], 0x80
	s_load_dwordx2 s[18:19], s[4:5], 0x70
	s_load_dword s8, s[4:5], 0x78
	s_load_dwordx2 s[10:11], s[4:5], 0x0
	v_cmp_neq_f32_e64 s2, s26, 0
	s_and_b32 vcc_lo, exec_lo, s2
	s_waitcnt lgkmcnt(0)
	s_mul_i32 s1, s1, s6
	s_mul_hi_u32 s2, s0, s6
	s_mul_i32 s20, s0, s6
	s_add_i32 s21, s2, s1
	s_cbranch_vccnz .LBB482_9
; %bb.2:
	s_cmp_gt_i32 s11, 0
	v_cmp_neq_f32_e64 s0, s7, 0
	s_cselect_b32 s2, -1, 0
	v_cndmask_b32_e64 v1, 0, 1, s2
	s_and_b32 vcc_lo, exec_lo, s0
	v_cmp_ne_u32_e64 s0, 1, v1
	s_cbranch_vccnz .LBB482_10
; %bb.3:
	s_and_b32 vcc_lo, exec_lo, s0
	s_cbranch_vccnz .LBB482_8
; %bb.4:
	v_mad_i64_i32 v[1:2], null, s8, v0, 0
	s_lshl_b64 s[24:25], s[18:19], 2
	s_ashr_i32 s9, s8, 31
	s_lshl_b64 s[0:1], s[20:21], 2
	s_add_u32 s3, s22, s24
	s_addc_u32 s24, s23, s25
	s_add_u32 s0, s3, s0
	v_lshlrev_b64 v[1:2], 2, v[1:2]
	s_addc_u32 s1, s24, s1
	v_mov_b32_e32 v3, 0
	s_mov_b32 s3, 0
	v_add_co_u32 v1, vcc_lo, s0, v1
	v_add_co_ci_u32_e64 v2, null, s1, v2, vcc_lo
	s_lshl_b64 s[0:1], s[8:9], 10
	s_branch .LBB482_6
.LBB482_5:                              ;   in Loop: Header=BB482_6 Depth=1
	s_or_b32 exec_lo, exec_lo, s9
	v_add_co_u32 v1, vcc_lo, v1, s0
	v_add_co_ci_u32_e64 v2, null, s1, v2, vcc_lo
	s_addk_i32 s3, 0x100
	s_cmp_ge_i32 s3, s11
	s_cbranch_scc1 .LBB482_8
.LBB482_6:                              ; =>This Inner Loop Header: Depth=1
	v_add_nc_u32_e32 v4, s3, v0
	s_mov_b32 s9, exec_lo
	v_cmpx_gt_i32_e64 s11, v4
	s_cbranch_execz .LBB482_5
; %bb.7:                                ;   in Loop: Header=BB482_6 Depth=1
	global_store_dword v[1:2], v3, off
	s_branch .LBB482_5
.LBB482_8:
	s_cbranch_execz .LBB482_11
	s_branch .LBB482_16
.LBB482_9:
	s_branch .LBB482_17
.LBB482_10:
.LBB482_11:
	s_andn2_b32 vcc_lo, exec_lo, s2
	s_cbranch_vccnz .LBB482_16
; %bb.12:
	v_mad_i64_i32 v[1:2], null, s8, v0, 0
	s_lshl_b64 s[2:3], s[18:19], 2
	s_ashr_i32 s9, s8, 31
	s_lshl_b64 s[0:1], s[20:21], 2
	s_add_u32 s2, s22, s2
	s_addc_u32 s3, s23, s3
	s_add_u32 s0, s2, s0
	v_lshlrev_b64 v[1:2], 2, v[1:2]
	s_addc_u32 s1, s3, s1
	s_mov_b32 s2, 0
	v_add_co_u32 v1, vcc_lo, s0, v1
	v_add_co_ci_u32_e64 v2, null, s1, v2, vcc_lo
	s_lshl_b64 s[0:1], s[8:9], 10
	s_branch .LBB482_14
	.p2align	6
.LBB482_13:                             ;   in Loop: Header=BB482_14 Depth=1
	s_or_b32 exec_lo, exec_lo, s3
	v_add_co_u32 v1, vcc_lo, v1, s0
	v_add_co_ci_u32_e64 v2, null, s1, v2, vcc_lo
	s_addk_i32 s2, 0x100
	s_cmp_ge_i32 s2, s11
	s_cbranch_scc1 .LBB482_16
.LBB482_14:                             ; =>This Inner Loop Header: Depth=1
	v_add_nc_u32_e32 v3, s2, v0
	s_mov_b32 s3, exec_lo
	v_cmpx_gt_i32_e64 s11, v3
	s_cbranch_execz .LBB482_13
; %bb.15:                               ;   in Loop: Header=BB482_14 Depth=1
	global_load_dword v3, v[1:2], off
	s_waitcnt vmcnt(0)
	v_mul_f32_e32 v3, s7, v3
	global_store_dword v[1:2], v3, off
	s_branch .LBB482_13
.LBB482_16:
	s_cbranch_execnz .LBB482_34
.LBB482_17:
	s_clause 0x1
	s_load_dwordx4 s[0:3], s[4:5], 0x30
	s_load_dwordx2 s[24:25], s[4:5], 0x40
	s_mov_b32 s9, exec_lo
	v_cmpx_gt_i32_e64 s10, v0
	s_cbranch_execz .LBB482_19
; %bb.18:
	s_load_dword s27, s[4:5], 0x48
	s_mul_i32 s17, s17, s6
	s_mul_hi_u32 s28, s16, s6
	s_mul_i32 s16, s16, s6
	s_add_i32 s17, s28, s17
	s_lshl_b64 s[16:17], s[16:17], 1
	s_waitcnt lgkmcnt(0)
	s_add_u32 s16, s2, s16
	s_addc_u32 s17, s3, s17
	s_lshl_b64 s[2:3], s[24:25], 1
	s_add_u32 s2, s16, s2
	s_addc_u32 s3, s17, s3
	v_mad_i64_i32 v[1:2], null, s27, v0, 0
	v_lshlrev_b64 v[1:2], 1, v[1:2]
	v_add_co_u32 v1, vcc_lo, s2, v1
	v_add_co_ci_u32_e64 v2, null, s3, v2, vcc_lo
	global_load_ushort v1, v[1:2], off
	v_lshlrev_b32_e32 v2, 2, v0
	s_waitcnt vmcnt(0)
	v_cvt_f32_f16_e32 v1, v1
	v_mul_f32_e32 v1, s26, v1
	ds_write_b32 v2, v1
.LBB482_19:
	s_or_b32 exec_lo, exec_lo, s9
	s_cmp_lt_i32 s11, 1
	s_waitcnt lgkmcnt(0)
	s_waitcnt_vscnt null, 0x0
	s_barrier
	buffer_gl0_inv
	s_cbranch_scc1 .LBB482_34
; %bb.20:
	s_load_dword s24, s[4:5], 0x28
	s_lshl_b64 s[2:3], s[20:21], 2
	s_mul_i32 s1, s1, s6
	s_mul_hi_u32 s20, s0, s6
	s_mul_i32 s0, s0, s6
	s_add_u32 s6, s22, s2
	s_addc_u32 s9, s23, s3
	s_lshl_b64 s[4:5], s[18:19], 2
	v_cmp_neq_f32_e64 s2, s7, 0
	s_add_u32 s3, s6, s4
	s_addc_u32 s4, s9, s5
	s_ashr_i32 s5, s8, 31
	s_waitcnt lgkmcnt(0)
	s_ashr_i32 s25, s24, 31
	s_cmp_gt_i32 s10, 0
	v_mad_i64_i32 v[1:2], null, s24, v0, 0
	s_cselect_b32 s6, -1, 0
	s_and_b32 s9, s10, 7
	s_cmp_gt_u32 s10, 7
	s_cselect_b32 s16, -1, 0
	s_and_b32 s10, s10, 0x7ffffff8
	s_cmp_lg_u32 s9, 0
	v_lshlrev_b64 v[1:2], 1, v[1:2]
	s_cselect_b32 s17, -1, 0
	s_add_i32 s1, s20, s1
	s_lshl_b64 s[14:15], s[14:15], 1
	s_lshl_b64 s[0:1], s[0:1], 1
	s_add_u32 s12, s12, s14
	s_addc_u32 s13, s13, s15
	s_add_u32 s0, s12, s0
	s_addc_u32 s1, s13, s1
	v_add_co_u32 v7, vcc_lo, s0, v1
	v_add_co_ci_u32_e64 v8, null, s1, v2, vcc_lo
	s_mov_b32 s12, 0
	v_add_co_u32 v1, vcc_lo, v7, 14
	v_add_co_ci_u32_e64 v2, null, 0, v8, vcc_lo
	s_lshl_b64 s[0:1], s[24:25], 9
	s_branch .LBB482_23
.LBB482_21:                             ;   in Loop: Header=BB482_23 Depth=1
	v_add_co_u32 v3, vcc_lo, s3, v3
	v_add_co_ci_u32_e64 v4, null, s4, v4, vcc_lo
	global_store_dword v[3:4], v9, off
.LBB482_22:                             ;   in Loop: Header=BB482_23 Depth=1
	s_or_b32 exec_lo, exec_lo, s13
	v_add_co_u32 v1, vcc_lo, v1, s0
	v_add_co_ci_u32_e64 v2, null, s1, v2, vcc_lo
	v_add_co_u32 v7, vcc_lo, v7, s0
	v_add_co_ci_u32_e64 v8, null, s1, v8, vcc_lo
	s_addk_i32 s12, 0x100
	s_cmp_ge_i32 s12, s11
	s_cbranch_scc1 .LBB482_34
.LBB482_23:                             ; =>This Loop Header: Depth=1
                                        ;     Child Loop BB482_29 Depth 2
                                        ;     Child Loop BB482_33 Depth 2
	v_add_nc_u32_e32 v3, s12, v0
	s_mov_b32 s13, exec_lo
	v_cmpx_gt_i32_e64 s11, v3
	s_cbranch_execz .LBB482_22
; %bb.24:                               ;   in Loop: Header=BB482_23 Depth=1
	v_mad_u64_u32 v[4:5], null, v3, s8, 0
	s_andn2_b32 vcc_lo, exec_lo, s2
	v_mad_u64_u32 v[5:6], null, v3, s5, v[5:6]
	v_lshlrev_b64 v[3:4], 2, v[4:5]
	s_cbranch_vccnz .LBB482_26
; %bb.25:                               ;   in Loop: Header=BB482_23 Depth=1
	v_add_co_u32 v5, vcc_lo, s3, v3
	v_add_co_ci_u32_e64 v6, null, s4, v4, vcc_lo
	global_load_dword v5, v[5:6], off
	s_waitcnt vmcnt(0)
	v_mul_f32_e32 v9, s7, v5
	s_andn2_b32 vcc_lo, exec_lo, s6
	s_cbranch_vccz .LBB482_27
	s_branch .LBB482_21
.LBB482_26:                             ;   in Loop: Header=BB482_23 Depth=1
	v_mov_b32_e32 v9, 0
	s_andn2_b32 vcc_lo, exec_lo, s6
	s_cbranch_vccnz .LBB482_21
.LBB482_27:                             ;   in Loop: Header=BB482_23 Depth=1
	s_andn2_b32 vcc_lo, exec_lo, s16
	s_mov_b32 s14, 0
	s_cbranch_vccnz .LBB482_31
; %bb.28:                               ;   in Loop: Header=BB482_23 Depth=1
	v_mov_b32_e32 v6, v2
	v_mov_b32_e32 v5, v1
	s_mov_b32 s15, 0
	.p2align	6
.LBB482_29:                             ;   Parent Loop BB482_23 Depth=1
                                        ; =>  This Inner Loop Header: Depth=2
	global_load_dwordx4 v[10:13], v[5:6], off offset:-14
	v_mov_b32_e32 v18, s14
	v_add_co_u32 v5, vcc_lo, v5, 16
	v_add_co_ci_u32_e64 v6, null, 0, v6, vcc_lo
	ds_read_b128 v[14:17], v18
	ds_read_b128 v[18:21], v18 offset:16
	s_add_i32 s15, s15, 8
	s_add_i32 s14, s14, 32
	s_cmp_eq_u32 s10, s15
	s_waitcnt vmcnt(0) lgkmcnt(1)
	v_fma_mix_f32 v9, v14, v10, v9 op_sel_hi:[0,1,0]
	v_fma_mix_f32 v9, v15, v10, v9 op_sel:[0,1,0] op_sel_hi:[0,1,0]
	v_fma_mix_f32 v9, v16, v11, v9 op_sel_hi:[0,1,0]
	v_fma_mix_f32 v9, v17, v11, v9 op_sel:[0,1,0] op_sel_hi:[0,1,0]
	s_waitcnt lgkmcnt(0)
	v_fma_mix_f32 v9, v18, v12, v9 op_sel_hi:[0,1,0]
	v_fma_mix_f32 v9, v19, v12, v9 op_sel:[0,1,0] op_sel_hi:[0,1,0]
	v_fma_mix_f32 v9, v20, v13, v9 op_sel_hi:[0,1,0]
	v_fma_mix_f32 v9, v21, v13, v9 op_sel:[0,1,0] op_sel_hi:[0,1,0]
	s_cbranch_scc0 .LBB482_29
; %bb.30:                               ;   in Loop: Header=BB482_23 Depth=1
	s_mov_b32 s14, s10
.LBB482_31:                             ;   in Loop: Header=BB482_23 Depth=1
	s_andn2_b32 vcc_lo, exec_lo, s17
	s_cbranch_vccnz .LBB482_21
; %bb.32:                               ;   in Loop: Header=BB482_23 Depth=1
	s_lshl_b32 s15, s14, 1
	s_lshl_b32 s14, s14, 2
	v_add_co_u32 v5, vcc_lo, v7, s15
	v_add_co_ci_u32_e64 v6, null, 0, v8, vcc_lo
	s_mov_b32 s15, s9
.LBB482_33:                             ;   Parent Loop BB482_23 Depth=1
                                        ; =>  This Inner Loop Header: Depth=2
	global_load_ushort v10, v[5:6], off
	v_mov_b32_e32 v11, s14
	v_add_co_u32 v5, vcc_lo, v5, 2
	v_add_co_ci_u32_e64 v6, null, 0, v6, vcc_lo
	ds_read_b32 v11, v11
	s_add_i32 s15, s15, -1
	s_add_i32 s14, s14, 4
	s_cmp_lg_u32 s15, 0
	s_waitcnt vmcnt(0) lgkmcnt(0)
	v_fma_mix_f32 v9, v11, v10, v9 op_sel_hi:[0,1,0]
	s_cbranch_scc1 .LBB482_33
	s_branch .LBB482_21
.LBB482_34:
	s_endpgm
	.section	.rodata,"a",@progbits
	.p2align	6, 0x0
	.amdhsa_kernel _ZL22rocblas_gemvtsm_kernelILb0ELi256EDF16_PKffEviiT2_lPKT1_lilS5_lilS2_lPT3_lil
		.amdhsa_group_segment_fixed_size 256
		.amdhsa_private_segment_fixed_size 0
		.amdhsa_kernarg_size 136
		.amdhsa_user_sgpr_count 6
		.amdhsa_user_sgpr_private_segment_buffer 1
		.amdhsa_user_sgpr_dispatch_ptr 0
		.amdhsa_user_sgpr_queue_ptr 0
		.amdhsa_user_sgpr_kernarg_segment_ptr 1
		.amdhsa_user_sgpr_dispatch_id 0
		.amdhsa_user_sgpr_flat_scratch_init 0
		.amdhsa_user_sgpr_private_segment_size 0
		.amdhsa_wavefront_size32 1
		.amdhsa_uses_dynamic_stack 0
		.amdhsa_system_sgpr_private_segment_wavefront_offset 0
		.amdhsa_system_sgpr_workgroup_id_x 1
		.amdhsa_system_sgpr_workgroup_id_y 0
		.amdhsa_system_sgpr_workgroup_id_z 0
		.amdhsa_system_sgpr_workgroup_info 0
		.amdhsa_system_vgpr_workitem_id 0
		.amdhsa_next_free_vgpr 22
		.amdhsa_next_free_sgpr 29
		.amdhsa_reserve_vcc 1
		.amdhsa_reserve_flat_scratch 0
		.amdhsa_float_round_mode_32 0
		.amdhsa_float_round_mode_16_64 0
		.amdhsa_float_denorm_mode_32 3
		.amdhsa_float_denorm_mode_16_64 3
		.amdhsa_dx10_clamp 1
		.amdhsa_ieee_mode 1
		.amdhsa_fp16_overflow 0
		.amdhsa_workgroup_processor_mode 1
		.amdhsa_memory_ordered 1
		.amdhsa_forward_progress 1
		.amdhsa_shared_vgpr_count 0
		.amdhsa_exception_fp_ieee_invalid_op 0
		.amdhsa_exception_fp_denorm_src 0
		.amdhsa_exception_fp_ieee_div_zero 0
		.amdhsa_exception_fp_ieee_overflow 0
		.amdhsa_exception_fp_ieee_underflow 0
		.amdhsa_exception_fp_ieee_inexact 0
		.amdhsa_exception_int_div_zero 0
	.end_amdhsa_kernel
	.section	.text._ZL22rocblas_gemvtsm_kernelILb0ELi256EDF16_PKffEviiT2_lPKT1_lilS5_lilS2_lPT3_lil,"axG",@progbits,_ZL22rocblas_gemvtsm_kernelILb0ELi256EDF16_PKffEviiT2_lPKT1_lilS5_lilS2_lPT3_lil,comdat
.Lfunc_end482:
	.size	_ZL22rocblas_gemvtsm_kernelILb0ELi256EDF16_PKffEviiT2_lPKT1_lilS5_lilS2_lPT3_lil, .Lfunc_end482-_ZL22rocblas_gemvtsm_kernelILb0ELi256EDF16_PKffEviiT2_lPKT1_lilS5_lilS2_lPT3_lil
                                        ; -- End function
	.set _ZL22rocblas_gemvtsm_kernelILb0ELi256EDF16_PKffEviiT2_lPKT1_lilS5_lilS2_lPT3_lil.num_vgpr, 22
	.set _ZL22rocblas_gemvtsm_kernelILb0ELi256EDF16_PKffEviiT2_lPKT1_lilS5_lilS2_lPT3_lil.num_agpr, 0
	.set _ZL22rocblas_gemvtsm_kernelILb0ELi256EDF16_PKffEviiT2_lPKT1_lilS5_lilS2_lPT3_lil.numbered_sgpr, 29
	.set _ZL22rocblas_gemvtsm_kernelILb0ELi256EDF16_PKffEviiT2_lPKT1_lilS5_lilS2_lPT3_lil.num_named_barrier, 0
	.set _ZL22rocblas_gemvtsm_kernelILb0ELi256EDF16_PKffEviiT2_lPKT1_lilS5_lilS2_lPT3_lil.private_seg_size, 0
	.set _ZL22rocblas_gemvtsm_kernelILb0ELi256EDF16_PKffEviiT2_lPKT1_lilS5_lilS2_lPT3_lil.uses_vcc, 1
	.set _ZL22rocblas_gemvtsm_kernelILb0ELi256EDF16_PKffEviiT2_lPKT1_lilS5_lilS2_lPT3_lil.uses_flat_scratch, 0
	.set _ZL22rocblas_gemvtsm_kernelILb0ELi256EDF16_PKffEviiT2_lPKT1_lilS5_lilS2_lPT3_lil.has_dyn_sized_stack, 0
	.set _ZL22rocblas_gemvtsm_kernelILb0ELi256EDF16_PKffEviiT2_lPKT1_lilS5_lilS2_lPT3_lil.has_recursion, 0
	.set _ZL22rocblas_gemvtsm_kernelILb0ELi256EDF16_PKffEviiT2_lPKT1_lilS5_lilS2_lPT3_lil.has_indirect_call, 0
	.section	.AMDGPU.csdata,"",@progbits
; Kernel info:
; codeLenInByte = 1460
; TotalNumSgprs: 31
; NumVgprs: 22
; ScratchSize: 0
; MemoryBound: 0
; FloatMode: 240
; IeeeMode: 1
; LDSByteSize: 256 bytes/workgroup (compile time only)
; SGPRBlocks: 0
; VGPRBlocks: 2
; NumSGPRsForWavesPerEU: 31
; NumVGPRsForWavesPerEU: 22
; Occupancy: 16
; WaveLimiterHint : 1
; COMPUTE_PGM_RSRC2:SCRATCH_EN: 0
; COMPUTE_PGM_RSRC2:USER_SGPR: 6
; COMPUTE_PGM_RSRC2:TRAP_HANDLER: 0
; COMPUTE_PGM_RSRC2:TGID_X_EN: 1
; COMPUTE_PGM_RSRC2:TGID_Y_EN: 0
; COMPUTE_PGM_RSRC2:TGID_Z_EN: 0
; COMPUTE_PGM_RSRC2:TIDIG_COMP_CNT: 0
	.section	.text._ZL22rocblas_gemvtsm_kernelILb0ELi256EDF16_ffEviiT2_lPKT1_lilS3_lilS0_lPT3_lil,"axG",@progbits,_ZL22rocblas_gemvtsm_kernelILb0ELi256EDF16_ffEviiT2_lPKT1_lilS3_lilS0_lPT3_lil,comdat
	.globl	_ZL22rocblas_gemvtsm_kernelILb0ELi256EDF16_ffEviiT2_lPKT1_lilS3_lilS0_lPT3_lil ; -- Begin function _ZL22rocblas_gemvtsm_kernelILb0ELi256EDF16_ffEviiT2_lPKT1_lilS3_lilS0_lPT3_lil
	.p2align	8
	.type	_ZL22rocblas_gemvtsm_kernelILb0ELi256EDF16_ffEviiT2_lPKT1_lilS3_lilS0_lPT3_lil,@function
_ZL22rocblas_gemvtsm_kernelILb0ELi256EDF16_ffEviiT2_lPKT1_lilS3_lilS0_lPT3_lil: ; @_ZL22rocblas_gemvtsm_kernelILb0ELi256EDF16_ffEviiT2_lPKT1_lilS3_lilS0_lPT3_lil
; %bb.0:
	s_clause 0x1
	s_load_dwordx4 s[8:11], s[4:5], 0x0
	s_load_dword s7, s[4:5], 0x58
	s_waitcnt lgkmcnt(0)
	v_cmp_eq_f32_e64 s0, s10, 0
	v_cmp_eq_f32_e64 s1, s7, 1.0
	s_and_b32 s0, s0, s1
	s_and_b32 vcc_lo, exec_lo, s0
	s_cbranch_vccnz .LBB483_34
; %bb.1:
	s_clause 0x2
	s_load_dwordx2 s[0:1], s[4:5], 0x80
	s_load_dwordx4 s[12:15], s[4:5], 0x68
	s_load_dword s20, s[4:5], 0x78
	v_cmp_neq_f32_e64 s2, s10, 0
	s_and_b32 vcc_lo, exec_lo, s2
	s_waitcnt lgkmcnt(0)
	s_mul_i32 s1, s1, s6
	s_mul_hi_u32 s2, s0, s6
	s_mul_i32 s22, s0, s6
	s_add_i32 s23, s2, s1
	s_cbranch_vccnz .LBB483_9
; %bb.2:
	s_cmp_gt_i32 s9, 0
	v_cmp_neq_f32_e64 s0, s7, 0
	s_cselect_b32 s2, -1, 0
	v_cndmask_b32_e64 v1, 0, 1, s2
	s_and_b32 vcc_lo, exec_lo, s0
	v_cmp_ne_u32_e64 s0, 1, v1
	s_cbranch_vccnz .LBB483_10
; %bb.3:
	s_and_b32 vcc_lo, exec_lo, s0
	s_cbranch_vccnz .LBB483_8
; %bb.4:
	v_mad_i64_i32 v[1:2], null, s20, v0, 0
	s_lshl_b64 s[16:17], s[14:15], 2
	s_ashr_i32 s21, s20, 31
	s_lshl_b64 s[0:1], s[22:23], 2
	s_add_u32 s3, s12, s16
	s_addc_u32 s11, s13, s17
	s_add_u32 s0, s3, s0
	v_lshlrev_b64 v[1:2], 2, v[1:2]
	s_addc_u32 s1, s11, s1
	v_mov_b32_e32 v3, 0
	s_mov_b32 s3, 0
	v_add_co_u32 v1, vcc_lo, s0, v1
	v_add_co_ci_u32_e64 v2, null, s1, v2, vcc_lo
	s_lshl_b64 s[0:1], s[20:21], 10
	s_branch .LBB483_6
.LBB483_5:                              ;   in Loop: Header=BB483_6 Depth=1
	s_or_b32 exec_lo, exec_lo, s11
	v_add_co_u32 v1, vcc_lo, v1, s0
	v_add_co_ci_u32_e64 v2, null, s1, v2, vcc_lo
	s_addk_i32 s3, 0x100
	s_cmp_ge_i32 s3, s9
	s_cbranch_scc1 .LBB483_8
.LBB483_6:                              ; =>This Inner Loop Header: Depth=1
	v_add_nc_u32_e32 v4, s3, v0
	s_mov_b32 s11, exec_lo
	v_cmpx_gt_i32_e64 s9, v4
	s_cbranch_execz .LBB483_5
; %bb.7:                                ;   in Loop: Header=BB483_6 Depth=1
	global_store_dword v[1:2], v3, off
	s_branch .LBB483_5
.LBB483_8:
	s_cbranch_execz .LBB483_11
	s_branch .LBB483_16
.LBB483_9:
	s_branch .LBB483_17
.LBB483_10:
.LBB483_11:
	s_andn2_b32 vcc_lo, exec_lo, s2
	s_cbranch_vccnz .LBB483_16
; %bb.12:
	v_mad_i64_i32 v[1:2], null, s20, v0, 0
	s_lshl_b64 s[2:3], s[14:15], 2
	s_ashr_i32 s21, s20, 31
	s_lshl_b64 s[0:1], s[22:23], 2
	s_add_u32 s2, s12, s2
	s_addc_u32 s3, s13, s3
	s_add_u32 s0, s2, s0
	v_lshlrev_b64 v[1:2], 2, v[1:2]
	s_addc_u32 s1, s3, s1
	s_mov_b32 s2, 0
	v_add_co_u32 v1, vcc_lo, s0, v1
	v_add_co_ci_u32_e64 v2, null, s1, v2, vcc_lo
	s_lshl_b64 s[0:1], s[20:21], 10
	s_branch .LBB483_14
	.p2align	6
.LBB483_13:                             ;   in Loop: Header=BB483_14 Depth=1
	s_or_b32 exec_lo, exec_lo, s3
	v_add_co_u32 v1, vcc_lo, v1, s0
	v_add_co_ci_u32_e64 v2, null, s1, v2, vcc_lo
	s_addk_i32 s2, 0x100
	s_cmp_ge_i32 s2, s9
	s_cbranch_scc1 .LBB483_16
.LBB483_14:                             ; =>This Inner Loop Header: Depth=1
	v_add_nc_u32_e32 v3, s2, v0
	s_mov_b32 s3, exec_lo
	v_cmpx_gt_i32_e64 s9, v3
	s_cbranch_execz .LBB483_13
; %bb.15:                               ;   in Loop: Header=BB483_14 Depth=1
	global_load_dword v3, v[1:2], off
	s_waitcnt vmcnt(0)
	v_mul_f32_e32 v3, s7, v3
	global_store_dword v[1:2], v3, off
	s_branch .LBB483_13
.LBB483_16:
	s_cbranch_execnz .LBB483_34
.LBB483_17:
	s_clause 0x1
	s_load_dwordx4 s[0:3], s[4:5], 0x30
	s_load_dwordx2 s[16:17], s[4:5], 0x40
	s_mov_b32 s11, exec_lo
	v_cmpx_gt_i32_e64 s8, v0
	s_cbranch_execz .LBB483_19
; %bb.18:
	s_clause 0x1
	s_load_dwordx2 s[18:19], s[4:5], 0x50
	s_load_dword s21, s[4:5], 0x48
	s_waitcnt lgkmcnt(0)
	s_mul_i32 s19, s19, s6
	v_mad_i64_i32 v[1:2], null, s21, v0, 0
	s_mul_hi_u32 s24, s18, s6
	s_mul_i32 s18, s18, s6
	s_add_i32 s19, s24, s19
	s_lshl_b64 s[18:19], s[18:19], 1
	s_add_u32 s18, s2, s18
	v_lshlrev_b64 v[1:2], 1, v[1:2]
	s_addc_u32 s19, s3, s19
	s_lshl_b64 s[2:3], s[16:17], 1
	s_add_u32 s2, s18, s2
	s_addc_u32 s3, s19, s3
	v_add_co_u32 v1, vcc_lo, s2, v1
	v_add_co_ci_u32_e64 v2, null, s3, v2, vcc_lo
	global_load_ushort v1, v[1:2], off
	v_lshlrev_b32_e32 v2, 2, v0
	s_waitcnt vmcnt(0)
	v_cvt_f32_f16_e32 v1, v1
	v_mul_f32_e32 v1, s10, v1
	ds_write_b32 v2, v1
.LBB483_19:
	s_or_b32 exec_lo, exec_lo, s11
	s_cmp_lt_i32 s9, 1
	s_waitcnt lgkmcnt(0)
	s_waitcnt_vscnt null, 0x0
	s_barrier
	buffer_gl0_inv
	s_cbranch_scc1 .LBB483_34
; %bb.20:
	s_clause 0x1
	s_load_dword s24, s[4:5], 0x28
	s_load_dwordx4 s[16:19], s[4:5], 0x18
	s_lshl_b64 s[2:3], s[22:23], 2
	s_mul_i32 s1, s1, s6
	s_mul_hi_u32 s21, s0, s6
	s_mul_i32 s0, s0, s6
	s_add_u32 s6, s12, s2
	s_addc_u32 s10, s13, s3
	s_lshl_b64 s[4:5], s[14:15], 2
	v_cmp_neq_f32_e64 s2, s7, 0
	s_add_u32 s3, s6, s4
	s_addc_u32 s4, s10, s5
	s_ashr_i32 s5, s20, 31
	s_waitcnt lgkmcnt(0)
	s_ashr_i32 s25, s24, 31
	s_cmp_gt_i32 s8, 0
	v_mad_i64_i32 v[1:2], null, s24, v0, 0
	s_cselect_b32 s6, -1, 0
	s_and_b32 s10, s8, 7
	s_cmp_gt_u32 s8, 7
	s_cselect_b32 s11, -1, 0
	s_and_b32 s8, s8, 0x7ffffff8
	s_cmp_lg_u32 s10, 0
	v_lshlrev_b64 v[1:2], 1, v[1:2]
	s_cselect_b32 s12, -1, 0
	s_add_i32 s1, s21, s1
	s_lshl_b64 s[14:15], s[18:19], 1
	s_lshl_b64 s[0:1], s[0:1], 1
	s_add_u32 s13, s16, s14
	s_addc_u32 s14, s17, s15
	s_add_u32 s0, s13, s0
	s_addc_u32 s1, s14, s1
	v_add_co_u32 v7, vcc_lo, s0, v1
	v_add_co_ci_u32_e64 v8, null, s1, v2, vcc_lo
	s_mov_b32 s13, 0
	v_add_co_u32 v1, vcc_lo, v7, 14
	v_add_co_ci_u32_e64 v2, null, 0, v8, vcc_lo
	s_lshl_b64 s[0:1], s[24:25], 9
	s_branch .LBB483_23
.LBB483_21:                             ;   in Loop: Header=BB483_23 Depth=1
	v_add_co_u32 v3, vcc_lo, s3, v3
	v_add_co_ci_u32_e64 v4, null, s4, v4, vcc_lo
	global_store_dword v[3:4], v9, off
.LBB483_22:                             ;   in Loop: Header=BB483_23 Depth=1
	s_or_b32 exec_lo, exec_lo, s14
	v_add_co_u32 v1, vcc_lo, v1, s0
	v_add_co_ci_u32_e64 v2, null, s1, v2, vcc_lo
	v_add_co_u32 v7, vcc_lo, v7, s0
	v_add_co_ci_u32_e64 v8, null, s1, v8, vcc_lo
	s_addk_i32 s13, 0x100
	s_cmp_ge_i32 s13, s9
	s_cbranch_scc1 .LBB483_34
.LBB483_23:                             ; =>This Loop Header: Depth=1
                                        ;     Child Loop BB483_29 Depth 2
                                        ;     Child Loop BB483_33 Depth 2
	v_add_nc_u32_e32 v3, s13, v0
	s_mov_b32 s14, exec_lo
	v_cmpx_gt_i32_e64 s9, v3
	s_cbranch_execz .LBB483_22
; %bb.24:                               ;   in Loop: Header=BB483_23 Depth=1
	v_mad_u64_u32 v[4:5], null, v3, s20, 0
	s_andn2_b32 vcc_lo, exec_lo, s2
	v_mad_u64_u32 v[5:6], null, v3, s5, v[5:6]
	v_lshlrev_b64 v[3:4], 2, v[4:5]
	s_cbranch_vccnz .LBB483_26
; %bb.25:                               ;   in Loop: Header=BB483_23 Depth=1
	v_add_co_u32 v5, vcc_lo, s3, v3
	v_add_co_ci_u32_e64 v6, null, s4, v4, vcc_lo
	global_load_dword v5, v[5:6], off
	s_waitcnt vmcnt(0)
	v_mul_f32_e32 v9, s7, v5
	s_andn2_b32 vcc_lo, exec_lo, s6
	s_cbranch_vccz .LBB483_27
	s_branch .LBB483_21
.LBB483_26:                             ;   in Loop: Header=BB483_23 Depth=1
	v_mov_b32_e32 v9, 0
	s_andn2_b32 vcc_lo, exec_lo, s6
	s_cbranch_vccnz .LBB483_21
.LBB483_27:                             ;   in Loop: Header=BB483_23 Depth=1
	s_andn2_b32 vcc_lo, exec_lo, s11
	s_mov_b32 s15, 0
	s_cbranch_vccnz .LBB483_31
; %bb.28:                               ;   in Loop: Header=BB483_23 Depth=1
	v_mov_b32_e32 v6, v2
	v_mov_b32_e32 v5, v1
	s_mov_b32 s16, 0
	.p2align	6
.LBB483_29:                             ;   Parent Loop BB483_23 Depth=1
                                        ; =>  This Inner Loop Header: Depth=2
	global_load_dwordx4 v[10:13], v[5:6], off offset:-14
	v_mov_b32_e32 v18, s15
	v_add_co_u32 v5, vcc_lo, v5, 16
	v_add_co_ci_u32_e64 v6, null, 0, v6, vcc_lo
	ds_read_b128 v[14:17], v18
	ds_read_b128 v[18:21], v18 offset:16
	s_add_i32 s16, s16, 8
	s_add_i32 s15, s15, 32
	s_cmp_eq_u32 s8, s16
	s_waitcnt vmcnt(0) lgkmcnt(1)
	v_fma_mix_f32 v9, v14, v10, v9 op_sel_hi:[0,1,0]
	v_fma_mix_f32 v9, v15, v10, v9 op_sel:[0,1,0] op_sel_hi:[0,1,0]
	v_fma_mix_f32 v9, v16, v11, v9 op_sel_hi:[0,1,0]
	v_fma_mix_f32 v9, v17, v11, v9 op_sel:[0,1,0] op_sel_hi:[0,1,0]
	s_waitcnt lgkmcnt(0)
	v_fma_mix_f32 v9, v18, v12, v9 op_sel_hi:[0,1,0]
	v_fma_mix_f32 v9, v19, v12, v9 op_sel:[0,1,0] op_sel_hi:[0,1,0]
	v_fma_mix_f32 v9, v20, v13, v9 op_sel_hi:[0,1,0]
	v_fma_mix_f32 v9, v21, v13, v9 op_sel:[0,1,0] op_sel_hi:[0,1,0]
	s_cbranch_scc0 .LBB483_29
; %bb.30:                               ;   in Loop: Header=BB483_23 Depth=1
	s_mov_b32 s15, s8
.LBB483_31:                             ;   in Loop: Header=BB483_23 Depth=1
	s_andn2_b32 vcc_lo, exec_lo, s12
	s_cbranch_vccnz .LBB483_21
; %bb.32:                               ;   in Loop: Header=BB483_23 Depth=1
	s_lshl_b32 s16, s15, 1
	s_lshl_b32 s15, s15, 2
	v_add_co_u32 v5, vcc_lo, v7, s16
	v_add_co_ci_u32_e64 v6, null, 0, v8, vcc_lo
	s_mov_b32 s16, s10
.LBB483_33:                             ;   Parent Loop BB483_23 Depth=1
                                        ; =>  This Inner Loop Header: Depth=2
	global_load_ushort v10, v[5:6], off
	v_mov_b32_e32 v11, s15
	v_add_co_u32 v5, vcc_lo, v5, 2
	v_add_co_ci_u32_e64 v6, null, 0, v6, vcc_lo
	ds_read_b32 v11, v11
	s_add_i32 s16, s16, -1
	s_add_i32 s15, s15, 4
	s_cmp_lg_u32 s16, 0
	s_waitcnt vmcnt(0) lgkmcnt(0)
	v_fma_mix_f32 v9, v11, v10, v9 op_sel_hi:[0,1,0]
	s_cbranch_scc1 .LBB483_33
	s_branch .LBB483_21
.LBB483_34:
	s_endpgm
	.section	.rodata,"a",@progbits
	.p2align	6, 0x0
	.amdhsa_kernel _ZL22rocblas_gemvtsm_kernelILb0ELi256EDF16_ffEviiT2_lPKT1_lilS3_lilS0_lPT3_lil
		.amdhsa_group_segment_fixed_size 256
		.amdhsa_private_segment_fixed_size 0
		.amdhsa_kernarg_size 136
		.amdhsa_user_sgpr_count 6
		.amdhsa_user_sgpr_private_segment_buffer 1
		.amdhsa_user_sgpr_dispatch_ptr 0
		.amdhsa_user_sgpr_queue_ptr 0
		.amdhsa_user_sgpr_kernarg_segment_ptr 1
		.amdhsa_user_sgpr_dispatch_id 0
		.amdhsa_user_sgpr_flat_scratch_init 0
		.amdhsa_user_sgpr_private_segment_size 0
		.amdhsa_wavefront_size32 1
		.amdhsa_uses_dynamic_stack 0
		.amdhsa_system_sgpr_private_segment_wavefront_offset 0
		.amdhsa_system_sgpr_workgroup_id_x 1
		.amdhsa_system_sgpr_workgroup_id_y 0
		.amdhsa_system_sgpr_workgroup_id_z 0
		.amdhsa_system_sgpr_workgroup_info 0
		.amdhsa_system_vgpr_workitem_id 0
		.amdhsa_next_free_vgpr 22
		.amdhsa_next_free_sgpr 26
		.amdhsa_reserve_vcc 1
		.amdhsa_reserve_flat_scratch 0
		.amdhsa_float_round_mode_32 0
		.amdhsa_float_round_mode_16_64 0
		.amdhsa_float_denorm_mode_32 3
		.amdhsa_float_denorm_mode_16_64 3
		.amdhsa_dx10_clamp 1
		.amdhsa_ieee_mode 1
		.amdhsa_fp16_overflow 0
		.amdhsa_workgroup_processor_mode 1
		.amdhsa_memory_ordered 1
		.amdhsa_forward_progress 1
		.amdhsa_shared_vgpr_count 0
		.amdhsa_exception_fp_ieee_invalid_op 0
		.amdhsa_exception_fp_denorm_src 0
		.amdhsa_exception_fp_ieee_div_zero 0
		.amdhsa_exception_fp_ieee_overflow 0
		.amdhsa_exception_fp_ieee_underflow 0
		.amdhsa_exception_fp_ieee_inexact 0
		.amdhsa_exception_int_div_zero 0
	.end_amdhsa_kernel
	.section	.text._ZL22rocblas_gemvtsm_kernelILb0ELi256EDF16_ffEviiT2_lPKT1_lilS3_lilS0_lPT3_lil,"axG",@progbits,_ZL22rocblas_gemvtsm_kernelILb0ELi256EDF16_ffEviiT2_lPKT1_lilS3_lilS0_lPT3_lil,comdat
.Lfunc_end483:
	.size	_ZL22rocblas_gemvtsm_kernelILb0ELi256EDF16_ffEviiT2_lPKT1_lilS3_lilS0_lPT3_lil, .Lfunc_end483-_ZL22rocblas_gemvtsm_kernelILb0ELi256EDF16_ffEviiT2_lPKT1_lilS3_lilS0_lPT3_lil
                                        ; -- End function
	.set _ZL22rocblas_gemvtsm_kernelILb0ELi256EDF16_ffEviiT2_lPKT1_lilS3_lilS0_lPT3_lil.num_vgpr, 22
	.set _ZL22rocblas_gemvtsm_kernelILb0ELi256EDF16_ffEviiT2_lPKT1_lilS3_lilS0_lPT3_lil.num_agpr, 0
	.set _ZL22rocblas_gemvtsm_kernelILb0ELi256EDF16_ffEviiT2_lPKT1_lilS3_lilS0_lPT3_lil.numbered_sgpr, 26
	.set _ZL22rocblas_gemvtsm_kernelILb0ELi256EDF16_ffEviiT2_lPKT1_lilS3_lilS0_lPT3_lil.num_named_barrier, 0
	.set _ZL22rocblas_gemvtsm_kernelILb0ELi256EDF16_ffEviiT2_lPKT1_lilS3_lilS0_lPT3_lil.private_seg_size, 0
	.set _ZL22rocblas_gemvtsm_kernelILb0ELi256EDF16_ffEviiT2_lPKT1_lilS3_lilS0_lPT3_lil.uses_vcc, 1
	.set _ZL22rocblas_gemvtsm_kernelILb0ELi256EDF16_ffEviiT2_lPKT1_lilS3_lilS0_lPT3_lil.uses_flat_scratch, 0
	.set _ZL22rocblas_gemvtsm_kernelILb0ELi256EDF16_ffEviiT2_lPKT1_lilS3_lilS0_lPT3_lil.has_dyn_sized_stack, 0
	.set _ZL22rocblas_gemvtsm_kernelILb0ELi256EDF16_ffEviiT2_lPKT1_lilS3_lilS0_lPT3_lil.has_recursion, 0
	.set _ZL22rocblas_gemvtsm_kernelILb0ELi256EDF16_ffEviiT2_lPKT1_lilS3_lilS0_lPT3_lil.has_indirect_call, 0
	.section	.AMDGPU.csdata,"",@progbits
; Kernel info:
; codeLenInByte = 1396
; TotalNumSgprs: 28
; NumVgprs: 22
; ScratchSize: 0
; MemoryBound: 0
; FloatMode: 240
; IeeeMode: 1
; LDSByteSize: 256 bytes/workgroup (compile time only)
; SGPRBlocks: 0
; VGPRBlocks: 2
; NumSGPRsForWavesPerEU: 28
; NumVGPRsForWavesPerEU: 22
; Occupancy: 16
; WaveLimiterHint : 1
; COMPUTE_PGM_RSRC2:SCRATCH_EN: 0
; COMPUTE_PGM_RSRC2:USER_SGPR: 6
; COMPUTE_PGM_RSRC2:TRAP_HANDLER: 0
; COMPUTE_PGM_RSRC2:TGID_X_EN: 1
; COMPUTE_PGM_RSRC2:TGID_Y_EN: 0
; COMPUTE_PGM_RSRC2:TGID_Z_EN: 0
; COMPUTE_PGM_RSRC2:TIDIG_COMP_CNT: 0
	.section	.text._ZL23rocblas_gemvt_sn_reduceILi256ELi8EfPKffEviT2_lPT3_lilPT1_i,"axG",@progbits,_ZL23rocblas_gemvt_sn_reduceILi256ELi8EfPKffEviT2_lPT3_lilPT1_i,comdat
	.globl	_ZL23rocblas_gemvt_sn_reduceILi256ELi8EfPKffEviT2_lPT3_lilPT1_i ; -- Begin function _ZL23rocblas_gemvt_sn_reduceILi256ELi8EfPKffEviT2_lPT3_lilPT1_i
	.p2align	8
	.type	_ZL23rocblas_gemvt_sn_reduceILi256ELi8EfPKffEviT2_lPT3_lilPT1_i,@function
_ZL23rocblas_gemvt_sn_reduceILi256ELi8EfPKffEviT2_lPT3_lilPT1_i: ; @_ZL23rocblas_gemvt_sn_reduceILi256ELi8EfPKffEviT2_lPT3_lilPT1_i
; %bb.0:
	s_clause 0x2
	s_load_dwordx8 s[12:19], s[4:5], 0x8
	s_load_dword s9, s[4:5], 0x0
	s_load_dword s10, s[4:5], 0x4c
	v_lshlrev_b32_e32 v4, 3, v0
	v_mov_b32_e32 v3, 0
	s_waitcnt lgkmcnt(0)
	s_mul_i32 s0, s15, s8
	s_mul_hi_u32 s1, s14, s8
	s_ashr_i32 s11, s9, 31
	s_add_i32 s1, s1, s0
	s_mul_i32 s0, s14, s8
	s_mul_i32 s10, s10, s8
	s_lshl_b64 s[0:1], s[0:1], 2
	s_mov_b32 s14, 0
	s_add_u32 s0, s12, s0
	s_addc_u32 s1, s13, s1
	s_load_dwordx2 s[2:3], s[4:5], 0x38
	s_load_dword s6, s[0:1], 0x0
	s_add_u32 s0, s4, 0x48
	s_addc_u32 s1, s5, 0
	s_add_i32 s10, s10, s7
	s_lshr_b32 s12, s11, 29
	s_mul_i32 s11, s10, s11
	s_add_i32 s12, s9, s12
	s_mul_hi_u32 s13, s10, s9
	s_and_b32 s12, s12, -8
	s_add_i32 s11, s13, s11
	s_mul_i32 s10, s10, s9
	s_mov_b32 s13, exec_lo
	v_cmpx_gt_i32_e64 s12, v4
	s_cbranch_execz .LBB484_4
; %bb.1:
	s_load_dword s0, s[0:1], 0xc
	v_lshlrev_b32_e32 v1, 5, v0
	s_lshl_b64 s[20:21], s[10:11], 2
	v_mov_b32_e32 v3, 0
	s_waitcnt lgkmcnt(0)
	s_and_b32 s0, s0, 0xffff
	s_lshl_b32 s1, s0, 3
	s_add_u32 s15, s2, s20
	s_addc_u32 s20, s3, s21
	v_add_co_u32 v1, s15, s15, v1
	v_add_co_ci_u32_e64 v2, null, s20, 0, s15
	s_lshl_b32 s15, s0, 5
	v_add_co_u32 v1, vcc_lo, v1, 28
	v_add_co_ci_u32_e64 v2, null, 0, v2, vcc_lo
	.p2align	6
.LBB484_2:                              ; =>This Inner Loop Header: Depth=1
	s_clause 0x1
	global_load_dwordx4 v[5:8], v[1:2], off offset:-28
	global_load_dwordx4 v[9:12], v[1:2], off offset:-12
	v_add_nc_u32_e32 v4, s1, v4
	v_add_co_u32 v1, vcc_lo, v1, s15
	v_add_co_ci_u32_e64 v2, null, 0, v2, vcc_lo
	v_cmp_le_i32_e64 s0, s12, v4
	s_or_b32 s14, s0, s14
	s_waitcnt vmcnt(1)
	v_add_f32_e32 v3, v3, v5
	v_add_f32_e32 v3, v3, v6
	v_add_f32_e32 v3, v3, v7
	v_add_f32_e32 v3, v3, v8
	s_waitcnt vmcnt(0)
	v_add_f32_e32 v3, v3, v9
	v_add_f32_e32 v3, v3, v10
	;; [unrolled: 1-line block ×4, first 2 shown]
	s_andn2_b32 exec_lo, exec_lo, s14
	s_cbranch_execnz .LBB484_2
; %bb.3:
	s_or_b32 exec_lo, exec_lo, s14
.LBB484_4:
	s_or_b32 exec_lo, exec_lo, s13
	s_sub_i32 s0, s9, s12
	v_cmp_gt_u32_e32 vcc_lo, s0, v0
	s_and_saveexec_b32 s0, vcc_lo
	s_cbranch_execz .LBB484_6
; %bb.5:
	v_xad_u32 v1, v0, -1, s9
	v_mov_b32_e32 v2, 0
	s_lshl_b64 s[10:11], s[10:11], 2
	s_waitcnt lgkmcnt(0)
	s_add_u32 s1, s2, s10
	s_addc_u32 s2, s3, s11
	v_lshlrev_b64 v[1:2], 2, v[1:2]
	v_add_co_u32 v1, vcc_lo, s1, v1
	v_add_co_ci_u32_e64 v2, null, s2, v2, vcc_lo
	global_load_dword v1, v[1:2], off
	s_waitcnt vmcnt(0)
	v_add_f32_e32 v3, v3, v1
.LBB484_6:
	s_or_b32 exec_lo, exec_lo, s0
	v_and_b32_e32 v1, 31, v0
	v_cmp_gt_u32_e32 vcc_lo, 32, v0
	v_lshlrev_b32_e32 v2, 2, v1
	s_and_saveexec_b32 s0, vcc_lo
; %bb.7:
	v_mov_b32_e32 v4, 0
	ds_write_b32 v2, v4
; %bb.8:
	s_or_b32 exec_lo, exec_lo, s0
	v_mbcnt_lo_u32_b32 v5, -1, 0
	s_mov_b32 s1, exec_lo
	s_waitcnt lgkmcnt(0)
	s_barrier
	buffer_gl0_inv
	v_lshl_or_b32 v4, v5, 2, 64
	v_cmp_gt_u32_e64 s0, 24, v5
	ds_bpermute_b32 v4, v4, v3
	v_cndmask_b32_e64 v6, 0, 8, s0
	v_cmp_gt_u32_e64 s0, 28, v5
	v_add_lshl_u32 v6, v6, v5, 2
	s_waitcnt lgkmcnt(0)
	v_add_f32_e32 v4, v3, v4
	v_cndmask_b32_e64 v3, 0, 4, s0
	v_cmp_gt_u32_e64 s0, 30, v5
	ds_bpermute_b32 v6, v6, v4
	v_add_lshl_u32 v3, v3, v5, 2
	s_waitcnt lgkmcnt(0)
	v_add_f32_e32 v6, v4, v6
	v_cndmask_b32_e64 v4, 0, 2, s0
	v_cmp_ne_u32_e64 s0, 31, v5
	ds_bpermute_b32 v7, v3, v6
	v_add_lshl_u32 v4, v4, v5, 2
	v_add_co_ci_u32_e64 v5, null, 0, v5, s0
	v_lshlrev_b32_e32 v5, 2, v5
	s_waitcnt lgkmcnt(0)
	v_add_f32_e32 v6, v6, v7
	ds_bpermute_b32 v7, v4, v6
	s_waitcnt lgkmcnt(0)
	v_add_f32_e32 v6, v6, v7
	ds_bpermute_b32 v7, v5, v6
	v_cmpx_eq_u32_e32 0, v1
	s_cbranch_execz .LBB484_10
; %bb.9:
	v_lshrrev_b32_e32 v1, 3, v0
	s_waitcnt lgkmcnt(0)
	v_add_f32_e32 v6, v6, v7
	v_and_b32_e32 v1, 28, v1
	ds_write_b32 v1, v6
.LBB484_10:
	s_or_b32 exec_lo, exec_lo, s1
	v_mov_b32_e32 v1, 0
	s_mov_b32 s1, exec_lo
	s_waitcnt lgkmcnt(0)
	s_barrier
	buffer_gl0_inv
	v_cmpx_gt_u32_e32 8, v0
; %bb.11:
	ds_read_b32 v1, v2
; %bb.12:
	s_or_b32 exec_lo, exec_lo, s1
	s_and_saveexec_b32 s0, vcc_lo
	s_cbranch_execz .LBB484_14
; %bb.13:
	s_waitcnt lgkmcnt(0)
	ds_bpermute_b32 v2, v3, v1
	s_waitcnt lgkmcnt(0)
	v_add_f32_e32 v1, v1, v2
	ds_bpermute_b32 v2, v4, v1
	s_waitcnt lgkmcnt(0)
	v_add_f32_e32 v1, v1, v2
	;; [unrolled: 3-line block ×3, first 2 shown]
.LBB484_14:
	s_or_b32 exec_lo, exec_lo, s0
	s_mov_b32 s0, exec_lo
	v_cmpx_eq_u32_e32 0, v0
	s_cbranch_execz .LBB484_18
; %bb.15:
	s_clause 0x1
	s_load_dwordx2 s[0:1], s[4:5], 0x30
	s_load_dword s4, s[4:5], 0x28
	v_cmp_eq_f32_e64 s5, s6, 0
	s_waitcnt lgkmcnt(0)
	s_mul_i32 s1, s1, s8
	s_mul_hi_u32 s2, s0, s8
	s_mul_i32 s0, s0, s8
	s_add_i32 s1, s2, s1
	s_ashr_i32 s2, s4, 31
	s_lshl_b64 s[0:1], s[0:1], 2
	s_mul_hi_u32 s8, s4, s7
	s_add_u32 s3, s16, s0
	s_addc_u32 s9, s17, s1
	s_lshl_b64 s[0:1], s[18:19], 2
	s_mul_i32 s10, s2, s7
	s_add_u32 s2, s3, s0
	s_addc_u32 s3, s9, s1
	s_add_i32 s1, s8, s10
	s_and_b32 vcc_lo, exec_lo, s5
	s_mul_i32 s0, s4, s7
	s_cbranch_vccnz .LBB484_17
; %bb.16:
	s_lshl_b64 s[4:5], s[0:1], 2
	s_add_u32 s4, s2, s4
	s_addc_u32 s5, s3, s5
	s_load_dword s4, s[4:5], 0x0
	s_waitcnt lgkmcnt(0)
	v_fmac_f32_e64 v1, s6, s4
.LBB484_17:
	s_lshl_b64 s[0:1], s[0:1], 2
	v_mov_b32_e32 v0, 0
	s_add_u32 s0, s2, s0
	s_addc_u32 s1, s3, s1
	global_store_dword v0, v1, s[0:1]
.LBB484_18:
	s_endpgm
	.section	.rodata,"a",@progbits
	.p2align	6, 0x0
	.amdhsa_kernel _ZL23rocblas_gemvt_sn_reduceILi256ELi8EfPKffEviT2_lPT3_lilPT1_i
		.amdhsa_group_segment_fixed_size 128
		.amdhsa_private_segment_fixed_size 0
		.amdhsa_kernarg_size 328
		.amdhsa_user_sgpr_count 6
		.amdhsa_user_sgpr_private_segment_buffer 1
		.amdhsa_user_sgpr_dispatch_ptr 0
		.amdhsa_user_sgpr_queue_ptr 0
		.amdhsa_user_sgpr_kernarg_segment_ptr 1
		.amdhsa_user_sgpr_dispatch_id 0
		.amdhsa_user_sgpr_flat_scratch_init 0
		.amdhsa_user_sgpr_private_segment_size 0
		.amdhsa_wavefront_size32 1
		.amdhsa_uses_dynamic_stack 0
		.amdhsa_system_sgpr_private_segment_wavefront_offset 0
		.amdhsa_system_sgpr_workgroup_id_x 1
		.amdhsa_system_sgpr_workgroup_id_y 1
		.amdhsa_system_sgpr_workgroup_id_z 1
		.amdhsa_system_sgpr_workgroup_info 0
		.amdhsa_system_vgpr_workitem_id 0
		.amdhsa_next_free_vgpr 13
		.amdhsa_next_free_sgpr 22
		.amdhsa_reserve_vcc 1
		.amdhsa_reserve_flat_scratch 0
		.amdhsa_float_round_mode_32 0
		.amdhsa_float_round_mode_16_64 0
		.amdhsa_float_denorm_mode_32 3
		.amdhsa_float_denorm_mode_16_64 3
		.amdhsa_dx10_clamp 1
		.amdhsa_ieee_mode 1
		.amdhsa_fp16_overflow 0
		.amdhsa_workgroup_processor_mode 1
		.amdhsa_memory_ordered 1
		.amdhsa_forward_progress 1
		.amdhsa_shared_vgpr_count 0
		.amdhsa_exception_fp_ieee_invalid_op 0
		.amdhsa_exception_fp_denorm_src 0
		.amdhsa_exception_fp_ieee_div_zero 0
		.amdhsa_exception_fp_ieee_overflow 0
		.amdhsa_exception_fp_ieee_underflow 0
		.amdhsa_exception_fp_ieee_inexact 0
		.amdhsa_exception_int_div_zero 0
	.end_amdhsa_kernel
	.section	.text._ZL23rocblas_gemvt_sn_reduceILi256ELi8EfPKffEviT2_lPT3_lilPT1_i,"axG",@progbits,_ZL23rocblas_gemvt_sn_reduceILi256ELi8EfPKffEviT2_lPT3_lilPT1_i,comdat
.Lfunc_end484:
	.size	_ZL23rocblas_gemvt_sn_reduceILi256ELi8EfPKffEviT2_lPT3_lilPT1_i, .Lfunc_end484-_ZL23rocblas_gemvt_sn_reduceILi256ELi8EfPKffEviT2_lPT3_lilPT1_i
                                        ; -- End function
	.set _ZL23rocblas_gemvt_sn_reduceILi256ELi8EfPKffEviT2_lPT3_lilPT1_i.num_vgpr, 13
	.set _ZL23rocblas_gemvt_sn_reduceILi256ELi8EfPKffEviT2_lPT3_lilPT1_i.num_agpr, 0
	.set _ZL23rocblas_gemvt_sn_reduceILi256ELi8EfPKffEviT2_lPT3_lilPT1_i.numbered_sgpr, 22
	.set _ZL23rocblas_gemvt_sn_reduceILi256ELi8EfPKffEviT2_lPT3_lilPT1_i.num_named_barrier, 0
	.set _ZL23rocblas_gemvt_sn_reduceILi256ELi8EfPKffEviT2_lPT3_lilPT1_i.private_seg_size, 0
	.set _ZL23rocblas_gemvt_sn_reduceILi256ELi8EfPKffEviT2_lPT3_lilPT1_i.uses_vcc, 1
	.set _ZL23rocblas_gemvt_sn_reduceILi256ELi8EfPKffEviT2_lPT3_lilPT1_i.uses_flat_scratch, 0
	.set _ZL23rocblas_gemvt_sn_reduceILi256ELi8EfPKffEviT2_lPT3_lilPT1_i.has_dyn_sized_stack, 0
	.set _ZL23rocblas_gemvt_sn_reduceILi256ELi8EfPKffEviT2_lPT3_lilPT1_i.has_recursion, 0
	.set _ZL23rocblas_gemvt_sn_reduceILi256ELi8EfPKffEviT2_lPT3_lilPT1_i.has_indirect_call, 0
	.section	.AMDGPU.csdata,"",@progbits
; Kernel info:
; codeLenInByte = 996
; TotalNumSgprs: 24
; NumVgprs: 13
; ScratchSize: 0
; MemoryBound: 0
; FloatMode: 240
; IeeeMode: 1
; LDSByteSize: 128 bytes/workgroup (compile time only)
; SGPRBlocks: 0
; VGPRBlocks: 1
; NumSGPRsForWavesPerEU: 24
; NumVGPRsForWavesPerEU: 13
; Occupancy: 16
; WaveLimiterHint : 0
; COMPUTE_PGM_RSRC2:SCRATCH_EN: 0
; COMPUTE_PGM_RSRC2:USER_SGPR: 6
; COMPUTE_PGM_RSRC2:TRAP_HANDLER: 0
; COMPUTE_PGM_RSRC2:TGID_X_EN: 1
; COMPUTE_PGM_RSRC2:TGID_Y_EN: 1
; COMPUTE_PGM_RSRC2:TGID_Z_EN: 1
; COMPUTE_PGM_RSRC2:TIDIG_COMP_CNT: 0
	.section	.text._ZL23rocblas_gemvt_sn_reduceILi256ELi8EfffEviT2_lPT3_lilPT1_i,"axG",@progbits,_ZL23rocblas_gemvt_sn_reduceILi256ELi8EfffEviT2_lPT3_lilPT1_i,comdat
	.globl	_ZL23rocblas_gemvt_sn_reduceILi256ELi8EfffEviT2_lPT3_lilPT1_i ; -- Begin function _ZL23rocblas_gemvt_sn_reduceILi256ELi8EfffEviT2_lPT3_lilPT1_i
	.p2align	8
	.type	_ZL23rocblas_gemvt_sn_reduceILi256ELi8EfffEviT2_lPT3_lilPT1_i,@function
_ZL23rocblas_gemvt_sn_reduceILi256ELi8EfffEviT2_lPT3_lilPT1_i: ; @_ZL23rocblas_gemvt_sn_reduceILi256ELi8EfffEviT2_lPT3_lilPT1_i
; %bb.0:
	s_clause 0x2
	s_load_dwordx2 s[2:3], s[4:5], 0x0
	s_load_dword s0, s[4:5], 0x44
	s_load_dwordx2 s[10:11], s[4:5], 0x30
	v_lshlrev_b32_e32 v4, 3, v0
	v_mov_b32_e32 v3, 0
	s_waitcnt lgkmcnt(0)
	s_ashr_i32 s6, s2, 31
	s_mul_i32 s9, s0, s8
	s_add_u32 s0, s4, 64
	s_addc_u32 s1, s5, 0
	s_lshr_b32 s12, s6, 29
	s_add_i32 s9, s9, s7
	s_add_i32 s12, s2, s12
	s_mul_i32 s13, s9, s6
	s_and_b32 s6, s12, -8
	s_mul_hi_u32 s12, s9, s2
	s_add_i32 s13, s12, s13
	s_mul_i32 s12, s9, s2
	s_mov_b32 s9, exec_lo
	v_cmpx_gt_i32_e64 s6, v4
	s_cbranch_execz .LBB485_4
; %bb.1:
	s_load_dword s0, s[0:1], 0xc
	v_lshlrev_b32_e32 v1, 5, v0
	s_lshl_b64 s[14:15], s[12:13], 2
	v_mov_b32_e32 v3, 0
	s_waitcnt lgkmcnt(0)
	s_and_b32 s0, s0, 0xffff
	s_lshl_b32 s1, s0, 3
	s_add_u32 s14, s10, s14
	s_addc_u32 s15, s11, s15
	v_add_co_u32 v1, s14, s14, v1
	v_add_co_ci_u32_e64 v2, null, s15, 0, s14
	s_mov_b32 s14, 0
	v_add_co_u32 v1, vcc_lo, v1, 28
	v_add_co_ci_u32_e64 v2, null, 0, v2, vcc_lo
	s_lshl_b32 s15, s0, 5
	.p2align	6
.LBB485_2:                              ; =>This Inner Loop Header: Depth=1
	s_clause 0x1
	global_load_dwordx4 v[5:8], v[1:2], off offset:-28
	global_load_dwordx4 v[9:12], v[1:2], off offset:-12
	v_add_nc_u32_e32 v4, s1, v4
	v_add_co_u32 v1, vcc_lo, v1, s15
	v_add_co_ci_u32_e64 v2, null, 0, v2, vcc_lo
	v_cmp_le_i32_e64 s0, s6, v4
	s_or_b32 s14, s0, s14
	s_waitcnt vmcnt(1)
	v_add_f32_e32 v3, v3, v5
	v_add_f32_e32 v3, v3, v6
	;; [unrolled: 1-line block ×4, first 2 shown]
	s_waitcnt vmcnt(0)
	v_add_f32_e32 v3, v3, v9
	v_add_f32_e32 v3, v3, v10
	;; [unrolled: 1-line block ×4, first 2 shown]
	s_andn2_b32 exec_lo, exec_lo, s14
	s_cbranch_execnz .LBB485_2
; %bb.3:
	s_or_b32 exec_lo, exec_lo, s14
.LBB485_4:
	s_or_b32 exec_lo, exec_lo, s9
	s_sub_i32 s0, s2, s6
	v_cmp_gt_u32_e32 vcc_lo, s0, v0
	s_and_saveexec_b32 s0, vcc_lo
	s_cbranch_execz .LBB485_6
; %bb.5:
	v_xad_u32 v1, v0, -1, s2
	v_mov_b32_e32 v2, 0
	s_lshl_b64 s[12:13], s[12:13], 2
	s_add_u32 s1, s10, s12
	s_addc_u32 s2, s11, s13
	v_lshlrev_b64 v[1:2], 2, v[1:2]
	v_add_co_u32 v1, vcc_lo, s1, v1
	v_add_co_ci_u32_e64 v2, null, s2, v2, vcc_lo
	global_load_dword v1, v[1:2], off
	s_waitcnt vmcnt(0)
	v_add_f32_e32 v3, v3, v1
.LBB485_6:
	s_or_b32 exec_lo, exec_lo, s0
	v_and_b32_e32 v1, 31, v0
	v_cmp_gt_u32_e32 vcc_lo, 32, v0
	v_lshlrev_b32_e32 v2, 2, v1
	s_and_saveexec_b32 s0, vcc_lo
; %bb.7:
	v_mov_b32_e32 v4, 0
	ds_write_b32 v2, v4
; %bb.8:
	s_or_b32 exec_lo, exec_lo, s0
	v_mbcnt_lo_u32_b32 v5, -1, 0
	s_mov_b32 s1, exec_lo
	s_waitcnt lgkmcnt(0)
	s_barrier
	buffer_gl0_inv
	v_lshl_or_b32 v4, v5, 2, 64
	v_cmp_gt_u32_e64 s0, 24, v5
	ds_bpermute_b32 v4, v4, v3
	v_cndmask_b32_e64 v6, 0, 8, s0
	v_cmp_gt_u32_e64 s0, 28, v5
	v_add_lshl_u32 v6, v6, v5, 2
	s_waitcnt lgkmcnt(0)
	v_add_f32_e32 v4, v3, v4
	v_cndmask_b32_e64 v3, 0, 4, s0
	v_cmp_gt_u32_e64 s0, 30, v5
	ds_bpermute_b32 v6, v6, v4
	v_add_lshl_u32 v3, v3, v5, 2
	s_waitcnt lgkmcnt(0)
	v_add_f32_e32 v6, v4, v6
	v_cndmask_b32_e64 v4, 0, 2, s0
	v_cmp_ne_u32_e64 s0, 31, v5
	ds_bpermute_b32 v7, v3, v6
	v_add_lshl_u32 v4, v4, v5, 2
	v_add_co_ci_u32_e64 v5, null, 0, v5, s0
	v_lshlrev_b32_e32 v5, 2, v5
	s_waitcnt lgkmcnt(0)
	v_add_f32_e32 v6, v6, v7
	ds_bpermute_b32 v7, v4, v6
	s_waitcnt lgkmcnt(0)
	v_add_f32_e32 v6, v6, v7
	ds_bpermute_b32 v7, v5, v6
	v_cmpx_eq_u32_e32 0, v1
	s_cbranch_execz .LBB485_10
; %bb.9:
	v_lshrrev_b32_e32 v1, 3, v0
	s_waitcnt lgkmcnt(0)
	v_add_f32_e32 v6, v6, v7
	v_and_b32_e32 v1, 28, v1
	ds_write_b32 v1, v6
.LBB485_10:
	s_or_b32 exec_lo, exec_lo, s1
	v_mov_b32_e32 v1, 0
	s_mov_b32 s1, exec_lo
	s_waitcnt lgkmcnt(0)
	s_barrier
	buffer_gl0_inv
	v_cmpx_gt_u32_e32 8, v0
; %bb.11:
	ds_read_b32 v1, v2
; %bb.12:
	s_or_b32 exec_lo, exec_lo, s1
	s_and_saveexec_b32 s0, vcc_lo
	s_cbranch_execz .LBB485_14
; %bb.13:
	s_waitcnt lgkmcnt(0)
	ds_bpermute_b32 v2, v3, v1
	s_waitcnt lgkmcnt(0)
	v_add_f32_e32 v1, v1, v2
	ds_bpermute_b32 v2, v4, v1
	s_waitcnt lgkmcnt(0)
	v_add_f32_e32 v1, v1, v2
	ds_bpermute_b32 v2, v5, v1
	s_waitcnt lgkmcnt(0)
	v_add_f32_e32 v1, v1, v2
.LBB485_14:
	s_or_b32 exec_lo, exec_lo, s0
	s_mov_b32 s0, exec_lo
	v_cmpx_eq_u32_e32 0, v0
	s_cbranch_execz .LBB485_18
; %bb.15:
	s_clause 0x2
	s_load_dwordx2 s[0:1], s[4:5], 0x28
	s_load_dword s6, s[4:5], 0x20
	s_load_dwordx4 s[12:15], s[4:5], 0x10
	v_cmp_eq_f32_e64 s5, s3, 0
	s_waitcnt lgkmcnt(0)
	s_mul_i32 s1, s1, s8
	s_mul_hi_u32 s2, s0, s8
	s_mul_i32 s0, s0, s8
	s_add_i32 s1, s2, s1
	s_ashr_i32 s2, s6, 31
	s_lshl_b64 s[0:1], s[0:1], 2
	s_mul_hi_u32 s8, s6, s7
	s_add_u32 s4, s12, s0
	s_addc_u32 s9, s13, s1
	s_lshl_b64 s[0:1], s[14:15], 2
	s_mul_i32 s10, s2, s7
	s_add_u32 s2, s4, s0
	s_addc_u32 s4, s9, s1
	s_add_i32 s1, s8, s10
	s_and_b32 vcc_lo, exec_lo, s5
	s_mul_i32 s0, s6, s7
	s_cbranch_vccnz .LBB485_17
; %bb.16:
	s_lshl_b64 s[6:7], s[0:1], 2
	s_add_u32 s6, s2, s6
	s_addc_u32 s7, s4, s7
	s_load_dword s5, s[6:7], 0x0
	s_waitcnt lgkmcnt(0)
	v_fmac_f32_e64 v1, s3, s5
.LBB485_17:
	s_lshl_b64 s[0:1], s[0:1], 2
	v_mov_b32_e32 v0, 0
	s_add_u32 s0, s2, s0
	s_addc_u32 s1, s4, s1
	global_store_dword v0, v1, s[0:1]
.LBB485_18:
	s_endpgm
	.section	.rodata,"a",@progbits
	.p2align	6, 0x0
	.amdhsa_kernel _ZL23rocblas_gemvt_sn_reduceILi256ELi8EfffEviT2_lPT3_lilPT1_i
		.amdhsa_group_segment_fixed_size 128
		.amdhsa_private_segment_fixed_size 0
		.amdhsa_kernarg_size 320
		.amdhsa_user_sgpr_count 6
		.amdhsa_user_sgpr_private_segment_buffer 1
		.amdhsa_user_sgpr_dispatch_ptr 0
		.amdhsa_user_sgpr_queue_ptr 0
		.amdhsa_user_sgpr_kernarg_segment_ptr 1
		.amdhsa_user_sgpr_dispatch_id 0
		.amdhsa_user_sgpr_flat_scratch_init 0
		.amdhsa_user_sgpr_private_segment_size 0
		.amdhsa_wavefront_size32 1
		.amdhsa_uses_dynamic_stack 0
		.amdhsa_system_sgpr_private_segment_wavefront_offset 0
		.amdhsa_system_sgpr_workgroup_id_x 1
		.amdhsa_system_sgpr_workgroup_id_y 1
		.amdhsa_system_sgpr_workgroup_id_z 1
		.amdhsa_system_sgpr_workgroup_info 0
		.amdhsa_system_vgpr_workitem_id 0
		.amdhsa_next_free_vgpr 13
		.amdhsa_next_free_sgpr 16
		.amdhsa_reserve_vcc 1
		.amdhsa_reserve_flat_scratch 0
		.amdhsa_float_round_mode_32 0
		.amdhsa_float_round_mode_16_64 0
		.amdhsa_float_denorm_mode_32 3
		.amdhsa_float_denorm_mode_16_64 3
		.amdhsa_dx10_clamp 1
		.amdhsa_ieee_mode 1
		.amdhsa_fp16_overflow 0
		.amdhsa_workgroup_processor_mode 1
		.amdhsa_memory_ordered 1
		.amdhsa_forward_progress 1
		.amdhsa_shared_vgpr_count 0
		.amdhsa_exception_fp_ieee_invalid_op 0
		.amdhsa_exception_fp_denorm_src 0
		.amdhsa_exception_fp_ieee_div_zero 0
		.amdhsa_exception_fp_ieee_overflow 0
		.amdhsa_exception_fp_ieee_underflow 0
		.amdhsa_exception_fp_ieee_inexact 0
		.amdhsa_exception_int_div_zero 0
	.end_amdhsa_kernel
	.section	.text._ZL23rocblas_gemvt_sn_reduceILi256ELi8EfffEviT2_lPT3_lilPT1_i,"axG",@progbits,_ZL23rocblas_gemvt_sn_reduceILi256ELi8EfffEviT2_lPT3_lilPT1_i,comdat
.Lfunc_end485:
	.size	_ZL23rocblas_gemvt_sn_reduceILi256ELi8EfffEviT2_lPT3_lilPT1_i, .Lfunc_end485-_ZL23rocblas_gemvt_sn_reduceILi256ELi8EfffEviT2_lPT3_lilPT1_i
                                        ; -- End function
	.set _ZL23rocblas_gemvt_sn_reduceILi256ELi8EfffEviT2_lPT3_lilPT1_i.num_vgpr, 13
	.set _ZL23rocblas_gemvt_sn_reduceILi256ELi8EfffEviT2_lPT3_lilPT1_i.num_agpr, 0
	.set _ZL23rocblas_gemvt_sn_reduceILi256ELi8EfffEviT2_lPT3_lilPT1_i.numbered_sgpr, 16
	.set _ZL23rocblas_gemvt_sn_reduceILi256ELi8EfffEviT2_lPT3_lilPT1_i.num_named_barrier, 0
	.set _ZL23rocblas_gemvt_sn_reduceILi256ELi8EfffEviT2_lPT3_lilPT1_i.private_seg_size, 0
	.set _ZL23rocblas_gemvt_sn_reduceILi256ELi8EfffEviT2_lPT3_lilPT1_i.uses_vcc, 1
	.set _ZL23rocblas_gemvt_sn_reduceILi256ELi8EfffEviT2_lPT3_lilPT1_i.uses_flat_scratch, 0
	.set _ZL23rocblas_gemvt_sn_reduceILi256ELi8EfffEviT2_lPT3_lilPT1_i.has_dyn_sized_stack, 0
	.set _ZL23rocblas_gemvt_sn_reduceILi256ELi8EfffEviT2_lPT3_lilPT1_i.has_recursion, 0
	.set _ZL23rocblas_gemvt_sn_reduceILi256ELi8EfffEviT2_lPT3_lilPT1_i.has_indirect_call, 0
	.section	.AMDGPU.csdata,"",@progbits
; Kernel info:
; codeLenInByte = 936
; TotalNumSgprs: 18
; NumVgprs: 13
; ScratchSize: 0
; MemoryBound: 0
; FloatMode: 240
; IeeeMode: 1
; LDSByteSize: 128 bytes/workgroup (compile time only)
; SGPRBlocks: 0
; VGPRBlocks: 1
; NumSGPRsForWavesPerEU: 18
; NumVGPRsForWavesPerEU: 13
; Occupancy: 16
; WaveLimiterHint : 0
; COMPUTE_PGM_RSRC2:SCRATCH_EN: 0
; COMPUTE_PGM_RSRC2:USER_SGPR: 6
; COMPUTE_PGM_RSRC2:TRAP_HANDLER: 0
; COMPUTE_PGM_RSRC2:TGID_X_EN: 1
; COMPUTE_PGM_RSRC2:TGID_Y_EN: 1
; COMPUTE_PGM_RSRC2:TGID_Z_EN: 1
; COMPUTE_PGM_RSRC2:TIDIG_COMP_CNT: 0
	.section	.text._ZL32rocblas_gemvt_warp_reduce_kernelILb0ELi256EiDF16_PKffEviiT3_lPKT2_lT1_lS5_lS6_lS2_lPT4_lS6_li,"axG",@progbits,_ZL32rocblas_gemvt_warp_reduce_kernelILb0ELi256EiDF16_PKffEviiT3_lPKT2_lT1_lS5_lS6_lS2_lPT4_lS6_li,comdat
	.globl	_ZL32rocblas_gemvt_warp_reduce_kernelILb0ELi256EiDF16_PKffEviiT3_lPKT2_lT1_lS5_lS6_lS2_lPT4_lS6_li ; -- Begin function _ZL32rocblas_gemvt_warp_reduce_kernelILb0ELi256EiDF16_PKffEviiT3_lPKT2_lT1_lS5_lS6_lS2_lPT4_lS6_li
	.p2align	8
	.type	_ZL32rocblas_gemvt_warp_reduce_kernelILb0ELi256EiDF16_PKffEviiT3_lPKT2_lT1_lS5_lS6_lS2_lPT4_lS6_li,@function
_ZL32rocblas_gemvt_warp_reduce_kernelILb0ELi256EiDF16_PKffEviiT3_lPKT2_lT1_lS5_lS6_lS2_lPT4_lS6_li: ; @_ZL32rocblas_gemvt_warp_reduce_kernelILb0ELi256EiDF16_PKffEviiT3_lPKT2_lT1_lS5_lS6_lS2_lPT4_lS6_li
; %bb.0:
	s_clause 0x1
	s_load_dwordx8 s[8:15], s[4:5], 0x8
	s_load_dwordx8 s[16:23], s[4:5], 0x50
	s_waitcnt lgkmcnt(0)
	s_mul_i32 s1, s11, s7
	s_mul_hi_u32 s2, s10, s7
	s_mul_i32 s0, s10, s7
	s_add_i32 s1, s2, s1
	s_mul_i32 s2, s21, s7
	s_lshl_b64 s[0:1], s[0:1], 2
	s_mul_hi_u32 s3, s20, s7
	s_add_u32 s0, s8, s0
	s_addc_u32 s1, s9, s1
	s_add_i32 s3, s3, s2
	s_mul_i32 s2, s20, s7
	s_mov_b32 s10, 0
	s_lshl_b64 s[2:3], s[2:3], 2
	s_add_u32 s2, s18, s2
	s_addc_u32 s3, s19, s3
	s_load_dword s11, s[0:1], 0x0
	s_load_dword s9, s[2:3], 0x0
	s_waitcnt lgkmcnt(0)
	v_cmp_eq_f32_e64 s0, s11, 0
	v_cmp_eq_f32_e64 s1, s9, 1.0
	s_and_b32 s0, s0, s1
	s_and_b32 vcc_lo, exec_lo, s0
	s_cbranch_vccnz .LBB486_30
; %bb.1:
	s_clause 0x2
	s_load_dwordx2 s[0:1], s[4:5], 0x80
	s_load_dwordx2 s[2:3], s[4:5], 0x70
	s_load_dword s18, s[4:5], 0x78
	v_cmp_neq_f32_e64 s19, s11, 0
	s_waitcnt lgkmcnt(0)
	s_mul_i32 s1, s1, s7
	s_mul_hi_u32 s8, s0, s7
	s_mul_i32 s0, s0, s7
	s_add_i32 s1, s8, s1
	s_lshl_b64 s[0:1], s[0:1], 2
	s_add_u32 s0, s22, s0
	s_addc_u32 s8, s23, s1
	s_lshl_b64 s[2:3], s[2:3], 2
	s_add_u32 s1, s0, s2
	v_cmp_eq_u32_e64 s0, 0, v0
	s_addc_u32 s8, s8, s3
	s_and_b32 vcc_lo, exec_lo, s19
	s_cbranch_vccnz .LBB486_5
; %bb.2:
	s_mov_b32 s19, 0
                                        ; implicit-def: $vgpr1
                                        ; implicit-def: $sgpr2_sgpr3
	s_and_saveexec_b32 s20, s0
	s_cbranch_execz .LBB486_6
; %bb.3:
	v_cmp_eq_f32_e64 s0, s9, 0
	s_mul_i32 s2, s18, s6
	s_ashr_i32 s3, s2, 31
	s_and_b32 vcc_lo, exec_lo, s0
	s_cbranch_vccnz .LBB486_7
; %bb.4:
	s_lshl_b64 s[22:23], s[2:3], 2
	s_add_u32 s22, s1, s22
	s_addc_u32 s23, s8, s23
	s_load_dword s0, s[22:23], 0x0
	s_waitcnt lgkmcnt(0)
	v_mul_f32_e64 v1, s9, s0
	s_branch .LBB486_8
.LBB486_5:
                                        ; implicit-def: $vgpr1
                                        ; implicit-def: $sgpr2_sgpr3
	s_cbranch_execnz .LBB486_9
	s_branch .LBB486_28
.LBB486_6:
	s_or_b32 exec_lo, exec_lo, s20
	s_and_b32 vcc_lo, exec_lo, s19
	s_cbranch_vccnz .LBB486_9
	s_branch .LBB486_28
.LBB486_7:
	v_mov_b32_e32 v1, 0
.LBB486_8:
	s_mov_b32 s10, exec_lo
	s_or_b32 exec_lo, exec_lo, s20
	s_and_b32 vcc_lo, exec_lo, s19
	s_cbranch_vccz .LBB486_28
.LBB486_9:
	s_clause 0x3
	s_load_dwordx4 s[20:23], s[4:5], 0x30
	s_load_dwordx2 s[24:25], s[4:5], 0x40
	s_load_dword s3, s[4:5], 0x0
	s_load_dword s0, s[4:5], 0x28
	s_mul_i32 s2, s17, s7
	s_mul_hi_u32 s17, s16, s7
	s_mul_i32 s16, s16, s7
	s_add_i32 s17, s17, s2
	s_load_dword s4, s[4:5], 0x48
	s_lshl_b64 s[16:17], s[16:17], 1
	v_mov_b32_e32 v7, 0
	s_waitcnt lgkmcnt(0)
	s_add_u32 s2, s22, s16
	s_addc_u32 s22, s23, s17
	v_cmp_gt_i32_e32 vcc_lo, s3, v0
	s_lshl_b64 s[16:17], s[24:25], 1
	s_mul_i32 s19, s21, s7
	s_mul_hi_u32 s21, s20, s7
	s_add_u32 s5, s2, s16
	v_cndmask_b32_e32 v1, 0, v0, vcc_lo
	s_mul_i32 s20, s20, s7
	s_addc_u32 s7, s22, s17
	s_add_i32 s21, s21, s19
	s_lshl_b64 s[16:17], s[20:21], 1
	s_mul_i32 s20, s0, s6
	s_add_u32 s0, s12, s16
	v_lshlrev_b32_e32 v1, 1, v1
	s_addc_u32 s2, s13, s17
	s_lshl_b64 s[12:13], s[14:15], 1
	s_add_u32 s0, s0, s12
	s_addc_u32 s2, s2, s13
	v_add_co_u32 v1, s0, s0, v1
	s_ashr_i32 s12, s3, 31
	s_ashr_i32 s21, s20, 31
	v_add_co_ci_u32_e64 v2, null, s2, 0, s0
	s_lshr_b32 s0, s12, 24
	s_lshl_b64 s[12:13], s[20:21], 1
	s_add_i32 s0, s3, s0
	v_add_co_u32 v1, vcc_lo, v1, s12
	v_add_co_ci_u32_e64 v2, null, s13, v2, vcc_lo
	s_and_b32 s2, s0, 0xffffff00
	s_mov_b32 s13, 0
	s_mov_b32 s12, exec_lo
	v_cmpx_gt_i32_e64 s2, v0
	s_cbranch_execz .LBB486_13
; %bb.10:
	v_mul_lo_u32 v3, v0, s4
	v_mov_b32_e32 v6, v2
	v_mov_b32_e32 v7, 0
	;; [unrolled: 1-line block ×4, first 2 shown]
	s_lshl_b32 s14, s4, 8
	.p2align	6
.LBB486_11:                             ; =>This Inner Loop Header: Depth=1
	v_ashrrev_i32_e32 v4, 31, v3
	v_add_nc_u32_e32 v8, 0x100, v8
	v_lshlrev_b64 v[9:10], 1, v[3:4]
	v_cmp_le_i32_e64 s0, s2, v8
	v_add_nc_u32_e32 v3, s14, v3
	s_or_b32 s13, s0, s13
	v_add_co_u32 v9, vcc_lo, s5, v9
	v_add_co_ci_u32_e64 v10, null, s7, v10, vcc_lo
	global_load_ushort v4, v[5:6], off
	global_load_ushort v9, v[9:10], off
	v_add_co_u32 v5, vcc_lo, 0x200, v5
	v_add_co_ci_u32_e64 v6, null, 0, v6, vcc_lo
	s_waitcnt vmcnt(0)
	v_mul_f16_e32 v4, v4, v9
	v_cvt_f32_f16_e32 v4, v4
	v_add_f32_e32 v7, v7, v4
	s_andn2_b32 exec_lo, exec_lo, s13
	s_cbranch_execnz .LBB486_11
; %bb.12:
	s_or_b32 exec_lo, exec_lo, s13
.LBB486_13:
	s_or_b32 exec_lo, exec_lo, s12
	v_add_nc_u32_e32 v3, s2, v0
	s_mov_b32 s0, exec_lo
	v_cmpx_gt_i32_e64 s3, v3
	s_cbranch_execz .LBB486_15
; %bb.14:
	v_mul_lo_u32 v3, s4, v3
	s_ashr_i32 s3, s2, 31
	s_lshl_b64 s[2:3], s[2:3], 1
	v_add_co_u32 v1, vcc_lo, v1, s2
	v_add_co_ci_u32_e64 v2, null, s3, v2, vcc_lo
	v_ashrrev_i32_e32 v4, 31, v3
	v_lshlrev_b64 v[3:4], 1, v[3:4]
	v_add_co_u32 v3, vcc_lo, s5, v3
	v_add_co_ci_u32_e64 v4, null, s7, v4, vcc_lo
	global_load_ushort v1, v[1:2], off
	global_load_ushort v2, v[3:4], off
	s_waitcnt vmcnt(0)
	v_mul_f16_e32 v1, v1, v2
	v_cvt_f32_f16_e32 v1, v1
	v_add_f32_e32 v7, v7, v1
.LBB486_15:
	s_or_b32 exec_lo, exec_lo, s0
	v_and_b32_e32 v5, 31, v0
	v_cmp_gt_u32_e32 vcc_lo, 32, v0
	v_lshlrev_b32_e32 v1, 2, v5
	s_and_saveexec_b32 s0, vcc_lo
; %bb.16:
	v_mov_b32_e32 v2, 0
	ds_write_b32 v1, v2
; %bb.17:
	s_or_b32 exec_lo, exec_lo, s0
	v_mbcnt_lo_u32_b32 v4, -1, 0
	s_mov_b32 s2, exec_lo
	s_waitcnt lgkmcnt(0)
	s_barrier
	buffer_gl0_inv
	v_lshl_or_b32 v2, v4, 2, 64
	v_cmp_gt_u32_e64 s0, 24, v4
	ds_bpermute_b32 v2, v2, v7
	v_cndmask_b32_e64 v3, 0, 8, s0
	v_cmp_gt_u32_e64 s0, 28, v4
	v_add_lshl_u32 v3, v3, v4, 2
	s_waitcnt lgkmcnt(0)
	v_add_f32_e32 v6, v7, v2
	v_cndmask_b32_e64 v2, 0, 4, s0
	v_cmp_gt_u32_e64 s0, 30, v4
	ds_bpermute_b32 v3, v3, v6
	v_add_lshl_u32 v2, v2, v4, 2
	s_waitcnt lgkmcnt(0)
	v_add_f32_e32 v6, v6, v3
	v_cndmask_b32_e64 v3, 0, 2, s0
	v_cmp_ne_u32_e64 s0, 31, v4
	ds_bpermute_b32 v7, v2, v6
	v_add_lshl_u32 v3, v3, v4, 2
	v_add_co_ci_u32_e64 v4, null, 0, v4, s0
	v_lshlrev_b32_e32 v4, 2, v4
	s_waitcnt lgkmcnt(0)
	v_add_f32_e32 v6, v6, v7
	ds_bpermute_b32 v7, v3, v6
	s_waitcnt lgkmcnt(0)
	v_add_f32_e32 v6, v6, v7
	ds_bpermute_b32 v7, v4, v6
	v_cmpx_eq_u32_e32 0, v5
	s_cbranch_execz .LBB486_19
; %bb.18:
	v_lshrrev_b32_e32 v5, 3, v0
	s_waitcnt lgkmcnt(0)
	v_add_f32_e32 v6, v6, v7
	v_and_b32_e32 v5, 28, v5
	ds_write_b32 v5, v6
.LBB486_19:
	s_or_b32 exec_lo, exec_lo, s2
	v_mov_b32_e32 v5, 0
	s_mov_b32 s2, exec_lo
	s_waitcnt lgkmcnt(0)
	s_barrier
	buffer_gl0_inv
	v_cmpx_gt_u32_e32 8, v0
; %bb.20:
	ds_read_b32 v5, v1
; %bb.21:
	s_or_b32 exec_lo, exec_lo, s2
	s_and_saveexec_b32 s0, vcc_lo
	s_cbranch_execz .LBB486_23
; %bb.22:
	s_waitcnt lgkmcnt(0)
	ds_bpermute_b32 v1, v2, v5
	s_waitcnt lgkmcnt(0)
	v_add_f32_e32 v1, v5, v1
	ds_bpermute_b32 v2, v3, v1
	s_waitcnt lgkmcnt(0)
	v_add_f32_e32 v1, v1, v2
	;; [unrolled: 3-line block ×3, first 2 shown]
.LBB486_23:
	s_or_b32 exec_lo, exec_lo, s0
	s_mov_b32 s0, exec_lo
                                        ; implicit-def: $vgpr1
                                        ; implicit-def: $sgpr2_sgpr3
	v_cmpx_eq_u32_e32 0, v0
	s_cbranch_execz .LBB486_27
; %bb.24:
	v_cmp_eq_f32_e64 s3, s9, 0
	s_waitcnt lgkmcnt(0)
	v_mul_f32_e32 v1, s11, v5
	s_mul_i32 s2, s18, s6
	s_and_b32 vcc_lo, exec_lo, s3
	s_ashr_i32 s3, s2, 31
	s_cbranch_vccnz .LBB486_26
; %bb.25:
	s_lshl_b64 s[4:5], s[2:3], 2
	s_add_u32 s4, s1, s4
	s_addc_u32 s5, s8, s5
	s_load_dword s4, s[4:5], 0x0
	s_waitcnt lgkmcnt(0)
	v_fmac_f32_e64 v1, s9, s4
.LBB486_26:
	s_or_b32 s10, s10, exec_lo
.LBB486_27:
	s_or_b32 exec_lo, exec_lo, s0
.LBB486_28:
	s_and_saveexec_b32 s0, s10
	s_cbranch_execz .LBB486_30
; %bb.29:
	s_lshl_b64 s[2:3], s[2:3], 2
	v_mov_b32_e32 v0, 0
	s_add_u32 s0, s1, s2
	s_addc_u32 s1, s8, s3
	global_store_dword v0, v1, s[0:1]
.LBB486_30:
	s_endpgm
	.section	.rodata,"a",@progbits
	.p2align	6, 0x0
	.amdhsa_kernel _ZL32rocblas_gemvt_warp_reduce_kernelILb0ELi256EiDF16_PKffEviiT3_lPKT2_lT1_lS5_lS6_lS2_lPT4_lS6_li
		.amdhsa_group_segment_fixed_size 128
		.amdhsa_private_segment_fixed_size 0
		.amdhsa_kernarg_size 140
		.amdhsa_user_sgpr_count 6
		.amdhsa_user_sgpr_private_segment_buffer 1
		.amdhsa_user_sgpr_dispatch_ptr 0
		.amdhsa_user_sgpr_queue_ptr 0
		.amdhsa_user_sgpr_kernarg_segment_ptr 1
		.amdhsa_user_sgpr_dispatch_id 0
		.amdhsa_user_sgpr_flat_scratch_init 0
		.amdhsa_user_sgpr_private_segment_size 0
		.amdhsa_wavefront_size32 1
		.amdhsa_uses_dynamic_stack 0
		.amdhsa_system_sgpr_private_segment_wavefront_offset 0
		.amdhsa_system_sgpr_workgroup_id_x 1
		.amdhsa_system_sgpr_workgroup_id_y 0
		.amdhsa_system_sgpr_workgroup_id_z 1
		.amdhsa_system_sgpr_workgroup_info 0
		.amdhsa_system_vgpr_workitem_id 0
		.amdhsa_next_free_vgpr 11
		.amdhsa_next_free_sgpr 26
		.amdhsa_reserve_vcc 1
		.amdhsa_reserve_flat_scratch 0
		.amdhsa_float_round_mode_32 0
		.amdhsa_float_round_mode_16_64 0
		.amdhsa_float_denorm_mode_32 3
		.amdhsa_float_denorm_mode_16_64 3
		.amdhsa_dx10_clamp 1
		.amdhsa_ieee_mode 1
		.amdhsa_fp16_overflow 0
		.amdhsa_workgroup_processor_mode 1
		.amdhsa_memory_ordered 1
		.amdhsa_forward_progress 1
		.amdhsa_shared_vgpr_count 0
		.amdhsa_exception_fp_ieee_invalid_op 0
		.amdhsa_exception_fp_denorm_src 0
		.amdhsa_exception_fp_ieee_div_zero 0
		.amdhsa_exception_fp_ieee_overflow 0
		.amdhsa_exception_fp_ieee_underflow 0
		.amdhsa_exception_fp_ieee_inexact 0
		.amdhsa_exception_int_div_zero 0
	.end_amdhsa_kernel
	.section	.text._ZL32rocblas_gemvt_warp_reduce_kernelILb0ELi256EiDF16_PKffEviiT3_lPKT2_lT1_lS5_lS6_lS2_lPT4_lS6_li,"axG",@progbits,_ZL32rocblas_gemvt_warp_reduce_kernelILb0ELi256EiDF16_PKffEviiT3_lPKT2_lT1_lS5_lS6_lS2_lPT4_lS6_li,comdat
.Lfunc_end486:
	.size	_ZL32rocblas_gemvt_warp_reduce_kernelILb0ELi256EiDF16_PKffEviiT3_lPKT2_lT1_lS5_lS6_lS2_lPT4_lS6_li, .Lfunc_end486-_ZL32rocblas_gemvt_warp_reduce_kernelILb0ELi256EiDF16_PKffEviiT3_lPKT2_lT1_lS5_lS6_lS2_lPT4_lS6_li
                                        ; -- End function
	.set _ZL32rocblas_gemvt_warp_reduce_kernelILb0ELi256EiDF16_PKffEviiT3_lPKT2_lT1_lS5_lS6_lS2_lPT4_lS6_li.num_vgpr, 11
	.set _ZL32rocblas_gemvt_warp_reduce_kernelILb0ELi256EiDF16_PKffEviiT3_lPKT2_lT1_lS5_lS6_lS2_lPT4_lS6_li.num_agpr, 0
	.set _ZL32rocblas_gemvt_warp_reduce_kernelILb0ELi256EiDF16_PKffEviiT3_lPKT2_lT1_lS5_lS6_lS2_lPT4_lS6_li.numbered_sgpr, 26
	.set _ZL32rocblas_gemvt_warp_reduce_kernelILb0ELi256EiDF16_PKffEviiT3_lPKT2_lT1_lS5_lS6_lS2_lPT4_lS6_li.num_named_barrier, 0
	.set _ZL32rocblas_gemvt_warp_reduce_kernelILb0ELi256EiDF16_PKffEviiT3_lPKT2_lT1_lS5_lS6_lS2_lPT4_lS6_li.private_seg_size, 0
	.set _ZL32rocblas_gemvt_warp_reduce_kernelILb0ELi256EiDF16_PKffEviiT3_lPKT2_lT1_lS5_lS6_lS2_lPT4_lS6_li.uses_vcc, 1
	.set _ZL32rocblas_gemvt_warp_reduce_kernelILb0ELi256EiDF16_PKffEviiT3_lPKT2_lT1_lS5_lS6_lS2_lPT4_lS6_li.uses_flat_scratch, 0
	.set _ZL32rocblas_gemvt_warp_reduce_kernelILb0ELi256EiDF16_PKffEviiT3_lPKT2_lT1_lS5_lS6_lS2_lPT4_lS6_li.has_dyn_sized_stack, 0
	.set _ZL32rocblas_gemvt_warp_reduce_kernelILb0ELi256EiDF16_PKffEviiT3_lPKT2_lT1_lS5_lS6_lS2_lPT4_lS6_li.has_recursion, 0
	.set _ZL32rocblas_gemvt_warp_reduce_kernelILb0ELi256EiDF16_PKffEviiT3_lPKT2_lT1_lS5_lS6_lS2_lPT4_lS6_li.has_indirect_call, 0
	.section	.AMDGPU.csdata,"",@progbits
; Kernel info:
; codeLenInByte = 1368
; TotalNumSgprs: 28
; NumVgprs: 11
; ScratchSize: 0
; MemoryBound: 0
; FloatMode: 240
; IeeeMode: 1
; LDSByteSize: 128 bytes/workgroup (compile time only)
; SGPRBlocks: 0
; VGPRBlocks: 1
; NumSGPRsForWavesPerEU: 28
; NumVGPRsForWavesPerEU: 11
; Occupancy: 16
; WaveLimiterHint : 1
; COMPUTE_PGM_RSRC2:SCRATCH_EN: 0
; COMPUTE_PGM_RSRC2:USER_SGPR: 6
; COMPUTE_PGM_RSRC2:TRAP_HANDLER: 0
; COMPUTE_PGM_RSRC2:TGID_X_EN: 1
; COMPUTE_PGM_RSRC2:TGID_Y_EN: 0
; COMPUTE_PGM_RSRC2:TGID_Z_EN: 1
; COMPUTE_PGM_RSRC2:TIDIG_COMP_CNT: 0
	.section	.text._ZL32rocblas_gemvt_warp_reduce_kernelILb0ELi256ElDF16_PKffEviiT3_lPKT2_lT1_lS5_lS6_lS2_lPT4_lS6_li,"axG",@progbits,_ZL32rocblas_gemvt_warp_reduce_kernelILb0ELi256ElDF16_PKffEviiT3_lPKT2_lT1_lS5_lS6_lS2_lPT4_lS6_li,comdat
	.globl	_ZL32rocblas_gemvt_warp_reduce_kernelILb0ELi256ElDF16_PKffEviiT3_lPKT2_lT1_lS5_lS6_lS2_lPT4_lS6_li ; -- Begin function _ZL32rocblas_gemvt_warp_reduce_kernelILb0ELi256ElDF16_PKffEviiT3_lPKT2_lT1_lS5_lS6_lS2_lPT4_lS6_li
	.p2align	8
	.type	_ZL32rocblas_gemvt_warp_reduce_kernelILb0ELi256ElDF16_PKffEviiT3_lPKT2_lT1_lS5_lS6_lS2_lPT4_lS6_li,@function
_ZL32rocblas_gemvt_warp_reduce_kernelILb0ELi256ElDF16_PKffEviiT3_lPKT2_lT1_lS5_lS6_lS2_lPT4_lS6_li: ; @_ZL32rocblas_gemvt_warp_reduce_kernelILb0ELi256ElDF16_PKffEviiT3_lPKT2_lT1_lS5_lS6_lS2_lPT4_lS6_li
; %bb.0:
	s_clause 0x1
	s_load_dwordx16 s[36:51], s[4:5], 0x8
	s_load_dwordx16 s[8:23], s[4:5], 0x48
	s_waitcnt lgkmcnt(0)
	s_mul_i32 s1, s39, s7
	s_mul_hi_u32 s2, s38, s7
	s_mul_i32 s0, s38, s7
	s_add_i32 s1, s2, s1
	s_mul_i32 s2, s15, s7
	s_lshl_b64 s[0:1], s[0:1], 2
	s_mul_hi_u32 s3, s14, s7
	s_add_u32 s0, s36, s0
	s_addc_u32 s1, s37, s1
	s_add_i32 s3, s3, s2
	s_mul_i32 s2, s14, s7
	s_mov_b32 s14, 0
	s_lshl_b64 s[2:3], s[2:3], 2
	s_add_u32 s2, s12, s2
	s_addc_u32 s3, s13, s3
	s_load_dword s15, s[0:1], 0x0
	s_load_dword s13, s[2:3], 0x0
	s_waitcnt lgkmcnt(0)
	v_cmp_eq_f32_e64 s0, s15, 0
	v_cmp_eq_f32_e64 s1, s13, 1.0
	s_and_b32 s0, s0, s1
	s_and_b32 vcc_lo, exec_lo, s0
	s_cbranch_vccnz .LBB487_30
; %bb.1:
	s_mul_i32 s1, s23, s7
	s_mul_hi_u32 s2, s22, s7
	s_mul_i32 s0, s22, s7
	s_add_i32 s1, s2, s1
	v_cmp_neq_f32_e64 s22, s15, 0
	s_lshl_b64 s[0:1], s[0:1], 2
	s_add_u32 s0, s16, s0
	s_addc_u32 s12, s17, s1
	s_lshl_b64 s[2:3], s[18:19], 2
	s_add_u32 s1, s0, s2
	v_cmp_eq_u32_e64 s0, 0, v0
	s_addc_u32 s12, s12, s3
	s_and_b32 vcc_lo, exec_lo, s22
	s_cbranch_vccnz .LBB487_5
; %bb.2:
	s_mov_b32 s16, 0
                                        ; implicit-def: $vgpr1
                                        ; implicit-def: $sgpr2_sgpr3
	s_and_saveexec_b32 s17, s0
	s_cbranch_execz .LBB487_6
; %bb.3:
	s_ashr_i32 s2, s6, 31
	v_cmp_eq_f32_e64 s0, s13, 0
	s_mul_hi_u32 s3, s20, s6
	s_mul_i32 s2, s20, s2
	s_mul_i32 s14, s21, s6
	s_add_i32 s2, s3, s2
	s_and_b32 vcc_lo, exec_lo, s0
	s_add_i32 s3, s2, s14
	s_mul_i32 s2, s20, s6
	s_cbranch_vccnz .LBB487_7
; %bb.4:
	s_lshl_b64 s[18:19], s[2:3], 2
	s_add_u32 s18, s1, s18
	s_addc_u32 s19, s12, s19
	s_load_dword s0, s[18:19], 0x0
	s_waitcnt lgkmcnt(0)
	v_mul_f32_e64 v1, s13, s0
	s_branch .LBB487_8
.LBB487_5:
                                        ; implicit-def: $vgpr1
                                        ; implicit-def: $sgpr2_sgpr3
	s_cbranch_execnz .LBB487_9
	s_branch .LBB487_28
.LBB487_6:
	s_or_b32 exec_lo, exec_lo, s17
	s_and_b32 vcc_lo, exec_lo, s16
	s_cbranch_vccnz .LBB487_9
	s_branch .LBB487_28
.LBB487_7:
	v_mov_b32_e32 v1, 0
.LBB487_8:
	s_mov_b32 s14, exec_lo
	s_or_b32 exec_lo, exec_lo, s17
	s_and_b32 vcc_lo, exec_lo, s16
	s_cbranch_vccz .LBB487_28
.LBB487_9:
	s_load_dword s5, s[4:5], 0x0
	s_mul_i32 s0, s11, s7
	s_mul_i32 s3, s47, s7
	s_mul_hi_u32 s11, s46, s7
	s_mul_i32 s2, s46, s7
	s_add_i32 s3, s11, s3
	s_mul_hi_u32 s4, s10, s7
	s_lshl_b64 s[16:17], s[2:3], 1
	s_add_i32 s3, s4, s0
	s_add_u32 s0, s40, s16
	s_addc_u32 s2, s41, s17
	s_lshl_b64 s[16:17], s[42:43], 1
	s_mul_hi_u32 s4, s44, s6
	s_add_u32 s0, s0, s16
	s_addc_u32 s2, s2, s17
	s_ashr_i32 s16, s6, 31
	s_mul_i32 s11, s45, s6
	s_mul_i32 s17, s44, s16
	;; [unrolled: 1-line block ×3, first 2 shown]
	s_add_i32 s4, s4, s17
	s_waitcnt lgkmcnt(0)
	v_cmp_gt_i32_e32 vcc_lo, s5, v0
	s_add_i32 s19, s4, s11
	s_ashr_i32 s4, s5, 31
	s_lshl_b64 s[18:19], s[18:19], 1
	s_lshr_b32 s4, s4, 24
	v_cndmask_b32_e32 v1, 0, v0, vcc_lo
	v_mov_b32_e32 v7, 0
	s_add_i32 s4, s5, s4
	s_mov_b32 s17, 0
	s_and_b32 s4, s4, 0xffffff00
	v_lshlrev_b32_e32 v1, 1, v1
	v_add_co_u32 v1, s0, s0, v1
	v_add_co_ci_u32_e64 v2, null, s2, 0, s0
	s_mul_i32 s2, s10, s7
	v_add_co_u32 v1, vcc_lo, v1, s18
	v_add_co_ci_u32_e64 v2, null, s19, v2, vcc_lo
	s_mov_b32 s7, exec_lo
	v_cmpx_gt_i32_e64 s4, v0
	s_cbranch_execz .LBB487_13
; %bb.10:
	v_mad_u64_u32 v[5:6], null, s8, v0, 0
	s_lshl_b64 s[18:19], s[50:51], 1
	s_lshl_b64 s[10:11], s[2:3], 1
	s_add_u32 s0, s48, s18
	s_addc_u32 s18, s49, s19
	s_add_u32 s0, s0, s10
	s_addc_u32 s10, s18, s11
	v_mov_b32_e32 v3, v6
	v_mov_b32_e32 v7, 0
	;; [unrolled: 1-line block ×3, first 2 shown]
	v_mad_u64_u32 v[3:4], null, s9, v0, v[3:4]
	v_mov_b32_e32 v6, v3
	v_mov_b32_e32 v4, v2
	;; [unrolled: 1-line block ×3, first 2 shown]
	v_lshlrev_b64 v[5:6], 1, v[5:6]
	v_add_co_u32 v5, vcc_lo, s0, v5
	v_add_co_ci_u32_e64 v6, null, s10, v6, vcc_lo
	s_lshl_b64 s[10:11], s[8:9], 9
	.p2align	6
.LBB487_11:                             ; =>This Inner Loop Header: Depth=1
	global_load_ushort v9, v[3:4], off
	global_load_ushort v10, v[5:6], off
	v_add_nc_u32_e32 v8, 0x100, v8
	v_add_co_u32 v3, vcc_lo, 0x200, v3
	v_add_co_ci_u32_e64 v4, null, 0, v4, vcc_lo
	v_add_co_u32 v5, vcc_lo, v5, s10
	v_cmp_le_i32_e64 s0, s4, v8
	v_add_co_ci_u32_e64 v6, null, s11, v6, vcc_lo
	s_or_b32 s17, s0, s17
	s_waitcnt vmcnt(0)
	v_mul_f16_e32 v9, v9, v10
	v_cvt_f32_f16_e32 v9, v9
	v_add_f32_e32 v7, v7, v9
	s_andn2_b32 exec_lo, exec_lo, s17
	s_cbranch_execnz .LBB487_11
; %bb.12:
	s_or_b32 exec_lo, exec_lo, s17
.LBB487_13:
	s_or_b32 exec_lo, exec_lo, s7
	v_add_nc_u32_e32 v3, s4, v0
	s_mov_b32 s0, exec_lo
	v_cmpx_gt_i32_e64 s5, v3
	s_cbranch_execz .LBB487_15
; %bb.14:
	v_ashrrev_i32_e32 v5, 31, v3
	v_mul_lo_u32 v6, s9, v3
	v_mad_u64_u32 v[3:4], null, s8, v3, 0
	s_lshl_b64 s[2:3], s[2:3], 1
	v_mul_lo_u32 v5, s8, v5
	s_add_u32 s5, s48, s2
	s_addc_u32 s7, s49, s3
	s_lshl_b64 s[2:3], s[50:51], 1
	s_add_u32 s8, s5, s2
	s_addc_u32 s7, s7, s3
	s_ashr_i32 s5, s4, 31
	v_add3_u32 v4, v4, v5, v6
	s_lshl_b64 s[2:3], s[4:5], 1
	v_add_co_u32 v1, vcc_lo, v1, s2
	v_lshlrev_b64 v[3:4], 1, v[3:4]
	v_add_co_ci_u32_e64 v2, null, s3, v2, vcc_lo
	v_add_co_u32 v3, vcc_lo, s8, v3
	v_add_co_ci_u32_e64 v4, null, s7, v4, vcc_lo
	global_load_ushort v1, v[1:2], off
	global_load_ushort v2, v[3:4], off
	s_waitcnt vmcnt(0)
	v_mul_f16_e32 v1, v1, v2
	v_cvt_f32_f16_e32 v1, v1
	v_add_f32_e32 v7, v7, v1
.LBB487_15:
	s_or_b32 exec_lo, exec_lo, s0
	v_and_b32_e32 v5, 31, v0
	v_cmp_gt_u32_e32 vcc_lo, 32, v0
	v_lshlrev_b32_e32 v1, 2, v5
	s_and_saveexec_b32 s0, vcc_lo
; %bb.16:
	v_mov_b32_e32 v2, 0
	ds_write_b32 v1, v2
; %bb.17:
	s_or_b32 exec_lo, exec_lo, s0
	v_mbcnt_lo_u32_b32 v4, -1, 0
	s_mov_b32 s2, exec_lo
	s_waitcnt lgkmcnt(0)
	s_barrier
	buffer_gl0_inv
	v_lshl_or_b32 v2, v4, 2, 64
	v_cmp_gt_u32_e64 s0, 24, v4
	ds_bpermute_b32 v2, v2, v7
	v_cndmask_b32_e64 v3, 0, 8, s0
	v_cmp_gt_u32_e64 s0, 28, v4
	v_add_lshl_u32 v3, v3, v4, 2
	s_waitcnt lgkmcnt(0)
	v_add_f32_e32 v6, v7, v2
	v_cndmask_b32_e64 v2, 0, 4, s0
	v_cmp_gt_u32_e64 s0, 30, v4
	ds_bpermute_b32 v3, v3, v6
	v_add_lshl_u32 v2, v2, v4, 2
	s_waitcnt lgkmcnt(0)
	v_add_f32_e32 v6, v6, v3
	v_cndmask_b32_e64 v3, 0, 2, s0
	v_cmp_ne_u32_e64 s0, 31, v4
	ds_bpermute_b32 v7, v2, v6
	v_add_lshl_u32 v3, v3, v4, 2
	v_add_co_ci_u32_e64 v4, null, 0, v4, s0
	v_lshlrev_b32_e32 v4, 2, v4
	s_waitcnt lgkmcnt(0)
	v_add_f32_e32 v6, v6, v7
	ds_bpermute_b32 v7, v3, v6
	s_waitcnt lgkmcnt(0)
	v_add_f32_e32 v6, v6, v7
	ds_bpermute_b32 v7, v4, v6
	v_cmpx_eq_u32_e32 0, v5
	s_cbranch_execz .LBB487_19
; %bb.18:
	v_lshrrev_b32_e32 v5, 3, v0
	s_waitcnt lgkmcnt(0)
	v_add_f32_e32 v6, v6, v7
	v_and_b32_e32 v5, 28, v5
	ds_write_b32 v5, v6
.LBB487_19:
	s_or_b32 exec_lo, exec_lo, s2
	v_mov_b32_e32 v5, 0
	s_mov_b32 s2, exec_lo
	s_waitcnt lgkmcnt(0)
	s_barrier
	buffer_gl0_inv
	v_cmpx_gt_u32_e32 8, v0
; %bb.20:
	ds_read_b32 v5, v1
; %bb.21:
	s_or_b32 exec_lo, exec_lo, s2
	s_and_saveexec_b32 s0, vcc_lo
	s_cbranch_execz .LBB487_23
; %bb.22:
	s_waitcnt lgkmcnt(0)
	ds_bpermute_b32 v1, v2, v5
	s_waitcnt lgkmcnt(0)
	v_add_f32_e32 v1, v5, v1
	ds_bpermute_b32 v2, v3, v1
	s_waitcnt lgkmcnt(0)
	v_add_f32_e32 v1, v1, v2
	;; [unrolled: 3-line block ×3, first 2 shown]
.LBB487_23:
	s_or_b32 exec_lo, exec_lo, s0
	s_mov_b32 s0, exec_lo
                                        ; implicit-def: $vgpr1
                                        ; implicit-def: $sgpr2_sgpr3
	v_cmpx_eq_u32_e32 0, v0
	s_cbranch_execz .LBB487_27
; %bb.24:
	v_cmp_eq_f32_e64 s4, s13, 0
	s_mul_i32 s2, s20, s16
	s_mul_hi_u32 s3, s20, s6
	s_waitcnt lgkmcnt(0)
	v_mul_f32_e32 v1, s15, v5
	s_add_i32 s2, s3, s2
	s_mul_i32 s3, s21, s6
	s_and_b32 vcc_lo, exec_lo, s4
	s_add_i32 s3, s2, s3
	s_mul_i32 s2, s20, s6
	s_cbranch_vccnz .LBB487_26
; %bb.25:
	s_lshl_b64 s[4:5], s[2:3], 2
	s_add_u32 s4, s1, s4
	s_addc_u32 s5, s12, s5
	s_load_dword s4, s[4:5], 0x0
	s_waitcnt lgkmcnt(0)
	v_fmac_f32_e64 v1, s13, s4
.LBB487_26:
	s_or_b32 s14, s14, exec_lo
.LBB487_27:
	s_or_b32 exec_lo, exec_lo, s0
.LBB487_28:
	s_and_saveexec_b32 s0, s14
	s_cbranch_execz .LBB487_30
; %bb.29:
	s_lshl_b64 s[2:3], s[2:3], 2
	v_mov_b32_e32 v0, 0
	s_add_u32 s0, s1, s2
	s_addc_u32 s1, s12, s3
	global_store_dword v0, v1, s[0:1]
.LBB487_30:
	s_endpgm
	.section	.rodata,"a",@progbits
	.p2align	6, 0x0
	.amdhsa_kernel _ZL32rocblas_gemvt_warp_reduce_kernelILb0ELi256ElDF16_PKffEviiT3_lPKT2_lT1_lS5_lS6_lS2_lPT4_lS6_li
		.amdhsa_group_segment_fixed_size 128
		.amdhsa_private_segment_fixed_size 0
		.amdhsa_kernarg_size 140
		.amdhsa_user_sgpr_count 6
		.amdhsa_user_sgpr_private_segment_buffer 1
		.amdhsa_user_sgpr_dispatch_ptr 0
		.amdhsa_user_sgpr_queue_ptr 0
		.amdhsa_user_sgpr_kernarg_segment_ptr 1
		.amdhsa_user_sgpr_dispatch_id 0
		.amdhsa_user_sgpr_flat_scratch_init 0
		.amdhsa_user_sgpr_private_segment_size 0
		.amdhsa_wavefront_size32 1
		.amdhsa_uses_dynamic_stack 0
		.amdhsa_system_sgpr_private_segment_wavefront_offset 0
		.amdhsa_system_sgpr_workgroup_id_x 1
		.amdhsa_system_sgpr_workgroup_id_y 0
		.amdhsa_system_sgpr_workgroup_id_z 1
		.amdhsa_system_sgpr_workgroup_info 0
		.amdhsa_system_vgpr_workitem_id 0
		.amdhsa_next_free_vgpr 11
		.amdhsa_next_free_sgpr 52
		.amdhsa_reserve_vcc 1
		.amdhsa_reserve_flat_scratch 0
		.amdhsa_float_round_mode_32 0
		.amdhsa_float_round_mode_16_64 0
		.amdhsa_float_denorm_mode_32 3
		.amdhsa_float_denorm_mode_16_64 3
		.amdhsa_dx10_clamp 1
		.amdhsa_ieee_mode 1
		.amdhsa_fp16_overflow 0
		.amdhsa_workgroup_processor_mode 1
		.amdhsa_memory_ordered 1
		.amdhsa_forward_progress 1
		.amdhsa_shared_vgpr_count 0
		.amdhsa_exception_fp_ieee_invalid_op 0
		.amdhsa_exception_fp_denorm_src 0
		.amdhsa_exception_fp_ieee_div_zero 0
		.amdhsa_exception_fp_ieee_overflow 0
		.amdhsa_exception_fp_ieee_underflow 0
		.amdhsa_exception_fp_ieee_inexact 0
		.amdhsa_exception_int_div_zero 0
	.end_amdhsa_kernel
	.section	.text._ZL32rocblas_gemvt_warp_reduce_kernelILb0ELi256ElDF16_PKffEviiT3_lPKT2_lT1_lS5_lS6_lS2_lPT4_lS6_li,"axG",@progbits,_ZL32rocblas_gemvt_warp_reduce_kernelILb0ELi256ElDF16_PKffEviiT3_lPKT2_lT1_lS5_lS6_lS2_lPT4_lS6_li,comdat
.Lfunc_end487:
	.size	_ZL32rocblas_gemvt_warp_reduce_kernelILb0ELi256ElDF16_PKffEviiT3_lPKT2_lT1_lS5_lS6_lS2_lPT4_lS6_li, .Lfunc_end487-_ZL32rocblas_gemvt_warp_reduce_kernelILb0ELi256ElDF16_PKffEviiT3_lPKT2_lT1_lS5_lS6_lS2_lPT4_lS6_li
                                        ; -- End function
	.set _ZL32rocblas_gemvt_warp_reduce_kernelILb0ELi256ElDF16_PKffEviiT3_lPKT2_lT1_lS5_lS6_lS2_lPT4_lS6_li.num_vgpr, 11
	.set _ZL32rocblas_gemvt_warp_reduce_kernelILb0ELi256ElDF16_PKffEviiT3_lPKT2_lT1_lS5_lS6_lS2_lPT4_lS6_li.num_agpr, 0
	.set _ZL32rocblas_gemvt_warp_reduce_kernelILb0ELi256ElDF16_PKffEviiT3_lPKT2_lT1_lS5_lS6_lS2_lPT4_lS6_li.numbered_sgpr, 52
	.set _ZL32rocblas_gemvt_warp_reduce_kernelILb0ELi256ElDF16_PKffEviiT3_lPKT2_lT1_lS5_lS6_lS2_lPT4_lS6_li.num_named_barrier, 0
	.set _ZL32rocblas_gemvt_warp_reduce_kernelILb0ELi256ElDF16_PKffEviiT3_lPKT2_lT1_lS5_lS6_lS2_lPT4_lS6_li.private_seg_size, 0
	.set _ZL32rocblas_gemvt_warp_reduce_kernelILb0ELi256ElDF16_PKffEviiT3_lPKT2_lT1_lS5_lS6_lS2_lPT4_lS6_li.uses_vcc, 1
	.set _ZL32rocblas_gemvt_warp_reduce_kernelILb0ELi256ElDF16_PKffEviiT3_lPKT2_lT1_lS5_lS6_lS2_lPT4_lS6_li.uses_flat_scratch, 0
	.set _ZL32rocblas_gemvt_warp_reduce_kernelILb0ELi256ElDF16_PKffEviiT3_lPKT2_lT1_lS5_lS6_lS2_lPT4_lS6_li.has_dyn_sized_stack, 0
	.set _ZL32rocblas_gemvt_warp_reduce_kernelILb0ELi256ElDF16_PKffEviiT3_lPKT2_lT1_lS5_lS6_lS2_lPT4_lS6_li.has_recursion, 0
	.set _ZL32rocblas_gemvt_warp_reduce_kernelILb0ELi256ElDF16_PKffEviiT3_lPKT2_lT1_lS5_lS6_lS2_lPT4_lS6_li.has_indirect_call, 0
	.section	.AMDGPU.csdata,"",@progbits
; Kernel info:
; codeLenInByte = 1416
; TotalNumSgprs: 54
; NumVgprs: 11
; ScratchSize: 0
; MemoryBound: 0
; FloatMode: 240
; IeeeMode: 1
; LDSByteSize: 128 bytes/workgroup (compile time only)
; SGPRBlocks: 0
; VGPRBlocks: 1
; NumSGPRsForWavesPerEU: 54
; NumVGPRsForWavesPerEU: 11
; Occupancy: 16
; WaveLimiterHint : 0
; COMPUTE_PGM_RSRC2:SCRATCH_EN: 0
; COMPUTE_PGM_RSRC2:USER_SGPR: 6
; COMPUTE_PGM_RSRC2:TRAP_HANDLER: 0
; COMPUTE_PGM_RSRC2:TGID_X_EN: 1
; COMPUTE_PGM_RSRC2:TGID_Y_EN: 0
; COMPUTE_PGM_RSRC2:TGID_Z_EN: 1
; COMPUTE_PGM_RSRC2:TIDIG_COMP_CNT: 0
	.section	.text._ZL32rocblas_gemvt_warp_reduce_kernelILb0ELi256EiDF16_ffEviiT3_lPKT2_lT1_lS3_lS4_lS0_lPT4_lS4_li,"axG",@progbits,_ZL32rocblas_gemvt_warp_reduce_kernelILb0ELi256EiDF16_ffEviiT3_lPKT2_lT1_lS3_lS4_lS0_lPT4_lS4_li,comdat
	.globl	_ZL32rocblas_gemvt_warp_reduce_kernelILb0ELi256EiDF16_ffEviiT3_lPKT2_lT1_lS3_lS4_lS0_lPT4_lS4_li ; -- Begin function _ZL32rocblas_gemvt_warp_reduce_kernelILb0ELi256EiDF16_ffEviiT3_lPKT2_lT1_lS3_lS4_lS0_lPT4_lS4_li
	.p2align	8
	.type	_ZL32rocblas_gemvt_warp_reduce_kernelILb0ELi256EiDF16_ffEviiT3_lPKT2_lT1_lS3_lS4_lS0_lPT4_lS4_li,@function
_ZL32rocblas_gemvt_warp_reduce_kernelILb0ELi256EiDF16_ffEviiT3_lPKT2_lT1_lS3_lS4_lS0_lPT4_lS4_li: ; @_ZL32rocblas_gemvt_warp_reduce_kernelILb0ELi256EiDF16_ffEviiT3_lPKT2_lT1_lS3_lS4_lS0_lPT4_lS4_li
; %bb.0:
	s_clause 0x1
	s_load_dword s12, s[4:5], 0x8
	s_load_dword s10, s[4:5], 0x58
	s_mov_b32 s11, 0
	s_waitcnt lgkmcnt(0)
	v_cmp_eq_f32_e64 s0, s12, 0
	v_cmp_eq_f32_e64 s1, s10, 1.0
	s_and_b32 s0, s0, s1
	s_and_b32 vcc_lo, exec_lo, s0
	s_cbranch_vccnz .LBB488_30
; %bb.1:
	s_clause 0x2
	s_load_dwordx2 s[8:9], s[4:5], 0x80
	s_load_dwordx4 s[0:3], s[4:5], 0x68
	s_load_dword s13, s[4:5], 0x78
	s_waitcnt lgkmcnt(0)
	s_mul_i32 s9, s9, s7
	s_mul_hi_u32 s14, s8, s7
	s_mul_i32 s8, s8, s7
	s_add_i32 s9, s14, s9
	v_cmp_neq_f32_e64 s14, s12, 0
	s_lshl_b64 s[8:9], s[8:9], 2
	s_add_u32 s8, s0, s8
	s_addc_u32 s9, s1, s9
	s_lshl_b64 s[0:1], s[2:3], 2
	s_add_u32 s8, s8, s0
	v_cmp_eq_u32_e64 s0, 0, v0
	s_addc_u32 s9, s9, s1
	s_and_b32 vcc_lo, exec_lo, s14
	s_cbranch_vccnz .LBB488_5
; %bb.2:
	s_mov_b32 s1, 0
                                        ; implicit-def: $vgpr1
                                        ; implicit-def: $sgpr2_sgpr3
	s_and_saveexec_b32 s14, s0
	s_cbranch_execz .LBB488_6
; %bb.3:
	v_cmp_eq_f32_e64 s0, s10, 0
	s_mul_i32 s2, s13, s6
	s_ashr_i32 s3, s2, 31
	s_and_b32 vcc_lo, exec_lo, s0
	s_cbranch_vccnz .LBB488_7
; %bb.4:
	s_lshl_b64 s[16:17], s[2:3], 2
	s_add_u32 s16, s8, s16
	s_addc_u32 s17, s9, s17
	s_load_dword s0, s[16:17], 0x0
	s_waitcnt lgkmcnt(0)
	v_mul_f32_e64 v1, s10, s0
	s_branch .LBB488_8
.LBB488_5:
                                        ; implicit-def: $vgpr1
                                        ; implicit-def: $sgpr2_sgpr3
	s_cbranch_execnz .LBB488_9
	s_branch .LBB488_28
.LBB488_6:
	s_or_b32 exec_lo, exec_lo, s14
	s_and_b32 vcc_lo, exec_lo, s1
	s_cbranch_vccnz .LBB488_9
	s_branch .LBB488_28
.LBB488_7:
	v_mov_b32_e32 v1, 0
.LBB488_8:
	s_mov_b32 s11, exec_lo
	s_or_b32 exec_lo, exec_lo, s14
	s_and_b32 vcc_lo, exec_lo, s1
	s_cbranch_vccz .LBB488_28
.LBB488_9:
	s_clause 0x6
	s_load_dwordx2 s[20:21], s[4:5], 0x50
	s_load_dwordx4 s[16:19], s[4:5], 0x30
	s_load_dwordx2 s[22:23], s[4:5], 0x40
	s_load_dword s14, s[4:5], 0x0
	s_load_dwordx4 s[0:3], s[4:5], 0x18
	s_load_dword s15, s[4:5], 0x28
	s_load_dword s4, s[4:5], 0x48
	v_mov_b32_e32 v7, 0
	s_waitcnt lgkmcnt(0)
	s_mul_i32 s5, s21, s7
	s_mul_hi_u32 s21, s20, s7
	s_mul_i32 s20, s20, s7
	s_add_i32 s21, s21, s5
	v_cmp_gt_i32_e32 vcc_lo, s14, v0
	s_lshl_b64 s[20:21], s[20:21], 1
	s_mul_i32 s17, s17, s7
	s_add_u32 s5, s18, s20
	s_addc_u32 s20, s19, s21
	s_lshl_b64 s[18:19], s[22:23], 1
	s_mul_hi_u32 s24, s16, s7
	s_add_u32 s5, s5, s18
	v_cndmask_b32_e32 v1, 0, v0, vcc_lo
	s_mul_i32 s16, s16, s7
	s_addc_u32 s7, s20, s19
	s_add_i32 s17, s24, s17
	s_mul_i32 s18, s15, s6
	s_lshl_b64 s[16:17], s[16:17], 1
	v_lshlrev_b32_e32 v1, 1, v1
	s_add_u32 s15, s0, s16
	s_addc_u32 s16, s1, s17
	s_lshl_b64 s[0:1], s[2:3], 1
	s_mov_b32 s3, 0
	s_add_u32 s0, s15, s0
	s_addc_u32 s1, s16, s1
	v_add_co_u32 v1, s0, s0, v1
	s_ashr_i32 s19, s18, 31
	v_add_co_ci_u32_e64 v2, null, s1, 0, s0
	s_lshl_b64 s[0:1], s[18:19], 1
	s_ashr_i32 s2, s14, 31
	v_add_co_u32 v1, vcc_lo, v1, s0
	s_lshr_b32 s2, s2, 24
	v_add_co_ci_u32_e64 v2, null, s1, v2, vcc_lo
	s_add_i32 s2, s14, s2
	s_mov_b32 s1, exec_lo
	s_and_b32 s2, s2, 0xffffff00
	v_cmpx_gt_i32_e64 s2, v0
	s_cbranch_execz .LBB488_13
; %bb.10:
	v_mul_lo_u32 v3, v0, s4
	v_mov_b32_e32 v6, v2
	v_mov_b32_e32 v7, 0
	;; [unrolled: 1-line block ×4, first 2 shown]
	s_lshl_b32 s15, s4, 8
	.p2align	6
.LBB488_11:                             ; =>This Inner Loop Header: Depth=1
	v_ashrrev_i32_e32 v4, 31, v3
	v_add_nc_u32_e32 v8, 0x100, v8
	v_lshlrev_b64 v[9:10], 1, v[3:4]
	v_cmp_le_i32_e64 s0, s2, v8
	v_add_nc_u32_e32 v3, s15, v3
	s_or_b32 s3, s0, s3
	v_add_co_u32 v9, vcc_lo, s5, v9
	v_add_co_ci_u32_e64 v10, null, s7, v10, vcc_lo
	global_load_ushort v4, v[5:6], off
	global_load_ushort v9, v[9:10], off
	v_add_co_u32 v5, vcc_lo, 0x200, v5
	v_add_co_ci_u32_e64 v6, null, 0, v6, vcc_lo
	s_waitcnt vmcnt(0)
	v_mul_f16_e32 v4, v4, v9
	v_cvt_f32_f16_e32 v4, v4
	v_add_f32_e32 v7, v7, v4
	s_andn2_b32 exec_lo, exec_lo, s3
	s_cbranch_execnz .LBB488_11
; %bb.12:
	s_or_b32 exec_lo, exec_lo, s3
.LBB488_13:
	s_or_b32 exec_lo, exec_lo, s1
	v_add_nc_u32_e32 v3, s2, v0
	s_mov_b32 s0, exec_lo
	v_cmpx_gt_i32_e64 s14, v3
	s_cbranch_execz .LBB488_15
; %bb.14:
	v_mul_lo_u32 v3, s4, v3
	s_ashr_i32 s3, s2, 31
	s_lshl_b64 s[2:3], s[2:3], 1
	v_add_co_u32 v1, vcc_lo, v1, s2
	v_add_co_ci_u32_e64 v2, null, s3, v2, vcc_lo
	v_ashrrev_i32_e32 v4, 31, v3
	v_lshlrev_b64 v[3:4], 1, v[3:4]
	v_add_co_u32 v3, vcc_lo, s5, v3
	v_add_co_ci_u32_e64 v4, null, s7, v4, vcc_lo
	global_load_ushort v1, v[1:2], off
	global_load_ushort v2, v[3:4], off
	s_waitcnt vmcnt(0)
	v_mul_f16_e32 v1, v1, v2
	v_cvt_f32_f16_e32 v1, v1
	v_add_f32_e32 v7, v7, v1
.LBB488_15:
	s_or_b32 exec_lo, exec_lo, s0
	v_and_b32_e32 v5, 31, v0
	v_cmp_gt_u32_e32 vcc_lo, 32, v0
	v_lshlrev_b32_e32 v1, 2, v5
	s_and_saveexec_b32 s0, vcc_lo
; %bb.16:
	v_mov_b32_e32 v2, 0
	ds_write_b32 v1, v2
; %bb.17:
	s_or_b32 exec_lo, exec_lo, s0
	v_mbcnt_lo_u32_b32 v4, -1, 0
	s_mov_b32 s1, exec_lo
	s_waitcnt lgkmcnt(0)
	s_barrier
	buffer_gl0_inv
	v_lshl_or_b32 v2, v4, 2, 64
	v_cmp_gt_u32_e64 s0, 24, v4
	ds_bpermute_b32 v2, v2, v7
	v_cndmask_b32_e64 v3, 0, 8, s0
	v_cmp_gt_u32_e64 s0, 28, v4
	v_add_lshl_u32 v3, v3, v4, 2
	s_waitcnt lgkmcnt(0)
	v_add_f32_e32 v6, v7, v2
	v_cndmask_b32_e64 v2, 0, 4, s0
	v_cmp_gt_u32_e64 s0, 30, v4
	ds_bpermute_b32 v3, v3, v6
	v_add_lshl_u32 v2, v2, v4, 2
	s_waitcnt lgkmcnt(0)
	v_add_f32_e32 v6, v6, v3
	v_cndmask_b32_e64 v3, 0, 2, s0
	v_cmp_ne_u32_e64 s0, 31, v4
	ds_bpermute_b32 v7, v2, v6
	v_add_lshl_u32 v3, v3, v4, 2
	v_add_co_ci_u32_e64 v4, null, 0, v4, s0
	v_lshlrev_b32_e32 v4, 2, v4
	s_waitcnt lgkmcnt(0)
	v_add_f32_e32 v6, v6, v7
	ds_bpermute_b32 v7, v3, v6
	s_waitcnt lgkmcnt(0)
	v_add_f32_e32 v6, v6, v7
	ds_bpermute_b32 v7, v4, v6
	v_cmpx_eq_u32_e32 0, v5
	s_cbranch_execz .LBB488_19
; %bb.18:
	v_lshrrev_b32_e32 v5, 3, v0
	s_waitcnt lgkmcnt(0)
	v_add_f32_e32 v6, v6, v7
	v_and_b32_e32 v5, 28, v5
	ds_write_b32 v5, v6
.LBB488_19:
	s_or_b32 exec_lo, exec_lo, s1
	v_mov_b32_e32 v5, 0
	s_mov_b32 s1, exec_lo
	s_waitcnt lgkmcnt(0)
	s_barrier
	buffer_gl0_inv
	v_cmpx_gt_u32_e32 8, v0
; %bb.20:
	ds_read_b32 v5, v1
; %bb.21:
	s_or_b32 exec_lo, exec_lo, s1
	s_and_saveexec_b32 s0, vcc_lo
	s_cbranch_execz .LBB488_23
; %bb.22:
	s_waitcnt lgkmcnt(0)
	ds_bpermute_b32 v1, v2, v5
	s_waitcnt lgkmcnt(0)
	v_add_f32_e32 v1, v5, v1
	ds_bpermute_b32 v2, v3, v1
	s_waitcnt lgkmcnt(0)
	v_add_f32_e32 v1, v1, v2
	;; [unrolled: 3-line block ×3, first 2 shown]
.LBB488_23:
	s_or_b32 exec_lo, exec_lo, s0
	s_mov_b32 s0, exec_lo
                                        ; implicit-def: $vgpr1
                                        ; implicit-def: $sgpr2_sgpr3
	v_cmpx_eq_u32_e32 0, v0
	s_cbranch_execz .LBB488_27
; %bb.24:
	v_cmp_eq_f32_e64 s1, s10, 0
	s_waitcnt lgkmcnt(0)
	v_mul_f32_e32 v1, s12, v5
	s_mul_i32 s2, s13, s6
	s_ashr_i32 s3, s2, 31
	s_and_b32 vcc_lo, exec_lo, s1
	s_cbranch_vccnz .LBB488_26
; %bb.25:
	s_lshl_b64 s[4:5], s[2:3], 2
	s_add_u32 s4, s8, s4
	s_addc_u32 s5, s9, s5
	s_load_dword s1, s[4:5], 0x0
	s_waitcnt lgkmcnt(0)
	v_fmac_f32_e64 v1, s10, s1
.LBB488_26:
	s_or_b32 s11, s11, exec_lo
.LBB488_27:
	s_or_b32 exec_lo, exec_lo, s0
.LBB488_28:
	s_and_saveexec_b32 s0, s11
	s_cbranch_execz .LBB488_30
; %bb.29:
	s_lshl_b64 s[0:1], s[2:3], 2
	v_mov_b32_e32 v0, 0
	s_add_u32 s0, s8, s0
	s_addc_u32 s1, s9, s1
	global_store_dword v0, v1, s[0:1]
.LBB488_30:
	s_endpgm
	.section	.rodata,"a",@progbits
	.p2align	6, 0x0
	.amdhsa_kernel _ZL32rocblas_gemvt_warp_reduce_kernelILb0ELi256EiDF16_ffEviiT3_lPKT2_lT1_lS3_lS4_lS0_lPT4_lS4_li
		.amdhsa_group_segment_fixed_size 128
		.amdhsa_private_segment_fixed_size 0
		.amdhsa_kernarg_size 140
		.amdhsa_user_sgpr_count 6
		.amdhsa_user_sgpr_private_segment_buffer 1
		.amdhsa_user_sgpr_dispatch_ptr 0
		.amdhsa_user_sgpr_queue_ptr 0
		.amdhsa_user_sgpr_kernarg_segment_ptr 1
		.amdhsa_user_sgpr_dispatch_id 0
		.amdhsa_user_sgpr_flat_scratch_init 0
		.amdhsa_user_sgpr_private_segment_size 0
		.amdhsa_wavefront_size32 1
		.amdhsa_uses_dynamic_stack 0
		.amdhsa_system_sgpr_private_segment_wavefront_offset 0
		.amdhsa_system_sgpr_workgroup_id_x 1
		.amdhsa_system_sgpr_workgroup_id_y 0
		.amdhsa_system_sgpr_workgroup_id_z 1
		.amdhsa_system_sgpr_workgroup_info 0
		.amdhsa_system_vgpr_workitem_id 0
		.amdhsa_next_free_vgpr 11
		.amdhsa_next_free_sgpr 25
		.amdhsa_reserve_vcc 1
		.amdhsa_reserve_flat_scratch 0
		.amdhsa_float_round_mode_32 0
		.amdhsa_float_round_mode_16_64 0
		.amdhsa_float_denorm_mode_32 3
		.amdhsa_float_denorm_mode_16_64 3
		.amdhsa_dx10_clamp 1
		.amdhsa_ieee_mode 1
		.amdhsa_fp16_overflow 0
		.amdhsa_workgroup_processor_mode 1
		.amdhsa_memory_ordered 1
		.amdhsa_forward_progress 1
		.amdhsa_shared_vgpr_count 0
		.amdhsa_exception_fp_ieee_invalid_op 0
		.amdhsa_exception_fp_denorm_src 0
		.amdhsa_exception_fp_ieee_div_zero 0
		.amdhsa_exception_fp_ieee_overflow 0
		.amdhsa_exception_fp_ieee_underflow 0
		.amdhsa_exception_fp_ieee_inexact 0
		.amdhsa_exception_int_div_zero 0
	.end_amdhsa_kernel
	.section	.text._ZL32rocblas_gemvt_warp_reduce_kernelILb0ELi256EiDF16_ffEviiT3_lPKT2_lT1_lS3_lS4_lS0_lPT4_lS4_li,"axG",@progbits,_ZL32rocblas_gemvt_warp_reduce_kernelILb0ELi256EiDF16_ffEviiT3_lPKT2_lT1_lS3_lS4_lS0_lPT4_lS4_li,comdat
.Lfunc_end488:
	.size	_ZL32rocblas_gemvt_warp_reduce_kernelILb0ELi256EiDF16_ffEviiT3_lPKT2_lT1_lS3_lS4_lS0_lPT4_lS4_li, .Lfunc_end488-_ZL32rocblas_gemvt_warp_reduce_kernelILb0ELi256EiDF16_ffEviiT3_lPKT2_lT1_lS3_lS4_lS0_lPT4_lS4_li
                                        ; -- End function
	.set _ZL32rocblas_gemvt_warp_reduce_kernelILb0ELi256EiDF16_ffEviiT3_lPKT2_lT1_lS3_lS4_lS0_lPT4_lS4_li.num_vgpr, 11
	.set _ZL32rocblas_gemvt_warp_reduce_kernelILb0ELi256EiDF16_ffEviiT3_lPKT2_lT1_lS3_lS4_lS0_lPT4_lS4_li.num_agpr, 0
	.set _ZL32rocblas_gemvt_warp_reduce_kernelILb0ELi256EiDF16_ffEviiT3_lPKT2_lT1_lS3_lS4_lS0_lPT4_lS4_li.numbered_sgpr, 25
	.set _ZL32rocblas_gemvt_warp_reduce_kernelILb0ELi256EiDF16_ffEviiT3_lPKT2_lT1_lS3_lS4_lS0_lPT4_lS4_li.num_named_barrier, 0
	.set _ZL32rocblas_gemvt_warp_reduce_kernelILb0ELi256EiDF16_ffEviiT3_lPKT2_lT1_lS3_lS4_lS0_lPT4_lS4_li.private_seg_size, 0
	.set _ZL32rocblas_gemvt_warp_reduce_kernelILb0ELi256EiDF16_ffEviiT3_lPKT2_lT1_lS3_lS4_lS0_lPT4_lS4_li.uses_vcc, 1
	.set _ZL32rocblas_gemvt_warp_reduce_kernelILb0ELi256EiDF16_ffEviiT3_lPKT2_lT1_lS3_lS4_lS0_lPT4_lS4_li.uses_flat_scratch, 0
	.set _ZL32rocblas_gemvt_warp_reduce_kernelILb0ELi256EiDF16_ffEviiT3_lPKT2_lT1_lS3_lS4_lS0_lPT4_lS4_li.has_dyn_sized_stack, 0
	.set _ZL32rocblas_gemvt_warp_reduce_kernelILb0ELi256EiDF16_ffEviiT3_lPKT2_lT1_lS3_lS4_lS0_lPT4_lS4_li.has_recursion, 0
	.set _ZL32rocblas_gemvt_warp_reduce_kernelILb0ELi256EiDF16_ffEviiT3_lPKT2_lT1_lS3_lS4_lS0_lPT4_lS4_li.has_indirect_call, 0
	.section	.AMDGPU.csdata,"",@progbits
; Kernel info:
; codeLenInByte = 1304
; TotalNumSgprs: 27
; NumVgprs: 11
; ScratchSize: 0
; MemoryBound: 0
; FloatMode: 240
; IeeeMode: 1
; LDSByteSize: 128 bytes/workgroup (compile time only)
; SGPRBlocks: 0
; VGPRBlocks: 1
; NumSGPRsForWavesPerEU: 27
; NumVGPRsForWavesPerEU: 11
; Occupancy: 16
; WaveLimiterHint : 1
; COMPUTE_PGM_RSRC2:SCRATCH_EN: 0
; COMPUTE_PGM_RSRC2:USER_SGPR: 6
; COMPUTE_PGM_RSRC2:TRAP_HANDLER: 0
; COMPUTE_PGM_RSRC2:TGID_X_EN: 1
; COMPUTE_PGM_RSRC2:TGID_Y_EN: 0
; COMPUTE_PGM_RSRC2:TGID_Z_EN: 1
; COMPUTE_PGM_RSRC2:TIDIG_COMP_CNT: 0
	.section	.text._ZL32rocblas_gemvt_warp_reduce_kernelILb0ELi256ElDF16_ffEviiT3_lPKT2_lT1_lS3_lS4_lS0_lPT4_lS4_li,"axG",@progbits,_ZL32rocblas_gemvt_warp_reduce_kernelILb0ELi256ElDF16_ffEviiT3_lPKT2_lT1_lS3_lS4_lS0_lPT4_lS4_li,comdat
	.globl	_ZL32rocblas_gemvt_warp_reduce_kernelILb0ELi256ElDF16_ffEviiT3_lPKT2_lT1_lS3_lS4_lS0_lPT4_lS4_li ; -- Begin function _ZL32rocblas_gemvt_warp_reduce_kernelILb0ELi256ElDF16_ffEviiT3_lPKT2_lT1_lS3_lS4_lS0_lPT4_lS4_li
	.p2align	8
	.type	_ZL32rocblas_gemvt_warp_reduce_kernelILb0ELi256ElDF16_ffEviiT3_lPKT2_lT1_lS3_lS4_lS0_lPT4_lS4_li,@function
_ZL32rocblas_gemvt_warp_reduce_kernelILb0ELi256ElDF16_ffEviiT3_lPKT2_lT1_lS3_lS4_lS0_lPT4_lS4_li: ; @_ZL32rocblas_gemvt_warp_reduce_kernelILb0ELi256ElDF16_ffEviiT3_lPKT2_lT1_lS3_lS4_lS0_lPT4_lS4_li
; %bb.0:
	s_clause 0x1
	s_load_dword s30, s[4:5], 0x8
	s_load_dword s28, s[4:5], 0x58
	s_mov_b32 s29, 0
	s_waitcnt lgkmcnt(0)
	v_cmp_eq_f32_e64 s0, s30, 0
	v_cmp_eq_f32_e64 s1, s28, 1.0
	s_and_b32 s0, s0, s1
	s_and_b32 vcc_lo, exec_lo, s0
	s_cbranch_vccnz .LBB489_30
; %bb.1:
	s_load_dwordx8 s[20:27], s[4:5], 0x68
	v_cmp_neq_f32_e64 s8, s30, 0
	s_waitcnt lgkmcnt(0)
	s_mul_i32 s1, s27, s7
	s_mul_hi_u32 s2, s26, s7
	s_mul_i32 s0, s26, s7
	s_add_i32 s1, s2, s1
	s_lshl_b64 s[0:1], s[0:1], 2
	s_add_u32 s0, s20, s0
	s_addc_u32 s9, s21, s1
	s_lshl_b64 s[2:3], s[22:23], 2
	s_add_u32 s1, s0, s2
	v_cmp_eq_u32_e64 s0, 0, v0
	s_addc_u32 s26, s9, s3
	s_and_b32 vcc_lo, exec_lo, s8
	s_cbranch_vccnz .LBB489_5
; %bb.2:
	s_mov_b32 s8, 0
                                        ; implicit-def: $vgpr1
                                        ; implicit-def: $sgpr2_sgpr3
	s_and_saveexec_b32 s9, s0
	s_cbranch_execz .LBB489_6
; %bb.3:
	s_ashr_i32 s2, s6, 31
	v_cmp_eq_f32_e64 s0, s28, 0
	s_mul_hi_u32 s3, s24, s6
	s_mul_i32 s2, s24, s2
	s_mul_i32 s10, s25, s6
	s_add_i32 s2, s3, s2
	s_and_b32 vcc_lo, exec_lo, s0
	s_add_i32 s3, s2, s10
	s_mul_i32 s2, s24, s6
	s_cbranch_vccnz .LBB489_7
; %bb.4:
	s_lshl_b64 s[10:11], s[2:3], 2
	s_add_u32 s10, s1, s10
	s_addc_u32 s11, s26, s11
	s_load_dword s0, s[10:11], 0x0
	s_waitcnt lgkmcnt(0)
	v_mul_f32_e64 v1, s28, s0
	s_branch .LBB489_8
.LBB489_5:
                                        ; implicit-def: $vgpr1
                                        ; implicit-def: $sgpr2_sgpr3
	s_cbranch_execnz .LBB489_9
	s_branch .LBB489_28
.LBB489_6:
	s_or_b32 exec_lo, exec_lo, s9
	s_and_b32 vcc_lo, exec_lo, s8
	s_cbranch_vccnz .LBB489_9
	s_branch .LBB489_28
.LBB489_7:
	v_mov_b32_e32 v1, 0
.LBB489_8:
	s_mov_b32 s29, exec_lo
	s_or_b32 exec_lo, exec_lo, s9
	s_and_b32 vcc_lo, exec_lo, s8
	s_cbranch_vccz .LBB489_28
.LBB489_9:
	s_clause 0x1
	s_load_dwordx16 s[8:23], s[4:5], 0x18
	s_load_dword s5, s[4:5], 0x0
	v_mov_b32_e32 v7, 0
	s_waitcnt lgkmcnt(0)
	s_mul_i32 s3, s15, s7
	v_cmp_gt_i32_e32 vcc_lo, s5, v0
	s_mul_hi_u32 s15, s14, s7
	s_mul_i32 s2, s14, s7
	s_add_i32 s3, s15, s3
	s_mul_i32 s0, s23, s7
	v_cndmask_b32_e32 v1, 0, v0, vcc_lo
	s_mul_hi_u32 s4, s22, s7
	s_lshl_b64 s[34:35], s[2:3], 1
	s_add_i32 s3, s4, s0
	s_add_u32 s0, s8, s34
	v_lshlrev_b32_e32 v1, 1, v1
	s_addc_u32 s2, s9, s35
	s_lshl_b64 s[8:9], s[10:11], 1
	s_mul_hi_u32 s23, s12, s6
	s_add_u32 s0, s0, s8
	s_addc_u32 s2, s2, s9
	s_ashr_i32 s10, s6, 31
	v_add_co_u32 v1, s0, s0, v1
	v_add_co_ci_u32_e64 v2, null, s2, 0, s0
	s_mul_i32 s0, s12, s10
	s_mul_i32 s13, s13, s6
	s_add_i32 s0, s23, s0
	s_mul_i32 s14, s12, s6
	s_add_i32 s15, s0, s13
	s_ashr_i32 s4, s5, 31
	s_lshl_b64 s[8:9], s[14:15], 1
	s_lshr_b32 s2, s4, 24
	v_add_co_u32 v1, vcc_lo, v1, s8
	v_add_co_ci_u32_e64 v2, null, s9, v2, vcc_lo
	s_add_i32 s2, s5, s2
	s_mov_b32 s11, 0
	s_and_b32 s4, s2, 0xffffff00
	s_mul_i32 s2, s22, s7
	s_mov_b32 s7, exec_lo
	v_cmpx_gt_i32_e64 s4, v0
	s_cbranch_execz .LBB489_13
; %bb.10:
	v_mad_u64_u32 v[5:6], null, s20, v0, 0
	s_lshl_b64 s[12:13], s[18:19], 1
	s_lshl_b64 s[8:9], s[2:3], 1
	s_add_u32 s0, s16, s12
	s_addc_u32 s12, s17, s13
	s_add_u32 s0, s0, s8
	s_addc_u32 s8, s12, s9
	v_mov_b32_e32 v3, v6
	v_mov_b32_e32 v7, 0
	;; [unrolled: 1-line block ×3, first 2 shown]
	v_mad_u64_u32 v[3:4], null, s21, v0, v[3:4]
	v_mov_b32_e32 v6, v3
	v_mov_b32_e32 v4, v2
	;; [unrolled: 1-line block ×3, first 2 shown]
	v_lshlrev_b64 v[5:6], 1, v[5:6]
	v_add_co_u32 v5, vcc_lo, s0, v5
	v_add_co_ci_u32_e64 v6, null, s8, v6, vcc_lo
	s_lshl_b64 s[8:9], s[20:21], 9
	.p2align	6
.LBB489_11:                             ; =>This Inner Loop Header: Depth=1
	global_load_ushort v9, v[3:4], off
	global_load_ushort v10, v[5:6], off
	v_add_nc_u32_e32 v8, 0x100, v8
	v_add_co_u32 v3, vcc_lo, 0x200, v3
	v_add_co_ci_u32_e64 v4, null, 0, v4, vcc_lo
	v_add_co_u32 v5, vcc_lo, v5, s8
	v_cmp_le_i32_e64 s0, s4, v8
	v_add_co_ci_u32_e64 v6, null, s9, v6, vcc_lo
	s_or_b32 s11, s0, s11
	s_waitcnt vmcnt(0)
	v_mul_f16_e32 v9, v9, v10
	v_cvt_f32_f16_e32 v9, v9
	v_add_f32_e32 v7, v7, v9
	s_andn2_b32 exec_lo, exec_lo, s11
	s_cbranch_execnz .LBB489_11
; %bb.12:
	s_or_b32 exec_lo, exec_lo, s11
.LBB489_13:
	s_or_b32 exec_lo, exec_lo, s7
	v_add_nc_u32_e32 v3, s4, v0
	s_mov_b32 s0, exec_lo
	v_cmpx_gt_i32_e64 s5, v3
	s_cbranch_execz .LBB489_15
; %bb.14:
	v_ashrrev_i32_e32 v5, 31, v3
	v_mul_lo_u32 v6, s21, v3
	v_mad_u64_u32 v[3:4], null, s20, v3, 0
	s_lshl_b64 s[2:3], s[2:3], 1
	v_mul_lo_u32 v5, s20, v5
	s_add_u32 s5, s16, s2
	s_addc_u32 s7, s17, s3
	s_lshl_b64 s[2:3], s[18:19], 1
	s_add_u32 s8, s5, s2
	s_addc_u32 s7, s7, s3
	s_ashr_i32 s5, s4, 31
	v_add3_u32 v4, v4, v5, v6
	s_lshl_b64 s[2:3], s[4:5], 1
	v_add_co_u32 v1, vcc_lo, v1, s2
	v_lshlrev_b64 v[3:4], 1, v[3:4]
	v_add_co_ci_u32_e64 v2, null, s3, v2, vcc_lo
	v_add_co_u32 v3, vcc_lo, s8, v3
	v_add_co_ci_u32_e64 v4, null, s7, v4, vcc_lo
	global_load_ushort v1, v[1:2], off
	global_load_ushort v2, v[3:4], off
	s_waitcnt vmcnt(0)
	v_mul_f16_e32 v1, v1, v2
	v_cvt_f32_f16_e32 v1, v1
	v_add_f32_e32 v7, v7, v1
.LBB489_15:
	s_or_b32 exec_lo, exec_lo, s0
	v_and_b32_e32 v5, 31, v0
	v_cmp_gt_u32_e32 vcc_lo, 32, v0
	v_lshlrev_b32_e32 v1, 2, v5
	s_and_saveexec_b32 s0, vcc_lo
; %bb.16:
	v_mov_b32_e32 v2, 0
	ds_write_b32 v1, v2
; %bb.17:
	s_or_b32 exec_lo, exec_lo, s0
	v_mbcnt_lo_u32_b32 v4, -1, 0
	s_mov_b32 s2, exec_lo
	s_waitcnt lgkmcnt(0)
	s_barrier
	buffer_gl0_inv
	v_lshl_or_b32 v2, v4, 2, 64
	v_cmp_gt_u32_e64 s0, 24, v4
	ds_bpermute_b32 v2, v2, v7
	v_cndmask_b32_e64 v3, 0, 8, s0
	v_cmp_gt_u32_e64 s0, 28, v4
	v_add_lshl_u32 v3, v3, v4, 2
	s_waitcnt lgkmcnt(0)
	v_add_f32_e32 v6, v7, v2
	v_cndmask_b32_e64 v2, 0, 4, s0
	v_cmp_gt_u32_e64 s0, 30, v4
	ds_bpermute_b32 v3, v3, v6
	v_add_lshl_u32 v2, v2, v4, 2
	s_waitcnt lgkmcnt(0)
	v_add_f32_e32 v6, v6, v3
	v_cndmask_b32_e64 v3, 0, 2, s0
	v_cmp_ne_u32_e64 s0, 31, v4
	ds_bpermute_b32 v7, v2, v6
	v_add_lshl_u32 v3, v3, v4, 2
	v_add_co_ci_u32_e64 v4, null, 0, v4, s0
	v_lshlrev_b32_e32 v4, 2, v4
	s_waitcnt lgkmcnt(0)
	v_add_f32_e32 v6, v6, v7
	ds_bpermute_b32 v7, v3, v6
	s_waitcnt lgkmcnt(0)
	v_add_f32_e32 v6, v6, v7
	ds_bpermute_b32 v7, v4, v6
	v_cmpx_eq_u32_e32 0, v5
	s_cbranch_execz .LBB489_19
; %bb.18:
	v_lshrrev_b32_e32 v5, 3, v0
	s_waitcnt lgkmcnt(0)
	v_add_f32_e32 v6, v6, v7
	v_and_b32_e32 v5, 28, v5
	ds_write_b32 v5, v6
.LBB489_19:
	s_or_b32 exec_lo, exec_lo, s2
	v_mov_b32_e32 v5, 0
	s_mov_b32 s2, exec_lo
	s_waitcnt lgkmcnt(0)
	s_barrier
	buffer_gl0_inv
	v_cmpx_gt_u32_e32 8, v0
; %bb.20:
	ds_read_b32 v5, v1
; %bb.21:
	s_or_b32 exec_lo, exec_lo, s2
	s_and_saveexec_b32 s0, vcc_lo
	s_cbranch_execz .LBB489_23
; %bb.22:
	s_waitcnt lgkmcnt(0)
	ds_bpermute_b32 v1, v2, v5
	s_waitcnt lgkmcnt(0)
	v_add_f32_e32 v1, v5, v1
	ds_bpermute_b32 v2, v3, v1
	s_waitcnt lgkmcnt(0)
	v_add_f32_e32 v1, v1, v2
	;; [unrolled: 3-line block ×3, first 2 shown]
.LBB489_23:
	s_or_b32 exec_lo, exec_lo, s0
	s_mov_b32 s0, exec_lo
                                        ; implicit-def: $vgpr1
                                        ; implicit-def: $sgpr2_sgpr3
	v_cmpx_eq_u32_e32 0, v0
	s_cbranch_execz .LBB489_27
; %bb.24:
	v_cmp_eq_f32_e64 s4, s28, 0
	s_mul_i32 s2, s24, s10
	s_mul_hi_u32 s3, s24, s6
	s_waitcnt lgkmcnt(0)
	v_mul_f32_e32 v1, s30, v5
	s_add_i32 s2, s3, s2
	s_mul_i32 s3, s25, s6
	s_and_b32 vcc_lo, exec_lo, s4
	s_add_i32 s3, s2, s3
	s_mul_i32 s2, s24, s6
	s_cbranch_vccnz .LBB489_26
; %bb.25:
	s_lshl_b64 s[4:5], s[2:3], 2
	s_add_u32 s4, s1, s4
	s_addc_u32 s5, s26, s5
	s_load_dword s4, s[4:5], 0x0
	s_waitcnt lgkmcnt(0)
	v_fmac_f32_e64 v1, s28, s4
.LBB489_26:
	s_or_b32 s29, s29, exec_lo
.LBB489_27:
	s_or_b32 exec_lo, exec_lo, s0
.LBB489_28:
	s_and_saveexec_b32 s0, s29
	s_cbranch_execz .LBB489_30
; %bb.29:
	s_lshl_b64 s[2:3], s[2:3], 2
	v_mov_b32_e32 v0, 0
	s_add_u32 s0, s1, s2
	s_addc_u32 s1, s26, s3
	global_store_dword v0, v1, s[0:1]
.LBB489_30:
	s_endpgm
	.section	.rodata,"a",@progbits
	.p2align	6, 0x0
	.amdhsa_kernel _ZL32rocblas_gemvt_warp_reduce_kernelILb0ELi256ElDF16_ffEviiT3_lPKT2_lT1_lS3_lS4_lS0_lPT4_lS4_li
		.amdhsa_group_segment_fixed_size 128
		.amdhsa_private_segment_fixed_size 0
		.amdhsa_kernarg_size 140
		.amdhsa_user_sgpr_count 6
		.amdhsa_user_sgpr_private_segment_buffer 1
		.amdhsa_user_sgpr_dispatch_ptr 0
		.amdhsa_user_sgpr_queue_ptr 0
		.amdhsa_user_sgpr_kernarg_segment_ptr 1
		.amdhsa_user_sgpr_dispatch_id 0
		.amdhsa_user_sgpr_flat_scratch_init 0
		.amdhsa_user_sgpr_private_segment_size 0
		.amdhsa_wavefront_size32 1
		.amdhsa_uses_dynamic_stack 0
		.amdhsa_system_sgpr_private_segment_wavefront_offset 0
		.amdhsa_system_sgpr_workgroup_id_x 1
		.amdhsa_system_sgpr_workgroup_id_y 0
		.amdhsa_system_sgpr_workgroup_id_z 1
		.amdhsa_system_sgpr_workgroup_info 0
		.amdhsa_system_vgpr_workitem_id 0
		.amdhsa_next_free_vgpr 11
		.amdhsa_next_free_sgpr 36
		.amdhsa_reserve_vcc 1
		.amdhsa_reserve_flat_scratch 0
		.amdhsa_float_round_mode_32 0
		.amdhsa_float_round_mode_16_64 0
		.amdhsa_float_denorm_mode_32 3
		.amdhsa_float_denorm_mode_16_64 3
		.amdhsa_dx10_clamp 1
		.amdhsa_ieee_mode 1
		.amdhsa_fp16_overflow 0
		.amdhsa_workgroup_processor_mode 1
		.amdhsa_memory_ordered 1
		.amdhsa_forward_progress 1
		.amdhsa_shared_vgpr_count 0
		.amdhsa_exception_fp_ieee_invalid_op 0
		.amdhsa_exception_fp_denorm_src 0
		.amdhsa_exception_fp_ieee_div_zero 0
		.amdhsa_exception_fp_ieee_overflow 0
		.amdhsa_exception_fp_ieee_underflow 0
		.amdhsa_exception_fp_ieee_inexact 0
		.amdhsa_exception_int_div_zero 0
	.end_amdhsa_kernel
	.section	.text._ZL32rocblas_gemvt_warp_reduce_kernelILb0ELi256ElDF16_ffEviiT3_lPKT2_lT1_lS3_lS4_lS0_lPT4_lS4_li,"axG",@progbits,_ZL32rocblas_gemvt_warp_reduce_kernelILb0ELi256ElDF16_ffEviiT3_lPKT2_lT1_lS3_lS4_lS0_lPT4_lS4_li,comdat
.Lfunc_end489:
	.size	_ZL32rocblas_gemvt_warp_reduce_kernelILb0ELi256ElDF16_ffEviiT3_lPKT2_lT1_lS3_lS4_lS0_lPT4_lS4_li, .Lfunc_end489-_ZL32rocblas_gemvt_warp_reduce_kernelILb0ELi256ElDF16_ffEviiT3_lPKT2_lT1_lS3_lS4_lS0_lPT4_lS4_li
                                        ; -- End function
	.set _ZL32rocblas_gemvt_warp_reduce_kernelILb0ELi256ElDF16_ffEviiT3_lPKT2_lT1_lS3_lS4_lS0_lPT4_lS4_li.num_vgpr, 11
	.set _ZL32rocblas_gemvt_warp_reduce_kernelILb0ELi256ElDF16_ffEviiT3_lPKT2_lT1_lS3_lS4_lS0_lPT4_lS4_li.num_agpr, 0
	.set _ZL32rocblas_gemvt_warp_reduce_kernelILb0ELi256ElDF16_ffEviiT3_lPKT2_lT1_lS3_lS4_lS0_lPT4_lS4_li.numbered_sgpr, 36
	.set _ZL32rocblas_gemvt_warp_reduce_kernelILb0ELi256ElDF16_ffEviiT3_lPKT2_lT1_lS3_lS4_lS0_lPT4_lS4_li.num_named_barrier, 0
	.set _ZL32rocblas_gemvt_warp_reduce_kernelILb0ELi256ElDF16_ffEviiT3_lPKT2_lT1_lS3_lS4_lS0_lPT4_lS4_li.private_seg_size, 0
	.set _ZL32rocblas_gemvt_warp_reduce_kernelILb0ELi256ElDF16_ffEviiT3_lPKT2_lT1_lS3_lS4_lS0_lPT4_lS4_li.uses_vcc, 1
	.set _ZL32rocblas_gemvt_warp_reduce_kernelILb0ELi256ElDF16_ffEviiT3_lPKT2_lT1_lS3_lS4_lS0_lPT4_lS4_li.uses_flat_scratch, 0
	.set _ZL32rocblas_gemvt_warp_reduce_kernelILb0ELi256ElDF16_ffEviiT3_lPKT2_lT1_lS3_lS4_lS0_lPT4_lS4_li.has_dyn_sized_stack, 0
	.set _ZL32rocblas_gemvt_warp_reduce_kernelILb0ELi256ElDF16_ffEviiT3_lPKT2_lT1_lS3_lS4_lS0_lPT4_lS4_li.has_recursion, 0
	.set _ZL32rocblas_gemvt_warp_reduce_kernelILb0ELi256ElDF16_ffEviiT3_lPKT2_lT1_lS3_lS4_lS0_lPT4_lS4_li.has_indirect_call, 0
	.section	.AMDGPU.csdata,"",@progbits
; Kernel info:
; codeLenInByte = 1352
; TotalNumSgprs: 38
; NumVgprs: 11
; ScratchSize: 0
; MemoryBound: 0
; FloatMode: 240
; IeeeMode: 1
; LDSByteSize: 128 bytes/workgroup (compile time only)
; SGPRBlocks: 0
; VGPRBlocks: 1
; NumSGPRsForWavesPerEU: 38
; NumVGPRsForWavesPerEU: 11
; Occupancy: 16
; WaveLimiterHint : 1
; COMPUTE_PGM_RSRC2:SCRATCH_EN: 0
; COMPUTE_PGM_RSRC2:USER_SGPR: 6
; COMPUTE_PGM_RSRC2:TRAP_HANDLER: 0
; COMPUTE_PGM_RSRC2:TGID_X_EN: 1
; COMPUTE_PGM_RSRC2:TGID_Y_EN: 0
; COMPUTE_PGM_RSRC2:TGID_Z_EN: 1
; COMPUTE_PGM_RSRC2:TIDIG_COMP_CNT: 0
	.section	.text._ZL20rocblas_gemvt_kernelILb0ELi256EDF16_PKffEviiT2_lPKT1_lilS5_lilS2_lPT3_lili,"axG",@progbits,_ZL20rocblas_gemvt_kernelILb0ELi256EDF16_PKffEviiT2_lPKT1_lilS5_lilS2_lPT3_lili,comdat
	.globl	_ZL20rocblas_gemvt_kernelILb0ELi256EDF16_PKffEviiT2_lPKT1_lilS5_lilS2_lPT3_lili ; -- Begin function _ZL20rocblas_gemvt_kernelILb0ELi256EDF16_PKffEviiT2_lPKT1_lilS5_lilS2_lPT3_lili
	.p2align	8
	.type	_ZL20rocblas_gemvt_kernelILb0ELi256EDF16_PKffEviiT2_lPKT1_lilS5_lilS2_lPT3_lili,@function
_ZL20rocblas_gemvt_kernelILb0ELi256EDF16_PKffEviiT2_lPKT1_lilS5_lilS2_lPT3_lili: ; @_ZL20rocblas_gemvt_kernelILb0ELi256EDF16_PKffEviiT2_lPKT1_lilS5_lilS2_lPT3_lili
; %bb.0:
	s_clause 0x1
	s_load_dwordx8 s[8:15], s[4:5], 0x8
	s_load_dwordx8 s[16:23], s[4:5], 0x50
	s_waitcnt lgkmcnt(0)
	s_mul_i32 s1, s11, s7
	s_mul_hi_u32 s2, s10, s7
	s_mul_i32 s0, s10, s7
	s_add_i32 s1, s2, s1
	s_mul_i32 s2, s21, s7
	s_lshl_b64 s[0:1], s[0:1], 2
	s_mul_hi_u32 s3, s20, s7
	s_add_u32 s0, s8, s0
	s_addc_u32 s1, s9, s1
	s_add_i32 s3, s3, s2
	s_mul_i32 s2, s20, s7
	s_mov_b32 s21, 0
	s_lshl_b64 s[2:3], s[2:3], 2
	s_add_u32 s2, s18, s2
	s_addc_u32 s3, s19, s3
	s_load_dword s24, s[0:1], 0x0
	s_load_dword s20, s[2:3], 0x0
	s_waitcnt lgkmcnt(0)
	v_cmp_eq_f32_e64 s0, s24, 0
	v_cmp_eq_f32_e64 s1, s20, 1.0
	s_and_b32 s0, s0, s1
	s_and_b32 vcc_lo, exec_lo, s0
	s_cbranch_vccnz .LBB490_37
; %bb.1:
	s_clause 0x2
	s_load_dwordx2 s[0:1], s[4:5], 0x80
	s_load_dwordx2 s[2:3], s[4:5], 0x70
	s_load_dword s25, s[4:5], 0x78
	s_waitcnt lgkmcnt(0)
	s_mul_i32 s1, s1, s7
	s_mul_hi_u32 s8, s0, s7
	s_mul_i32 s0, s0, s7
	s_add_i32 s1, s8, s1
	v_cmp_neq_f32_e64 s8, s24, 0
	s_lshl_b64 s[0:1], s[0:1], 2
	s_add_u32 s9, s22, s0
	s_addc_u32 s10, s23, s1
	s_lshl_b64 s[0:1], s[2:3], 2
	s_add_u32 s18, s9, s0
	v_cmp_eq_u32_e64 s0, 0, v0
	s_addc_u32 s19, s10, s1
	s_and_b32 vcc_lo, exec_lo, s8
	s_cbranch_vccnz .LBB490_5
; %bb.2:
	s_mov_b32 s1, 0
                                        ; implicit-def: $vgpr1
                                        ; implicit-def: $sgpr2_sgpr3
	s_and_saveexec_b32 s8, s0
	s_cbranch_execz .LBB490_6
; %bb.3:
	v_cmp_eq_f32_e64 s0, s20, 0
	s_mul_hi_i32 s3, s25, s6
	s_mul_i32 s2, s25, s6
	s_and_b32 vcc_lo, exec_lo, s0
	s_cbranch_vccnz .LBB490_7
; %bb.4:
	s_lshl_b64 s[10:11], s[2:3], 2
	s_add_u32 s10, s18, s10
	s_addc_u32 s11, s19, s11
	s_load_dword s0, s[10:11], 0x0
	s_waitcnt lgkmcnt(0)
	v_mul_f32_e64 v1, s20, s0
	s_branch .LBB490_8
.LBB490_5:
                                        ; implicit-def: $vgpr1
                                        ; implicit-def: $sgpr2_sgpr3
	s_cbranch_execnz .LBB490_9
	s_branch .LBB490_35
.LBB490_6:
	s_or_b32 exec_lo, exec_lo, s8
	s_and_b32 vcc_lo, exec_lo, s1
	s_cbranch_vccnz .LBB490_9
	s_branch .LBB490_35
.LBB490_7:
	v_mov_b32_e32 v1, 0
.LBB490_8:
	s_mov_b32 s21, exec_lo
	s_or_b32 exec_lo, exec_lo, s8
	s_and_b32 vcc_lo, exec_lo, s1
	s_cbranch_vccz .LBB490_35
.LBB490_9:
	s_clause 0x4
	s_load_dwordx4 s[0:3], s[4:5], 0x30
	s_load_dword s22, s[4:5], 0x0
	s_load_dword s23, s[4:5], 0x28
	s_load_dwordx2 s[8:9], s[4:5], 0x40
	s_load_dword s4, s[4:5], 0x48
	s_mul_i32 s11, s17, s7
	s_mul_hi_u32 s17, s16, s7
	s_mul_i32 s10, s16, s7
	s_add_i32 s11, s17, s11
	v_mov_b32_e32 v7, 0
	s_waitcnt lgkmcnt(0)
	s_mul_i32 s1, s1, s7
	v_cmp_gt_i32_e32 vcc_lo, s22, v0
	s_mul_hi_u32 s5, s0, s7
	s_mul_i32 s0, s0, s7
	s_add_i32 s1, s5, s1
	s_mul_hi_i32 s17, s23, s6
	v_cndmask_b32_e32 v1, 0, v0, vcc_lo
	s_lshl_b64 s[0:1], s[0:1], 1
	s_mul_i32 s16, s23, s6
	s_add_u32 s5, s12, s0
	s_addc_u32 s7, s13, s1
	v_lshlrev_b32_e32 v1, 1, v1
	s_lshl_b64 s[0:1], s[14:15], 1
	s_add_u32 s5, s5, s0
	s_addc_u32 s7, s7, s1
	v_add_co_u32 v1, s5, s5, v1
	v_add_co_ci_u32_e64 v2, null, s7, 0, s5
	s_ashr_i32 s12, s22, 31
	s_lshl_b64 s[0:1], s[16:17], 1
	s_lshr_b32 s12, s12, 24
	v_add_co_u32 v1, vcc_lo, v1, s0
	s_add_i32 s5, s22, s12
	v_add_co_ci_u32_e64 v2, null, s1, v2, vcc_lo
	s_and_b32 s0, s5, 0xffffff00
	s_cmpk_lt_i32 s22, 0x100
	s_mov_b32 s1, 0
	s_cbranch_scc1 .LBB490_12
; %bb.10:
	v_mad_i64_i32 v[3:4], null, s4, v0, 0
	s_lshl_b64 s[14:15], s[8:9], 1
	s_ashr_i32 s5, s4, 31
	s_lshl_b64 s[12:13], s[10:11], 1
	s_add_u32 s7, s2, s14
	s_addc_u32 s14, s3, s15
	s_add_u32 s7, s7, s12
	v_lshlrev_b64 v[3:4], 1, v[3:4]
	s_addc_u32 s12, s14, s13
	v_mov_b32_e32 v6, v2
	v_mov_b32_e32 v7, 0
	v_mov_b32_e32 v5, v1
	v_add_co_u32 v3, vcc_lo, s7, v3
	v_add_co_ci_u32_e64 v4, null, s12, v4, vcc_lo
	s_lshl_b64 s[12:13], s[4:5], 9
	.p2align	6
.LBB490_11:                             ; =>This Inner Loop Header: Depth=1
	global_load_ushort v8, v[5:6], off
	global_load_ushort v9, v[3:4], off
	v_add_co_u32 v3, vcc_lo, v3, s12
	v_add_co_ci_u32_e64 v4, null, s13, v4, vcc_lo
	v_add_co_u32 v5, vcc_lo, 0x200, v5
	v_add_co_ci_u32_e64 v6, null, 0, v6, vcc_lo
	s_addk_i32 s1, 0x100
	s_cmp_ge_i32 s1, s0
	s_waitcnt vmcnt(0)
	v_mul_f16_e32 v8, v8, v9
	v_cvt_f32_f16_e32 v8, v8
	v_add_f32_e32 v7, v7, v8
	s_cbranch_scc0 .LBB490_11
.LBB490_12:
	v_add_nc_u32_e32 v3, s0, v0
	s_mov_b32 s5, exec_lo
	v_cmpx_gt_i32_e64 s22, v3
	s_cbranch_execz .LBB490_14
; %bb.13:
	v_mad_i64_i32 v[3:4], null, s4, v3, 0
	s_lshl_b64 s[10:11], s[10:11], 1
	s_add_u32 s1, s2, s10
	s_addc_u32 s7, s3, s11
	s_lshl_b64 s[2:3], s[8:9], 1
	s_add_u32 s2, s1, s2
	s_addc_u32 s3, s7, s3
	s_ashr_i32 s1, s0, 31
	v_lshlrev_b64 v[3:4], 1, v[3:4]
	s_lshl_b64 s[0:1], s[0:1], 1
	v_add_co_u32 v1, vcc_lo, v1, s0
	v_add_co_ci_u32_e64 v2, null, s1, v2, vcc_lo
	v_add_co_u32 v3, vcc_lo, s2, v3
	v_add_co_ci_u32_e64 v4, null, s3, v4, vcc_lo
	global_load_ushort v1, v[1:2], off
	global_load_ushort v2, v[3:4], off
	s_waitcnt vmcnt(0)
	v_mul_f16_e32 v1, v1, v2
	v_cvt_f32_f16_e32 v1, v1
	v_add_f32_e32 v7, v7, v1
.LBB490_14:
	s_or_b32 exec_lo, exec_lo, s5
	v_lshlrev_b32_e32 v1, 2, v0
	s_mov_b32 s0, exec_lo
	ds_write_b32 v1, v7
	s_waitcnt lgkmcnt(0)
	s_barrier
	buffer_gl0_inv
	v_cmpx_gt_u32_e32 0x80, v0
	s_cbranch_execz .LBB490_16
; %bb.15:
	ds_read2st64_b32 v[2:3], v1 offset1:2
	s_waitcnt lgkmcnt(0)
	v_add_f32_e32 v2, v3, v2
	ds_write_b32 v1, v2
.LBB490_16:
	s_or_b32 exec_lo, exec_lo, s0
	s_mov_b32 s0, exec_lo
	s_waitcnt lgkmcnt(0)
	s_barrier
	buffer_gl0_inv
	v_cmpx_gt_u32_e32 64, v0
	s_cbranch_execz .LBB490_18
; %bb.17:
	ds_read2st64_b32 v[2:3], v1 offset1:1
	s_waitcnt lgkmcnt(0)
	v_add_f32_e32 v2, v3, v2
	ds_write_b32 v1, v2
.LBB490_18:
	s_or_b32 exec_lo, exec_lo, s0
	s_mov_b32 s0, exec_lo
	s_waitcnt lgkmcnt(0)
	s_barrier
	buffer_gl0_inv
	v_cmpx_gt_u32_e32 32, v0
	s_cbranch_execz .LBB490_20
; %bb.19:
	ds_read2_b32 v[2:3], v1 offset1:32
	s_waitcnt lgkmcnt(0)
	v_add_f32_e32 v2, v3, v2
	ds_write_b32 v1, v2
.LBB490_20:
	s_or_b32 exec_lo, exec_lo, s0
	s_mov_b32 s0, exec_lo
	s_waitcnt lgkmcnt(0)
	s_barrier
	buffer_gl0_inv
	v_cmpx_gt_u32_e32 16, v0
	s_cbranch_execz .LBB490_22
; %bb.21:
	ds_read2_b32 v[2:3], v1 offset1:16
	s_waitcnt lgkmcnt(0)
	v_add_f32_e32 v2, v3, v2
	ds_write_b32 v1, v2
.LBB490_22:
	s_or_b32 exec_lo, exec_lo, s0
	s_mov_b32 s0, exec_lo
	s_waitcnt lgkmcnt(0)
	s_barrier
	buffer_gl0_inv
	v_cmpx_gt_u32_e32 8, v0
	s_cbranch_execz .LBB490_24
; %bb.23:
	ds_read2_b32 v[2:3], v1 offset1:8
	s_waitcnt lgkmcnt(0)
	v_add_f32_e32 v2, v3, v2
	ds_write_b32 v1, v2
.LBB490_24:
	s_or_b32 exec_lo, exec_lo, s0
	s_mov_b32 s0, exec_lo
	s_waitcnt lgkmcnt(0)
	s_barrier
	buffer_gl0_inv
	v_cmpx_gt_u32_e32 4, v0
	s_cbranch_execz .LBB490_26
; %bb.25:
	ds_read2_b32 v[2:3], v1 offset1:4
	s_waitcnt lgkmcnt(0)
	v_add_f32_e32 v2, v3, v2
	ds_write_b32 v1, v2
.LBB490_26:
	s_or_b32 exec_lo, exec_lo, s0
	s_mov_b32 s0, exec_lo
	s_waitcnt lgkmcnt(0)
	s_barrier
	buffer_gl0_inv
	v_cmpx_gt_u32_e32 2, v0
	s_cbranch_execz .LBB490_28
; %bb.27:
	ds_read2_b32 v[2:3], v1 offset1:2
	s_waitcnt lgkmcnt(0)
	v_add_f32_e32 v2, v3, v2
	ds_write_b32 v1, v2
.LBB490_28:
	s_or_b32 exec_lo, exec_lo, s0
	v_cmp_eq_u32_e32 vcc_lo, 0, v0
	s_waitcnt lgkmcnt(0)
	s_barrier
	buffer_gl0_inv
	s_and_saveexec_b32 s0, vcc_lo
	s_cbranch_execz .LBB490_30
; %bb.29:
	v_mov_b32_e32 v2, 0
	ds_read_b64 v[0:1], v2
	s_waitcnt lgkmcnt(0)
	v_add_f32_e32 v0, v1, v0
	ds_write_b32 v2, v0
.LBB490_30:
	s_or_b32 exec_lo, exec_lo, s0
	s_waitcnt lgkmcnt(0)
	s_barrier
	buffer_gl0_inv
                                        ; implicit-def: $vgpr1
                                        ; implicit-def: $sgpr2_sgpr3
	s_and_saveexec_b32 s0, vcc_lo
	s_cbranch_execz .LBB490_34
; %bb.31:
	v_mov_b32_e32 v0, 0
	v_cmp_eq_f32_e64 s1, s20, 0
	s_mul_hi_i32 s3, s25, s6
	s_mul_i32 s2, s25, s6
	ds_read_b32 v0, v0
	s_and_b32 vcc_lo, exec_lo, s1
	s_waitcnt lgkmcnt(0)
	v_mul_f32_e32 v1, s24, v0
	s_cbranch_vccnz .LBB490_33
; %bb.32:
	s_lshl_b64 s[4:5], s[2:3], 2
	s_add_u32 s4, s18, s4
	s_addc_u32 s5, s19, s5
	s_load_dword s1, s[4:5], 0x0
	s_waitcnt lgkmcnt(0)
	v_fmac_f32_e64 v1, s20, s1
.LBB490_33:
	s_or_b32 s21, s21, exec_lo
.LBB490_34:
	s_or_b32 exec_lo, exec_lo, s0
.LBB490_35:
	s_and_saveexec_b32 s0, s21
	s_cbranch_execz .LBB490_37
; %bb.36:
	s_lshl_b64 s[0:1], s[2:3], 2
	v_mov_b32_e32 v0, 0
	s_add_u32 s0, s18, s0
	s_addc_u32 s1, s19, s1
	global_store_dword v0, v1, s[0:1]
.LBB490_37:
	s_endpgm
	.section	.rodata,"a",@progbits
	.p2align	6, 0x0
	.amdhsa_kernel _ZL20rocblas_gemvt_kernelILb0ELi256EDF16_PKffEviiT2_lPKT1_lilS5_lilS2_lPT3_lili
		.amdhsa_group_segment_fixed_size 1024
		.amdhsa_private_segment_fixed_size 0
		.amdhsa_kernarg_size 140
		.amdhsa_user_sgpr_count 6
		.amdhsa_user_sgpr_private_segment_buffer 1
		.amdhsa_user_sgpr_dispatch_ptr 0
		.amdhsa_user_sgpr_queue_ptr 0
		.amdhsa_user_sgpr_kernarg_segment_ptr 1
		.amdhsa_user_sgpr_dispatch_id 0
		.amdhsa_user_sgpr_flat_scratch_init 0
		.amdhsa_user_sgpr_private_segment_size 0
		.amdhsa_wavefront_size32 1
		.amdhsa_uses_dynamic_stack 0
		.amdhsa_system_sgpr_private_segment_wavefront_offset 0
		.amdhsa_system_sgpr_workgroup_id_x 1
		.amdhsa_system_sgpr_workgroup_id_y 0
		.amdhsa_system_sgpr_workgroup_id_z 1
		.amdhsa_system_sgpr_workgroup_info 0
		.amdhsa_system_vgpr_workitem_id 0
		.amdhsa_next_free_vgpr 10
		.amdhsa_next_free_sgpr 26
		.amdhsa_reserve_vcc 1
		.amdhsa_reserve_flat_scratch 0
		.amdhsa_float_round_mode_32 0
		.amdhsa_float_round_mode_16_64 0
		.amdhsa_float_denorm_mode_32 3
		.amdhsa_float_denorm_mode_16_64 3
		.amdhsa_dx10_clamp 1
		.amdhsa_ieee_mode 1
		.amdhsa_fp16_overflow 0
		.amdhsa_workgroup_processor_mode 1
		.amdhsa_memory_ordered 1
		.amdhsa_forward_progress 1
		.amdhsa_shared_vgpr_count 0
		.amdhsa_exception_fp_ieee_invalid_op 0
		.amdhsa_exception_fp_denorm_src 0
		.amdhsa_exception_fp_ieee_div_zero 0
		.amdhsa_exception_fp_ieee_overflow 0
		.amdhsa_exception_fp_ieee_underflow 0
		.amdhsa_exception_fp_ieee_inexact 0
		.amdhsa_exception_int_div_zero 0
	.end_amdhsa_kernel
	.section	.text._ZL20rocblas_gemvt_kernelILb0ELi256EDF16_PKffEviiT2_lPKT1_lilS5_lilS2_lPT3_lili,"axG",@progbits,_ZL20rocblas_gemvt_kernelILb0ELi256EDF16_PKffEviiT2_lPKT1_lilS5_lilS2_lPT3_lili,comdat
.Lfunc_end490:
	.size	_ZL20rocblas_gemvt_kernelILb0ELi256EDF16_PKffEviiT2_lPKT1_lilS5_lilS2_lPT3_lili, .Lfunc_end490-_ZL20rocblas_gemvt_kernelILb0ELi256EDF16_PKffEviiT2_lPKT1_lilS5_lilS2_lPT3_lili
                                        ; -- End function
	.set _ZL20rocblas_gemvt_kernelILb0ELi256EDF16_PKffEviiT2_lPKT1_lilS5_lilS2_lPT3_lili.num_vgpr, 10
	.set _ZL20rocblas_gemvt_kernelILb0ELi256EDF16_PKffEviiT2_lPKT1_lilS5_lilS2_lPT3_lili.num_agpr, 0
	.set _ZL20rocblas_gemvt_kernelILb0ELi256EDF16_PKffEviiT2_lPKT1_lilS5_lilS2_lPT3_lili.numbered_sgpr, 26
	.set _ZL20rocblas_gemvt_kernelILb0ELi256EDF16_PKffEviiT2_lPKT1_lilS5_lilS2_lPT3_lili.num_named_barrier, 0
	.set _ZL20rocblas_gemvt_kernelILb0ELi256EDF16_PKffEviiT2_lPKT1_lilS5_lilS2_lPT3_lili.private_seg_size, 0
	.set _ZL20rocblas_gemvt_kernelILb0ELi256EDF16_PKffEviiT2_lPKT1_lilS5_lilS2_lPT3_lili.uses_vcc, 1
	.set _ZL20rocblas_gemvt_kernelILb0ELi256EDF16_PKffEviiT2_lPKT1_lilS5_lilS2_lPT3_lili.uses_flat_scratch, 0
	.set _ZL20rocblas_gemvt_kernelILb0ELi256EDF16_PKffEviiT2_lPKT1_lilS5_lilS2_lPT3_lili.has_dyn_sized_stack, 0
	.set _ZL20rocblas_gemvt_kernelILb0ELi256EDF16_PKffEviiT2_lPKT1_lilS5_lilS2_lPT3_lili.has_recursion, 0
	.set _ZL20rocblas_gemvt_kernelILb0ELi256EDF16_PKffEviiT2_lPKT1_lilS5_lilS2_lPT3_lili.has_indirect_call, 0
	.section	.AMDGPU.csdata,"",@progbits
; Kernel info:
; codeLenInByte = 1468
; TotalNumSgprs: 28
; NumVgprs: 10
; ScratchSize: 0
; MemoryBound: 0
; FloatMode: 240
; IeeeMode: 1
; LDSByteSize: 1024 bytes/workgroup (compile time only)
; SGPRBlocks: 0
; VGPRBlocks: 1
; NumSGPRsForWavesPerEU: 28
; NumVGPRsForWavesPerEU: 10
; Occupancy: 16
; WaveLimiterHint : 1
; COMPUTE_PGM_RSRC2:SCRATCH_EN: 0
; COMPUTE_PGM_RSRC2:USER_SGPR: 6
; COMPUTE_PGM_RSRC2:TRAP_HANDLER: 0
; COMPUTE_PGM_RSRC2:TGID_X_EN: 1
; COMPUTE_PGM_RSRC2:TGID_Y_EN: 0
; COMPUTE_PGM_RSRC2:TGID_Z_EN: 1
; COMPUTE_PGM_RSRC2:TIDIG_COMP_CNT: 0
	.section	.text._ZL20rocblas_gemvt_kernelILb0ELi256EDF16_ffEviiT2_lPKT1_lilS3_lilS0_lPT3_lili,"axG",@progbits,_ZL20rocblas_gemvt_kernelILb0ELi256EDF16_ffEviiT2_lPKT1_lilS3_lilS0_lPT3_lili,comdat
	.globl	_ZL20rocblas_gemvt_kernelILb0ELi256EDF16_ffEviiT2_lPKT1_lilS3_lilS0_lPT3_lili ; -- Begin function _ZL20rocblas_gemvt_kernelILb0ELi256EDF16_ffEviiT2_lPKT1_lilS3_lilS0_lPT3_lili
	.p2align	8
	.type	_ZL20rocblas_gemvt_kernelILb0ELi256EDF16_ffEviiT2_lPKT1_lilS3_lilS0_lPT3_lili,@function
_ZL20rocblas_gemvt_kernelILb0ELi256EDF16_ffEviiT2_lPKT1_lilS3_lilS0_lPT3_lili: ; @_ZL20rocblas_gemvt_kernelILb0ELi256EDF16_ffEviiT2_lPKT1_lilS3_lilS0_lPT3_lili
; %bb.0:
	s_clause 0x1
	s_load_dword s18, s[4:5], 0x8
	s_load_dword s16, s[4:5], 0x58
	s_mov_b32 s17, 0
	s_waitcnt lgkmcnt(0)
	v_cmp_eq_f32_e64 s0, s18, 0
	v_cmp_eq_f32_e64 s1, s16, 1.0
	s_and_b32 s0, s0, s1
	s_and_b32 vcc_lo, exec_lo, s0
	s_cbranch_vccnz .LBB491_37
; %bb.1:
	s_clause 0x2
	s_load_dwordx2 s[8:9], s[4:5], 0x80
	s_load_dwordx4 s[0:3], s[4:5], 0x68
	s_load_dword s19, s[4:5], 0x78
	s_waitcnt lgkmcnt(0)
	s_mul_i32 s9, s9, s7
	s_mul_hi_u32 s10, s8, s7
	s_mul_i32 s8, s8, s7
	s_add_i32 s9, s10, s9
	v_cmp_neq_f32_e64 s10, s18, 0
	s_lshl_b64 s[8:9], s[8:9], 2
	s_add_u32 s8, s0, s8
	s_addc_u32 s9, s1, s9
	s_lshl_b64 s[0:1], s[2:3], 2
	s_add_u32 s14, s8, s0
	v_cmp_eq_u32_e64 s0, 0, v0
	s_addc_u32 s15, s9, s1
	s_and_b32 vcc_lo, exec_lo, s10
	s_cbranch_vccnz .LBB491_5
; %bb.2:
	s_mov_b32 s1, 0
                                        ; implicit-def: $vgpr1
                                        ; implicit-def: $sgpr2_sgpr3
	s_and_saveexec_b32 s8, s0
	s_cbranch_execz .LBB491_6
; %bb.3:
	v_cmp_eq_f32_e64 s0, s16, 0
	s_mul_hi_i32 s3, s19, s6
	s_mul_i32 s2, s19, s6
	s_and_b32 vcc_lo, exec_lo, s0
	s_cbranch_vccnz .LBB491_7
; %bb.4:
	s_lshl_b64 s[10:11], s[2:3], 2
	s_add_u32 s10, s14, s10
	s_addc_u32 s11, s15, s11
	s_load_dword s0, s[10:11], 0x0
	s_waitcnt lgkmcnt(0)
	v_mul_f32_e64 v1, s16, s0
	s_branch .LBB491_8
.LBB491_5:
                                        ; implicit-def: $vgpr1
                                        ; implicit-def: $sgpr2_sgpr3
	s_cbranch_execnz .LBB491_9
	s_branch .LBB491_35
.LBB491_6:
	s_or_b32 exec_lo, exec_lo, s8
	s_and_b32 vcc_lo, exec_lo, s1
	s_cbranch_vccnz .LBB491_9
	s_branch .LBB491_35
.LBB491_7:
	v_mov_b32_e32 v1, 0
.LBB491_8:
	s_mov_b32 s17, exec_lo
	s_or_b32 exec_lo, exec_lo, s8
	s_and_b32 vcc_lo, exec_lo, s1
	s_cbranch_vccz .LBB491_35
.LBB491_9:
	s_clause 0x6
	s_load_dwordx2 s[10:11], s[4:5], 0x50
	s_load_dwordx4 s[0:3], s[4:5], 0x30
	s_load_dword s20, s[4:5], 0x0
	s_load_dword s12, s[4:5], 0x28
	s_load_dwordx4 s[24:27], s[4:5], 0x18
	s_load_dwordx2 s[8:9], s[4:5], 0x40
	s_load_dword s4, s[4:5], 0x48
	v_mov_b32_e32 v7, 0
	s_waitcnt lgkmcnt(0)
	s_mul_i32 s5, s11, s7
	s_mul_i32 s1, s1, s7
	v_cmp_gt_i32_e32 vcc_lo, s20, v0
	s_mul_hi_u32 s21, s0, s7
	s_mul_i32 s0, s0, s7
	s_add_i32 s1, s21, s1
	s_mul_hi_u32 s11, s10, s7
	v_cndmask_b32_e32 v1, 0, v0, vcc_lo
	s_lshl_b64 s[0:1], s[0:1], 1
	s_add_i32 s11, s11, s5
	s_add_u32 s5, s24, s0
	s_mul_i32 s10, s10, s7
	v_lshlrev_b32_e32 v1, 1, v1
	s_addc_u32 s7, s25, s1
	s_lshl_b64 s[0:1], s[26:27], 1
	s_mul_hi_i32 s13, s12, s6
	s_add_u32 s5, s5, s0
	s_addc_u32 s7, s7, s1
	v_add_co_u32 v1, s5, s5, v1
	s_mul_i32 s12, s12, s6
	v_add_co_ci_u32_e64 v2, null, s7, 0, s5
	s_ashr_i32 s21, s20, 31
	s_lshl_b64 s[0:1], s[12:13], 1
	s_lshr_b32 s12, s21, 24
	v_add_co_u32 v1, vcc_lo, v1, s0
	s_add_i32 s5, s20, s12
	v_add_co_ci_u32_e64 v2, null, s1, v2, vcc_lo
	s_and_b32 s0, s5, 0xffffff00
	s_cmpk_lt_i32 s20, 0x100
	s_mov_b32 s1, 0
	s_cbranch_scc1 .LBB491_12
; %bb.10:
	v_mad_i64_i32 v[3:4], null, s4, v0, 0
	s_lshl_b64 s[22:23], s[8:9], 1
	s_ashr_i32 s5, s4, 31
	s_lshl_b64 s[12:13], s[10:11], 1
	s_add_u32 s7, s2, s22
	s_addc_u32 s21, s3, s23
	s_add_u32 s7, s7, s12
	v_lshlrev_b64 v[3:4], 1, v[3:4]
	s_addc_u32 s12, s21, s13
	v_mov_b32_e32 v6, v2
	v_mov_b32_e32 v7, 0
	v_mov_b32_e32 v5, v1
	v_add_co_u32 v3, vcc_lo, s7, v3
	v_add_co_ci_u32_e64 v4, null, s12, v4, vcc_lo
	s_lshl_b64 s[12:13], s[4:5], 9
	.p2align	6
.LBB491_11:                             ; =>This Inner Loop Header: Depth=1
	global_load_ushort v8, v[5:6], off
	global_load_ushort v9, v[3:4], off
	v_add_co_u32 v3, vcc_lo, v3, s12
	v_add_co_ci_u32_e64 v4, null, s13, v4, vcc_lo
	v_add_co_u32 v5, vcc_lo, 0x200, v5
	v_add_co_ci_u32_e64 v6, null, 0, v6, vcc_lo
	s_addk_i32 s1, 0x100
	s_cmp_ge_i32 s1, s0
	s_waitcnt vmcnt(0)
	v_mul_f16_e32 v8, v8, v9
	v_cvt_f32_f16_e32 v8, v8
	v_add_f32_e32 v7, v7, v8
	s_cbranch_scc0 .LBB491_11
.LBB491_12:
	v_add_nc_u32_e32 v3, s0, v0
	s_mov_b32 s5, exec_lo
	v_cmpx_gt_i32_e64 s20, v3
	s_cbranch_execz .LBB491_14
; %bb.13:
	v_mad_i64_i32 v[3:4], null, s4, v3, 0
	s_lshl_b64 s[10:11], s[10:11], 1
	s_add_u32 s1, s2, s10
	s_addc_u32 s7, s3, s11
	s_lshl_b64 s[2:3], s[8:9], 1
	s_add_u32 s2, s1, s2
	s_addc_u32 s3, s7, s3
	s_ashr_i32 s1, s0, 31
	v_lshlrev_b64 v[3:4], 1, v[3:4]
	s_lshl_b64 s[0:1], s[0:1], 1
	v_add_co_u32 v1, vcc_lo, v1, s0
	v_add_co_ci_u32_e64 v2, null, s1, v2, vcc_lo
	v_add_co_u32 v3, vcc_lo, s2, v3
	v_add_co_ci_u32_e64 v4, null, s3, v4, vcc_lo
	global_load_ushort v1, v[1:2], off
	global_load_ushort v2, v[3:4], off
	s_waitcnt vmcnt(0)
	v_mul_f16_e32 v1, v1, v2
	v_cvt_f32_f16_e32 v1, v1
	v_add_f32_e32 v7, v7, v1
.LBB491_14:
	s_or_b32 exec_lo, exec_lo, s5
	v_lshlrev_b32_e32 v1, 2, v0
	s_mov_b32 s0, exec_lo
	ds_write_b32 v1, v7
	s_waitcnt lgkmcnt(0)
	s_barrier
	buffer_gl0_inv
	v_cmpx_gt_u32_e32 0x80, v0
	s_cbranch_execz .LBB491_16
; %bb.15:
	ds_read2st64_b32 v[2:3], v1 offset1:2
	s_waitcnt lgkmcnt(0)
	v_add_f32_e32 v2, v3, v2
	ds_write_b32 v1, v2
.LBB491_16:
	s_or_b32 exec_lo, exec_lo, s0
	s_mov_b32 s0, exec_lo
	s_waitcnt lgkmcnt(0)
	s_barrier
	buffer_gl0_inv
	v_cmpx_gt_u32_e32 64, v0
	s_cbranch_execz .LBB491_18
; %bb.17:
	ds_read2st64_b32 v[2:3], v1 offset1:1
	s_waitcnt lgkmcnt(0)
	v_add_f32_e32 v2, v3, v2
	ds_write_b32 v1, v2
.LBB491_18:
	s_or_b32 exec_lo, exec_lo, s0
	s_mov_b32 s0, exec_lo
	s_waitcnt lgkmcnt(0)
	s_barrier
	buffer_gl0_inv
	v_cmpx_gt_u32_e32 32, v0
	s_cbranch_execz .LBB491_20
; %bb.19:
	ds_read2_b32 v[2:3], v1 offset1:32
	s_waitcnt lgkmcnt(0)
	v_add_f32_e32 v2, v3, v2
	ds_write_b32 v1, v2
.LBB491_20:
	s_or_b32 exec_lo, exec_lo, s0
	s_mov_b32 s0, exec_lo
	s_waitcnt lgkmcnt(0)
	s_barrier
	buffer_gl0_inv
	v_cmpx_gt_u32_e32 16, v0
	s_cbranch_execz .LBB491_22
; %bb.21:
	ds_read2_b32 v[2:3], v1 offset1:16
	s_waitcnt lgkmcnt(0)
	v_add_f32_e32 v2, v3, v2
	ds_write_b32 v1, v2
.LBB491_22:
	;; [unrolled: 13-line block ×5, first 2 shown]
	s_or_b32 exec_lo, exec_lo, s0
	v_cmp_eq_u32_e32 vcc_lo, 0, v0
	s_waitcnt lgkmcnt(0)
	s_barrier
	buffer_gl0_inv
	s_and_saveexec_b32 s0, vcc_lo
	s_cbranch_execz .LBB491_30
; %bb.29:
	v_mov_b32_e32 v2, 0
	ds_read_b64 v[0:1], v2
	s_waitcnt lgkmcnt(0)
	v_add_f32_e32 v0, v1, v0
	ds_write_b32 v2, v0
.LBB491_30:
	s_or_b32 exec_lo, exec_lo, s0
	s_waitcnt lgkmcnt(0)
	s_barrier
	buffer_gl0_inv
                                        ; implicit-def: $vgpr1
                                        ; implicit-def: $sgpr2_sgpr3
	s_and_saveexec_b32 s0, vcc_lo
	s_cbranch_execz .LBB491_34
; %bb.31:
	v_mov_b32_e32 v0, 0
	v_cmp_eq_f32_e64 s1, s16, 0
	s_mul_hi_i32 s3, s19, s6
	s_mul_i32 s2, s19, s6
	ds_read_b32 v0, v0
	s_and_b32 vcc_lo, exec_lo, s1
	s_waitcnt lgkmcnt(0)
	v_mul_f32_e32 v1, s18, v0
	s_cbranch_vccnz .LBB491_33
; %bb.32:
	s_lshl_b64 s[4:5], s[2:3], 2
	s_add_u32 s4, s14, s4
	s_addc_u32 s5, s15, s5
	s_load_dword s1, s[4:5], 0x0
	s_waitcnt lgkmcnt(0)
	v_fmac_f32_e64 v1, s16, s1
.LBB491_33:
	s_or_b32 s17, s17, exec_lo
.LBB491_34:
	s_or_b32 exec_lo, exec_lo, s0
.LBB491_35:
	s_and_saveexec_b32 s0, s17
	s_cbranch_execz .LBB491_37
; %bb.36:
	s_lshl_b64 s[0:1], s[2:3], 2
	v_mov_b32_e32 v0, 0
	s_add_u32 s0, s14, s0
	s_addc_u32 s1, s15, s1
	global_store_dword v0, v1, s[0:1]
.LBB491_37:
	s_endpgm
	.section	.rodata,"a",@progbits
	.p2align	6, 0x0
	.amdhsa_kernel _ZL20rocblas_gemvt_kernelILb0ELi256EDF16_ffEviiT2_lPKT1_lilS3_lilS0_lPT3_lili
		.amdhsa_group_segment_fixed_size 1024
		.amdhsa_private_segment_fixed_size 0
		.amdhsa_kernarg_size 140
		.amdhsa_user_sgpr_count 6
		.amdhsa_user_sgpr_private_segment_buffer 1
		.amdhsa_user_sgpr_dispatch_ptr 0
		.amdhsa_user_sgpr_queue_ptr 0
		.amdhsa_user_sgpr_kernarg_segment_ptr 1
		.amdhsa_user_sgpr_dispatch_id 0
		.amdhsa_user_sgpr_flat_scratch_init 0
		.amdhsa_user_sgpr_private_segment_size 0
		.amdhsa_wavefront_size32 1
		.amdhsa_uses_dynamic_stack 0
		.amdhsa_system_sgpr_private_segment_wavefront_offset 0
		.amdhsa_system_sgpr_workgroup_id_x 1
		.amdhsa_system_sgpr_workgroup_id_y 0
		.amdhsa_system_sgpr_workgroup_id_z 1
		.amdhsa_system_sgpr_workgroup_info 0
		.amdhsa_system_vgpr_workitem_id 0
		.amdhsa_next_free_vgpr 10
		.amdhsa_next_free_sgpr 28
		.amdhsa_reserve_vcc 1
		.amdhsa_reserve_flat_scratch 0
		.amdhsa_float_round_mode_32 0
		.amdhsa_float_round_mode_16_64 0
		.amdhsa_float_denorm_mode_32 3
		.amdhsa_float_denorm_mode_16_64 3
		.amdhsa_dx10_clamp 1
		.amdhsa_ieee_mode 1
		.amdhsa_fp16_overflow 0
		.amdhsa_workgroup_processor_mode 1
		.amdhsa_memory_ordered 1
		.amdhsa_forward_progress 1
		.amdhsa_shared_vgpr_count 0
		.amdhsa_exception_fp_ieee_invalid_op 0
		.amdhsa_exception_fp_denorm_src 0
		.amdhsa_exception_fp_ieee_div_zero 0
		.amdhsa_exception_fp_ieee_overflow 0
		.amdhsa_exception_fp_ieee_underflow 0
		.amdhsa_exception_fp_ieee_inexact 0
		.amdhsa_exception_int_div_zero 0
	.end_amdhsa_kernel
	.section	.text._ZL20rocblas_gemvt_kernelILb0ELi256EDF16_ffEviiT2_lPKT1_lilS3_lilS0_lPT3_lili,"axG",@progbits,_ZL20rocblas_gemvt_kernelILb0ELi256EDF16_ffEviiT2_lPKT1_lilS3_lilS0_lPT3_lili,comdat
.Lfunc_end491:
	.size	_ZL20rocblas_gemvt_kernelILb0ELi256EDF16_ffEviiT2_lPKT1_lilS3_lilS0_lPT3_lili, .Lfunc_end491-_ZL20rocblas_gemvt_kernelILb0ELi256EDF16_ffEviiT2_lPKT1_lilS3_lilS0_lPT3_lili
                                        ; -- End function
	.set _ZL20rocblas_gemvt_kernelILb0ELi256EDF16_ffEviiT2_lPKT1_lilS3_lilS0_lPT3_lili.num_vgpr, 10
	.set _ZL20rocblas_gemvt_kernelILb0ELi256EDF16_ffEviiT2_lPKT1_lilS3_lilS0_lPT3_lili.num_agpr, 0
	.set _ZL20rocblas_gemvt_kernelILb0ELi256EDF16_ffEviiT2_lPKT1_lilS3_lilS0_lPT3_lili.numbered_sgpr, 28
	.set _ZL20rocblas_gemvt_kernelILb0ELi256EDF16_ffEviiT2_lPKT1_lilS3_lilS0_lPT3_lili.num_named_barrier, 0
	.set _ZL20rocblas_gemvt_kernelILb0ELi256EDF16_ffEviiT2_lPKT1_lilS3_lilS0_lPT3_lili.private_seg_size, 0
	.set _ZL20rocblas_gemvt_kernelILb0ELi256EDF16_ffEviiT2_lPKT1_lilS3_lilS0_lPT3_lili.uses_vcc, 1
	.set _ZL20rocblas_gemvt_kernelILb0ELi256EDF16_ffEviiT2_lPKT1_lilS3_lilS0_lPT3_lili.uses_flat_scratch, 0
	.set _ZL20rocblas_gemvt_kernelILb0ELi256EDF16_ffEviiT2_lPKT1_lilS3_lilS0_lPT3_lili.has_dyn_sized_stack, 0
	.set _ZL20rocblas_gemvt_kernelILb0ELi256EDF16_ffEviiT2_lPKT1_lilS3_lilS0_lPT3_lili.has_recursion, 0
	.set _ZL20rocblas_gemvt_kernelILb0ELi256EDF16_ffEviiT2_lPKT1_lilS3_lilS0_lPT3_lili.has_indirect_call, 0
	.section	.AMDGPU.csdata,"",@progbits
; Kernel info:
; codeLenInByte = 1404
; TotalNumSgprs: 30
; NumVgprs: 10
; ScratchSize: 0
; MemoryBound: 0
; FloatMode: 240
; IeeeMode: 1
; LDSByteSize: 1024 bytes/workgroup (compile time only)
; SGPRBlocks: 0
; VGPRBlocks: 1
; NumSGPRsForWavesPerEU: 30
; NumVGPRsForWavesPerEU: 10
; Occupancy: 16
; WaveLimiterHint : 1
; COMPUTE_PGM_RSRC2:SCRATCH_EN: 0
; COMPUTE_PGM_RSRC2:USER_SGPR: 6
; COMPUTE_PGM_RSRC2:TRAP_HANDLER: 0
; COMPUTE_PGM_RSRC2:TGID_X_EN: 1
; COMPUTE_PGM_RSRC2:TGID_Y_EN: 0
; COMPUTE_PGM_RSRC2:TGID_Z_EN: 1
; COMPUTE_PGM_RSRC2:TIDIG_COMP_CNT: 0
	.section	.text._ZL32rocblas_gemvt_warp_reduce_kernelILb0ELi1024EiDF16_PKffEviiT3_lPKT2_lT1_lS5_lS6_lS2_lPT4_lS6_li,"axG",@progbits,_ZL32rocblas_gemvt_warp_reduce_kernelILb0ELi1024EiDF16_PKffEviiT3_lPKT2_lT1_lS5_lS6_lS2_lPT4_lS6_li,comdat
	.globl	_ZL32rocblas_gemvt_warp_reduce_kernelILb0ELi1024EiDF16_PKffEviiT3_lPKT2_lT1_lS5_lS6_lS2_lPT4_lS6_li ; -- Begin function _ZL32rocblas_gemvt_warp_reduce_kernelILb0ELi1024EiDF16_PKffEviiT3_lPKT2_lT1_lS5_lS6_lS2_lPT4_lS6_li
	.p2align	8
	.type	_ZL32rocblas_gemvt_warp_reduce_kernelILb0ELi1024EiDF16_PKffEviiT3_lPKT2_lT1_lS5_lS6_lS2_lPT4_lS6_li,@function
_ZL32rocblas_gemvt_warp_reduce_kernelILb0ELi1024EiDF16_PKffEviiT3_lPKT2_lT1_lS5_lS6_lS2_lPT4_lS6_li: ; @_ZL32rocblas_gemvt_warp_reduce_kernelILb0ELi1024EiDF16_PKffEviiT3_lPKT2_lT1_lS5_lS6_lS2_lPT4_lS6_li
; %bb.0:
	s_clause 0x1
	s_load_dwordx8 s[8:15], s[4:5], 0x8
	s_load_dwordx8 s[16:23], s[4:5], 0x50
	s_waitcnt lgkmcnt(0)
	s_mul_i32 s1, s11, s7
	s_mul_hi_u32 s2, s10, s7
	s_mul_i32 s0, s10, s7
	s_add_i32 s1, s2, s1
	s_mul_i32 s2, s21, s7
	s_lshl_b64 s[0:1], s[0:1], 2
	s_mul_hi_u32 s3, s20, s7
	s_add_u32 s0, s8, s0
	s_addc_u32 s1, s9, s1
	s_add_i32 s3, s3, s2
	s_mul_i32 s2, s20, s7
	s_mov_b32 s10, 0
	s_lshl_b64 s[2:3], s[2:3], 2
	s_add_u32 s2, s18, s2
	s_addc_u32 s3, s19, s3
	s_load_dword s11, s[0:1], 0x0
	s_load_dword s9, s[2:3], 0x0
	s_waitcnt lgkmcnt(0)
	v_cmp_eq_f32_e64 s0, s11, 0
	v_cmp_eq_f32_e64 s1, s9, 1.0
	s_and_b32 s0, s0, s1
	s_and_b32 vcc_lo, exec_lo, s0
	s_cbranch_vccnz .LBB492_30
; %bb.1:
	s_clause 0x2
	s_load_dwordx2 s[0:1], s[4:5], 0x80
	s_load_dwordx2 s[2:3], s[4:5], 0x70
	s_load_dword s18, s[4:5], 0x78
	v_cmp_neq_f32_e64 s19, s11, 0
	s_waitcnt lgkmcnt(0)
	s_mul_i32 s1, s1, s7
	s_mul_hi_u32 s8, s0, s7
	s_mul_i32 s0, s0, s7
	s_add_i32 s1, s8, s1
	s_lshl_b64 s[0:1], s[0:1], 2
	s_add_u32 s0, s22, s0
	s_addc_u32 s8, s23, s1
	s_lshl_b64 s[2:3], s[2:3], 2
	s_add_u32 s1, s0, s2
	v_cmp_eq_u32_e64 s0, 0, v0
	s_addc_u32 s8, s8, s3
	s_and_b32 vcc_lo, exec_lo, s19
	s_cbranch_vccnz .LBB492_5
; %bb.2:
	s_mov_b32 s19, 0
                                        ; implicit-def: $vgpr1
                                        ; implicit-def: $sgpr2_sgpr3
	s_and_saveexec_b32 s20, s0
	s_cbranch_execz .LBB492_6
; %bb.3:
	v_cmp_eq_f32_e64 s0, s9, 0
	s_mul_i32 s2, s18, s6
	s_ashr_i32 s3, s2, 31
	s_and_b32 vcc_lo, exec_lo, s0
	s_cbranch_vccnz .LBB492_7
; %bb.4:
	s_lshl_b64 s[22:23], s[2:3], 2
	s_add_u32 s22, s1, s22
	s_addc_u32 s23, s8, s23
	s_load_dword s0, s[22:23], 0x0
	s_waitcnt lgkmcnt(0)
	v_mul_f32_e64 v1, s9, s0
	s_branch .LBB492_8
.LBB492_5:
                                        ; implicit-def: $vgpr1
                                        ; implicit-def: $sgpr2_sgpr3
	s_cbranch_execnz .LBB492_9
	s_branch .LBB492_28
.LBB492_6:
	s_or_b32 exec_lo, exec_lo, s20
	s_and_b32 vcc_lo, exec_lo, s19
	s_cbranch_vccnz .LBB492_9
	s_branch .LBB492_28
.LBB492_7:
	v_mov_b32_e32 v1, 0
.LBB492_8:
	s_mov_b32 s10, exec_lo
	s_or_b32 exec_lo, exec_lo, s20
	s_and_b32 vcc_lo, exec_lo, s19
	s_cbranch_vccz .LBB492_28
.LBB492_9:
	s_clause 0x3
	s_load_dwordx4 s[20:23], s[4:5], 0x30
	s_load_dwordx2 s[24:25], s[4:5], 0x40
	s_load_dword s3, s[4:5], 0x0
	s_load_dword s0, s[4:5], 0x28
	s_mul_i32 s2, s17, s7
	s_mul_hi_u32 s17, s16, s7
	s_mul_i32 s16, s16, s7
	s_add_i32 s17, s17, s2
	s_load_dword s4, s[4:5], 0x48
	s_lshl_b64 s[16:17], s[16:17], 1
	v_mov_b32_e32 v7, 0
	s_waitcnt lgkmcnt(0)
	s_add_u32 s2, s22, s16
	s_addc_u32 s22, s23, s17
	v_cmp_gt_i32_e32 vcc_lo, s3, v0
	s_lshl_b64 s[16:17], s[24:25], 1
	s_mul_i32 s19, s21, s7
	s_mul_hi_u32 s21, s20, s7
	s_add_u32 s5, s2, s16
	v_cndmask_b32_e32 v1, 0, v0, vcc_lo
	s_mul_i32 s20, s20, s7
	s_addc_u32 s7, s22, s17
	s_add_i32 s21, s21, s19
	s_lshl_b64 s[16:17], s[20:21], 1
	s_mul_i32 s20, s0, s6
	s_add_u32 s0, s12, s16
	v_lshlrev_b32_e32 v1, 1, v1
	s_addc_u32 s2, s13, s17
	s_lshl_b64 s[12:13], s[14:15], 1
	s_add_u32 s0, s0, s12
	s_addc_u32 s2, s2, s13
	v_add_co_u32 v1, s0, s0, v1
	s_ashr_i32 s12, s3, 31
	s_ashr_i32 s21, s20, 31
	v_add_co_ci_u32_e64 v2, null, s2, 0, s0
	s_lshr_b32 s0, s12, 22
	s_lshl_b64 s[12:13], s[20:21], 1
	s_add_i32 s0, s3, s0
	v_add_co_u32 v1, vcc_lo, v1, s12
	v_add_co_ci_u32_e64 v2, null, s13, v2, vcc_lo
	s_and_b32 s2, s0, 0xfffffc00
	s_mov_b32 s13, 0
	s_mov_b32 s12, exec_lo
	v_cmpx_gt_i32_e64 s2, v0
	s_cbranch_execz .LBB492_13
; %bb.10:
	v_mul_lo_u32 v3, v0, s4
	v_mov_b32_e32 v6, v2
	v_mov_b32_e32 v7, 0
	;; [unrolled: 1-line block ×4, first 2 shown]
	s_lshl_b32 s14, s4, 10
	.p2align	6
.LBB492_11:                             ; =>This Inner Loop Header: Depth=1
	v_ashrrev_i32_e32 v4, 31, v3
	v_add_nc_u32_e32 v8, 0x400, v8
	v_lshlrev_b64 v[9:10], 1, v[3:4]
	v_cmp_le_i32_e64 s0, s2, v8
	v_add_nc_u32_e32 v3, s14, v3
	s_or_b32 s13, s0, s13
	v_add_co_u32 v9, vcc_lo, s5, v9
	v_add_co_ci_u32_e64 v10, null, s7, v10, vcc_lo
	global_load_ushort v4, v[5:6], off
	global_load_ushort v9, v[9:10], off
	v_add_co_u32 v5, vcc_lo, 0x800, v5
	v_add_co_ci_u32_e64 v6, null, 0, v6, vcc_lo
	s_waitcnt vmcnt(0)
	v_mul_f16_e32 v4, v4, v9
	v_cvt_f32_f16_e32 v4, v4
	v_add_f32_e32 v7, v7, v4
	s_andn2_b32 exec_lo, exec_lo, s13
	s_cbranch_execnz .LBB492_11
; %bb.12:
	s_or_b32 exec_lo, exec_lo, s13
.LBB492_13:
	s_or_b32 exec_lo, exec_lo, s12
	v_or_b32_e32 v3, s2, v0
	s_mov_b32 s0, exec_lo
	v_cmpx_gt_i32_e64 s3, v3
	s_cbranch_execz .LBB492_15
; %bb.14:
	v_mul_lo_u32 v3, s4, v3
	s_ashr_i32 s3, s2, 31
	s_lshl_b64 s[2:3], s[2:3], 1
	v_add_co_u32 v1, vcc_lo, v1, s2
	v_add_co_ci_u32_e64 v2, null, s3, v2, vcc_lo
	v_ashrrev_i32_e32 v4, 31, v3
	v_lshlrev_b64 v[3:4], 1, v[3:4]
	v_add_co_u32 v3, vcc_lo, s5, v3
	v_add_co_ci_u32_e64 v4, null, s7, v4, vcc_lo
	global_load_ushort v1, v[1:2], off
	global_load_ushort v2, v[3:4], off
	s_waitcnt vmcnt(0)
	v_mul_f16_e32 v1, v1, v2
	v_cvt_f32_f16_e32 v1, v1
	v_add_f32_e32 v7, v7, v1
.LBB492_15:
	s_or_b32 exec_lo, exec_lo, s0
	v_and_b32_e32 v8, 31, v0
	v_cmp_gt_u32_e32 vcc_lo, 32, v0
	v_lshlrev_b32_e32 v1, 2, v8
	s_and_saveexec_b32 s0, vcc_lo
; %bb.16:
	v_mov_b32_e32 v2, 0
	ds_write_b32 v1, v2
; %bb.17:
	s_or_b32 exec_lo, exec_lo, s0
	v_mbcnt_lo_u32_b32 v6, -1, 0
	s_mov_b32 s2, exec_lo
	s_waitcnt lgkmcnt(0)
	s_barrier
	buffer_gl0_inv
	v_lshl_or_b32 v2, v6, 2, 64
	v_cmp_gt_u32_e64 s0, 24, v6
	ds_bpermute_b32 v4, v2, v7
	v_cndmask_b32_e64 v3, 0, 8, s0
	v_cmp_gt_u32_e64 s0, 28, v6
	v_add_lshl_u32 v3, v3, v6, 2
	s_waitcnt lgkmcnt(0)
	v_add_f32_e32 v5, v7, v4
	v_cndmask_b32_e64 v4, 0, 4, s0
	v_cmp_gt_u32_e64 s0, 30, v6
	ds_bpermute_b32 v7, v3, v5
	v_add_lshl_u32 v4, v4, v6, 2
	s_waitcnt lgkmcnt(0)
	v_add_f32_e32 v7, v5, v7
	v_cndmask_b32_e64 v5, 0, 2, s0
	v_cmp_ne_u32_e64 s0, 31, v6
	ds_bpermute_b32 v9, v4, v7
	v_add_lshl_u32 v5, v5, v6, 2
	v_add_co_ci_u32_e64 v6, null, 0, v6, s0
	v_lshlrev_b32_e32 v6, 2, v6
	s_waitcnt lgkmcnt(0)
	v_add_f32_e32 v7, v7, v9
	ds_bpermute_b32 v9, v5, v7
	s_waitcnt lgkmcnt(0)
	v_add_f32_e32 v7, v7, v9
	ds_bpermute_b32 v9, v6, v7
	v_cmpx_eq_u32_e32 0, v8
	s_cbranch_execz .LBB492_19
; %bb.18:
	v_lshrrev_b32_e32 v8, 3, v0
	s_waitcnt lgkmcnt(0)
	v_add_f32_e32 v7, v7, v9
	v_and_b32_e32 v8, 0x7c, v8
	ds_write_b32 v8, v7
.LBB492_19:
	s_or_b32 exec_lo, exec_lo, s2
	v_mov_b32_e32 v7, 0
	s_waitcnt lgkmcnt(0)
	s_barrier
	buffer_gl0_inv
	s_and_saveexec_b32 s0, vcc_lo
; %bb.20:
	ds_read_b32 v7, v1
; %bb.21:
	s_or_b32 exec_lo, exec_lo, s0
	s_and_saveexec_b32 s0, vcc_lo
	s_cbranch_execz .LBB492_23
; %bb.22:
	s_waitcnt lgkmcnt(0)
	ds_bpermute_b32 v1, v2, v7
	s_waitcnt lgkmcnt(0)
	v_add_f32_e32 v1, v7, v1
	ds_bpermute_b32 v2, v3, v1
	s_waitcnt lgkmcnt(0)
	v_add_f32_e32 v1, v1, v2
	;; [unrolled: 3-line block ×5, first 2 shown]
.LBB492_23:
	s_or_b32 exec_lo, exec_lo, s0
	s_mov_b32 s0, exec_lo
                                        ; implicit-def: $vgpr1
                                        ; implicit-def: $sgpr2_sgpr3
	v_cmpx_eq_u32_e32 0, v0
	s_cbranch_execz .LBB492_27
; %bb.24:
	v_cmp_eq_f32_e64 s3, s9, 0
	s_waitcnt lgkmcnt(0)
	v_mul_f32_e32 v1, s11, v7
	s_mul_i32 s2, s18, s6
	s_and_b32 vcc_lo, exec_lo, s3
	s_ashr_i32 s3, s2, 31
	s_cbranch_vccnz .LBB492_26
; %bb.25:
	s_lshl_b64 s[4:5], s[2:3], 2
	s_add_u32 s4, s1, s4
	s_addc_u32 s5, s8, s5
	s_load_dword s4, s[4:5], 0x0
	s_waitcnt lgkmcnt(0)
	v_fmac_f32_e64 v1, s9, s4
.LBB492_26:
	s_or_b32 s10, s10, exec_lo
.LBB492_27:
	s_or_b32 exec_lo, exec_lo, s0
.LBB492_28:
	s_and_saveexec_b32 s0, s10
	s_cbranch_execz .LBB492_30
; %bb.29:
	s_lshl_b64 s[2:3], s[2:3], 2
	v_mov_b32_e32 v0, 0
	s_add_u32 s0, s1, s2
	s_addc_u32 s1, s8, s3
	global_store_dword v0, v1, s[0:1]
.LBB492_30:
	s_endpgm
	.section	.rodata,"a",@progbits
	.p2align	6, 0x0
	.amdhsa_kernel _ZL32rocblas_gemvt_warp_reduce_kernelILb0ELi1024EiDF16_PKffEviiT3_lPKT2_lT1_lS5_lS6_lS2_lPT4_lS6_li
		.amdhsa_group_segment_fixed_size 128
		.amdhsa_private_segment_fixed_size 0
		.amdhsa_kernarg_size 140
		.amdhsa_user_sgpr_count 6
		.amdhsa_user_sgpr_private_segment_buffer 1
		.amdhsa_user_sgpr_dispatch_ptr 0
		.amdhsa_user_sgpr_queue_ptr 0
		.amdhsa_user_sgpr_kernarg_segment_ptr 1
		.amdhsa_user_sgpr_dispatch_id 0
		.amdhsa_user_sgpr_flat_scratch_init 0
		.amdhsa_user_sgpr_private_segment_size 0
		.amdhsa_wavefront_size32 1
		.amdhsa_uses_dynamic_stack 0
		.amdhsa_system_sgpr_private_segment_wavefront_offset 0
		.amdhsa_system_sgpr_workgroup_id_x 1
		.amdhsa_system_sgpr_workgroup_id_y 0
		.amdhsa_system_sgpr_workgroup_id_z 1
		.amdhsa_system_sgpr_workgroup_info 0
		.amdhsa_system_vgpr_workitem_id 0
		.amdhsa_next_free_vgpr 11
		.amdhsa_next_free_sgpr 26
		.amdhsa_reserve_vcc 1
		.amdhsa_reserve_flat_scratch 0
		.amdhsa_float_round_mode_32 0
		.amdhsa_float_round_mode_16_64 0
		.amdhsa_float_denorm_mode_32 3
		.amdhsa_float_denorm_mode_16_64 3
		.amdhsa_dx10_clamp 1
		.amdhsa_ieee_mode 1
		.amdhsa_fp16_overflow 0
		.amdhsa_workgroup_processor_mode 1
		.amdhsa_memory_ordered 1
		.amdhsa_forward_progress 1
		.amdhsa_shared_vgpr_count 0
		.amdhsa_exception_fp_ieee_invalid_op 0
		.amdhsa_exception_fp_denorm_src 0
		.amdhsa_exception_fp_ieee_div_zero 0
		.amdhsa_exception_fp_ieee_overflow 0
		.amdhsa_exception_fp_ieee_underflow 0
		.amdhsa_exception_fp_ieee_inexact 0
		.amdhsa_exception_int_div_zero 0
	.end_amdhsa_kernel
	.section	.text._ZL32rocblas_gemvt_warp_reduce_kernelILb0ELi1024EiDF16_PKffEviiT3_lPKT2_lT1_lS5_lS6_lS2_lPT4_lS6_li,"axG",@progbits,_ZL32rocblas_gemvt_warp_reduce_kernelILb0ELi1024EiDF16_PKffEviiT3_lPKT2_lT1_lS5_lS6_lS2_lPT4_lS6_li,comdat
.Lfunc_end492:
	.size	_ZL32rocblas_gemvt_warp_reduce_kernelILb0ELi1024EiDF16_PKffEviiT3_lPKT2_lT1_lS5_lS6_lS2_lPT4_lS6_li, .Lfunc_end492-_ZL32rocblas_gemvt_warp_reduce_kernelILb0ELi1024EiDF16_PKffEviiT3_lPKT2_lT1_lS5_lS6_lS2_lPT4_lS6_li
                                        ; -- End function
	.set _ZL32rocblas_gemvt_warp_reduce_kernelILb0ELi1024EiDF16_PKffEviiT3_lPKT2_lT1_lS5_lS6_lS2_lPT4_lS6_li.num_vgpr, 11
	.set _ZL32rocblas_gemvt_warp_reduce_kernelILb0ELi1024EiDF16_PKffEviiT3_lPKT2_lT1_lS5_lS6_lS2_lPT4_lS6_li.num_agpr, 0
	.set _ZL32rocblas_gemvt_warp_reduce_kernelILb0ELi1024EiDF16_PKffEviiT3_lPKT2_lT1_lS5_lS6_lS2_lPT4_lS6_li.numbered_sgpr, 26
	.set _ZL32rocblas_gemvt_warp_reduce_kernelILb0ELi1024EiDF16_PKffEviiT3_lPKT2_lT1_lS5_lS6_lS2_lPT4_lS6_li.num_named_barrier, 0
	.set _ZL32rocblas_gemvt_warp_reduce_kernelILb0ELi1024EiDF16_PKffEviiT3_lPKT2_lT1_lS5_lS6_lS2_lPT4_lS6_li.private_seg_size, 0
	.set _ZL32rocblas_gemvt_warp_reduce_kernelILb0ELi1024EiDF16_PKffEviiT3_lPKT2_lT1_lS5_lS6_lS2_lPT4_lS6_li.uses_vcc, 1
	.set _ZL32rocblas_gemvt_warp_reduce_kernelILb0ELi1024EiDF16_PKffEviiT3_lPKT2_lT1_lS5_lS6_lS2_lPT4_lS6_li.uses_flat_scratch, 0
	.set _ZL32rocblas_gemvt_warp_reduce_kernelILb0ELi1024EiDF16_PKffEviiT3_lPKT2_lT1_lS5_lS6_lS2_lPT4_lS6_li.has_dyn_sized_stack, 0
	.set _ZL32rocblas_gemvt_warp_reduce_kernelILb0ELi1024EiDF16_PKffEviiT3_lPKT2_lT1_lS5_lS6_lS2_lPT4_lS6_li.has_recursion, 0
	.set _ZL32rocblas_gemvt_warp_reduce_kernelILb0ELi1024EiDF16_PKffEviiT3_lPKT2_lT1_lS5_lS6_lS2_lPT4_lS6_li.has_indirect_call, 0
	.section	.AMDGPU.csdata,"",@progbits
; Kernel info:
; codeLenInByte = 1400
; TotalNumSgprs: 28
; NumVgprs: 11
; ScratchSize: 0
; MemoryBound: 0
; FloatMode: 240
; IeeeMode: 1
; LDSByteSize: 128 bytes/workgroup (compile time only)
; SGPRBlocks: 0
; VGPRBlocks: 1
; NumSGPRsForWavesPerEU: 28
; NumVGPRsForWavesPerEU: 11
; Occupancy: 16
; WaveLimiterHint : 1
; COMPUTE_PGM_RSRC2:SCRATCH_EN: 0
; COMPUTE_PGM_RSRC2:USER_SGPR: 6
; COMPUTE_PGM_RSRC2:TRAP_HANDLER: 0
; COMPUTE_PGM_RSRC2:TGID_X_EN: 1
; COMPUTE_PGM_RSRC2:TGID_Y_EN: 0
; COMPUTE_PGM_RSRC2:TGID_Z_EN: 1
; COMPUTE_PGM_RSRC2:TIDIG_COMP_CNT: 0
	.section	.text._ZL32rocblas_gemvt_warp_reduce_kernelILb0ELi1024ElDF16_PKffEviiT3_lPKT2_lT1_lS5_lS6_lS2_lPT4_lS6_li,"axG",@progbits,_ZL32rocblas_gemvt_warp_reduce_kernelILb0ELi1024ElDF16_PKffEviiT3_lPKT2_lT1_lS5_lS6_lS2_lPT4_lS6_li,comdat
	.globl	_ZL32rocblas_gemvt_warp_reduce_kernelILb0ELi1024ElDF16_PKffEviiT3_lPKT2_lT1_lS5_lS6_lS2_lPT4_lS6_li ; -- Begin function _ZL32rocblas_gemvt_warp_reduce_kernelILb0ELi1024ElDF16_PKffEviiT3_lPKT2_lT1_lS5_lS6_lS2_lPT4_lS6_li
	.p2align	8
	.type	_ZL32rocblas_gemvt_warp_reduce_kernelILb0ELi1024ElDF16_PKffEviiT3_lPKT2_lT1_lS5_lS6_lS2_lPT4_lS6_li,@function
_ZL32rocblas_gemvt_warp_reduce_kernelILb0ELi1024ElDF16_PKffEviiT3_lPKT2_lT1_lS5_lS6_lS2_lPT4_lS6_li: ; @_ZL32rocblas_gemvt_warp_reduce_kernelILb0ELi1024ElDF16_PKffEviiT3_lPKT2_lT1_lS5_lS6_lS2_lPT4_lS6_li
; %bb.0:
	s_clause 0x1
	s_load_dwordx16 s[36:51], s[4:5], 0x8
	s_load_dwordx16 s[8:23], s[4:5], 0x48
	s_waitcnt lgkmcnt(0)
	s_mul_i32 s1, s39, s7
	s_mul_hi_u32 s2, s38, s7
	s_mul_i32 s0, s38, s7
	s_add_i32 s1, s2, s1
	s_mul_i32 s2, s15, s7
	s_lshl_b64 s[0:1], s[0:1], 2
	s_mul_hi_u32 s3, s14, s7
	s_add_u32 s0, s36, s0
	s_addc_u32 s1, s37, s1
	s_add_i32 s3, s3, s2
	s_mul_i32 s2, s14, s7
	s_mov_b32 s14, 0
	s_lshl_b64 s[2:3], s[2:3], 2
	s_add_u32 s2, s12, s2
	s_addc_u32 s3, s13, s3
	s_load_dword s15, s[0:1], 0x0
	s_load_dword s13, s[2:3], 0x0
	s_waitcnt lgkmcnt(0)
	v_cmp_eq_f32_e64 s0, s15, 0
	v_cmp_eq_f32_e64 s1, s13, 1.0
	s_and_b32 s0, s0, s1
	s_and_b32 vcc_lo, exec_lo, s0
	s_cbranch_vccnz .LBB493_30
; %bb.1:
	s_mul_i32 s1, s23, s7
	s_mul_hi_u32 s2, s22, s7
	s_mul_i32 s0, s22, s7
	s_add_i32 s1, s2, s1
	v_cmp_neq_f32_e64 s22, s15, 0
	s_lshl_b64 s[0:1], s[0:1], 2
	s_add_u32 s0, s16, s0
	s_addc_u32 s12, s17, s1
	s_lshl_b64 s[2:3], s[18:19], 2
	s_add_u32 s1, s0, s2
	v_cmp_eq_u32_e64 s0, 0, v0
	s_addc_u32 s12, s12, s3
	s_and_b32 vcc_lo, exec_lo, s22
	s_cbranch_vccnz .LBB493_5
; %bb.2:
	s_mov_b32 s16, 0
                                        ; implicit-def: $vgpr1
                                        ; implicit-def: $sgpr2_sgpr3
	s_and_saveexec_b32 s17, s0
	s_cbranch_execz .LBB493_6
; %bb.3:
	s_ashr_i32 s2, s6, 31
	v_cmp_eq_f32_e64 s0, s13, 0
	s_mul_hi_u32 s3, s20, s6
	s_mul_i32 s2, s20, s2
	s_mul_i32 s14, s21, s6
	s_add_i32 s2, s3, s2
	s_and_b32 vcc_lo, exec_lo, s0
	s_add_i32 s3, s2, s14
	s_mul_i32 s2, s20, s6
	s_cbranch_vccnz .LBB493_7
; %bb.4:
	s_lshl_b64 s[18:19], s[2:3], 2
	s_add_u32 s18, s1, s18
	s_addc_u32 s19, s12, s19
	s_load_dword s0, s[18:19], 0x0
	s_waitcnt lgkmcnt(0)
	v_mul_f32_e64 v1, s13, s0
	s_branch .LBB493_8
.LBB493_5:
                                        ; implicit-def: $vgpr1
                                        ; implicit-def: $sgpr2_sgpr3
	s_cbranch_execnz .LBB493_9
	s_branch .LBB493_28
.LBB493_6:
	s_or_b32 exec_lo, exec_lo, s17
	s_and_b32 vcc_lo, exec_lo, s16
	s_cbranch_vccnz .LBB493_9
	s_branch .LBB493_28
.LBB493_7:
	v_mov_b32_e32 v1, 0
.LBB493_8:
	s_mov_b32 s14, exec_lo
	s_or_b32 exec_lo, exec_lo, s17
	s_and_b32 vcc_lo, exec_lo, s16
	s_cbranch_vccz .LBB493_28
.LBB493_9:
	s_load_dword s5, s[4:5], 0x0
	s_mul_i32 s0, s11, s7
	s_mul_i32 s3, s47, s7
	s_mul_hi_u32 s11, s46, s7
	s_mul_i32 s2, s46, s7
	s_add_i32 s3, s11, s3
	s_mul_hi_u32 s4, s10, s7
	s_lshl_b64 s[16:17], s[2:3], 1
	s_add_i32 s3, s4, s0
	s_add_u32 s0, s40, s16
	s_addc_u32 s2, s41, s17
	s_lshl_b64 s[16:17], s[42:43], 1
	s_mul_hi_u32 s4, s44, s6
	s_add_u32 s0, s0, s16
	s_addc_u32 s2, s2, s17
	s_ashr_i32 s16, s6, 31
	s_mul_i32 s11, s45, s6
	s_mul_i32 s17, s44, s16
	;; [unrolled: 1-line block ×3, first 2 shown]
	s_add_i32 s4, s4, s17
	s_waitcnt lgkmcnt(0)
	v_cmp_gt_i32_e32 vcc_lo, s5, v0
	s_add_i32 s19, s4, s11
	s_ashr_i32 s4, s5, 31
	s_lshl_b64 s[18:19], s[18:19], 1
	s_lshr_b32 s4, s4, 22
	v_cndmask_b32_e32 v1, 0, v0, vcc_lo
	v_mov_b32_e32 v7, 0
	s_add_i32 s4, s5, s4
	s_mov_b32 s17, 0
	s_and_b32 s4, s4, 0xfffffc00
	v_lshlrev_b32_e32 v1, 1, v1
	v_add_co_u32 v1, s0, s0, v1
	v_add_co_ci_u32_e64 v2, null, s2, 0, s0
	s_mul_i32 s2, s10, s7
	v_add_co_u32 v1, vcc_lo, v1, s18
	v_add_co_ci_u32_e64 v2, null, s19, v2, vcc_lo
	s_mov_b32 s7, exec_lo
	v_cmpx_gt_i32_e64 s4, v0
	s_cbranch_execz .LBB493_13
; %bb.10:
	v_mad_u64_u32 v[5:6], null, s8, v0, 0
	s_lshl_b64 s[18:19], s[50:51], 1
	s_lshl_b64 s[10:11], s[2:3], 1
	s_add_u32 s0, s48, s18
	s_addc_u32 s18, s49, s19
	s_add_u32 s0, s0, s10
	s_addc_u32 s10, s18, s11
	v_mov_b32_e32 v3, v6
	v_mov_b32_e32 v7, 0
	;; [unrolled: 1-line block ×3, first 2 shown]
	v_mad_u64_u32 v[3:4], null, s9, v0, v[3:4]
	v_mov_b32_e32 v6, v3
	v_mov_b32_e32 v4, v2
	;; [unrolled: 1-line block ×3, first 2 shown]
	v_lshlrev_b64 v[5:6], 1, v[5:6]
	v_add_co_u32 v5, vcc_lo, s0, v5
	v_add_co_ci_u32_e64 v6, null, s10, v6, vcc_lo
	s_lshl_b64 s[10:11], s[8:9], 11
	.p2align	6
.LBB493_11:                             ; =>This Inner Loop Header: Depth=1
	global_load_ushort v9, v[3:4], off
	global_load_ushort v10, v[5:6], off
	v_add_nc_u32_e32 v8, 0x400, v8
	v_add_co_u32 v3, vcc_lo, 0x800, v3
	v_add_co_ci_u32_e64 v4, null, 0, v4, vcc_lo
	v_add_co_u32 v5, vcc_lo, v5, s10
	v_cmp_le_i32_e64 s0, s4, v8
	v_add_co_ci_u32_e64 v6, null, s11, v6, vcc_lo
	s_or_b32 s17, s0, s17
	s_waitcnt vmcnt(0)
	v_mul_f16_e32 v9, v9, v10
	v_cvt_f32_f16_e32 v9, v9
	v_add_f32_e32 v7, v7, v9
	s_andn2_b32 exec_lo, exec_lo, s17
	s_cbranch_execnz .LBB493_11
; %bb.12:
	s_or_b32 exec_lo, exec_lo, s17
.LBB493_13:
	s_or_b32 exec_lo, exec_lo, s7
	v_or_b32_e32 v3, s4, v0
	s_mov_b32 s0, exec_lo
	v_cmpx_gt_i32_e64 s5, v3
	s_cbranch_execz .LBB493_15
; %bb.14:
	v_ashrrev_i32_e32 v5, 31, v3
	v_mul_lo_u32 v6, s9, v3
	v_mad_u64_u32 v[3:4], null, s8, v3, 0
	s_lshl_b64 s[2:3], s[2:3], 1
	v_mul_lo_u32 v5, s8, v5
	s_add_u32 s5, s48, s2
	s_addc_u32 s7, s49, s3
	s_lshl_b64 s[2:3], s[50:51], 1
	s_add_u32 s8, s5, s2
	s_addc_u32 s7, s7, s3
	s_ashr_i32 s5, s4, 31
	v_add3_u32 v4, v4, v5, v6
	s_lshl_b64 s[2:3], s[4:5], 1
	v_add_co_u32 v1, vcc_lo, v1, s2
	v_lshlrev_b64 v[3:4], 1, v[3:4]
	v_add_co_ci_u32_e64 v2, null, s3, v2, vcc_lo
	v_add_co_u32 v3, vcc_lo, s8, v3
	v_add_co_ci_u32_e64 v4, null, s7, v4, vcc_lo
	global_load_ushort v1, v[1:2], off
	global_load_ushort v2, v[3:4], off
	s_waitcnt vmcnt(0)
	v_mul_f16_e32 v1, v1, v2
	v_cvt_f32_f16_e32 v1, v1
	v_add_f32_e32 v7, v7, v1
.LBB493_15:
	s_or_b32 exec_lo, exec_lo, s0
	v_and_b32_e32 v8, 31, v0
	v_cmp_gt_u32_e32 vcc_lo, 32, v0
	v_lshlrev_b32_e32 v1, 2, v8
	s_and_saveexec_b32 s0, vcc_lo
; %bb.16:
	v_mov_b32_e32 v2, 0
	ds_write_b32 v1, v2
; %bb.17:
	s_or_b32 exec_lo, exec_lo, s0
	v_mbcnt_lo_u32_b32 v6, -1, 0
	s_mov_b32 s2, exec_lo
	s_waitcnt lgkmcnt(0)
	s_barrier
	buffer_gl0_inv
	v_lshl_or_b32 v2, v6, 2, 64
	v_cmp_gt_u32_e64 s0, 24, v6
	ds_bpermute_b32 v4, v2, v7
	v_cndmask_b32_e64 v3, 0, 8, s0
	v_cmp_gt_u32_e64 s0, 28, v6
	v_add_lshl_u32 v3, v3, v6, 2
	s_waitcnt lgkmcnt(0)
	v_add_f32_e32 v5, v7, v4
	v_cndmask_b32_e64 v4, 0, 4, s0
	v_cmp_gt_u32_e64 s0, 30, v6
	ds_bpermute_b32 v7, v3, v5
	v_add_lshl_u32 v4, v4, v6, 2
	s_waitcnt lgkmcnt(0)
	v_add_f32_e32 v7, v5, v7
	v_cndmask_b32_e64 v5, 0, 2, s0
	v_cmp_ne_u32_e64 s0, 31, v6
	ds_bpermute_b32 v9, v4, v7
	v_add_lshl_u32 v5, v5, v6, 2
	v_add_co_ci_u32_e64 v6, null, 0, v6, s0
	v_lshlrev_b32_e32 v6, 2, v6
	s_waitcnt lgkmcnt(0)
	v_add_f32_e32 v7, v7, v9
	ds_bpermute_b32 v9, v5, v7
	s_waitcnt lgkmcnt(0)
	v_add_f32_e32 v7, v7, v9
	ds_bpermute_b32 v9, v6, v7
	v_cmpx_eq_u32_e32 0, v8
	s_cbranch_execz .LBB493_19
; %bb.18:
	v_lshrrev_b32_e32 v8, 3, v0
	s_waitcnt lgkmcnt(0)
	v_add_f32_e32 v7, v7, v9
	v_and_b32_e32 v8, 0x7c, v8
	ds_write_b32 v8, v7
.LBB493_19:
	s_or_b32 exec_lo, exec_lo, s2
	v_mov_b32_e32 v7, 0
	s_waitcnt lgkmcnt(0)
	s_barrier
	buffer_gl0_inv
	s_and_saveexec_b32 s0, vcc_lo
; %bb.20:
	ds_read_b32 v7, v1
; %bb.21:
	s_or_b32 exec_lo, exec_lo, s0
	s_and_saveexec_b32 s0, vcc_lo
	s_cbranch_execz .LBB493_23
; %bb.22:
	s_waitcnt lgkmcnt(0)
	ds_bpermute_b32 v1, v2, v7
	s_waitcnt lgkmcnt(0)
	v_add_f32_e32 v1, v7, v1
	ds_bpermute_b32 v2, v3, v1
	s_waitcnt lgkmcnt(0)
	v_add_f32_e32 v1, v1, v2
	;; [unrolled: 3-line block ×5, first 2 shown]
.LBB493_23:
	s_or_b32 exec_lo, exec_lo, s0
	s_mov_b32 s0, exec_lo
                                        ; implicit-def: $vgpr1
                                        ; implicit-def: $sgpr2_sgpr3
	v_cmpx_eq_u32_e32 0, v0
	s_cbranch_execz .LBB493_27
; %bb.24:
	v_cmp_eq_f32_e64 s4, s13, 0
	s_mul_i32 s2, s20, s16
	s_mul_hi_u32 s3, s20, s6
	s_waitcnt lgkmcnt(0)
	v_mul_f32_e32 v1, s15, v7
	s_add_i32 s2, s3, s2
	s_mul_i32 s3, s21, s6
	s_and_b32 vcc_lo, exec_lo, s4
	s_add_i32 s3, s2, s3
	s_mul_i32 s2, s20, s6
	s_cbranch_vccnz .LBB493_26
; %bb.25:
	s_lshl_b64 s[4:5], s[2:3], 2
	s_add_u32 s4, s1, s4
	s_addc_u32 s5, s12, s5
	s_load_dword s4, s[4:5], 0x0
	s_waitcnt lgkmcnt(0)
	v_fmac_f32_e64 v1, s13, s4
.LBB493_26:
	s_or_b32 s14, s14, exec_lo
.LBB493_27:
	s_or_b32 exec_lo, exec_lo, s0
.LBB493_28:
	s_and_saveexec_b32 s0, s14
	s_cbranch_execz .LBB493_30
; %bb.29:
	s_lshl_b64 s[2:3], s[2:3], 2
	v_mov_b32_e32 v0, 0
	s_add_u32 s0, s1, s2
	s_addc_u32 s1, s12, s3
	global_store_dword v0, v1, s[0:1]
.LBB493_30:
	s_endpgm
	.section	.rodata,"a",@progbits
	.p2align	6, 0x0
	.amdhsa_kernel _ZL32rocblas_gemvt_warp_reduce_kernelILb0ELi1024ElDF16_PKffEviiT3_lPKT2_lT1_lS5_lS6_lS2_lPT4_lS6_li
		.amdhsa_group_segment_fixed_size 128
		.amdhsa_private_segment_fixed_size 0
		.amdhsa_kernarg_size 140
		.amdhsa_user_sgpr_count 6
		.amdhsa_user_sgpr_private_segment_buffer 1
		.amdhsa_user_sgpr_dispatch_ptr 0
		.amdhsa_user_sgpr_queue_ptr 0
		.amdhsa_user_sgpr_kernarg_segment_ptr 1
		.amdhsa_user_sgpr_dispatch_id 0
		.amdhsa_user_sgpr_flat_scratch_init 0
		.amdhsa_user_sgpr_private_segment_size 0
		.amdhsa_wavefront_size32 1
		.amdhsa_uses_dynamic_stack 0
		.amdhsa_system_sgpr_private_segment_wavefront_offset 0
		.amdhsa_system_sgpr_workgroup_id_x 1
		.amdhsa_system_sgpr_workgroup_id_y 0
		.amdhsa_system_sgpr_workgroup_id_z 1
		.amdhsa_system_sgpr_workgroup_info 0
		.amdhsa_system_vgpr_workitem_id 0
		.amdhsa_next_free_vgpr 11
		.amdhsa_next_free_sgpr 52
		.amdhsa_reserve_vcc 1
		.amdhsa_reserve_flat_scratch 0
		.amdhsa_float_round_mode_32 0
		.amdhsa_float_round_mode_16_64 0
		.amdhsa_float_denorm_mode_32 3
		.amdhsa_float_denorm_mode_16_64 3
		.amdhsa_dx10_clamp 1
		.amdhsa_ieee_mode 1
		.amdhsa_fp16_overflow 0
		.amdhsa_workgroup_processor_mode 1
		.amdhsa_memory_ordered 1
		.amdhsa_forward_progress 1
		.amdhsa_shared_vgpr_count 0
		.amdhsa_exception_fp_ieee_invalid_op 0
		.amdhsa_exception_fp_denorm_src 0
		.amdhsa_exception_fp_ieee_div_zero 0
		.amdhsa_exception_fp_ieee_overflow 0
		.amdhsa_exception_fp_ieee_underflow 0
		.amdhsa_exception_fp_ieee_inexact 0
		.amdhsa_exception_int_div_zero 0
	.end_amdhsa_kernel
	.section	.text._ZL32rocblas_gemvt_warp_reduce_kernelILb0ELi1024ElDF16_PKffEviiT3_lPKT2_lT1_lS5_lS6_lS2_lPT4_lS6_li,"axG",@progbits,_ZL32rocblas_gemvt_warp_reduce_kernelILb0ELi1024ElDF16_PKffEviiT3_lPKT2_lT1_lS5_lS6_lS2_lPT4_lS6_li,comdat
.Lfunc_end493:
	.size	_ZL32rocblas_gemvt_warp_reduce_kernelILb0ELi1024ElDF16_PKffEviiT3_lPKT2_lT1_lS5_lS6_lS2_lPT4_lS6_li, .Lfunc_end493-_ZL32rocblas_gemvt_warp_reduce_kernelILb0ELi1024ElDF16_PKffEviiT3_lPKT2_lT1_lS5_lS6_lS2_lPT4_lS6_li
                                        ; -- End function
	.set _ZL32rocblas_gemvt_warp_reduce_kernelILb0ELi1024ElDF16_PKffEviiT3_lPKT2_lT1_lS5_lS6_lS2_lPT4_lS6_li.num_vgpr, 11
	.set _ZL32rocblas_gemvt_warp_reduce_kernelILb0ELi1024ElDF16_PKffEviiT3_lPKT2_lT1_lS5_lS6_lS2_lPT4_lS6_li.num_agpr, 0
	.set _ZL32rocblas_gemvt_warp_reduce_kernelILb0ELi1024ElDF16_PKffEviiT3_lPKT2_lT1_lS5_lS6_lS2_lPT4_lS6_li.numbered_sgpr, 52
	.set _ZL32rocblas_gemvt_warp_reduce_kernelILb0ELi1024ElDF16_PKffEviiT3_lPKT2_lT1_lS5_lS6_lS2_lPT4_lS6_li.num_named_barrier, 0
	.set _ZL32rocblas_gemvt_warp_reduce_kernelILb0ELi1024ElDF16_PKffEviiT3_lPKT2_lT1_lS5_lS6_lS2_lPT4_lS6_li.private_seg_size, 0
	.set _ZL32rocblas_gemvt_warp_reduce_kernelILb0ELi1024ElDF16_PKffEviiT3_lPKT2_lT1_lS5_lS6_lS2_lPT4_lS6_li.uses_vcc, 1
	.set _ZL32rocblas_gemvt_warp_reduce_kernelILb0ELi1024ElDF16_PKffEviiT3_lPKT2_lT1_lS5_lS6_lS2_lPT4_lS6_li.uses_flat_scratch, 0
	.set _ZL32rocblas_gemvt_warp_reduce_kernelILb0ELi1024ElDF16_PKffEviiT3_lPKT2_lT1_lS5_lS6_lS2_lPT4_lS6_li.has_dyn_sized_stack, 0
	.set _ZL32rocblas_gemvt_warp_reduce_kernelILb0ELi1024ElDF16_PKffEviiT3_lPKT2_lT1_lS5_lS6_lS2_lPT4_lS6_li.has_recursion, 0
	.set _ZL32rocblas_gemvt_warp_reduce_kernelILb0ELi1024ElDF16_PKffEviiT3_lPKT2_lT1_lS5_lS6_lS2_lPT4_lS6_li.has_indirect_call, 0
	.section	.AMDGPU.csdata,"",@progbits
; Kernel info:
; codeLenInByte = 1448
; TotalNumSgprs: 54
; NumVgprs: 11
; ScratchSize: 0
; MemoryBound: 0
; FloatMode: 240
; IeeeMode: 1
; LDSByteSize: 128 bytes/workgroup (compile time only)
; SGPRBlocks: 0
; VGPRBlocks: 1
; NumSGPRsForWavesPerEU: 54
; NumVGPRsForWavesPerEU: 11
; Occupancy: 16
; WaveLimiterHint : 0
; COMPUTE_PGM_RSRC2:SCRATCH_EN: 0
; COMPUTE_PGM_RSRC2:USER_SGPR: 6
; COMPUTE_PGM_RSRC2:TRAP_HANDLER: 0
; COMPUTE_PGM_RSRC2:TGID_X_EN: 1
; COMPUTE_PGM_RSRC2:TGID_Y_EN: 0
; COMPUTE_PGM_RSRC2:TGID_Z_EN: 1
; COMPUTE_PGM_RSRC2:TIDIG_COMP_CNT: 0
	.section	.text._ZL32rocblas_gemvt_warp_reduce_kernelILb0ELi1024EiDF16_ffEviiT3_lPKT2_lT1_lS3_lS4_lS0_lPT4_lS4_li,"axG",@progbits,_ZL32rocblas_gemvt_warp_reduce_kernelILb0ELi1024EiDF16_ffEviiT3_lPKT2_lT1_lS3_lS4_lS0_lPT4_lS4_li,comdat
	.globl	_ZL32rocblas_gemvt_warp_reduce_kernelILb0ELi1024EiDF16_ffEviiT3_lPKT2_lT1_lS3_lS4_lS0_lPT4_lS4_li ; -- Begin function _ZL32rocblas_gemvt_warp_reduce_kernelILb0ELi1024EiDF16_ffEviiT3_lPKT2_lT1_lS3_lS4_lS0_lPT4_lS4_li
	.p2align	8
	.type	_ZL32rocblas_gemvt_warp_reduce_kernelILb0ELi1024EiDF16_ffEviiT3_lPKT2_lT1_lS3_lS4_lS0_lPT4_lS4_li,@function
_ZL32rocblas_gemvt_warp_reduce_kernelILb0ELi1024EiDF16_ffEviiT3_lPKT2_lT1_lS3_lS4_lS0_lPT4_lS4_li: ; @_ZL32rocblas_gemvt_warp_reduce_kernelILb0ELi1024EiDF16_ffEviiT3_lPKT2_lT1_lS3_lS4_lS0_lPT4_lS4_li
; %bb.0:
	s_clause 0x1
	s_load_dword s12, s[4:5], 0x8
	s_load_dword s10, s[4:5], 0x58
	s_mov_b32 s11, 0
	s_waitcnt lgkmcnt(0)
	v_cmp_eq_f32_e64 s0, s12, 0
	v_cmp_eq_f32_e64 s1, s10, 1.0
	s_and_b32 s0, s0, s1
	s_and_b32 vcc_lo, exec_lo, s0
	s_cbranch_vccnz .LBB494_30
; %bb.1:
	s_clause 0x2
	s_load_dwordx2 s[8:9], s[4:5], 0x80
	s_load_dwordx4 s[0:3], s[4:5], 0x68
	s_load_dword s13, s[4:5], 0x78
	s_waitcnt lgkmcnt(0)
	s_mul_i32 s9, s9, s7
	s_mul_hi_u32 s14, s8, s7
	s_mul_i32 s8, s8, s7
	s_add_i32 s9, s14, s9
	v_cmp_neq_f32_e64 s14, s12, 0
	s_lshl_b64 s[8:9], s[8:9], 2
	s_add_u32 s8, s0, s8
	s_addc_u32 s9, s1, s9
	s_lshl_b64 s[0:1], s[2:3], 2
	s_add_u32 s8, s8, s0
	v_cmp_eq_u32_e64 s0, 0, v0
	s_addc_u32 s9, s9, s1
	s_and_b32 vcc_lo, exec_lo, s14
	s_cbranch_vccnz .LBB494_5
; %bb.2:
	s_mov_b32 s1, 0
                                        ; implicit-def: $vgpr1
                                        ; implicit-def: $sgpr2_sgpr3
	s_and_saveexec_b32 s14, s0
	s_cbranch_execz .LBB494_6
; %bb.3:
	v_cmp_eq_f32_e64 s0, s10, 0
	s_mul_i32 s2, s13, s6
	s_ashr_i32 s3, s2, 31
	s_and_b32 vcc_lo, exec_lo, s0
	s_cbranch_vccnz .LBB494_7
; %bb.4:
	s_lshl_b64 s[16:17], s[2:3], 2
	s_add_u32 s16, s8, s16
	s_addc_u32 s17, s9, s17
	s_load_dword s0, s[16:17], 0x0
	s_waitcnt lgkmcnt(0)
	v_mul_f32_e64 v1, s10, s0
	s_branch .LBB494_8
.LBB494_5:
                                        ; implicit-def: $vgpr1
                                        ; implicit-def: $sgpr2_sgpr3
	s_cbranch_execnz .LBB494_9
	s_branch .LBB494_28
.LBB494_6:
	s_or_b32 exec_lo, exec_lo, s14
	s_and_b32 vcc_lo, exec_lo, s1
	s_cbranch_vccnz .LBB494_9
	s_branch .LBB494_28
.LBB494_7:
	v_mov_b32_e32 v1, 0
.LBB494_8:
	s_mov_b32 s11, exec_lo
	s_or_b32 exec_lo, exec_lo, s14
	s_and_b32 vcc_lo, exec_lo, s1
	s_cbranch_vccz .LBB494_28
.LBB494_9:
	s_clause 0x6
	s_load_dwordx2 s[20:21], s[4:5], 0x50
	s_load_dwordx4 s[16:19], s[4:5], 0x30
	s_load_dwordx2 s[22:23], s[4:5], 0x40
	s_load_dword s14, s[4:5], 0x0
	s_load_dwordx4 s[0:3], s[4:5], 0x18
	s_load_dword s15, s[4:5], 0x28
	s_load_dword s4, s[4:5], 0x48
	v_mov_b32_e32 v7, 0
	s_waitcnt lgkmcnt(0)
	s_mul_i32 s5, s21, s7
	s_mul_hi_u32 s21, s20, s7
	s_mul_i32 s20, s20, s7
	s_add_i32 s21, s21, s5
	v_cmp_gt_i32_e32 vcc_lo, s14, v0
	s_lshl_b64 s[20:21], s[20:21], 1
	s_mul_i32 s17, s17, s7
	s_add_u32 s5, s18, s20
	s_addc_u32 s20, s19, s21
	s_lshl_b64 s[18:19], s[22:23], 1
	s_mul_hi_u32 s24, s16, s7
	s_add_u32 s5, s5, s18
	v_cndmask_b32_e32 v1, 0, v0, vcc_lo
	s_mul_i32 s16, s16, s7
	s_addc_u32 s7, s20, s19
	s_add_i32 s17, s24, s17
	s_mul_i32 s18, s15, s6
	s_lshl_b64 s[16:17], s[16:17], 1
	v_lshlrev_b32_e32 v1, 1, v1
	s_add_u32 s15, s0, s16
	s_addc_u32 s16, s1, s17
	s_lshl_b64 s[0:1], s[2:3], 1
	s_mov_b32 s3, 0
	s_add_u32 s0, s15, s0
	s_addc_u32 s1, s16, s1
	v_add_co_u32 v1, s0, s0, v1
	s_ashr_i32 s19, s18, 31
	v_add_co_ci_u32_e64 v2, null, s1, 0, s0
	s_lshl_b64 s[0:1], s[18:19], 1
	s_ashr_i32 s2, s14, 31
	v_add_co_u32 v1, vcc_lo, v1, s0
	s_lshr_b32 s2, s2, 22
	v_add_co_ci_u32_e64 v2, null, s1, v2, vcc_lo
	s_add_i32 s2, s14, s2
	s_mov_b32 s1, exec_lo
	s_and_b32 s2, s2, 0xfffffc00
	v_cmpx_gt_i32_e64 s2, v0
	s_cbranch_execz .LBB494_13
; %bb.10:
	v_mul_lo_u32 v3, v0, s4
	v_mov_b32_e32 v6, v2
	v_mov_b32_e32 v7, 0
	;; [unrolled: 1-line block ×4, first 2 shown]
	s_lshl_b32 s15, s4, 10
	.p2align	6
.LBB494_11:                             ; =>This Inner Loop Header: Depth=1
	v_ashrrev_i32_e32 v4, 31, v3
	v_add_nc_u32_e32 v8, 0x400, v8
	v_lshlrev_b64 v[9:10], 1, v[3:4]
	v_cmp_le_i32_e64 s0, s2, v8
	v_add_nc_u32_e32 v3, s15, v3
	s_or_b32 s3, s0, s3
	v_add_co_u32 v9, vcc_lo, s5, v9
	v_add_co_ci_u32_e64 v10, null, s7, v10, vcc_lo
	global_load_ushort v4, v[5:6], off
	global_load_ushort v9, v[9:10], off
	v_add_co_u32 v5, vcc_lo, 0x800, v5
	v_add_co_ci_u32_e64 v6, null, 0, v6, vcc_lo
	s_waitcnt vmcnt(0)
	v_mul_f16_e32 v4, v4, v9
	v_cvt_f32_f16_e32 v4, v4
	v_add_f32_e32 v7, v7, v4
	s_andn2_b32 exec_lo, exec_lo, s3
	s_cbranch_execnz .LBB494_11
; %bb.12:
	s_or_b32 exec_lo, exec_lo, s3
.LBB494_13:
	s_or_b32 exec_lo, exec_lo, s1
	v_or_b32_e32 v3, s2, v0
	s_mov_b32 s0, exec_lo
	v_cmpx_gt_i32_e64 s14, v3
	s_cbranch_execz .LBB494_15
; %bb.14:
	v_mul_lo_u32 v3, s4, v3
	s_ashr_i32 s3, s2, 31
	s_lshl_b64 s[2:3], s[2:3], 1
	v_add_co_u32 v1, vcc_lo, v1, s2
	v_add_co_ci_u32_e64 v2, null, s3, v2, vcc_lo
	v_ashrrev_i32_e32 v4, 31, v3
	v_lshlrev_b64 v[3:4], 1, v[3:4]
	v_add_co_u32 v3, vcc_lo, s5, v3
	v_add_co_ci_u32_e64 v4, null, s7, v4, vcc_lo
	global_load_ushort v1, v[1:2], off
	global_load_ushort v2, v[3:4], off
	s_waitcnt vmcnt(0)
	v_mul_f16_e32 v1, v1, v2
	v_cvt_f32_f16_e32 v1, v1
	v_add_f32_e32 v7, v7, v1
.LBB494_15:
	s_or_b32 exec_lo, exec_lo, s0
	v_and_b32_e32 v8, 31, v0
	v_cmp_gt_u32_e32 vcc_lo, 32, v0
	v_lshlrev_b32_e32 v1, 2, v8
	s_and_saveexec_b32 s0, vcc_lo
; %bb.16:
	v_mov_b32_e32 v2, 0
	ds_write_b32 v1, v2
; %bb.17:
	s_or_b32 exec_lo, exec_lo, s0
	v_mbcnt_lo_u32_b32 v6, -1, 0
	s_mov_b32 s1, exec_lo
	s_waitcnt lgkmcnt(0)
	s_barrier
	buffer_gl0_inv
	v_lshl_or_b32 v2, v6, 2, 64
	v_cmp_gt_u32_e64 s0, 24, v6
	ds_bpermute_b32 v4, v2, v7
	v_cndmask_b32_e64 v3, 0, 8, s0
	v_cmp_gt_u32_e64 s0, 28, v6
	v_add_lshl_u32 v3, v3, v6, 2
	s_waitcnt lgkmcnt(0)
	v_add_f32_e32 v5, v7, v4
	v_cndmask_b32_e64 v4, 0, 4, s0
	v_cmp_gt_u32_e64 s0, 30, v6
	ds_bpermute_b32 v7, v3, v5
	v_add_lshl_u32 v4, v4, v6, 2
	s_waitcnt lgkmcnt(0)
	v_add_f32_e32 v7, v5, v7
	v_cndmask_b32_e64 v5, 0, 2, s0
	v_cmp_ne_u32_e64 s0, 31, v6
	ds_bpermute_b32 v9, v4, v7
	v_add_lshl_u32 v5, v5, v6, 2
	v_add_co_ci_u32_e64 v6, null, 0, v6, s0
	v_lshlrev_b32_e32 v6, 2, v6
	s_waitcnt lgkmcnt(0)
	v_add_f32_e32 v7, v7, v9
	ds_bpermute_b32 v9, v5, v7
	s_waitcnt lgkmcnt(0)
	v_add_f32_e32 v7, v7, v9
	ds_bpermute_b32 v9, v6, v7
	v_cmpx_eq_u32_e32 0, v8
	s_cbranch_execz .LBB494_19
; %bb.18:
	v_lshrrev_b32_e32 v8, 3, v0
	s_waitcnt lgkmcnt(0)
	v_add_f32_e32 v7, v7, v9
	v_and_b32_e32 v8, 0x7c, v8
	ds_write_b32 v8, v7
.LBB494_19:
	s_or_b32 exec_lo, exec_lo, s1
	v_mov_b32_e32 v7, 0
	s_waitcnt lgkmcnt(0)
	s_barrier
	buffer_gl0_inv
	s_and_saveexec_b32 s0, vcc_lo
; %bb.20:
	ds_read_b32 v7, v1
; %bb.21:
	s_or_b32 exec_lo, exec_lo, s0
	s_and_saveexec_b32 s0, vcc_lo
	s_cbranch_execz .LBB494_23
; %bb.22:
	s_waitcnt lgkmcnt(0)
	ds_bpermute_b32 v1, v2, v7
	s_waitcnt lgkmcnt(0)
	v_add_f32_e32 v1, v7, v1
	ds_bpermute_b32 v2, v3, v1
	s_waitcnt lgkmcnt(0)
	v_add_f32_e32 v1, v1, v2
	;; [unrolled: 3-line block ×5, first 2 shown]
.LBB494_23:
	s_or_b32 exec_lo, exec_lo, s0
	s_mov_b32 s0, exec_lo
                                        ; implicit-def: $vgpr1
                                        ; implicit-def: $sgpr2_sgpr3
	v_cmpx_eq_u32_e32 0, v0
	s_cbranch_execz .LBB494_27
; %bb.24:
	v_cmp_eq_f32_e64 s1, s10, 0
	s_waitcnt lgkmcnt(0)
	v_mul_f32_e32 v1, s12, v7
	s_mul_i32 s2, s13, s6
	s_ashr_i32 s3, s2, 31
	s_and_b32 vcc_lo, exec_lo, s1
	s_cbranch_vccnz .LBB494_26
; %bb.25:
	s_lshl_b64 s[4:5], s[2:3], 2
	s_add_u32 s4, s8, s4
	s_addc_u32 s5, s9, s5
	s_load_dword s1, s[4:5], 0x0
	s_waitcnt lgkmcnt(0)
	v_fmac_f32_e64 v1, s10, s1
.LBB494_26:
	s_or_b32 s11, s11, exec_lo
.LBB494_27:
	s_or_b32 exec_lo, exec_lo, s0
.LBB494_28:
	s_and_saveexec_b32 s0, s11
	s_cbranch_execz .LBB494_30
; %bb.29:
	s_lshl_b64 s[0:1], s[2:3], 2
	v_mov_b32_e32 v0, 0
	s_add_u32 s0, s8, s0
	s_addc_u32 s1, s9, s1
	global_store_dword v0, v1, s[0:1]
.LBB494_30:
	s_endpgm
	.section	.rodata,"a",@progbits
	.p2align	6, 0x0
	.amdhsa_kernel _ZL32rocblas_gemvt_warp_reduce_kernelILb0ELi1024EiDF16_ffEviiT3_lPKT2_lT1_lS3_lS4_lS0_lPT4_lS4_li
		.amdhsa_group_segment_fixed_size 128
		.amdhsa_private_segment_fixed_size 0
		.amdhsa_kernarg_size 140
		.amdhsa_user_sgpr_count 6
		.amdhsa_user_sgpr_private_segment_buffer 1
		.amdhsa_user_sgpr_dispatch_ptr 0
		.amdhsa_user_sgpr_queue_ptr 0
		.amdhsa_user_sgpr_kernarg_segment_ptr 1
		.amdhsa_user_sgpr_dispatch_id 0
		.amdhsa_user_sgpr_flat_scratch_init 0
		.amdhsa_user_sgpr_private_segment_size 0
		.amdhsa_wavefront_size32 1
		.amdhsa_uses_dynamic_stack 0
		.amdhsa_system_sgpr_private_segment_wavefront_offset 0
		.amdhsa_system_sgpr_workgroup_id_x 1
		.amdhsa_system_sgpr_workgroup_id_y 0
		.amdhsa_system_sgpr_workgroup_id_z 1
		.amdhsa_system_sgpr_workgroup_info 0
		.amdhsa_system_vgpr_workitem_id 0
		.amdhsa_next_free_vgpr 11
		.amdhsa_next_free_sgpr 25
		.amdhsa_reserve_vcc 1
		.amdhsa_reserve_flat_scratch 0
		.amdhsa_float_round_mode_32 0
		.amdhsa_float_round_mode_16_64 0
		.amdhsa_float_denorm_mode_32 3
		.amdhsa_float_denorm_mode_16_64 3
		.amdhsa_dx10_clamp 1
		.amdhsa_ieee_mode 1
		.amdhsa_fp16_overflow 0
		.amdhsa_workgroup_processor_mode 1
		.amdhsa_memory_ordered 1
		.amdhsa_forward_progress 1
		.amdhsa_shared_vgpr_count 0
		.amdhsa_exception_fp_ieee_invalid_op 0
		.amdhsa_exception_fp_denorm_src 0
		.amdhsa_exception_fp_ieee_div_zero 0
		.amdhsa_exception_fp_ieee_overflow 0
		.amdhsa_exception_fp_ieee_underflow 0
		.amdhsa_exception_fp_ieee_inexact 0
		.amdhsa_exception_int_div_zero 0
	.end_amdhsa_kernel
	.section	.text._ZL32rocblas_gemvt_warp_reduce_kernelILb0ELi1024EiDF16_ffEviiT3_lPKT2_lT1_lS3_lS4_lS0_lPT4_lS4_li,"axG",@progbits,_ZL32rocblas_gemvt_warp_reduce_kernelILb0ELi1024EiDF16_ffEviiT3_lPKT2_lT1_lS3_lS4_lS0_lPT4_lS4_li,comdat
.Lfunc_end494:
	.size	_ZL32rocblas_gemvt_warp_reduce_kernelILb0ELi1024EiDF16_ffEviiT3_lPKT2_lT1_lS3_lS4_lS0_lPT4_lS4_li, .Lfunc_end494-_ZL32rocblas_gemvt_warp_reduce_kernelILb0ELi1024EiDF16_ffEviiT3_lPKT2_lT1_lS3_lS4_lS0_lPT4_lS4_li
                                        ; -- End function
	.set _ZL32rocblas_gemvt_warp_reduce_kernelILb0ELi1024EiDF16_ffEviiT3_lPKT2_lT1_lS3_lS4_lS0_lPT4_lS4_li.num_vgpr, 11
	.set _ZL32rocblas_gemvt_warp_reduce_kernelILb0ELi1024EiDF16_ffEviiT3_lPKT2_lT1_lS3_lS4_lS0_lPT4_lS4_li.num_agpr, 0
	.set _ZL32rocblas_gemvt_warp_reduce_kernelILb0ELi1024EiDF16_ffEviiT3_lPKT2_lT1_lS3_lS4_lS0_lPT4_lS4_li.numbered_sgpr, 25
	.set _ZL32rocblas_gemvt_warp_reduce_kernelILb0ELi1024EiDF16_ffEviiT3_lPKT2_lT1_lS3_lS4_lS0_lPT4_lS4_li.num_named_barrier, 0
	.set _ZL32rocblas_gemvt_warp_reduce_kernelILb0ELi1024EiDF16_ffEviiT3_lPKT2_lT1_lS3_lS4_lS0_lPT4_lS4_li.private_seg_size, 0
	.set _ZL32rocblas_gemvt_warp_reduce_kernelILb0ELi1024EiDF16_ffEviiT3_lPKT2_lT1_lS3_lS4_lS0_lPT4_lS4_li.uses_vcc, 1
	.set _ZL32rocblas_gemvt_warp_reduce_kernelILb0ELi1024EiDF16_ffEviiT3_lPKT2_lT1_lS3_lS4_lS0_lPT4_lS4_li.uses_flat_scratch, 0
	.set _ZL32rocblas_gemvt_warp_reduce_kernelILb0ELi1024EiDF16_ffEviiT3_lPKT2_lT1_lS3_lS4_lS0_lPT4_lS4_li.has_dyn_sized_stack, 0
	.set _ZL32rocblas_gemvt_warp_reduce_kernelILb0ELi1024EiDF16_ffEviiT3_lPKT2_lT1_lS3_lS4_lS0_lPT4_lS4_li.has_recursion, 0
	.set _ZL32rocblas_gemvt_warp_reduce_kernelILb0ELi1024EiDF16_ffEviiT3_lPKT2_lT1_lS3_lS4_lS0_lPT4_lS4_li.has_indirect_call, 0
	.section	.AMDGPU.csdata,"",@progbits
; Kernel info:
; codeLenInByte = 1336
; TotalNumSgprs: 27
; NumVgprs: 11
; ScratchSize: 0
; MemoryBound: 0
; FloatMode: 240
; IeeeMode: 1
; LDSByteSize: 128 bytes/workgroup (compile time only)
; SGPRBlocks: 0
; VGPRBlocks: 1
; NumSGPRsForWavesPerEU: 27
; NumVGPRsForWavesPerEU: 11
; Occupancy: 16
; WaveLimiterHint : 1
; COMPUTE_PGM_RSRC2:SCRATCH_EN: 0
; COMPUTE_PGM_RSRC2:USER_SGPR: 6
; COMPUTE_PGM_RSRC2:TRAP_HANDLER: 0
; COMPUTE_PGM_RSRC2:TGID_X_EN: 1
; COMPUTE_PGM_RSRC2:TGID_Y_EN: 0
; COMPUTE_PGM_RSRC2:TGID_Z_EN: 1
; COMPUTE_PGM_RSRC2:TIDIG_COMP_CNT: 0
	.section	.text._ZL32rocblas_gemvt_warp_reduce_kernelILb0ELi1024ElDF16_ffEviiT3_lPKT2_lT1_lS3_lS4_lS0_lPT4_lS4_li,"axG",@progbits,_ZL32rocblas_gemvt_warp_reduce_kernelILb0ELi1024ElDF16_ffEviiT3_lPKT2_lT1_lS3_lS4_lS0_lPT4_lS4_li,comdat
	.globl	_ZL32rocblas_gemvt_warp_reduce_kernelILb0ELi1024ElDF16_ffEviiT3_lPKT2_lT1_lS3_lS4_lS0_lPT4_lS4_li ; -- Begin function _ZL32rocblas_gemvt_warp_reduce_kernelILb0ELi1024ElDF16_ffEviiT3_lPKT2_lT1_lS3_lS4_lS0_lPT4_lS4_li
	.p2align	8
	.type	_ZL32rocblas_gemvt_warp_reduce_kernelILb0ELi1024ElDF16_ffEviiT3_lPKT2_lT1_lS3_lS4_lS0_lPT4_lS4_li,@function
_ZL32rocblas_gemvt_warp_reduce_kernelILb0ELi1024ElDF16_ffEviiT3_lPKT2_lT1_lS3_lS4_lS0_lPT4_lS4_li: ; @_ZL32rocblas_gemvt_warp_reduce_kernelILb0ELi1024ElDF16_ffEviiT3_lPKT2_lT1_lS3_lS4_lS0_lPT4_lS4_li
; %bb.0:
	s_clause 0x1
	s_load_dword s30, s[4:5], 0x8
	s_load_dword s28, s[4:5], 0x58
	s_mov_b32 s29, 0
	s_waitcnt lgkmcnt(0)
	v_cmp_eq_f32_e64 s0, s30, 0
	v_cmp_eq_f32_e64 s1, s28, 1.0
	s_and_b32 s0, s0, s1
	s_and_b32 vcc_lo, exec_lo, s0
	s_cbranch_vccnz .LBB495_30
; %bb.1:
	s_load_dwordx8 s[20:27], s[4:5], 0x68
	v_cmp_neq_f32_e64 s8, s30, 0
	s_waitcnt lgkmcnt(0)
	s_mul_i32 s1, s27, s7
	s_mul_hi_u32 s2, s26, s7
	s_mul_i32 s0, s26, s7
	s_add_i32 s1, s2, s1
	s_lshl_b64 s[0:1], s[0:1], 2
	s_add_u32 s0, s20, s0
	s_addc_u32 s9, s21, s1
	s_lshl_b64 s[2:3], s[22:23], 2
	s_add_u32 s1, s0, s2
	v_cmp_eq_u32_e64 s0, 0, v0
	s_addc_u32 s26, s9, s3
	s_and_b32 vcc_lo, exec_lo, s8
	s_cbranch_vccnz .LBB495_5
; %bb.2:
	s_mov_b32 s8, 0
                                        ; implicit-def: $vgpr1
                                        ; implicit-def: $sgpr2_sgpr3
	s_and_saveexec_b32 s9, s0
	s_cbranch_execz .LBB495_6
; %bb.3:
	s_ashr_i32 s2, s6, 31
	v_cmp_eq_f32_e64 s0, s28, 0
	s_mul_hi_u32 s3, s24, s6
	s_mul_i32 s2, s24, s2
	s_mul_i32 s10, s25, s6
	s_add_i32 s2, s3, s2
	s_and_b32 vcc_lo, exec_lo, s0
	s_add_i32 s3, s2, s10
	s_mul_i32 s2, s24, s6
	s_cbranch_vccnz .LBB495_7
; %bb.4:
	s_lshl_b64 s[10:11], s[2:3], 2
	s_add_u32 s10, s1, s10
	s_addc_u32 s11, s26, s11
	s_load_dword s0, s[10:11], 0x0
	s_waitcnt lgkmcnt(0)
	v_mul_f32_e64 v1, s28, s0
	s_branch .LBB495_8
.LBB495_5:
                                        ; implicit-def: $vgpr1
                                        ; implicit-def: $sgpr2_sgpr3
	s_cbranch_execnz .LBB495_9
	s_branch .LBB495_28
.LBB495_6:
	s_or_b32 exec_lo, exec_lo, s9
	s_and_b32 vcc_lo, exec_lo, s8
	s_cbranch_vccnz .LBB495_9
	s_branch .LBB495_28
.LBB495_7:
	v_mov_b32_e32 v1, 0
.LBB495_8:
	s_mov_b32 s29, exec_lo
	s_or_b32 exec_lo, exec_lo, s9
	s_and_b32 vcc_lo, exec_lo, s8
	s_cbranch_vccz .LBB495_28
.LBB495_9:
	s_clause 0x1
	s_load_dwordx16 s[8:23], s[4:5], 0x18
	s_load_dword s5, s[4:5], 0x0
	v_mov_b32_e32 v7, 0
	s_waitcnt lgkmcnt(0)
	s_mul_i32 s3, s15, s7
	v_cmp_gt_i32_e32 vcc_lo, s5, v0
	s_mul_hi_u32 s15, s14, s7
	s_mul_i32 s2, s14, s7
	s_add_i32 s3, s15, s3
	s_mul_i32 s0, s23, s7
	v_cndmask_b32_e32 v1, 0, v0, vcc_lo
	s_mul_hi_u32 s4, s22, s7
	s_lshl_b64 s[34:35], s[2:3], 1
	s_add_i32 s3, s4, s0
	s_add_u32 s0, s8, s34
	v_lshlrev_b32_e32 v1, 1, v1
	s_addc_u32 s2, s9, s35
	s_lshl_b64 s[8:9], s[10:11], 1
	s_mul_hi_u32 s23, s12, s6
	s_add_u32 s0, s0, s8
	s_addc_u32 s2, s2, s9
	s_ashr_i32 s10, s6, 31
	v_add_co_u32 v1, s0, s0, v1
	v_add_co_ci_u32_e64 v2, null, s2, 0, s0
	s_mul_i32 s0, s12, s10
	s_mul_i32 s13, s13, s6
	s_add_i32 s0, s23, s0
	s_mul_i32 s14, s12, s6
	s_add_i32 s15, s0, s13
	s_ashr_i32 s4, s5, 31
	s_lshl_b64 s[8:9], s[14:15], 1
	s_lshr_b32 s2, s4, 22
	v_add_co_u32 v1, vcc_lo, v1, s8
	v_add_co_ci_u32_e64 v2, null, s9, v2, vcc_lo
	s_add_i32 s2, s5, s2
	s_mov_b32 s11, 0
	s_and_b32 s4, s2, 0xfffffc00
	s_mul_i32 s2, s22, s7
	s_mov_b32 s7, exec_lo
	v_cmpx_gt_i32_e64 s4, v0
	s_cbranch_execz .LBB495_13
; %bb.10:
	v_mad_u64_u32 v[5:6], null, s20, v0, 0
	s_lshl_b64 s[12:13], s[18:19], 1
	s_lshl_b64 s[8:9], s[2:3], 1
	s_add_u32 s0, s16, s12
	s_addc_u32 s12, s17, s13
	s_add_u32 s0, s0, s8
	s_addc_u32 s8, s12, s9
	v_mov_b32_e32 v3, v6
	v_mov_b32_e32 v7, 0
	;; [unrolled: 1-line block ×3, first 2 shown]
	v_mad_u64_u32 v[3:4], null, s21, v0, v[3:4]
	v_mov_b32_e32 v6, v3
	v_mov_b32_e32 v4, v2
	;; [unrolled: 1-line block ×3, first 2 shown]
	v_lshlrev_b64 v[5:6], 1, v[5:6]
	v_add_co_u32 v5, vcc_lo, s0, v5
	v_add_co_ci_u32_e64 v6, null, s8, v6, vcc_lo
	s_lshl_b64 s[8:9], s[20:21], 11
	.p2align	6
.LBB495_11:                             ; =>This Inner Loop Header: Depth=1
	global_load_ushort v9, v[3:4], off
	global_load_ushort v10, v[5:6], off
	v_add_nc_u32_e32 v8, 0x400, v8
	v_add_co_u32 v3, vcc_lo, 0x800, v3
	v_add_co_ci_u32_e64 v4, null, 0, v4, vcc_lo
	v_add_co_u32 v5, vcc_lo, v5, s8
	v_cmp_le_i32_e64 s0, s4, v8
	v_add_co_ci_u32_e64 v6, null, s9, v6, vcc_lo
	s_or_b32 s11, s0, s11
	s_waitcnt vmcnt(0)
	v_mul_f16_e32 v9, v9, v10
	v_cvt_f32_f16_e32 v9, v9
	v_add_f32_e32 v7, v7, v9
	s_andn2_b32 exec_lo, exec_lo, s11
	s_cbranch_execnz .LBB495_11
; %bb.12:
	s_or_b32 exec_lo, exec_lo, s11
.LBB495_13:
	s_or_b32 exec_lo, exec_lo, s7
	v_or_b32_e32 v3, s4, v0
	s_mov_b32 s0, exec_lo
	v_cmpx_gt_i32_e64 s5, v3
	s_cbranch_execz .LBB495_15
; %bb.14:
	v_ashrrev_i32_e32 v5, 31, v3
	v_mul_lo_u32 v6, s21, v3
	v_mad_u64_u32 v[3:4], null, s20, v3, 0
	s_lshl_b64 s[2:3], s[2:3], 1
	v_mul_lo_u32 v5, s20, v5
	s_add_u32 s5, s16, s2
	s_addc_u32 s7, s17, s3
	s_lshl_b64 s[2:3], s[18:19], 1
	s_add_u32 s8, s5, s2
	s_addc_u32 s7, s7, s3
	s_ashr_i32 s5, s4, 31
	v_add3_u32 v4, v4, v5, v6
	s_lshl_b64 s[2:3], s[4:5], 1
	v_add_co_u32 v1, vcc_lo, v1, s2
	v_lshlrev_b64 v[3:4], 1, v[3:4]
	v_add_co_ci_u32_e64 v2, null, s3, v2, vcc_lo
	v_add_co_u32 v3, vcc_lo, s8, v3
	v_add_co_ci_u32_e64 v4, null, s7, v4, vcc_lo
	global_load_ushort v1, v[1:2], off
	global_load_ushort v2, v[3:4], off
	s_waitcnt vmcnt(0)
	v_mul_f16_e32 v1, v1, v2
	v_cvt_f32_f16_e32 v1, v1
	v_add_f32_e32 v7, v7, v1
.LBB495_15:
	s_or_b32 exec_lo, exec_lo, s0
	v_and_b32_e32 v8, 31, v0
	v_cmp_gt_u32_e32 vcc_lo, 32, v0
	v_lshlrev_b32_e32 v1, 2, v8
	s_and_saveexec_b32 s0, vcc_lo
; %bb.16:
	v_mov_b32_e32 v2, 0
	ds_write_b32 v1, v2
; %bb.17:
	s_or_b32 exec_lo, exec_lo, s0
	v_mbcnt_lo_u32_b32 v6, -1, 0
	s_mov_b32 s2, exec_lo
	s_waitcnt lgkmcnt(0)
	s_barrier
	buffer_gl0_inv
	v_lshl_or_b32 v2, v6, 2, 64
	v_cmp_gt_u32_e64 s0, 24, v6
	ds_bpermute_b32 v4, v2, v7
	v_cndmask_b32_e64 v3, 0, 8, s0
	v_cmp_gt_u32_e64 s0, 28, v6
	v_add_lshl_u32 v3, v3, v6, 2
	s_waitcnt lgkmcnt(0)
	v_add_f32_e32 v5, v7, v4
	v_cndmask_b32_e64 v4, 0, 4, s0
	v_cmp_gt_u32_e64 s0, 30, v6
	ds_bpermute_b32 v7, v3, v5
	v_add_lshl_u32 v4, v4, v6, 2
	s_waitcnt lgkmcnt(0)
	v_add_f32_e32 v7, v5, v7
	v_cndmask_b32_e64 v5, 0, 2, s0
	v_cmp_ne_u32_e64 s0, 31, v6
	ds_bpermute_b32 v9, v4, v7
	v_add_lshl_u32 v5, v5, v6, 2
	v_add_co_ci_u32_e64 v6, null, 0, v6, s0
	v_lshlrev_b32_e32 v6, 2, v6
	s_waitcnt lgkmcnt(0)
	v_add_f32_e32 v7, v7, v9
	ds_bpermute_b32 v9, v5, v7
	s_waitcnt lgkmcnt(0)
	v_add_f32_e32 v7, v7, v9
	ds_bpermute_b32 v9, v6, v7
	v_cmpx_eq_u32_e32 0, v8
	s_cbranch_execz .LBB495_19
; %bb.18:
	v_lshrrev_b32_e32 v8, 3, v0
	s_waitcnt lgkmcnt(0)
	v_add_f32_e32 v7, v7, v9
	v_and_b32_e32 v8, 0x7c, v8
	ds_write_b32 v8, v7
.LBB495_19:
	s_or_b32 exec_lo, exec_lo, s2
	v_mov_b32_e32 v7, 0
	s_waitcnt lgkmcnt(0)
	s_barrier
	buffer_gl0_inv
	s_and_saveexec_b32 s0, vcc_lo
; %bb.20:
	ds_read_b32 v7, v1
; %bb.21:
	s_or_b32 exec_lo, exec_lo, s0
	s_and_saveexec_b32 s0, vcc_lo
	s_cbranch_execz .LBB495_23
; %bb.22:
	s_waitcnt lgkmcnt(0)
	ds_bpermute_b32 v1, v2, v7
	s_waitcnt lgkmcnt(0)
	v_add_f32_e32 v1, v7, v1
	ds_bpermute_b32 v2, v3, v1
	s_waitcnt lgkmcnt(0)
	v_add_f32_e32 v1, v1, v2
	;; [unrolled: 3-line block ×5, first 2 shown]
.LBB495_23:
	s_or_b32 exec_lo, exec_lo, s0
	s_mov_b32 s0, exec_lo
                                        ; implicit-def: $vgpr1
                                        ; implicit-def: $sgpr2_sgpr3
	v_cmpx_eq_u32_e32 0, v0
	s_cbranch_execz .LBB495_27
; %bb.24:
	v_cmp_eq_f32_e64 s4, s28, 0
	s_mul_i32 s2, s24, s10
	s_mul_hi_u32 s3, s24, s6
	s_waitcnt lgkmcnt(0)
	v_mul_f32_e32 v1, s30, v7
	s_add_i32 s2, s3, s2
	s_mul_i32 s3, s25, s6
	s_and_b32 vcc_lo, exec_lo, s4
	s_add_i32 s3, s2, s3
	s_mul_i32 s2, s24, s6
	s_cbranch_vccnz .LBB495_26
; %bb.25:
	s_lshl_b64 s[4:5], s[2:3], 2
	s_add_u32 s4, s1, s4
	s_addc_u32 s5, s26, s5
	s_load_dword s4, s[4:5], 0x0
	s_waitcnt lgkmcnt(0)
	v_fmac_f32_e64 v1, s28, s4
.LBB495_26:
	s_or_b32 s29, s29, exec_lo
.LBB495_27:
	s_or_b32 exec_lo, exec_lo, s0
.LBB495_28:
	s_and_saveexec_b32 s0, s29
	s_cbranch_execz .LBB495_30
; %bb.29:
	s_lshl_b64 s[2:3], s[2:3], 2
	v_mov_b32_e32 v0, 0
	s_add_u32 s0, s1, s2
	s_addc_u32 s1, s26, s3
	global_store_dword v0, v1, s[0:1]
.LBB495_30:
	s_endpgm
	.section	.rodata,"a",@progbits
	.p2align	6, 0x0
	.amdhsa_kernel _ZL32rocblas_gemvt_warp_reduce_kernelILb0ELi1024ElDF16_ffEviiT3_lPKT2_lT1_lS3_lS4_lS0_lPT4_lS4_li
		.amdhsa_group_segment_fixed_size 128
		.amdhsa_private_segment_fixed_size 0
		.amdhsa_kernarg_size 140
		.amdhsa_user_sgpr_count 6
		.amdhsa_user_sgpr_private_segment_buffer 1
		.amdhsa_user_sgpr_dispatch_ptr 0
		.amdhsa_user_sgpr_queue_ptr 0
		.amdhsa_user_sgpr_kernarg_segment_ptr 1
		.amdhsa_user_sgpr_dispatch_id 0
		.amdhsa_user_sgpr_flat_scratch_init 0
		.amdhsa_user_sgpr_private_segment_size 0
		.amdhsa_wavefront_size32 1
		.amdhsa_uses_dynamic_stack 0
		.amdhsa_system_sgpr_private_segment_wavefront_offset 0
		.amdhsa_system_sgpr_workgroup_id_x 1
		.amdhsa_system_sgpr_workgroup_id_y 0
		.amdhsa_system_sgpr_workgroup_id_z 1
		.amdhsa_system_sgpr_workgroup_info 0
		.amdhsa_system_vgpr_workitem_id 0
		.amdhsa_next_free_vgpr 11
		.amdhsa_next_free_sgpr 36
		.amdhsa_reserve_vcc 1
		.amdhsa_reserve_flat_scratch 0
		.amdhsa_float_round_mode_32 0
		.amdhsa_float_round_mode_16_64 0
		.amdhsa_float_denorm_mode_32 3
		.amdhsa_float_denorm_mode_16_64 3
		.amdhsa_dx10_clamp 1
		.amdhsa_ieee_mode 1
		.amdhsa_fp16_overflow 0
		.amdhsa_workgroup_processor_mode 1
		.amdhsa_memory_ordered 1
		.amdhsa_forward_progress 1
		.amdhsa_shared_vgpr_count 0
		.amdhsa_exception_fp_ieee_invalid_op 0
		.amdhsa_exception_fp_denorm_src 0
		.amdhsa_exception_fp_ieee_div_zero 0
		.amdhsa_exception_fp_ieee_overflow 0
		.amdhsa_exception_fp_ieee_underflow 0
		.amdhsa_exception_fp_ieee_inexact 0
		.amdhsa_exception_int_div_zero 0
	.end_amdhsa_kernel
	.section	.text._ZL32rocblas_gemvt_warp_reduce_kernelILb0ELi1024ElDF16_ffEviiT3_lPKT2_lT1_lS3_lS4_lS0_lPT4_lS4_li,"axG",@progbits,_ZL32rocblas_gemvt_warp_reduce_kernelILb0ELi1024ElDF16_ffEviiT3_lPKT2_lT1_lS3_lS4_lS0_lPT4_lS4_li,comdat
.Lfunc_end495:
	.size	_ZL32rocblas_gemvt_warp_reduce_kernelILb0ELi1024ElDF16_ffEviiT3_lPKT2_lT1_lS3_lS4_lS0_lPT4_lS4_li, .Lfunc_end495-_ZL32rocblas_gemvt_warp_reduce_kernelILb0ELi1024ElDF16_ffEviiT3_lPKT2_lT1_lS3_lS4_lS0_lPT4_lS4_li
                                        ; -- End function
	.set _ZL32rocblas_gemvt_warp_reduce_kernelILb0ELi1024ElDF16_ffEviiT3_lPKT2_lT1_lS3_lS4_lS0_lPT4_lS4_li.num_vgpr, 11
	.set _ZL32rocblas_gemvt_warp_reduce_kernelILb0ELi1024ElDF16_ffEviiT3_lPKT2_lT1_lS3_lS4_lS0_lPT4_lS4_li.num_agpr, 0
	.set _ZL32rocblas_gemvt_warp_reduce_kernelILb0ELi1024ElDF16_ffEviiT3_lPKT2_lT1_lS3_lS4_lS0_lPT4_lS4_li.numbered_sgpr, 36
	.set _ZL32rocblas_gemvt_warp_reduce_kernelILb0ELi1024ElDF16_ffEviiT3_lPKT2_lT1_lS3_lS4_lS0_lPT4_lS4_li.num_named_barrier, 0
	.set _ZL32rocblas_gemvt_warp_reduce_kernelILb0ELi1024ElDF16_ffEviiT3_lPKT2_lT1_lS3_lS4_lS0_lPT4_lS4_li.private_seg_size, 0
	.set _ZL32rocblas_gemvt_warp_reduce_kernelILb0ELi1024ElDF16_ffEviiT3_lPKT2_lT1_lS3_lS4_lS0_lPT4_lS4_li.uses_vcc, 1
	.set _ZL32rocblas_gemvt_warp_reduce_kernelILb0ELi1024ElDF16_ffEviiT3_lPKT2_lT1_lS3_lS4_lS0_lPT4_lS4_li.uses_flat_scratch, 0
	.set _ZL32rocblas_gemvt_warp_reduce_kernelILb0ELi1024ElDF16_ffEviiT3_lPKT2_lT1_lS3_lS4_lS0_lPT4_lS4_li.has_dyn_sized_stack, 0
	.set _ZL32rocblas_gemvt_warp_reduce_kernelILb0ELi1024ElDF16_ffEviiT3_lPKT2_lT1_lS3_lS4_lS0_lPT4_lS4_li.has_recursion, 0
	.set _ZL32rocblas_gemvt_warp_reduce_kernelILb0ELi1024ElDF16_ffEviiT3_lPKT2_lT1_lS3_lS4_lS0_lPT4_lS4_li.has_indirect_call, 0
	.section	.AMDGPU.csdata,"",@progbits
; Kernel info:
; codeLenInByte = 1384
; TotalNumSgprs: 38
; NumVgprs: 11
; ScratchSize: 0
; MemoryBound: 0
; FloatMode: 240
; IeeeMode: 1
; LDSByteSize: 128 bytes/workgroup (compile time only)
; SGPRBlocks: 0
; VGPRBlocks: 1
; NumSGPRsForWavesPerEU: 38
; NumVGPRsForWavesPerEU: 11
; Occupancy: 16
; WaveLimiterHint : 1
; COMPUTE_PGM_RSRC2:SCRATCH_EN: 0
; COMPUTE_PGM_RSRC2:USER_SGPR: 6
; COMPUTE_PGM_RSRC2:TRAP_HANDLER: 0
; COMPUTE_PGM_RSRC2:TGID_X_EN: 1
; COMPUTE_PGM_RSRC2:TGID_Y_EN: 0
; COMPUTE_PGM_RSRC2:TGID_Z_EN: 1
; COMPUTE_PGM_RSRC2:TIDIG_COMP_CNT: 0
	.section	.text._ZL22rocblas_gemvtsm_kernelILb1ELi256EDF16_PKffEviiT2_lPKT1_lilS5_lilS2_lPT3_lil,"axG",@progbits,_ZL22rocblas_gemvtsm_kernelILb1ELi256EDF16_PKffEviiT2_lPKT1_lilS5_lilS2_lPT3_lil,comdat
	.globl	_ZL22rocblas_gemvtsm_kernelILb1ELi256EDF16_PKffEviiT2_lPKT1_lilS5_lilS2_lPT3_lil ; -- Begin function _ZL22rocblas_gemvtsm_kernelILb1ELi256EDF16_PKffEviiT2_lPKT1_lilS5_lilS2_lPT3_lil
	.p2align	8
	.type	_ZL22rocblas_gemvtsm_kernelILb1ELi256EDF16_PKffEviiT2_lPKT1_lilS5_lilS2_lPT3_lil,@function
_ZL22rocblas_gemvtsm_kernelILb1ELi256EDF16_PKffEviiT2_lPKT1_lilS5_lilS2_lPT3_lil: ; @_ZL22rocblas_gemvtsm_kernelILb1ELi256EDF16_PKffEviiT2_lPKT1_lilS5_lilS2_lPT3_lil
; %bb.0:
	s_clause 0x1
	s_load_dwordx8 s[8:15], s[4:5], 0x8
	s_load_dwordx8 s[16:23], s[4:5], 0x50
	s_waitcnt lgkmcnt(0)
	s_mul_i32 s1, s11, s6
	s_mul_hi_u32 s2, s10, s6
	s_mul_i32 s0, s10, s6
	s_add_i32 s1, s2, s1
	s_mul_i32 s2, s21, s6
	s_lshl_b64 s[0:1], s[0:1], 2
	s_mul_hi_u32 s3, s20, s6
	s_add_u32 s0, s8, s0
	s_addc_u32 s1, s9, s1
	s_add_i32 s3, s3, s2
	s_mul_i32 s2, s20, s6
	s_lshl_b64 s[2:3], s[2:3], 2
	s_add_u32 s2, s18, s2
	s_addc_u32 s3, s19, s3
	s_load_dword s26, s[0:1], 0x0
	s_load_dword s7, s[2:3], 0x0
	s_waitcnt lgkmcnt(0)
	v_cmp_eq_f32_e64 s0, s26, 0
	v_cmp_eq_f32_e64 s1, s7, 1.0
	s_and_b32 s0, s0, s1
	s_and_b32 vcc_lo, exec_lo, s0
	s_cbranch_vccnz .LBB496_34
; %bb.1:
	s_clause 0x3
	s_load_dwordx2 s[0:1], s[4:5], 0x80
	s_load_dwordx2 s[18:19], s[4:5], 0x70
	s_load_dword s8, s[4:5], 0x78
	s_load_dwordx2 s[10:11], s[4:5], 0x0
	v_cmp_neq_f32_e64 s2, s26, 0
	s_and_b32 vcc_lo, exec_lo, s2
	s_waitcnt lgkmcnt(0)
	s_mul_i32 s1, s1, s6
	s_mul_hi_u32 s2, s0, s6
	s_mul_i32 s20, s0, s6
	s_add_i32 s21, s2, s1
	s_cbranch_vccnz .LBB496_9
; %bb.2:
	s_cmp_gt_i32 s11, 0
	v_cmp_neq_f32_e64 s0, s7, 0
	s_cselect_b32 s2, -1, 0
	v_cndmask_b32_e64 v1, 0, 1, s2
	s_and_b32 vcc_lo, exec_lo, s0
	v_cmp_ne_u32_e64 s0, 1, v1
	s_cbranch_vccnz .LBB496_10
; %bb.3:
	s_and_b32 vcc_lo, exec_lo, s0
	s_cbranch_vccnz .LBB496_8
; %bb.4:
	v_mad_i64_i32 v[1:2], null, s8, v0, 0
	s_lshl_b64 s[24:25], s[18:19], 2
	s_ashr_i32 s9, s8, 31
	s_lshl_b64 s[0:1], s[20:21], 2
	s_add_u32 s3, s22, s24
	s_addc_u32 s24, s23, s25
	s_add_u32 s0, s3, s0
	v_lshlrev_b64 v[1:2], 2, v[1:2]
	s_addc_u32 s1, s24, s1
	v_mov_b32_e32 v3, 0
	s_mov_b32 s3, 0
	v_add_co_u32 v1, vcc_lo, s0, v1
	v_add_co_ci_u32_e64 v2, null, s1, v2, vcc_lo
	s_lshl_b64 s[0:1], s[8:9], 10
	s_branch .LBB496_6
.LBB496_5:                              ;   in Loop: Header=BB496_6 Depth=1
	s_or_b32 exec_lo, exec_lo, s9
	v_add_co_u32 v1, vcc_lo, v1, s0
	v_add_co_ci_u32_e64 v2, null, s1, v2, vcc_lo
	s_addk_i32 s3, 0x100
	s_cmp_ge_i32 s3, s11
	s_cbranch_scc1 .LBB496_8
.LBB496_6:                              ; =>This Inner Loop Header: Depth=1
	v_add_nc_u32_e32 v4, s3, v0
	s_mov_b32 s9, exec_lo
	v_cmpx_gt_i32_e64 s11, v4
	s_cbranch_execz .LBB496_5
; %bb.7:                                ;   in Loop: Header=BB496_6 Depth=1
	global_store_dword v[1:2], v3, off
	s_branch .LBB496_5
.LBB496_8:
	s_cbranch_execz .LBB496_11
	s_branch .LBB496_16
.LBB496_9:
	s_branch .LBB496_17
.LBB496_10:
.LBB496_11:
	s_andn2_b32 vcc_lo, exec_lo, s2
	s_cbranch_vccnz .LBB496_16
; %bb.12:
	v_mad_i64_i32 v[1:2], null, s8, v0, 0
	s_lshl_b64 s[2:3], s[18:19], 2
	s_ashr_i32 s9, s8, 31
	s_lshl_b64 s[0:1], s[20:21], 2
	s_add_u32 s2, s22, s2
	s_addc_u32 s3, s23, s3
	s_add_u32 s0, s2, s0
	v_lshlrev_b64 v[1:2], 2, v[1:2]
	s_addc_u32 s1, s3, s1
	s_mov_b32 s2, 0
	v_add_co_u32 v1, vcc_lo, s0, v1
	v_add_co_ci_u32_e64 v2, null, s1, v2, vcc_lo
	s_lshl_b64 s[0:1], s[8:9], 10
	s_branch .LBB496_14
	.p2align	6
.LBB496_13:                             ;   in Loop: Header=BB496_14 Depth=1
	s_or_b32 exec_lo, exec_lo, s3
	v_add_co_u32 v1, vcc_lo, v1, s0
	v_add_co_ci_u32_e64 v2, null, s1, v2, vcc_lo
	s_addk_i32 s2, 0x100
	s_cmp_ge_i32 s2, s11
	s_cbranch_scc1 .LBB496_16
.LBB496_14:                             ; =>This Inner Loop Header: Depth=1
	v_add_nc_u32_e32 v3, s2, v0
	s_mov_b32 s3, exec_lo
	v_cmpx_gt_i32_e64 s11, v3
	s_cbranch_execz .LBB496_13
; %bb.15:                               ;   in Loop: Header=BB496_14 Depth=1
	global_load_dword v3, v[1:2], off
	s_waitcnt vmcnt(0)
	v_mul_f32_e32 v3, s7, v3
	global_store_dword v[1:2], v3, off
	s_branch .LBB496_13
.LBB496_16:
	s_cbranch_execnz .LBB496_34
.LBB496_17:
	s_clause 0x1
	s_load_dwordx4 s[0:3], s[4:5], 0x30
	s_load_dwordx2 s[24:25], s[4:5], 0x40
	s_mov_b32 s9, exec_lo
	v_cmpx_gt_i32_e64 s10, v0
	s_cbranch_execz .LBB496_19
; %bb.18:
	s_load_dword s27, s[4:5], 0x48
	s_mul_i32 s17, s17, s6
	s_mul_hi_u32 s28, s16, s6
	s_mul_i32 s16, s16, s6
	s_add_i32 s17, s28, s17
	s_lshl_b64 s[16:17], s[16:17], 1
	s_waitcnt lgkmcnt(0)
	s_add_u32 s16, s2, s16
	s_addc_u32 s17, s3, s17
	s_lshl_b64 s[2:3], s[24:25], 1
	s_add_u32 s2, s16, s2
	s_addc_u32 s3, s17, s3
	v_mad_i64_i32 v[1:2], null, s27, v0, 0
	v_lshlrev_b64 v[1:2], 1, v[1:2]
	v_add_co_u32 v1, vcc_lo, s2, v1
	v_add_co_ci_u32_e64 v2, null, s3, v2, vcc_lo
	global_load_ushort v1, v[1:2], off
	v_lshlrev_b32_e32 v2, 2, v0
	s_waitcnt vmcnt(0)
	v_cvt_f32_f16_e32 v1, v1
	v_mul_f32_e32 v1, s26, v1
	ds_write_b32 v2, v1
.LBB496_19:
	s_or_b32 exec_lo, exec_lo, s9
	s_cmp_lt_i32 s11, 1
	s_waitcnt lgkmcnt(0)
	s_waitcnt_vscnt null, 0x0
	s_barrier
	buffer_gl0_inv
	s_cbranch_scc1 .LBB496_34
; %bb.20:
	s_load_dword s24, s[4:5], 0x28
	s_lshl_b64 s[2:3], s[20:21], 2
	s_mul_i32 s1, s1, s6
	s_mul_hi_u32 s20, s0, s6
	s_mul_i32 s0, s0, s6
	s_add_u32 s6, s22, s2
	s_addc_u32 s9, s23, s3
	s_lshl_b64 s[4:5], s[18:19], 2
	v_cmp_neq_f32_e64 s2, s7, 0
	s_add_u32 s3, s6, s4
	s_addc_u32 s4, s9, s5
	s_ashr_i32 s5, s8, 31
	s_waitcnt lgkmcnt(0)
	s_ashr_i32 s25, s24, 31
	s_cmp_gt_i32 s10, 0
	v_mad_i64_i32 v[1:2], null, s24, v0, 0
	s_cselect_b32 s6, -1, 0
	s_and_b32 s9, s10, 7
	s_cmp_gt_u32 s10, 7
	s_cselect_b32 s16, -1, 0
	s_and_b32 s10, s10, 0x7ffffff8
	s_cmp_lg_u32 s9, 0
	v_lshlrev_b64 v[1:2], 1, v[1:2]
	s_cselect_b32 s17, -1, 0
	s_add_i32 s1, s20, s1
	s_lshl_b64 s[14:15], s[14:15], 1
	s_lshl_b64 s[0:1], s[0:1], 1
	s_add_u32 s12, s12, s14
	s_addc_u32 s13, s13, s15
	s_add_u32 s0, s12, s0
	s_addc_u32 s1, s13, s1
	v_add_co_u32 v7, vcc_lo, s0, v1
	v_add_co_ci_u32_e64 v8, null, s1, v2, vcc_lo
	s_mov_b32 s12, 0
	v_add_co_u32 v1, vcc_lo, v7, 14
	v_add_co_ci_u32_e64 v2, null, 0, v8, vcc_lo
	s_lshl_b64 s[0:1], s[24:25], 9
	s_branch .LBB496_23
.LBB496_21:                             ;   in Loop: Header=BB496_23 Depth=1
	v_add_co_u32 v3, vcc_lo, s3, v3
	v_add_co_ci_u32_e64 v4, null, s4, v4, vcc_lo
	global_store_dword v[3:4], v9, off
.LBB496_22:                             ;   in Loop: Header=BB496_23 Depth=1
	s_or_b32 exec_lo, exec_lo, s13
	v_add_co_u32 v1, vcc_lo, v1, s0
	v_add_co_ci_u32_e64 v2, null, s1, v2, vcc_lo
	v_add_co_u32 v7, vcc_lo, v7, s0
	v_add_co_ci_u32_e64 v8, null, s1, v8, vcc_lo
	s_addk_i32 s12, 0x100
	s_cmp_ge_i32 s12, s11
	s_cbranch_scc1 .LBB496_34
.LBB496_23:                             ; =>This Loop Header: Depth=1
                                        ;     Child Loop BB496_29 Depth 2
                                        ;     Child Loop BB496_33 Depth 2
	v_add_nc_u32_e32 v3, s12, v0
	s_mov_b32 s13, exec_lo
	v_cmpx_gt_i32_e64 s11, v3
	s_cbranch_execz .LBB496_22
; %bb.24:                               ;   in Loop: Header=BB496_23 Depth=1
	v_mad_u64_u32 v[4:5], null, v3, s8, 0
	s_andn2_b32 vcc_lo, exec_lo, s2
	v_mad_u64_u32 v[5:6], null, v3, s5, v[5:6]
	v_lshlrev_b64 v[3:4], 2, v[4:5]
	s_cbranch_vccnz .LBB496_26
; %bb.25:                               ;   in Loop: Header=BB496_23 Depth=1
	v_add_co_u32 v5, vcc_lo, s3, v3
	v_add_co_ci_u32_e64 v6, null, s4, v4, vcc_lo
	global_load_dword v5, v[5:6], off
	s_waitcnt vmcnt(0)
	v_mul_f32_e32 v9, s7, v5
	s_andn2_b32 vcc_lo, exec_lo, s6
	s_cbranch_vccz .LBB496_27
	s_branch .LBB496_21
.LBB496_26:                             ;   in Loop: Header=BB496_23 Depth=1
	v_mov_b32_e32 v9, 0
	s_andn2_b32 vcc_lo, exec_lo, s6
	s_cbranch_vccnz .LBB496_21
.LBB496_27:                             ;   in Loop: Header=BB496_23 Depth=1
	s_andn2_b32 vcc_lo, exec_lo, s16
	s_mov_b32 s14, 0
	s_cbranch_vccnz .LBB496_31
; %bb.28:                               ;   in Loop: Header=BB496_23 Depth=1
	v_mov_b32_e32 v6, v2
	v_mov_b32_e32 v5, v1
	s_mov_b32 s15, 0
	.p2align	6
.LBB496_29:                             ;   Parent Loop BB496_23 Depth=1
                                        ; =>  This Inner Loop Header: Depth=2
	global_load_dwordx4 v[10:13], v[5:6], off offset:-14
	v_mov_b32_e32 v18, s14
	v_add_co_u32 v5, vcc_lo, v5, 16
	v_add_co_ci_u32_e64 v6, null, 0, v6, vcc_lo
	ds_read_b128 v[14:17], v18
	ds_read_b128 v[18:21], v18 offset:16
	s_add_i32 s15, s15, 8
	s_add_i32 s14, s14, 32
	s_cmp_eq_u32 s10, s15
	s_waitcnt vmcnt(0) lgkmcnt(1)
	v_fma_mix_f32 v9, v14, v10, v9 op_sel_hi:[0,1,0]
	v_fma_mix_f32 v9, v15, v10, v9 op_sel:[0,1,0] op_sel_hi:[0,1,0]
	v_fma_mix_f32 v9, v16, v11, v9 op_sel_hi:[0,1,0]
	v_fma_mix_f32 v9, v17, v11, v9 op_sel:[0,1,0] op_sel_hi:[0,1,0]
	s_waitcnt lgkmcnt(0)
	v_fma_mix_f32 v9, v18, v12, v9 op_sel_hi:[0,1,0]
	v_fma_mix_f32 v9, v19, v12, v9 op_sel:[0,1,0] op_sel_hi:[0,1,0]
	v_fma_mix_f32 v9, v20, v13, v9 op_sel_hi:[0,1,0]
	v_fma_mix_f32 v9, v21, v13, v9 op_sel:[0,1,0] op_sel_hi:[0,1,0]
	s_cbranch_scc0 .LBB496_29
; %bb.30:                               ;   in Loop: Header=BB496_23 Depth=1
	s_mov_b32 s14, s10
.LBB496_31:                             ;   in Loop: Header=BB496_23 Depth=1
	s_andn2_b32 vcc_lo, exec_lo, s17
	s_cbranch_vccnz .LBB496_21
; %bb.32:                               ;   in Loop: Header=BB496_23 Depth=1
	s_lshl_b32 s15, s14, 1
	s_lshl_b32 s14, s14, 2
	v_add_co_u32 v5, vcc_lo, v7, s15
	v_add_co_ci_u32_e64 v6, null, 0, v8, vcc_lo
	s_mov_b32 s15, s9
.LBB496_33:                             ;   Parent Loop BB496_23 Depth=1
                                        ; =>  This Inner Loop Header: Depth=2
	global_load_ushort v10, v[5:6], off
	v_mov_b32_e32 v11, s14
	v_add_co_u32 v5, vcc_lo, v5, 2
	v_add_co_ci_u32_e64 v6, null, 0, v6, vcc_lo
	ds_read_b32 v11, v11
	s_add_i32 s15, s15, -1
	s_add_i32 s14, s14, 4
	s_cmp_lg_u32 s15, 0
	s_waitcnt vmcnt(0) lgkmcnt(0)
	v_fma_mix_f32 v9, v11, v10, v9 op_sel_hi:[0,1,0]
	s_cbranch_scc1 .LBB496_33
	s_branch .LBB496_21
.LBB496_34:
	s_endpgm
	.section	.rodata,"a",@progbits
	.p2align	6, 0x0
	.amdhsa_kernel _ZL22rocblas_gemvtsm_kernelILb1ELi256EDF16_PKffEviiT2_lPKT1_lilS5_lilS2_lPT3_lil
		.amdhsa_group_segment_fixed_size 256
		.amdhsa_private_segment_fixed_size 0
		.amdhsa_kernarg_size 136
		.amdhsa_user_sgpr_count 6
		.amdhsa_user_sgpr_private_segment_buffer 1
		.amdhsa_user_sgpr_dispatch_ptr 0
		.amdhsa_user_sgpr_queue_ptr 0
		.amdhsa_user_sgpr_kernarg_segment_ptr 1
		.amdhsa_user_sgpr_dispatch_id 0
		.amdhsa_user_sgpr_flat_scratch_init 0
		.amdhsa_user_sgpr_private_segment_size 0
		.amdhsa_wavefront_size32 1
		.amdhsa_uses_dynamic_stack 0
		.amdhsa_system_sgpr_private_segment_wavefront_offset 0
		.amdhsa_system_sgpr_workgroup_id_x 1
		.amdhsa_system_sgpr_workgroup_id_y 0
		.amdhsa_system_sgpr_workgroup_id_z 0
		.amdhsa_system_sgpr_workgroup_info 0
		.amdhsa_system_vgpr_workitem_id 0
		.amdhsa_next_free_vgpr 22
		.amdhsa_next_free_sgpr 29
		.amdhsa_reserve_vcc 1
		.amdhsa_reserve_flat_scratch 0
		.amdhsa_float_round_mode_32 0
		.amdhsa_float_round_mode_16_64 0
		.amdhsa_float_denorm_mode_32 3
		.amdhsa_float_denorm_mode_16_64 3
		.amdhsa_dx10_clamp 1
		.amdhsa_ieee_mode 1
		.amdhsa_fp16_overflow 0
		.amdhsa_workgroup_processor_mode 1
		.amdhsa_memory_ordered 1
		.amdhsa_forward_progress 1
		.amdhsa_shared_vgpr_count 0
		.amdhsa_exception_fp_ieee_invalid_op 0
		.amdhsa_exception_fp_denorm_src 0
		.amdhsa_exception_fp_ieee_div_zero 0
		.amdhsa_exception_fp_ieee_overflow 0
		.amdhsa_exception_fp_ieee_underflow 0
		.amdhsa_exception_fp_ieee_inexact 0
		.amdhsa_exception_int_div_zero 0
	.end_amdhsa_kernel
	.section	.text._ZL22rocblas_gemvtsm_kernelILb1ELi256EDF16_PKffEviiT2_lPKT1_lilS5_lilS2_lPT3_lil,"axG",@progbits,_ZL22rocblas_gemvtsm_kernelILb1ELi256EDF16_PKffEviiT2_lPKT1_lilS5_lilS2_lPT3_lil,comdat
.Lfunc_end496:
	.size	_ZL22rocblas_gemvtsm_kernelILb1ELi256EDF16_PKffEviiT2_lPKT1_lilS5_lilS2_lPT3_lil, .Lfunc_end496-_ZL22rocblas_gemvtsm_kernelILb1ELi256EDF16_PKffEviiT2_lPKT1_lilS5_lilS2_lPT3_lil
                                        ; -- End function
	.set _ZL22rocblas_gemvtsm_kernelILb1ELi256EDF16_PKffEviiT2_lPKT1_lilS5_lilS2_lPT3_lil.num_vgpr, 22
	.set _ZL22rocblas_gemvtsm_kernelILb1ELi256EDF16_PKffEviiT2_lPKT1_lilS5_lilS2_lPT3_lil.num_agpr, 0
	.set _ZL22rocblas_gemvtsm_kernelILb1ELi256EDF16_PKffEviiT2_lPKT1_lilS5_lilS2_lPT3_lil.numbered_sgpr, 29
	.set _ZL22rocblas_gemvtsm_kernelILb1ELi256EDF16_PKffEviiT2_lPKT1_lilS5_lilS2_lPT3_lil.num_named_barrier, 0
	.set _ZL22rocblas_gemvtsm_kernelILb1ELi256EDF16_PKffEviiT2_lPKT1_lilS5_lilS2_lPT3_lil.private_seg_size, 0
	.set _ZL22rocblas_gemvtsm_kernelILb1ELi256EDF16_PKffEviiT2_lPKT1_lilS5_lilS2_lPT3_lil.uses_vcc, 1
	.set _ZL22rocblas_gemvtsm_kernelILb1ELi256EDF16_PKffEviiT2_lPKT1_lilS5_lilS2_lPT3_lil.uses_flat_scratch, 0
	.set _ZL22rocblas_gemvtsm_kernelILb1ELi256EDF16_PKffEviiT2_lPKT1_lilS5_lilS2_lPT3_lil.has_dyn_sized_stack, 0
	.set _ZL22rocblas_gemvtsm_kernelILb1ELi256EDF16_PKffEviiT2_lPKT1_lilS5_lilS2_lPT3_lil.has_recursion, 0
	.set _ZL22rocblas_gemvtsm_kernelILb1ELi256EDF16_PKffEviiT2_lPKT1_lilS5_lilS2_lPT3_lil.has_indirect_call, 0
	.section	.AMDGPU.csdata,"",@progbits
; Kernel info:
; codeLenInByte = 1460
; TotalNumSgprs: 31
; NumVgprs: 22
; ScratchSize: 0
; MemoryBound: 0
; FloatMode: 240
; IeeeMode: 1
; LDSByteSize: 256 bytes/workgroup (compile time only)
; SGPRBlocks: 0
; VGPRBlocks: 2
; NumSGPRsForWavesPerEU: 31
; NumVGPRsForWavesPerEU: 22
; Occupancy: 16
; WaveLimiterHint : 1
; COMPUTE_PGM_RSRC2:SCRATCH_EN: 0
; COMPUTE_PGM_RSRC2:USER_SGPR: 6
; COMPUTE_PGM_RSRC2:TRAP_HANDLER: 0
; COMPUTE_PGM_RSRC2:TGID_X_EN: 1
; COMPUTE_PGM_RSRC2:TGID_Y_EN: 0
; COMPUTE_PGM_RSRC2:TGID_Z_EN: 0
; COMPUTE_PGM_RSRC2:TIDIG_COMP_CNT: 0
	.section	.text._ZL22rocblas_gemvtsm_kernelILb1ELi256EDF16_ffEviiT2_lPKT1_lilS3_lilS0_lPT3_lil,"axG",@progbits,_ZL22rocblas_gemvtsm_kernelILb1ELi256EDF16_ffEviiT2_lPKT1_lilS3_lilS0_lPT3_lil,comdat
	.globl	_ZL22rocblas_gemvtsm_kernelILb1ELi256EDF16_ffEviiT2_lPKT1_lilS3_lilS0_lPT3_lil ; -- Begin function _ZL22rocblas_gemvtsm_kernelILb1ELi256EDF16_ffEviiT2_lPKT1_lilS3_lilS0_lPT3_lil
	.p2align	8
	.type	_ZL22rocblas_gemvtsm_kernelILb1ELi256EDF16_ffEviiT2_lPKT1_lilS3_lilS0_lPT3_lil,@function
_ZL22rocblas_gemvtsm_kernelILb1ELi256EDF16_ffEviiT2_lPKT1_lilS3_lilS0_lPT3_lil: ; @_ZL22rocblas_gemvtsm_kernelILb1ELi256EDF16_ffEviiT2_lPKT1_lilS3_lilS0_lPT3_lil
; %bb.0:
	s_clause 0x1
	s_load_dwordx4 s[8:11], s[4:5], 0x0
	s_load_dword s7, s[4:5], 0x58
	s_waitcnt lgkmcnt(0)
	v_cmp_eq_f32_e64 s0, s10, 0
	v_cmp_eq_f32_e64 s1, s7, 1.0
	s_and_b32 s0, s0, s1
	s_and_b32 vcc_lo, exec_lo, s0
	s_cbranch_vccnz .LBB497_34
; %bb.1:
	s_clause 0x2
	s_load_dwordx2 s[0:1], s[4:5], 0x80
	s_load_dwordx4 s[12:15], s[4:5], 0x68
	s_load_dword s20, s[4:5], 0x78
	v_cmp_neq_f32_e64 s2, s10, 0
	s_and_b32 vcc_lo, exec_lo, s2
	s_waitcnt lgkmcnt(0)
	s_mul_i32 s1, s1, s6
	s_mul_hi_u32 s2, s0, s6
	s_mul_i32 s22, s0, s6
	s_add_i32 s23, s2, s1
	s_cbranch_vccnz .LBB497_9
; %bb.2:
	s_cmp_gt_i32 s9, 0
	v_cmp_neq_f32_e64 s0, s7, 0
	s_cselect_b32 s2, -1, 0
	v_cndmask_b32_e64 v1, 0, 1, s2
	s_and_b32 vcc_lo, exec_lo, s0
	v_cmp_ne_u32_e64 s0, 1, v1
	s_cbranch_vccnz .LBB497_10
; %bb.3:
	s_and_b32 vcc_lo, exec_lo, s0
	s_cbranch_vccnz .LBB497_8
; %bb.4:
	v_mad_i64_i32 v[1:2], null, s20, v0, 0
	s_lshl_b64 s[16:17], s[14:15], 2
	s_ashr_i32 s21, s20, 31
	s_lshl_b64 s[0:1], s[22:23], 2
	s_add_u32 s3, s12, s16
	s_addc_u32 s11, s13, s17
	s_add_u32 s0, s3, s0
	v_lshlrev_b64 v[1:2], 2, v[1:2]
	s_addc_u32 s1, s11, s1
	v_mov_b32_e32 v3, 0
	s_mov_b32 s3, 0
	v_add_co_u32 v1, vcc_lo, s0, v1
	v_add_co_ci_u32_e64 v2, null, s1, v2, vcc_lo
	s_lshl_b64 s[0:1], s[20:21], 10
	s_branch .LBB497_6
.LBB497_5:                              ;   in Loop: Header=BB497_6 Depth=1
	s_or_b32 exec_lo, exec_lo, s11
	v_add_co_u32 v1, vcc_lo, v1, s0
	v_add_co_ci_u32_e64 v2, null, s1, v2, vcc_lo
	s_addk_i32 s3, 0x100
	s_cmp_ge_i32 s3, s9
	s_cbranch_scc1 .LBB497_8
.LBB497_6:                              ; =>This Inner Loop Header: Depth=1
	v_add_nc_u32_e32 v4, s3, v0
	s_mov_b32 s11, exec_lo
	v_cmpx_gt_i32_e64 s9, v4
	s_cbranch_execz .LBB497_5
; %bb.7:                                ;   in Loop: Header=BB497_6 Depth=1
	global_store_dword v[1:2], v3, off
	s_branch .LBB497_5
.LBB497_8:
	s_cbranch_execz .LBB497_11
	s_branch .LBB497_16
.LBB497_9:
	s_branch .LBB497_17
.LBB497_10:
.LBB497_11:
	s_andn2_b32 vcc_lo, exec_lo, s2
	s_cbranch_vccnz .LBB497_16
; %bb.12:
	v_mad_i64_i32 v[1:2], null, s20, v0, 0
	s_lshl_b64 s[2:3], s[14:15], 2
	s_ashr_i32 s21, s20, 31
	s_lshl_b64 s[0:1], s[22:23], 2
	s_add_u32 s2, s12, s2
	s_addc_u32 s3, s13, s3
	s_add_u32 s0, s2, s0
	v_lshlrev_b64 v[1:2], 2, v[1:2]
	s_addc_u32 s1, s3, s1
	s_mov_b32 s2, 0
	v_add_co_u32 v1, vcc_lo, s0, v1
	v_add_co_ci_u32_e64 v2, null, s1, v2, vcc_lo
	s_lshl_b64 s[0:1], s[20:21], 10
	s_branch .LBB497_14
	.p2align	6
.LBB497_13:                             ;   in Loop: Header=BB497_14 Depth=1
	s_or_b32 exec_lo, exec_lo, s3
	v_add_co_u32 v1, vcc_lo, v1, s0
	v_add_co_ci_u32_e64 v2, null, s1, v2, vcc_lo
	s_addk_i32 s2, 0x100
	s_cmp_ge_i32 s2, s9
	s_cbranch_scc1 .LBB497_16
.LBB497_14:                             ; =>This Inner Loop Header: Depth=1
	v_add_nc_u32_e32 v3, s2, v0
	s_mov_b32 s3, exec_lo
	v_cmpx_gt_i32_e64 s9, v3
	s_cbranch_execz .LBB497_13
; %bb.15:                               ;   in Loop: Header=BB497_14 Depth=1
	global_load_dword v3, v[1:2], off
	s_waitcnt vmcnt(0)
	v_mul_f32_e32 v3, s7, v3
	global_store_dword v[1:2], v3, off
	s_branch .LBB497_13
.LBB497_16:
	s_cbranch_execnz .LBB497_34
.LBB497_17:
	s_clause 0x1
	s_load_dwordx4 s[0:3], s[4:5], 0x30
	s_load_dwordx2 s[16:17], s[4:5], 0x40
	s_mov_b32 s11, exec_lo
	v_cmpx_gt_i32_e64 s8, v0
	s_cbranch_execz .LBB497_19
; %bb.18:
	s_clause 0x1
	s_load_dwordx2 s[18:19], s[4:5], 0x50
	s_load_dword s21, s[4:5], 0x48
	s_waitcnt lgkmcnt(0)
	s_mul_i32 s19, s19, s6
	v_mad_i64_i32 v[1:2], null, s21, v0, 0
	s_mul_hi_u32 s24, s18, s6
	s_mul_i32 s18, s18, s6
	s_add_i32 s19, s24, s19
	s_lshl_b64 s[18:19], s[18:19], 1
	s_add_u32 s18, s2, s18
	v_lshlrev_b64 v[1:2], 1, v[1:2]
	s_addc_u32 s19, s3, s19
	s_lshl_b64 s[2:3], s[16:17], 1
	s_add_u32 s2, s18, s2
	s_addc_u32 s3, s19, s3
	v_add_co_u32 v1, vcc_lo, s2, v1
	v_add_co_ci_u32_e64 v2, null, s3, v2, vcc_lo
	global_load_ushort v1, v[1:2], off
	v_lshlrev_b32_e32 v2, 2, v0
	s_waitcnt vmcnt(0)
	v_cvt_f32_f16_e32 v1, v1
	v_mul_f32_e32 v1, s10, v1
	ds_write_b32 v2, v1
.LBB497_19:
	s_or_b32 exec_lo, exec_lo, s11
	s_cmp_lt_i32 s9, 1
	s_waitcnt lgkmcnt(0)
	s_waitcnt_vscnt null, 0x0
	s_barrier
	buffer_gl0_inv
	s_cbranch_scc1 .LBB497_34
; %bb.20:
	s_clause 0x1
	s_load_dword s24, s[4:5], 0x28
	s_load_dwordx4 s[16:19], s[4:5], 0x18
	s_lshl_b64 s[2:3], s[22:23], 2
	s_mul_i32 s1, s1, s6
	s_mul_hi_u32 s21, s0, s6
	s_mul_i32 s0, s0, s6
	s_add_u32 s6, s12, s2
	s_addc_u32 s10, s13, s3
	s_lshl_b64 s[4:5], s[14:15], 2
	v_cmp_neq_f32_e64 s2, s7, 0
	s_add_u32 s3, s6, s4
	s_addc_u32 s4, s10, s5
	s_ashr_i32 s5, s20, 31
	s_waitcnt lgkmcnt(0)
	s_ashr_i32 s25, s24, 31
	s_cmp_gt_i32 s8, 0
	v_mad_i64_i32 v[1:2], null, s24, v0, 0
	s_cselect_b32 s6, -1, 0
	s_and_b32 s10, s8, 7
	s_cmp_gt_u32 s8, 7
	s_cselect_b32 s11, -1, 0
	s_and_b32 s8, s8, 0x7ffffff8
	s_cmp_lg_u32 s10, 0
	v_lshlrev_b64 v[1:2], 1, v[1:2]
	s_cselect_b32 s12, -1, 0
	s_add_i32 s1, s21, s1
	s_lshl_b64 s[14:15], s[18:19], 1
	s_lshl_b64 s[0:1], s[0:1], 1
	s_add_u32 s13, s16, s14
	s_addc_u32 s14, s17, s15
	s_add_u32 s0, s13, s0
	s_addc_u32 s1, s14, s1
	v_add_co_u32 v7, vcc_lo, s0, v1
	v_add_co_ci_u32_e64 v8, null, s1, v2, vcc_lo
	s_mov_b32 s13, 0
	v_add_co_u32 v1, vcc_lo, v7, 14
	v_add_co_ci_u32_e64 v2, null, 0, v8, vcc_lo
	s_lshl_b64 s[0:1], s[24:25], 9
	s_branch .LBB497_23
.LBB497_21:                             ;   in Loop: Header=BB497_23 Depth=1
	v_add_co_u32 v3, vcc_lo, s3, v3
	v_add_co_ci_u32_e64 v4, null, s4, v4, vcc_lo
	global_store_dword v[3:4], v9, off
.LBB497_22:                             ;   in Loop: Header=BB497_23 Depth=1
	s_or_b32 exec_lo, exec_lo, s14
	v_add_co_u32 v1, vcc_lo, v1, s0
	v_add_co_ci_u32_e64 v2, null, s1, v2, vcc_lo
	v_add_co_u32 v7, vcc_lo, v7, s0
	v_add_co_ci_u32_e64 v8, null, s1, v8, vcc_lo
	s_addk_i32 s13, 0x100
	s_cmp_ge_i32 s13, s9
	s_cbranch_scc1 .LBB497_34
.LBB497_23:                             ; =>This Loop Header: Depth=1
                                        ;     Child Loop BB497_29 Depth 2
                                        ;     Child Loop BB497_33 Depth 2
	v_add_nc_u32_e32 v3, s13, v0
	s_mov_b32 s14, exec_lo
	v_cmpx_gt_i32_e64 s9, v3
	s_cbranch_execz .LBB497_22
; %bb.24:                               ;   in Loop: Header=BB497_23 Depth=1
	v_mad_u64_u32 v[4:5], null, v3, s20, 0
	s_andn2_b32 vcc_lo, exec_lo, s2
	v_mad_u64_u32 v[5:6], null, v3, s5, v[5:6]
	v_lshlrev_b64 v[3:4], 2, v[4:5]
	s_cbranch_vccnz .LBB497_26
; %bb.25:                               ;   in Loop: Header=BB497_23 Depth=1
	v_add_co_u32 v5, vcc_lo, s3, v3
	v_add_co_ci_u32_e64 v6, null, s4, v4, vcc_lo
	global_load_dword v5, v[5:6], off
	s_waitcnt vmcnt(0)
	v_mul_f32_e32 v9, s7, v5
	s_andn2_b32 vcc_lo, exec_lo, s6
	s_cbranch_vccz .LBB497_27
	s_branch .LBB497_21
.LBB497_26:                             ;   in Loop: Header=BB497_23 Depth=1
	v_mov_b32_e32 v9, 0
	s_andn2_b32 vcc_lo, exec_lo, s6
	s_cbranch_vccnz .LBB497_21
.LBB497_27:                             ;   in Loop: Header=BB497_23 Depth=1
	s_andn2_b32 vcc_lo, exec_lo, s11
	s_mov_b32 s15, 0
	s_cbranch_vccnz .LBB497_31
; %bb.28:                               ;   in Loop: Header=BB497_23 Depth=1
	v_mov_b32_e32 v6, v2
	v_mov_b32_e32 v5, v1
	s_mov_b32 s16, 0
	.p2align	6
.LBB497_29:                             ;   Parent Loop BB497_23 Depth=1
                                        ; =>  This Inner Loop Header: Depth=2
	global_load_dwordx4 v[10:13], v[5:6], off offset:-14
	v_mov_b32_e32 v18, s15
	v_add_co_u32 v5, vcc_lo, v5, 16
	v_add_co_ci_u32_e64 v6, null, 0, v6, vcc_lo
	ds_read_b128 v[14:17], v18
	ds_read_b128 v[18:21], v18 offset:16
	s_add_i32 s16, s16, 8
	s_add_i32 s15, s15, 32
	s_cmp_eq_u32 s8, s16
	s_waitcnt vmcnt(0) lgkmcnt(1)
	v_fma_mix_f32 v9, v14, v10, v9 op_sel_hi:[0,1,0]
	v_fma_mix_f32 v9, v15, v10, v9 op_sel:[0,1,0] op_sel_hi:[0,1,0]
	v_fma_mix_f32 v9, v16, v11, v9 op_sel_hi:[0,1,0]
	v_fma_mix_f32 v9, v17, v11, v9 op_sel:[0,1,0] op_sel_hi:[0,1,0]
	s_waitcnt lgkmcnt(0)
	v_fma_mix_f32 v9, v18, v12, v9 op_sel_hi:[0,1,0]
	v_fma_mix_f32 v9, v19, v12, v9 op_sel:[0,1,0] op_sel_hi:[0,1,0]
	v_fma_mix_f32 v9, v20, v13, v9 op_sel_hi:[0,1,0]
	v_fma_mix_f32 v9, v21, v13, v9 op_sel:[0,1,0] op_sel_hi:[0,1,0]
	s_cbranch_scc0 .LBB497_29
; %bb.30:                               ;   in Loop: Header=BB497_23 Depth=1
	s_mov_b32 s15, s8
.LBB497_31:                             ;   in Loop: Header=BB497_23 Depth=1
	s_andn2_b32 vcc_lo, exec_lo, s12
	s_cbranch_vccnz .LBB497_21
; %bb.32:                               ;   in Loop: Header=BB497_23 Depth=1
	s_lshl_b32 s16, s15, 1
	s_lshl_b32 s15, s15, 2
	v_add_co_u32 v5, vcc_lo, v7, s16
	v_add_co_ci_u32_e64 v6, null, 0, v8, vcc_lo
	s_mov_b32 s16, s10
.LBB497_33:                             ;   Parent Loop BB497_23 Depth=1
                                        ; =>  This Inner Loop Header: Depth=2
	global_load_ushort v10, v[5:6], off
	v_mov_b32_e32 v11, s15
	v_add_co_u32 v5, vcc_lo, v5, 2
	v_add_co_ci_u32_e64 v6, null, 0, v6, vcc_lo
	ds_read_b32 v11, v11
	s_add_i32 s16, s16, -1
	s_add_i32 s15, s15, 4
	s_cmp_lg_u32 s16, 0
	s_waitcnt vmcnt(0) lgkmcnt(0)
	v_fma_mix_f32 v9, v11, v10, v9 op_sel_hi:[0,1,0]
	s_cbranch_scc1 .LBB497_33
	s_branch .LBB497_21
.LBB497_34:
	s_endpgm
	.section	.rodata,"a",@progbits
	.p2align	6, 0x0
	.amdhsa_kernel _ZL22rocblas_gemvtsm_kernelILb1ELi256EDF16_ffEviiT2_lPKT1_lilS3_lilS0_lPT3_lil
		.amdhsa_group_segment_fixed_size 256
		.amdhsa_private_segment_fixed_size 0
		.amdhsa_kernarg_size 136
		.amdhsa_user_sgpr_count 6
		.amdhsa_user_sgpr_private_segment_buffer 1
		.amdhsa_user_sgpr_dispatch_ptr 0
		.amdhsa_user_sgpr_queue_ptr 0
		.amdhsa_user_sgpr_kernarg_segment_ptr 1
		.amdhsa_user_sgpr_dispatch_id 0
		.amdhsa_user_sgpr_flat_scratch_init 0
		.amdhsa_user_sgpr_private_segment_size 0
		.amdhsa_wavefront_size32 1
		.amdhsa_uses_dynamic_stack 0
		.amdhsa_system_sgpr_private_segment_wavefront_offset 0
		.amdhsa_system_sgpr_workgroup_id_x 1
		.amdhsa_system_sgpr_workgroup_id_y 0
		.amdhsa_system_sgpr_workgroup_id_z 0
		.amdhsa_system_sgpr_workgroup_info 0
		.amdhsa_system_vgpr_workitem_id 0
		.amdhsa_next_free_vgpr 22
		.amdhsa_next_free_sgpr 26
		.amdhsa_reserve_vcc 1
		.amdhsa_reserve_flat_scratch 0
		.amdhsa_float_round_mode_32 0
		.amdhsa_float_round_mode_16_64 0
		.amdhsa_float_denorm_mode_32 3
		.amdhsa_float_denorm_mode_16_64 3
		.amdhsa_dx10_clamp 1
		.amdhsa_ieee_mode 1
		.amdhsa_fp16_overflow 0
		.amdhsa_workgroup_processor_mode 1
		.amdhsa_memory_ordered 1
		.amdhsa_forward_progress 1
		.amdhsa_shared_vgpr_count 0
		.amdhsa_exception_fp_ieee_invalid_op 0
		.amdhsa_exception_fp_denorm_src 0
		.amdhsa_exception_fp_ieee_div_zero 0
		.amdhsa_exception_fp_ieee_overflow 0
		.amdhsa_exception_fp_ieee_underflow 0
		.amdhsa_exception_fp_ieee_inexact 0
		.amdhsa_exception_int_div_zero 0
	.end_amdhsa_kernel
	.section	.text._ZL22rocblas_gemvtsm_kernelILb1ELi256EDF16_ffEviiT2_lPKT1_lilS3_lilS0_lPT3_lil,"axG",@progbits,_ZL22rocblas_gemvtsm_kernelILb1ELi256EDF16_ffEviiT2_lPKT1_lilS3_lilS0_lPT3_lil,comdat
.Lfunc_end497:
	.size	_ZL22rocblas_gemvtsm_kernelILb1ELi256EDF16_ffEviiT2_lPKT1_lilS3_lilS0_lPT3_lil, .Lfunc_end497-_ZL22rocblas_gemvtsm_kernelILb1ELi256EDF16_ffEviiT2_lPKT1_lilS3_lilS0_lPT3_lil
                                        ; -- End function
	.set _ZL22rocblas_gemvtsm_kernelILb1ELi256EDF16_ffEviiT2_lPKT1_lilS3_lilS0_lPT3_lil.num_vgpr, 22
	.set _ZL22rocblas_gemvtsm_kernelILb1ELi256EDF16_ffEviiT2_lPKT1_lilS3_lilS0_lPT3_lil.num_agpr, 0
	.set _ZL22rocblas_gemvtsm_kernelILb1ELi256EDF16_ffEviiT2_lPKT1_lilS3_lilS0_lPT3_lil.numbered_sgpr, 26
	.set _ZL22rocblas_gemvtsm_kernelILb1ELi256EDF16_ffEviiT2_lPKT1_lilS3_lilS0_lPT3_lil.num_named_barrier, 0
	.set _ZL22rocblas_gemvtsm_kernelILb1ELi256EDF16_ffEviiT2_lPKT1_lilS3_lilS0_lPT3_lil.private_seg_size, 0
	.set _ZL22rocblas_gemvtsm_kernelILb1ELi256EDF16_ffEviiT2_lPKT1_lilS3_lilS0_lPT3_lil.uses_vcc, 1
	.set _ZL22rocblas_gemvtsm_kernelILb1ELi256EDF16_ffEviiT2_lPKT1_lilS3_lilS0_lPT3_lil.uses_flat_scratch, 0
	.set _ZL22rocblas_gemvtsm_kernelILb1ELi256EDF16_ffEviiT2_lPKT1_lilS3_lilS0_lPT3_lil.has_dyn_sized_stack, 0
	.set _ZL22rocblas_gemvtsm_kernelILb1ELi256EDF16_ffEviiT2_lPKT1_lilS3_lilS0_lPT3_lil.has_recursion, 0
	.set _ZL22rocblas_gemvtsm_kernelILb1ELi256EDF16_ffEviiT2_lPKT1_lilS3_lilS0_lPT3_lil.has_indirect_call, 0
	.section	.AMDGPU.csdata,"",@progbits
; Kernel info:
; codeLenInByte = 1396
; TotalNumSgprs: 28
; NumVgprs: 22
; ScratchSize: 0
; MemoryBound: 0
; FloatMode: 240
; IeeeMode: 1
; LDSByteSize: 256 bytes/workgroup (compile time only)
; SGPRBlocks: 0
; VGPRBlocks: 2
; NumSGPRsForWavesPerEU: 28
; NumVGPRsForWavesPerEU: 22
; Occupancy: 16
; WaveLimiterHint : 1
; COMPUTE_PGM_RSRC2:SCRATCH_EN: 0
; COMPUTE_PGM_RSRC2:USER_SGPR: 6
; COMPUTE_PGM_RSRC2:TRAP_HANDLER: 0
; COMPUTE_PGM_RSRC2:TGID_X_EN: 1
; COMPUTE_PGM_RSRC2:TGID_Y_EN: 0
; COMPUTE_PGM_RSRC2:TGID_Z_EN: 0
; COMPUTE_PGM_RSRC2:TIDIG_COMP_CNT: 0
	.section	.text._ZL20rocblas_gemvt_kernelILb1ELi256EDF16_PKffEviiT2_lPKT1_lilS5_lilS2_lPT3_lili,"axG",@progbits,_ZL20rocblas_gemvt_kernelILb1ELi256EDF16_PKffEviiT2_lPKT1_lilS5_lilS2_lPT3_lili,comdat
	.globl	_ZL20rocblas_gemvt_kernelILb1ELi256EDF16_PKffEviiT2_lPKT1_lilS5_lilS2_lPT3_lili ; -- Begin function _ZL20rocblas_gemvt_kernelILb1ELi256EDF16_PKffEviiT2_lPKT1_lilS5_lilS2_lPT3_lili
	.p2align	8
	.type	_ZL20rocblas_gemvt_kernelILb1ELi256EDF16_PKffEviiT2_lPKT1_lilS5_lilS2_lPT3_lili,@function
_ZL20rocblas_gemvt_kernelILb1ELi256EDF16_PKffEviiT2_lPKT1_lilS5_lilS2_lPT3_lili: ; @_ZL20rocblas_gemvt_kernelILb1ELi256EDF16_PKffEviiT2_lPKT1_lilS5_lilS2_lPT3_lili
; %bb.0:
	s_clause 0x1
	s_load_dwordx8 s[8:15], s[4:5], 0x8
	s_load_dwordx8 s[16:23], s[4:5], 0x50
	s_waitcnt lgkmcnt(0)
	s_mul_i32 s1, s11, s7
	s_mul_hi_u32 s2, s10, s7
	s_mul_i32 s0, s10, s7
	s_add_i32 s1, s2, s1
	s_mul_i32 s2, s21, s7
	s_lshl_b64 s[0:1], s[0:1], 2
	s_mul_hi_u32 s3, s20, s7
	s_add_u32 s0, s8, s0
	s_addc_u32 s1, s9, s1
	s_add_i32 s3, s3, s2
	s_mul_i32 s2, s20, s7
	s_mov_b32 s21, 0
	s_lshl_b64 s[2:3], s[2:3], 2
	s_add_u32 s2, s18, s2
	s_addc_u32 s3, s19, s3
	s_load_dword s24, s[0:1], 0x0
	s_load_dword s20, s[2:3], 0x0
	s_waitcnt lgkmcnt(0)
	v_cmp_eq_f32_e64 s0, s24, 0
	v_cmp_eq_f32_e64 s1, s20, 1.0
	s_and_b32 s0, s0, s1
	s_and_b32 vcc_lo, exec_lo, s0
	s_cbranch_vccnz .LBB498_37
; %bb.1:
	s_clause 0x2
	s_load_dwordx2 s[0:1], s[4:5], 0x80
	s_load_dwordx2 s[2:3], s[4:5], 0x70
	s_load_dword s25, s[4:5], 0x78
	s_waitcnt lgkmcnt(0)
	s_mul_i32 s1, s1, s7
	s_mul_hi_u32 s8, s0, s7
	s_mul_i32 s0, s0, s7
	s_add_i32 s1, s8, s1
	v_cmp_neq_f32_e64 s8, s24, 0
	s_lshl_b64 s[0:1], s[0:1], 2
	s_add_u32 s9, s22, s0
	s_addc_u32 s10, s23, s1
	s_lshl_b64 s[0:1], s[2:3], 2
	s_add_u32 s18, s9, s0
	v_cmp_eq_u32_e64 s0, 0, v0
	s_addc_u32 s19, s10, s1
	s_and_b32 vcc_lo, exec_lo, s8
	s_cbranch_vccnz .LBB498_5
; %bb.2:
	s_mov_b32 s1, 0
                                        ; implicit-def: $vgpr1
                                        ; implicit-def: $sgpr2_sgpr3
	s_and_saveexec_b32 s8, s0
	s_cbranch_execz .LBB498_6
; %bb.3:
	v_cmp_eq_f32_e64 s0, s20, 0
	s_mul_hi_i32 s3, s25, s6
	s_mul_i32 s2, s25, s6
	s_and_b32 vcc_lo, exec_lo, s0
	s_cbranch_vccnz .LBB498_7
; %bb.4:
	s_lshl_b64 s[10:11], s[2:3], 2
	s_add_u32 s10, s18, s10
	s_addc_u32 s11, s19, s11
	s_load_dword s0, s[10:11], 0x0
	s_waitcnt lgkmcnt(0)
	v_mul_f32_e64 v1, s20, s0
	s_branch .LBB498_8
.LBB498_5:
                                        ; implicit-def: $vgpr1
                                        ; implicit-def: $sgpr2_sgpr3
	s_cbranch_execnz .LBB498_9
	s_branch .LBB498_35
.LBB498_6:
	s_or_b32 exec_lo, exec_lo, s8
	s_and_b32 vcc_lo, exec_lo, s1
	s_cbranch_vccnz .LBB498_9
	s_branch .LBB498_35
.LBB498_7:
	v_mov_b32_e32 v1, 0
.LBB498_8:
	s_mov_b32 s21, exec_lo
	s_or_b32 exec_lo, exec_lo, s8
	s_and_b32 vcc_lo, exec_lo, s1
	s_cbranch_vccz .LBB498_35
.LBB498_9:
	s_clause 0x4
	s_load_dwordx4 s[0:3], s[4:5], 0x30
	s_load_dword s22, s[4:5], 0x0
	s_load_dword s23, s[4:5], 0x28
	s_load_dwordx2 s[8:9], s[4:5], 0x40
	s_load_dword s4, s[4:5], 0x48
	s_mul_i32 s11, s17, s7
	s_mul_hi_u32 s17, s16, s7
	s_mul_i32 s10, s16, s7
	s_add_i32 s11, s17, s11
	v_mov_b32_e32 v7, 0
	s_waitcnt lgkmcnt(0)
	s_mul_i32 s1, s1, s7
	v_cmp_gt_i32_e32 vcc_lo, s22, v0
	s_mul_hi_u32 s5, s0, s7
	s_mul_i32 s0, s0, s7
	s_add_i32 s1, s5, s1
	s_mul_hi_i32 s17, s23, s6
	v_cndmask_b32_e32 v1, 0, v0, vcc_lo
	s_lshl_b64 s[0:1], s[0:1], 1
	s_mul_i32 s16, s23, s6
	s_add_u32 s5, s12, s0
	s_addc_u32 s7, s13, s1
	v_lshlrev_b32_e32 v1, 1, v1
	s_lshl_b64 s[0:1], s[14:15], 1
	s_add_u32 s5, s5, s0
	s_addc_u32 s7, s7, s1
	v_add_co_u32 v1, s5, s5, v1
	v_add_co_ci_u32_e64 v2, null, s7, 0, s5
	s_ashr_i32 s12, s22, 31
	s_lshl_b64 s[0:1], s[16:17], 1
	s_lshr_b32 s12, s12, 24
	v_add_co_u32 v1, vcc_lo, v1, s0
	s_add_i32 s5, s22, s12
	v_add_co_ci_u32_e64 v2, null, s1, v2, vcc_lo
	s_and_b32 s0, s5, 0xffffff00
	s_cmpk_lt_i32 s22, 0x100
	s_mov_b32 s1, 0
	s_cbranch_scc1 .LBB498_12
; %bb.10:
	v_mad_i64_i32 v[3:4], null, s4, v0, 0
	s_lshl_b64 s[14:15], s[8:9], 1
	s_ashr_i32 s5, s4, 31
	s_lshl_b64 s[12:13], s[10:11], 1
	s_add_u32 s7, s2, s14
	s_addc_u32 s14, s3, s15
	s_add_u32 s7, s7, s12
	v_lshlrev_b64 v[3:4], 1, v[3:4]
	s_addc_u32 s12, s14, s13
	v_mov_b32_e32 v6, v2
	v_mov_b32_e32 v7, 0
	;; [unrolled: 1-line block ×3, first 2 shown]
	v_add_co_u32 v3, vcc_lo, s7, v3
	v_add_co_ci_u32_e64 v4, null, s12, v4, vcc_lo
	s_lshl_b64 s[12:13], s[4:5], 9
	.p2align	6
.LBB498_11:                             ; =>This Inner Loop Header: Depth=1
	global_load_ushort v8, v[5:6], off
	global_load_ushort v9, v[3:4], off
	v_add_co_u32 v3, vcc_lo, v3, s12
	v_add_co_ci_u32_e64 v4, null, s13, v4, vcc_lo
	v_add_co_u32 v5, vcc_lo, 0x200, v5
	v_add_co_ci_u32_e64 v6, null, 0, v6, vcc_lo
	s_addk_i32 s1, 0x100
	s_cmp_ge_i32 s1, s0
	s_waitcnt vmcnt(0)
	v_mul_f16_e32 v8, v8, v9
	v_cvt_f32_f16_e32 v8, v8
	v_add_f32_e32 v7, v7, v8
	s_cbranch_scc0 .LBB498_11
.LBB498_12:
	v_add_nc_u32_e32 v3, s0, v0
	s_mov_b32 s5, exec_lo
	v_cmpx_gt_i32_e64 s22, v3
	s_cbranch_execz .LBB498_14
; %bb.13:
	v_mad_i64_i32 v[3:4], null, s4, v3, 0
	s_lshl_b64 s[10:11], s[10:11], 1
	s_add_u32 s1, s2, s10
	s_addc_u32 s7, s3, s11
	s_lshl_b64 s[2:3], s[8:9], 1
	s_add_u32 s2, s1, s2
	s_addc_u32 s3, s7, s3
	s_ashr_i32 s1, s0, 31
	v_lshlrev_b64 v[3:4], 1, v[3:4]
	s_lshl_b64 s[0:1], s[0:1], 1
	v_add_co_u32 v1, vcc_lo, v1, s0
	v_add_co_ci_u32_e64 v2, null, s1, v2, vcc_lo
	v_add_co_u32 v3, vcc_lo, s2, v3
	v_add_co_ci_u32_e64 v4, null, s3, v4, vcc_lo
	global_load_ushort v1, v[1:2], off
	global_load_ushort v2, v[3:4], off
	s_waitcnt vmcnt(0)
	v_mul_f16_e32 v1, v1, v2
	v_cvt_f32_f16_e32 v1, v1
	v_add_f32_e32 v7, v7, v1
.LBB498_14:
	s_or_b32 exec_lo, exec_lo, s5
	v_lshlrev_b32_e32 v1, 2, v0
	s_mov_b32 s0, exec_lo
	ds_write_b32 v1, v7
	s_waitcnt lgkmcnt(0)
	s_barrier
	buffer_gl0_inv
	v_cmpx_gt_u32_e32 0x80, v0
	s_cbranch_execz .LBB498_16
; %bb.15:
	ds_read2st64_b32 v[2:3], v1 offset1:2
	s_waitcnt lgkmcnt(0)
	v_add_f32_e32 v2, v3, v2
	ds_write_b32 v1, v2
.LBB498_16:
	s_or_b32 exec_lo, exec_lo, s0
	s_mov_b32 s0, exec_lo
	s_waitcnt lgkmcnt(0)
	s_barrier
	buffer_gl0_inv
	v_cmpx_gt_u32_e32 64, v0
	s_cbranch_execz .LBB498_18
; %bb.17:
	ds_read2st64_b32 v[2:3], v1 offset1:1
	s_waitcnt lgkmcnt(0)
	v_add_f32_e32 v2, v3, v2
	ds_write_b32 v1, v2
.LBB498_18:
	s_or_b32 exec_lo, exec_lo, s0
	s_mov_b32 s0, exec_lo
	s_waitcnt lgkmcnt(0)
	s_barrier
	buffer_gl0_inv
	v_cmpx_gt_u32_e32 32, v0
	s_cbranch_execz .LBB498_20
; %bb.19:
	ds_read2_b32 v[2:3], v1 offset1:32
	s_waitcnt lgkmcnt(0)
	v_add_f32_e32 v2, v3, v2
	ds_write_b32 v1, v2
.LBB498_20:
	s_or_b32 exec_lo, exec_lo, s0
	s_mov_b32 s0, exec_lo
	s_waitcnt lgkmcnt(0)
	s_barrier
	buffer_gl0_inv
	v_cmpx_gt_u32_e32 16, v0
	s_cbranch_execz .LBB498_22
; %bb.21:
	ds_read2_b32 v[2:3], v1 offset1:16
	s_waitcnt lgkmcnt(0)
	v_add_f32_e32 v2, v3, v2
	ds_write_b32 v1, v2
.LBB498_22:
	;; [unrolled: 13-line block ×5, first 2 shown]
	s_or_b32 exec_lo, exec_lo, s0
	v_cmp_eq_u32_e32 vcc_lo, 0, v0
	s_waitcnt lgkmcnt(0)
	s_barrier
	buffer_gl0_inv
	s_and_saveexec_b32 s0, vcc_lo
	s_cbranch_execz .LBB498_30
; %bb.29:
	v_mov_b32_e32 v2, 0
	ds_read_b64 v[0:1], v2
	s_waitcnt lgkmcnt(0)
	v_add_f32_e32 v0, v1, v0
	ds_write_b32 v2, v0
.LBB498_30:
	s_or_b32 exec_lo, exec_lo, s0
	s_waitcnt lgkmcnt(0)
	s_barrier
	buffer_gl0_inv
                                        ; implicit-def: $vgpr1
                                        ; implicit-def: $sgpr2_sgpr3
	s_and_saveexec_b32 s0, vcc_lo
	s_cbranch_execz .LBB498_34
; %bb.31:
	v_mov_b32_e32 v0, 0
	v_cmp_eq_f32_e64 s1, s20, 0
	s_mul_hi_i32 s3, s25, s6
	s_mul_i32 s2, s25, s6
	ds_read_b32 v0, v0
	s_and_b32 vcc_lo, exec_lo, s1
	s_waitcnt lgkmcnt(0)
	v_mul_f32_e32 v1, s24, v0
	s_cbranch_vccnz .LBB498_33
; %bb.32:
	s_lshl_b64 s[4:5], s[2:3], 2
	s_add_u32 s4, s18, s4
	s_addc_u32 s5, s19, s5
	s_load_dword s1, s[4:5], 0x0
	s_waitcnt lgkmcnt(0)
	v_fmac_f32_e64 v1, s20, s1
.LBB498_33:
	s_or_b32 s21, s21, exec_lo
.LBB498_34:
	s_or_b32 exec_lo, exec_lo, s0
.LBB498_35:
	s_and_saveexec_b32 s0, s21
	s_cbranch_execz .LBB498_37
; %bb.36:
	s_lshl_b64 s[0:1], s[2:3], 2
	v_mov_b32_e32 v0, 0
	s_add_u32 s0, s18, s0
	s_addc_u32 s1, s19, s1
	global_store_dword v0, v1, s[0:1]
.LBB498_37:
	s_endpgm
	.section	.rodata,"a",@progbits
	.p2align	6, 0x0
	.amdhsa_kernel _ZL20rocblas_gemvt_kernelILb1ELi256EDF16_PKffEviiT2_lPKT1_lilS5_lilS2_lPT3_lili
		.amdhsa_group_segment_fixed_size 1024
		.amdhsa_private_segment_fixed_size 0
		.amdhsa_kernarg_size 140
		.amdhsa_user_sgpr_count 6
		.amdhsa_user_sgpr_private_segment_buffer 1
		.amdhsa_user_sgpr_dispatch_ptr 0
		.amdhsa_user_sgpr_queue_ptr 0
		.amdhsa_user_sgpr_kernarg_segment_ptr 1
		.amdhsa_user_sgpr_dispatch_id 0
		.amdhsa_user_sgpr_flat_scratch_init 0
		.amdhsa_user_sgpr_private_segment_size 0
		.amdhsa_wavefront_size32 1
		.amdhsa_uses_dynamic_stack 0
		.amdhsa_system_sgpr_private_segment_wavefront_offset 0
		.amdhsa_system_sgpr_workgroup_id_x 1
		.amdhsa_system_sgpr_workgroup_id_y 0
		.amdhsa_system_sgpr_workgroup_id_z 1
		.amdhsa_system_sgpr_workgroup_info 0
		.amdhsa_system_vgpr_workitem_id 0
		.amdhsa_next_free_vgpr 10
		.amdhsa_next_free_sgpr 26
		.amdhsa_reserve_vcc 1
		.amdhsa_reserve_flat_scratch 0
		.amdhsa_float_round_mode_32 0
		.amdhsa_float_round_mode_16_64 0
		.amdhsa_float_denorm_mode_32 3
		.amdhsa_float_denorm_mode_16_64 3
		.amdhsa_dx10_clamp 1
		.amdhsa_ieee_mode 1
		.amdhsa_fp16_overflow 0
		.amdhsa_workgroup_processor_mode 1
		.amdhsa_memory_ordered 1
		.amdhsa_forward_progress 1
		.amdhsa_shared_vgpr_count 0
		.amdhsa_exception_fp_ieee_invalid_op 0
		.amdhsa_exception_fp_denorm_src 0
		.amdhsa_exception_fp_ieee_div_zero 0
		.amdhsa_exception_fp_ieee_overflow 0
		.amdhsa_exception_fp_ieee_underflow 0
		.amdhsa_exception_fp_ieee_inexact 0
		.amdhsa_exception_int_div_zero 0
	.end_amdhsa_kernel
	.section	.text._ZL20rocblas_gemvt_kernelILb1ELi256EDF16_PKffEviiT2_lPKT1_lilS5_lilS2_lPT3_lili,"axG",@progbits,_ZL20rocblas_gemvt_kernelILb1ELi256EDF16_PKffEviiT2_lPKT1_lilS5_lilS2_lPT3_lili,comdat
.Lfunc_end498:
	.size	_ZL20rocblas_gemvt_kernelILb1ELi256EDF16_PKffEviiT2_lPKT1_lilS5_lilS2_lPT3_lili, .Lfunc_end498-_ZL20rocblas_gemvt_kernelILb1ELi256EDF16_PKffEviiT2_lPKT1_lilS5_lilS2_lPT3_lili
                                        ; -- End function
	.set _ZL20rocblas_gemvt_kernelILb1ELi256EDF16_PKffEviiT2_lPKT1_lilS5_lilS2_lPT3_lili.num_vgpr, 10
	.set _ZL20rocblas_gemvt_kernelILb1ELi256EDF16_PKffEviiT2_lPKT1_lilS5_lilS2_lPT3_lili.num_agpr, 0
	.set _ZL20rocblas_gemvt_kernelILb1ELi256EDF16_PKffEviiT2_lPKT1_lilS5_lilS2_lPT3_lili.numbered_sgpr, 26
	.set _ZL20rocblas_gemvt_kernelILb1ELi256EDF16_PKffEviiT2_lPKT1_lilS5_lilS2_lPT3_lili.num_named_barrier, 0
	.set _ZL20rocblas_gemvt_kernelILb1ELi256EDF16_PKffEviiT2_lPKT1_lilS5_lilS2_lPT3_lili.private_seg_size, 0
	.set _ZL20rocblas_gemvt_kernelILb1ELi256EDF16_PKffEviiT2_lPKT1_lilS5_lilS2_lPT3_lili.uses_vcc, 1
	.set _ZL20rocblas_gemvt_kernelILb1ELi256EDF16_PKffEviiT2_lPKT1_lilS5_lilS2_lPT3_lili.uses_flat_scratch, 0
	.set _ZL20rocblas_gemvt_kernelILb1ELi256EDF16_PKffEviiT2_lPKT1_lilS5_lilS2_lPT3_lili.has_dyn_sized_stack, 0
	.set _ZL20rocblas_gemvt_kernelILb1ELi256EDF16_PKffEviiT2_lPKT1_lilS5_lilS2_lPT3_lili.has_recursion, 0
	.set _ZL20rocblas_gemvt_kernelILb1ELi256EDF16_PKffEviiT2_lPKT1_lilS5_lilS2_lPT3_lili.has_indirect_call, 0
	.section	.AMDGPU.csdata,"",@progbits
; Kernel info:
; codeLenInByte = 1468
; TotalNumSgprs: 28
; NumVgprs: 10
; ScratchSize: 0
; MemoryBound: 0
; FloatMode: 240
; IeeeMode: 1
; LDSByteSize: 1024 bytes/workgroup (compile time only)
; SGPRBlocks: 0
; VGPRBlocks: 1
; NumSGPRsForWavesPerEU: 28
; NumVGPRsForWavesPerEU: 10
; Occupancy: 16
; WaveLimiterHint : 1
; COMPUTE_PGM_RSRC2:SCRATCH_EN: 0
; COMPUTE_PGM_RSRC2:USER_SGPR: 6
; COMPUTE_PGM_RSRC2:TRAP_HANDLER: 0
; COMPUTE_PGM_RSRC2:TGID_X_EN: 1
; COMPUTE_PGM_RSRC2:TGID_Y_EN: 0
; COMPUTE_PGM_RSRC2:TGID_Z_EN: 1
; COMPUTE_PGM_RSRC2:TIDIG_COMP_CNT: 0
	.section	.text._ZL20rocblas_gemvt_kernelILb1ELi256EDF16_ffEviiT2_lPKT1_lilS3_lilS0_lPT3_lili,"axG",@progbits,_ZL20rocblas_gemvt_kernelILb1ELi256EDF16_ffEviiT2_lPKT1_lilS3_lilS0_lPT3_lili,comdat
	.globl	_ZL20rocblas_gemvt_kernelILb1ELi256EDF16_ffEviiT2_lPKT1_lilS3_lilS0_lPT3_lili ; -- Begin function _ZL20rocblas_gemvt_kernelILb1ELi256EDF16_ffEviiT2_lPKT1_lilS3_lilS0_lPT3_lili
	.p2align	8
	.type	_ZL20rocblas_gemvt_kernelILb1ELi256EDF16_ffEviiT2_lPKT1_lilS3_lilS0_lPT3_lili,@function
_ZL20rocblas_gemvt_kernelILb1ELi256EDF16_ffEviiT2_lPKT1_lilS3_lilS0_lPT3_lili: ; @_ZL20rocblas_gemvt_kernelILb1ELi256EDF16_ffEviiT2_lPKT1_lilS3_lilS0_lPT3_lili
; %bb.0:
	s_clause 0x1
	s_load_dword s18, s[4:5], 0x8
	s_load_dword s16, s[4:5], 0x58
	s_mov_b32 s17, 0
	s_waitcnt lgkmcnt(0)
	v_cmp_eq_f32_e64 s0, s18, 0
	v_cmp_eq_f32_e64 s1, s16, 1.0
	s_and_b32 s0, s0, s1
	s_and_b32 vcc_lo, exec_lo, s0
	s_cbranch_vccnz .LBB499_37
; %bb.1:
	s_clause 0x2
	s_load_dwordx2 s[8:9], s[4:5], 0x80
	s_load_dwordx4 s[0:3], s[4:5], 0x68
	s_load_dword s19, s[4:5], 0x78
	s_waitcnt lgkmcnt(0)
	s_mul_i32 s9, s9, s7
	s_mul_hi_u32 s10, s8, s7
	s_mul_i32 s8, s8, s7
	s_add_i32 s9, s10, s9
	v_cmp_neq_f32_e64 s10, s18, 0
	s_lshl_b64 s[8:9], s[8:9], 2
	s_add_u32 s8, s0, s8
	s_addc_u32 s9, s1, s9
	s_lshl_b64 s[0:1], s[2:3], 2
	s_add_u32 s14, s8, s0
	v_cmp_eq_u32_e64 s0, 0, v0
	s_addc_u32 s15, s9, s1
	s_and_b32 vcc_lo, exec_lo, s10
	s_cbranch_vccnz .LBB499_5
; %bb.2:
	s_mov_b32 s1, 0
                                        ; implicit-def: $vgpr1
                                        ; implicit-def: $sgpr2_sgpr3
	s_and_saveexec_b32 s8, s0
	s_cbranch_execz .LBB499_6
; %bb.3:
	v_cmp_eq_f32_e64 s0, s16, 0
	s_mul_hi_i32 s3, s19, s6
	s_mul_i32 s2, s19, s6
	s_and_b32 vcc_lo, exec_lo, s0
	s_cbranch_vccnz .LBB499_7
; %bb.4:
	s_lshl_b64 s[10:11], s[2:3], 2
	s_add_u32 s10, s14, s10
	s_addc_u32 s11, s15, s11
	s_load_dword s0, s[10:11], 0x0
	s_waitcnt lgkmcnt(0)
	v_mul_f32_e64 v1, s16, s0
	s_branch .LBB499_8
.LBB499_5:
                                        ; implicit-def: $vgpr1
                                        ; implicit-def: $sgpr2_sgpr3
	s_cbranch_execnz .LBB499_9
	s_branch .LBB499_35
.LBB499_6:
	s_or_b32 exec_lo, exec_lo, s8
	s_and_b32 vcc_lo, exec_lo, s1
	s_cbranch_vccnz .LBB499_9
	s_branch .LBB499_35
.LBB499_7:
	v_mov_b32_e32 v1, 0
.LBB499_8:
	s_mov_b32 s17, exec_lo
	s_or_b32 exec_lo, exec_lo, s8
	s_and_b32 vcc_lo, exec_lo, s1
	s_cbranch_vccz .LBB499_35
.LBB499_9:
	s_clause 0x6
	s_load_dwordx2 s[10:11], s[4:5], 0x50
	s_load_dwordx4 s[0:3], s[4:5], 0x30
	s_load_dword s20, s[4:5], 0x0
	s_load_dword s12, s[4:5], 0x28
	s_load_dwordx4 s[24:27], s[4:5], 0x18
	s_load_dwordx2 s[8:9], s[4:5], 0x40
	s_load_dword s4, s[4:5], 0x48
	v_mov_b32_e32 v7, 0
	s_waitcnt lgkmcnt(0)
	s_mul_i32 s5, s11, s7
	s_mul_i32 s1, s1, s7
	v_cmp_gt_i32_e32 vcc_lo, s20, v0
	s_mul_hi_u32 s21, s0, s7
	s_mul_i32 s0, s0, s7
	s_add_i32 s1, s21, s1
	s_mul_hi_u32 s11, s10, s7
	v_cndmask_b32_e32 v1, 0, v0, vcc_lo
	s_lshl_b64 s[0:1], s[0:1], 1
	s_add_i32 s11, s11, s5
	s_add_u32 s5, s24, s0
	s_mul_i32 s10, s10, s7
	v_lshlrev_b32_e32 v1, 1, v1
	s_addc_u32 s7, s25, s1
	s_lshl_b64 s[0:1], s[26:27], 1
	s_mul_hi_i32 s13, s12, s6
	s_add_u32 s5, s5, s0
	s_addc_u32 s7, s7, s1
	v_add_co_u32 v1, s5, s5, v1
	s_mul_i32 s12, s12, s6
	v_add_co_ci_u32_e64 v2, null, s7, 0, s5
	s_ashr_i32 s21, s20, 31
	s_lshl_b64 s[0:1], s[12:13], 1
	s_lshr_b32 s12, s21, 24
	v_add_co_u32 v1, vcc_lo, v1, s0
	s_add_i32 s5, s20, s12
	v_add_co_ci_u32_e64 v2, null, s1, v2, vcc_lo
	s_and_b32 s0, s5, 0xffffff00
	s_cmpk_lt_i32 s20, 0x100
	s_mov_b32 s1, 0
	s_cbranch_scc1 .LBB499_12
; %bb.10:
	v_mad_i64_i32 v[3:4], null, s4, v0, 0
	s_lshl_b64 s[22:23], s[8:9], 1
	s_ashr_i32 s5, s4, 31
	s_lshl_b64 s[12:13], s[10:11], 1
	s_add_u32 s7, s2, s22
	s_addc_u32 s21, s3, s23
	s_add_u32 s7, s7, s12
	v_lshlrev_b64 v[3:4], 1, v[3:4]
	s_addc_u32 s12, s21, s13
	v_mov_b32_e32 v6, v2
	v_mov_b32_e32 v7, 0
	v_mov_b32_e32 v5, v1
	v_add_co_u32 v3, vcc_lo, s7, v3
	v_add_co_ci_u32_e64 v4, null, s12, v4, vcc_lo
	s_lshl_b64 s[12:13], s[4:5], 9
	.p2align	6
.LBB499_11:                             ; =>This Inner Loop Header: Depth=1
	global_load_ushort v8, v[5:6], off
	global_load_ushort v9, v[3:4], off
	v_add_co_u32 v3, vcc_lo, v3, s12
	v_add_co_ci_u32_e64 v4, null, s13, v4, vcc_lo
	v_add_co_u32 v5, vcc_lo, 0x200, v5
	v_add_co_ci_u32_e64 v6, null, 0, v6, vcc_lo
	s_addk_i32 s1, 0x100
	s_cmp_ge_i32 s1, s0
	s_waitcnt vmcnt(0)
	v_mul_f16_e32 v8, v8, v9
	v_cvt_f32_f16_e32 v8, v8
	v_add_f32_e32 v7, v7, v8
	s_cbranch_scc0 .LBB499_11
.LBB499_12:
	v_add_nc_u32_e32 v3, s0, v0
	s_mov_b32 s5, exec_lo
	v_cmpx_gt_i32_e64 s20, v3
	s_cbranch_execz .LBB499_14
; %bb.13:
	v_mad_i64_i32 v[3:4], null, s4, v3, 0
	s_lshl_b64 s[10:11], s[10:11], 1
	s_add_u32 s1, s2, s10
	s_addc_u32 s7, s3, s11
	s_lshl_b64 s[2:3], s[8:9], 1
	s_add_u32 s2, s1, s2
	s_addc_u32 s3, s7, s3
	s_ashr_i32 s1, s0, 31
	v_lshlrev_b64 v[3:4], 1, v[3:4]
	s_lshl_b64 s[0:1], s[0:1], 1
	v_add_co_u32 v1, vcc_lo, v1, s0
	v_add_co_ci_u32_e64 v2, null, s1, v2, vcc_lo
	v_add_co_u32 v3, vcc_lo, s2, v3
	v_add_co_ci_u32_e64 v4, null, s3, v4, vcc_lo
	global_load_ushort v1, v[1:2], off
	global_load_ushort v2, v[3:4], off
	s_waitcnt vmcnt(0)
	v_mul_f16_e32 v1, v1, v2
	v_cvt_f32_f16_e32 v1, v1
	v_add_f32_e32 v7, v7, v1
.LBB499_14:
	s_or_b32 exec_lo, exec_lo, s5
	v_lshlrev_b32_e32 v1, 2, v0
	s_mov_b32 s0, exec_lo
	ds_write_b32 v1, v7
	s_waitcnt lgkmcnt(0)
	s_barrier
	buffer_gl0_inv
	v_cmpx_gt_u32_e32 0x80, v0
	s_cbranch_execz .LBB499_16
; %bb.15:
	ds_read2st64_b32 v[2:3], v1 offset1:2
	s_waitcnt lgkmcnt(0)
	v_add_f32_e32 v2, v3, v2
	ds_write_b32 v1, v2
.LBB499_16:
	s_or_b32 exec_lo, exec_lo, s0
	s_mov_b32 s0, exec_lo
	s_waitcnt lgkmcnt(0)
	s_barrier
	buffer_gl0_inv
	v_cmpx_gt_u32_e32 64, v0
	s_cbranch_execz .LBB499_18
; %bb.17:
	ds_read2st64_b32 v[2:3], v1 offset1:1
	s_waitcnt lgkmcnt(0)
	v_add_f32_e32 v2, v3, v2
	ds_write_b32 v1, v2
.LBB499_18:
	s_or_b32 exec_lo, exec_lo, s0
	s_mov_b32 s0, exec_lo
	s_waitcnt lgkmcnt(0)
	s_barrier
	buffer_gl0_inv
	v_cmpx_gt_u32_e32 32, v0
	s_cbranch_execz .LBB499_20
; %bb.19:
	ds_read2_b32 v[2:3], v1 offset1:32
	s_waitcnt lgkmcnt(0)
	v_add_f32_e32 v2, v3, v2
	ds_write_b32 v1, v2
.LBB499_20:
	s_or_b32 exec_lo, exec_lo, s0
	s_mov_b32 s0, exec_lo
	s_waitcnt lgkmcnt(0)
	s_barrier
	buffer_gl0_inv
	v_cmpx_gt_u32_e32 16, v0
	s_cbranch_execz .LBB499_22
; %bb.21:
	ds_read2_b32 v[2:3], v1 offset1:16
	s_waitcnt lgkmcnt(0)
	v_add_f32_e32 v2, v3, v2
	ds_write_b32 v1, v2
.LBB499_22:
	;; [unrolled: 13-line block ×5, first 2 shown]
	s_or_b32 exec_lo, exec_lo, s0
	v_cmp_eq_u32_e32 vcc_lo, 0, v0
	s_waitcnt lgkmcnt(0)
	s_barrier
	buffer_gl0_inv
	s_and_saveexec_b32 s0, vcc_lo
	s_cbranch_execz .LBB499_30
; %bb.29:
	v_mov_b32_e32 v2, 0
	ds_read_b64 v[0:1], v2
	s_waitcnt lgkmcnt(0)
	v_add_f32_e32 v0, v1, v0
	ds_write_b32 v2, v0
.LBB499_30:
	s_or_b32 exec_lo, exec_lo, s0
	s_waitcnt lgkmcnt(0)
	s_barrier
	buffer_gl0_inv
                                        ; implicit-def: $vgpr1
                                        ; implicit-def: $sgpr2_sgpr3
	s_and_saveexec_b32 s0, vcc_lo
	s_cbranch_execz .LBB499_34
; %bb.31:
	v_mov_b32_e32 v0, 0
	v_cmp_eq_f32_e64 s1, s16, 0
	s_mul_hi_i32 s3, s19, s6
	s_mul_i32 s2, s19, s6
	ds_read_b32 v0, v0
	s_and_b32 vcc_lo, exec_lo, s1
	s_waitcnt lgkmcnt(0)
	v_mul_f32_e32 v1, s18, v0
	s_cbranch_vccnz .LBB499_33
; %bb.32:
	s_lshl_b64 s[4:5], s[2:3], 2
	s_add_u32 s4, s14, s4
	s_addc_u32 s5, s15, s5
	s_load_dword s1, s[4:5], 0x0
	s_waitcnt lgkmcnt(0)
	v_fmac_f32_e64 v1, s16, s1
.LBB499_33:
	s_or_b32 s17, s17, exec_lo
.LBB499_34:
	s_or_b32 exec_lo, exec_lo, s0
.LBB499_35:
	s_and_saveexec_b32 s0, s17
	s_cbranch_execz .LBB499_37
; %bb.36:
	s_lshl_b64 s[0:1], s[2:3], 2
	v_mov_b32_e32 v0, 0
	s_add_u32 s0, s14, s0
	s_addc_u32 s1, s15, s1
	global_store_dword v0, v1, s[0:1]
.LBB499_37:
	s_endpgm
	.section	.rodata,"a",@progbits
	.p2align	6, 0x0
	.amdhsa_kernel _ZL20rocblas_gemvt_kernelILb1ELi256EDF16_ffEviiT2_lPKT1_lilS3_lilS0_lPT3_lili
		.amdhsa_group_segment_fixed_size 1024
		.amdhsa_private_segment_fixed_size 0
		.amdhsa_kernarg_size 140
		.amdhsa_user_sgpr_count 6
		.amdhsa_user_sgpr_private_segment_buffer 1
		.amdhsa_user_sgpr_dispatch_ptr 0
		.amdhsa_user_sgpr_queue_ptr 0
		.amdhsa_user_sgpr_kernarg_segment_ptr 1
		.amdhsa_user_sgpr_dispatch_id 0
		.amdhsa_user_sgpr_flat_scratch_init 0
		.amdhsa_user_sgpr_private_segment_size 0
		.amdhsa_wavefront_size32 1
		.amdhsa_uses_dynamic_stack 0
		.amdhsa_system_sgpr_private_segment_wavefront_offset 0
		.amdhsa_system_sgpr_workgroup_id_x 1
		.amdhsa_system_sgpr_workgroup_id_y 0
		.amdhsa_system_sgpr_workgroup_id_z 1
		.amdhsa_system_sgpr_workgroup_info 0
		.amdhsa_system_vgpr_workitem_id 0
		.amdhsa_next_free_vgpr 10
		.amdhsa_next_free_sgpr 28
		.amdhsa_reserve_vcc 1
		.amdhsa_reserve_flat_scratch 0
		.amdhsa_float_round_mode_32 0
		.amdhsa_float_round_mode_16_64 0
		.amdhsa_float_denorm_mode_32 3
		.amdhsa_float_denorm_mode_16_64 3
		.amdhsa_dx10_clamp 1
		.amdhsa_ieee_mode 1
		.amdhsa_fp16_overflow 0
		.amdhsa_workgroup_processor_mode 1
		.amdhsa_memory_ordered 1
		.amdhsa_forward_progress 1
		.amdhsa_shared_vgpr_count 0
		.amdhsa_exception_fp_ieee_invalid_op 0
		.amdhsa_exception_fp_denorm_src 0
		.amdhsa_exception_fp_ieee_div_zero 0
		.amdhsa_exception_fp_ieee_overflow 0
		.amdhsa_exception_fp_ieee_underflow 0
		.amdhsa_exception_fp_ieee_inexact 0
		.amdhsa_exception_int_div_zero 0
	.end_amdhsa_kernel
	.section	.text._ZL20rocblas_gemvt_kernelILb1ELi256EDF16_ffEviiT2_lPKT1_lilS3_lilS0_lPT3_lili,"axG",@progbits,_ZL20rocblas_gemvt_kernelILb1ELi256EDF16_ffEviiT2_lPKT1_lilS3_lilS0_lPT3_lili,comdat
.Lfunc_end499:
	.size	_ZL20rocblas_gemvt_kernelILb1ELi256EDF16_ffEviiT2_lPKT1_lilS3_lilS0_lPT3_lili, .Lfunc_end499-_ZL20rocblas_gemvt_kernelILb1ELi256EDF16_ffEviiT2_lPKT1_lilS3_lilS0_lPT3_lili
                                        ; -- End function
	.set _ZL20rocblas_gemvt_kernelILb1ELi256EDF16_ffEviiT2_lPKT1_lilS3_lilS0_lPT3_lili.num_vgpr, 10
	.set _ZL20rocblas_gemvt_kernelILb1ELi256EDF16_ffEviiT2_lPKT1_lilS3_lilS0_lPT3_lili.num_agpr, 0
	.set _ZL20rocblas_gemvt_kernelILb1ELi256EDF16_ffEviiT2_lPKT1_lilS3_lilS0_lPT3_lili.numbered_sgpr, 28
	.set _ZL20rocblas_gemvt_kernelILb1ELi256EDF16_ffEviiT2_lPKT1_lilS3_lilS0_lPT3_lili.num_named_barrier, 0
	.set _ZL20rocblas_gemvt_kernelILb1ELi256EDF16_ffEviiT2_lPKT1_lilS3_lilS0_lPT3_lili.private_seg_size, 0
	.set _ZL20rocblas_gemvt_kernelILb1ELi256EDF16_ffEviiT2_lPKT1_lilS3_lilS0_lPT3_lili.uses_vcc, 1
	.set _ZL20rocblas_gemvt_kernelILb1ELi256EDF16_ffEviiT2_lPKT1_lilS3_lilS0_lPT3_lili.uses_flat_scratch, 0
	.set _ZL20rocblas_gemvt_kernelILb1ELi256EDF16_ffEviiT2_lPKT1_lilS3_lilS0_lPT3_lili.has_dyn_sized_stack, 0
	.set _ZL20rocblas_gemvt_kernelILb1ELi256EDF16_ffEviiT2_lPKT1_lilS3_lilS0_lPT3_lili.has_recursion, 0
	.set _ZL20rocblas_gemvt_kernelILb1ELi256EDF16_ffEviiT2_lPKT1_lilS3_lilS0_lPT3_lili.has_indirect_call, 0
	.section	.AMDGPU.csdata,"",@progbits
; Kernel info:
; codeLenInByte = 1404
; TotalNumSgprs: 30
; NumVgprs: 10
; ScratchSize: 0
; MemoryBound: 0
; FloatMode: 240
; IeeeMode: 1
; LDSByteSize: 1024 bytes/workgroup (compile time only)
; SGPRBlocks: 0
; VGPRBlocks: 1
; NumSGPRsForWavesPerEU: 30
; NumVGPRsForWavesPerEU: 10
; Occupancy: 16
; WaveLimiterHint : 1
; COMPUTE_PGM_RSRC2:SCRATCH_EN: 0
; COMPUTE_PGM_RSRC2:USER_SGPR: 6
; COMPUTE_PGM_RSRC2:TRAP_HANDLER: 0
; COMPUTE_PGM_RSRC2:TGID_X_EN: 1
; COMPUTE_PGM_RSRC2:TGID_Y_EN: 0
; COMPUTE_PGM_RSRC2:TGID_Z_EN: 1
; COMPUTE_PGM_RSRC2:TIDIG_COMP_CNT: 0
	.section	.text._ZL32rocblas_gemvt_warp_reduce_kernelILb1ELi1024EiDF16_PKffEviiT3_lPKT2_lT1_lS5_lS6_lS2_lPT4_lS6_li,"axG",@progbits,_ZL32rocblas_gemvt_warp_reduce_kernelILb1ELi1024EiDF16_PKffEviiT3_lPKT2_lT1_lS5_lS6_lS2_lPT4_lS6_li,comdat
	.globl	_ZL32rocblas_gemvt_warp_reduce_kernelILb1ELi1024EiDF16_PKffEviiT3_lPKT2_lT1_lS5_lS6_lS2_lPT4_lS6_li ; -- Begin function _ZL32rocblas_gemvt_warp_reduce_kernelILb1ELi1024EiDF16_PKffEviiT3_lPKT2_lT1_lS5_lS6_lS2_lPT4_lS6_li
	.p2align	8
	.type	_ZL32rocblas_gemvt_warp_reduce_kernelILb1ELi1024EiDF16_PKffEviiT3_lPKT2_lT1_lS5_lS6_lS2_lPT4_lS6_li,@function
_ZL32rocblas_gemvt_warp_reduce_kernelILb1ELi1024EiDF16_PKffEviiT3_lPKT2_lT1_lS5_lS6_lS2_lPT4_lS6_li: ; @_ZL32rocblas_gemvt_warp_reduce_kernelILb1ELi1024EiDF16_PKffEviiT3_lPKT2_lT1_lS5_lS6_lS2_lPT4_lS6_li
; %bb.0:
	s_clause 0x1
	s_load_dwordx8 s[8:15], s[4:5], 0x8
	s_load_dwordx8 s[16:23], s[4:5], 0x50
	s_waitcnt lgkmcnt(0)
	s_mul_i32 s1, s11, s7
	s_mul_hi_u32 s2, s10, s7
	s_mul_i32 s0, s10, s7
	s_add_i32 s1, s2, s1
	s_mul_i32 s2, s21, s7
	s_lshl_b64 s[0:1], s[0:1], 2
	s_mul_hi_u32 s3, s20, s7
	s_add_u32 s0, s8, s0
	s_addc_u32 s1, s9, s1
	s_add_i32 s3, s3, s2
	s_mul_i32 s2, s20, s7
	s_mov_b32 s10, 0
	s_lshl_b64 s[2:3], s[2:3], 2
	s_add_u32 s2, s18, s2
	s_addc_u32 s3, s19, s3
	s_load_dword s11, s[0:1], 0x0
	s_load_dword s9, s[2:3], 0x0
	s_waitcnt lgkmcnt(0)
	v_cmp_eq_f32_e64 s0, s11, 0
	v_cmp_eq_f32_e64 s1, s9, 1.0
	s_and_b32 s0, s0, s1
	s_and_b32 vcc_lo, exec_lo, s0
	s_cbranch_vccnz .LBB500_30
; %bb.1:
	s_clause 0x2
	s_load_dwordx2 s[0:1], s[4:5], 0x80
	s_load_dwordx2 s[2:3], s[4:5], 0x70
	s_load_dword s18, s[4:5], 0x78
	v_cmp_neq_f32_e64 s19, s11, 0
	s_waitcnt lgkmcnt(0)
	s_mul_i32 s1, s1, s7
	s_mul_hi_u32 s8, s0, s7
	s_mul_i32 s0, s0, s7
	s_add_i32 s1, s8, s1
	s_lshl_b64 s[0:1], s[0:1], 2
	s_add_u32 s0, s22, s0
	s_addc_u32 s8, s23, s1
	s_lshl_b64 s[2:3], s[2:3], 2
	s_add_u32 s1, s0, s2
	v_cmp_eq_u32_e64 s0, 0, v0
	s_addc_u32 s8, s8, s3
	s_and_b32 vcc_lo, exec_lo, s19
	s_cbranch_vccnz .LBB500_5
; %bb.2:
	s_mov_b32 s19, 0
                                        ; implicit-def: $vgpr1
                                        ; implicit-def: $sgpr2_sgpr3
	s_and_saveexec_b32 s20, s0
	s_cbranch_execz .LBB500_6
; %bb.3:
	v_cmp_eq_f32_e64 s0, s9, 0
	s_mul_i32 s2, s18, s6
	s_ashr_i32 s3, s2, 31
	s_and_b32 vcc_lo, exec_lo, s0
	s_cbranch_vccnz .LBB500_7
; %bb.4:
	s_lshl_b64 s[22:23], s[2:3], 2
	s_add_u32 s22, s1, s22
	s_addc_u32 s23, s8, s23
	s_load_dword s0, s[22:23], 0x0
	s_waitcnt lgkmcnt(0)
	v_mul_f32_e64 v1, s9, s0
	s_branch .LBB500_8
.LBB500_5:
                                        ; implicit-def: $vgpr1
                                        ; implicit-def: $sgpr2_sgpr3
	s_cbranch_execnz .LBB500_9
	s_branch .LBB500_28
.LBB500_6:
	s_or_b32 exec_lo, exec_lo, s20
	s_and_b32 vcc_lo, exec_lo, s19
	s_cbranch_vccnz .LBB500_9
	s_branch .LBB500_28
.LBB500_7:
	v_mov_b32_e32 v1, 0
.LBB500_8:
	s_mov_b32 s10, exec_lo
	s_or_b32 exec_lo, exec_lo, s20
	s_and_b32 vcc_lo, exec_lo, s19
	s_cbranch_vccz .LBB500_28
.LBB500_9:
	s_clause 0x3
	s_load_dwordx4 s[20:23], s[4:5], 0x30
	s_load_dwordx2 s[24:25], s[4:5], 0x40
	s_load_dword s3, s[4:5], 0x0
	s_load_dword s0, s[4:5], 0x28
	s_mul_i32 s2, s17, s7
	s_mul_hi_u32 s17, s16, s7
	s_mul_i32 s16, s16, s7
	s_add_i32 s17, s17, s2
	s_load_dword s4, s[4:5], 0x48
	s_lshl_b64 s[16:17], s[16:17], 1
	v_mov_b32_e32 v7, 0
	s_waitcnt lgkmcnt(0)
	s_add_u32 s2, s22, s16
	s_addc_u32 s22, s23, s17
	v_cmp_gt_i32_e32 vcc_lo, s3, v0
	s_lshl_b64 s[16:17], s[24:25], 1
	s_mul_i32 s19, s21, s7
	s_mul_hi_u32 s21, s20, s7
	s_add_u32 s5, s2, s16
	v_cndmask_b32_e32 v1, 0, v0, vcc_lo
	s_mul_i32 s20, s20, s7
	s_addc_u32 s7, s22, s17
	s_add_i32 s21, s21, s19
	s_lshl_b64 s[16:17], s[20:21], 1
	s_mul_i32 s20, s0, s6
	s_add_u32 s0, s12, s16
	v_lshlrev_b32_e32 v1, 1, v1
	s_addc_u32 s2, s13, s17
	s_lshl_b64 s[12:13], s[14:15], 1
	s_add_u32 s0, s0, s12
	s_addc_u32 s2, s2, s13
	v_add_co_u32 v1, s0, s0, v1
	s_ashr_i32 s12, s3, 31
	s_ashr_i32 s21, s20, 31
	v_add_co_ci_u32_e64 v2, null, s2, 0, s0
	s_lshr_b32 s0, s12, 22
	s_lshl_b64 s[12:13], s[20:21], 1
	s_add_i32 s0, s3, s0
	v_add_co_u32 v1, vcc_lo, v1, s12
	v_add_co_ci_u32_e64 v2, null, s13, v2, vcc_lo
	s_and_b32 s2, s0, 0xfffffc00
	s_mov_b32 s13, 0
	s_mov_b32 s12, exec_lo
	v_cmpx_gt_i32_e64 s2, v0
	s_cbranch_execz .LBB500_13
; %bb.10:
	v_mul_lo_u32 v3, v0, s4
	v_mov_b32_e32 v6, v2
	v_mov_b32_e32 v7, 0
	v_mov_b32_e32 v5, v1
	v_mov_b32_e32 v8, v0
	s_lshl_b32 s14, s4, 10
	.p2align	6
.LBB500_11:                             ; =>This Inner Loop Header: Depth=1
	v_ashrrev_i32_e32 v4, 31, v3
	v_add_nc_u32_e32 v8, 0x400, v8
	v_lshlrev_b64 v[9:10], 1, v[3:4]
	v_cmp_le_i32_e64 s0, s2, v8
	v_add_nc_u32_e32 v3, s14, v3
	s_or_b32 s13, s0, s13
	v_add_co_u32 v9, vcc_lo, s5, v9
	v_add_co_ci_u32_e64 v10, null, s7, v10, vcc_lo
	global_load_ushort v4, v[5:6], off
	global_load_ushort v9, v[9:10], off
	v_add_co_u32 v5, vcc_lo, 0x800, v5
	v_add_co_ci_u32_e64 v6, null, 0, v6, vcc_lo
	s_waitcnt vmcnt(0)
	v_mul_f16_e32 v4, v4, v9
	v_cvt_f32_f16_e32 v4, v4
	v_add_f32_e32 v7, v7, v4
	s_andn2_b32 exec_lo, exec_lo, s13
	s_cbranch_execnz .LBB500_11
; %bb.12:
	s_or_b32 exec_lo, exec_lo, s13
.LBB500_13:
	s_or_b32 exec_lo, exec_lo, s12
	v_or_b32_e32 v3, s2, v0
	s_mov_b32 s0, exec_lo
	v_cmpx_gt_i32_e64 s3, v3
	s_cbranch_execz .LBB500_15
; %bb.14:
	v_mul_lo_u32 v3, s4, v3
	s_ashr_i32 s3, s2, 31
	s_lshl_b64 s[2:3], s[2:3], 1
	v_add_co_u32 v1, vcc_lo, v1, s2
	v_add_co_ci_u32_e64 v2, null, s3, v2, vcc_lo
	v_ashrrev_i32_e32 v4, 31, v3
	v_lshlrev_b64 v[3:4], 1, v[3:4]
	v_add_co_u32 v3, vcc_lo, s5, v3
	v_add_co_ci_u32_e64 v4, null, s7, v4, vcc_lo
	global_load_ushort v1, v[1:2], off
	global_load_ushort v2, v[3:4], off
	s_waitcnt vmcnt(0)
	v_mul_f16_e32 v1, v1, v2
	v_cvt_f32_f16_e32 v1, v1
	v_add_f32_e32 v7, v7, v1
.LBB500_15:
	s_or_b32 exec_lo, exec_lo, s0
	v_and_b32_e32 v8, 31, v0
	v_cmp_gt_u32_e32 vcc_lo, 32, v0
	v_lshlrev_b32_e32 v1, 2, v8
	s_and_saveexec_b32 s0, vcc_lo
; %bb.16:
	v_mov_b32_e32 v2, 0
	ds_write_b32 v1, v2
; %bb.17:
	s_or_b32 exec_lo, exec_lo, s0
	v_mbcnt_lo_u32_b32 v6, -1, 0
	s_mov_b32 s2, exec_lo
	s_waitcnt lgkmcnt(0)
	s_barrier
	buffer_gl0_inv
	v_lshl_or_b32 v2, v6, 2, 64
	v_cmp_gt_u32_e64 s0, 24, v6
	ds_bpermute_b32 v4, v2, v7
	v_cndmask_b32_e64 v3, 0, 8, s0
	v_cmp_gt_u32_e64 s0, 28, v6
	v_add_lshl_u32 v3, v3, v6, 2
	s_waitcnt lgkmcnt(0)
	v_add_f32_e32 v5, v7, v4
	v_cndmask_b32_e64 v4, 0, 4, s0
	v_cmp_gt_u32_e64 s0, 30, v6
	ds_bpermute_b32 v7, v3, v5
	v_add_lshl_u32 v4, v4, v6, 2
	s_waitcnt lgkmcnt(0)
	v_add_f32_e32 v7, v5, v7
	v_cndmask_b32_e64 v5, 0, 2, s0
	v_cmp_ne_u32_e64 s0, 31, v6
	ds_bpermute_b32 v9, v4, v7
	v_add_lshl_u32 v5, v5, v6, 2
	v_add_co_ci_u32_e64 v6, null, 0, v6, s0
	v_lshlrev_b32_e32 v6, 2, v6
	s_waitcnt lgkmcnt(0)
	v_add_f32_e32 v7, v7, v9
	ds_bpermute_b32 v9, v5, v7
	s_waitcnt lgkmcnt(0)
	v_add_f32_e32 v7, v7, v9
	ds_bpermute_b32 v9, v6, v7
	v_cmpx_eq_u32_e32 0, v8
	s_cbranch_execz .LBB500_19
; %bb.18:
	v_lshrrev_b32_e32 v8, 3, v0
	s_waitcnt lgkmcnt(0)
	v_add_f32_e32 v7, v7, v9
	v_and_b32_e32 v8, 0x7c, v8
	ds_write_b32 v8, v7
.LBB500_19:
	s_or_b32 exec_lo, exec_lo, s2
	v_mov_b32_e32 v7, 0
	s_waitcnt lgkmcnt(0)
	s_barrier
	buffer_gl0_inv
	s_and_saveexec_b32 s0, vcc_lo
; %bb.20:
	ds_read_b32 v7, v1
; %bb.21:
	s_or_b32 exec_lo, exec_lo, s0
	s_and_saveexec_b32 s0, vcc_lo
	s_cbranch_execz .LBB500_23
; %bb.22:
	s_waitcnt lgkmcnt(0)
	ds_bpermute_b32 v1, v2, v7
	s_waitcnt lgkmcnt(0)
	v_add_f32_e32 v1, v7, v1
	ds_bpermute_b32 v2, v3, v1
	s_waitcnt lgkmcnt(0)
	v_add_f32_e32 v1, v1, v2
	;; [unrolled: 3-line block ×5, first 2 shown]
.LBB500_23:
	s_or_b32 exec_lo, exec_lo, s0
	s_mov_b32 s0, exec_lo
                                        ; implicit-def: $vgpr1
                                        ; implicit-def: $sgpr2_sgpr3
	v_cmpx_eq_u32_e32 0, v0
	s_cbranch_execz .LBB500_27
; %bb.24:
	v_cmp_eq_f32_e64 s3, s9, 0
	s_waitcnt lgkmcnt(0)
	v_mul_f32_e32 v1, s11, v7
	s_mul_i32 s2, s18, s6
	s_and_b32 vcc_lo, exec_lo, s3
	s_ashr_i32 s3, s2, 31
	s_cbranch_vccnz .LBB500_26
; %bb.25:
	s_lshl_b64 s[4:5], s[2:3], 2
	s_add_u32 s4, s1, s4
	s_addc_u32 s5, s8, s5
	s_load_dword s4, s[4:5], 0x0
	s_waitcnt lgkmcnt(0)
	v_fmac_f32_e64 v1, s9, s4
.LBB500_26:
	s_or_b32 s10, s10, exec_lo
.LBB500_27:
	s_or_b32 exec_lo, exec_lo, s0
.LBB500_28:
	s_and_saveexec_b32 s0, s10
	s_cbranch_execz .LBB500_30
; %bb.29:
	s_lshl_b64 s[2:3], s[2:3], 2
	v_mov_b32_e32 v0, 0
	s_add_u32 s0, s1, s2
	s_addc_u32 s1, s8, s3
	global_store_dword v0, v1, s[0:1]
.LBB500_30:
	s_endpgm
	.section	.rodata,"a",@progbits
	.p2align	6, 0x0
	.amdhsa_kernel _ZL32rocblas_gemvt_warp_reduce_kernelILb1ELi1024EiDF16_PKffEviiT3_lPKT2_lT1_lS5_lS6_lS2_lPT4_lS6_li
		.amdhsa_group_segment_fixed_size 128
		.amdhsa_private_segment_fixed_size 0
		.amdhsa_kernarg_size 140
		.amdhsa_user_sgpr_count 6
		.amdhsa_user_sgpr_private_segment_buffer 1
		.amdhsa_user_sgpr_dispatch_ptr 0
		.amdhsa_user_sgpr_queue_ptr 0
		.amdhsa_user_sgpr_kernarg_segment_ptr 1
		.amdhsa_user_sgpr_dispatch_id 0
		.amdhsa_user_sgpr_flat_scratch_init 0
		.amdhsa_user_sgpr_private_segment_size 0
		.amdhsa_wavefront_size32 1
		.amdhsa_uses_dynamic_stack 0
		.amdhsa_system_sgpr_private_segment_wavefront_offset 0
		.amdhsa_system_sgpr_workgroup_id_x 1
		.amdhsa_system_sgpr_workgroup_id_y 0
		.amdhsa_system_sgpr_workgroup_id_z 1
		.amdhsa_system_sgpr_workgroup_info 0
		.amdhsa_system_vgpr_workitem_id 0
		.amdhsa_next_free_vgpr 11
		.amdhsa_next_free_sgpr 26
		.amdhsa_reserve_vcc 1
		.amdhsa_reserve_flat_scratch 0
		.amdhsa_float_round_mode_32 0
		.amdhsa_float_round_mode_16_64 0
		.amdhsa_float_denorm_mode_32 3
		.amdhsa_float_denorm_mode_16_64 3
		.amdhsa_dx10_clamp 1
		.amdhsa_ieee_mode 1
		.amdhsa_fp16_overflow 0
		.amdhsa_workgroup_processor_mode 1
		.amdhsa_memory_ordered 1
		.amdhsa_forward_progress 1
		.amdhsa_shared_vgpr_count 0
		.amdhsa_exception_fp_ieee_invalid_op 0
		.amdhsa_exception_fp_denorm_src 0
		.amdhsa_exception_fp_ieee_div_zero 0
		.amdhsa_exception_fp_ieee_overflow 0
		.amdhsa_exception_fp_ieee_underflow 0
		.amdhsa_exception_fp_ieee_inexact 0
		.amdhsa_exception_int_div_zero 0
	.end_amdhsa_kernel
	.section	.text._ZL32rocblas_gemvt_warp_reduce_kernelILb1ELi1024EiDF16_PKffEviiT3_lPKT2_lT1_lS5_lS6_lS2_lPT4_lS6_li,"axG",@progbits,_ZL32rocblas_gemvt_warp_reduce_kernelILb1ELi1024EiDF16_PKffEviiT3_lPKT2_lT1_lS5_lS6_lS2_lPT4_lS6_li,comdat
.Lfunc_end500:
	.size	_ZL32rocblas_gemvt_warp_reduce_kernelILb1ELi1024EiDF16_PKffEviiT3_lPKT2_lT1_lS5_lS6_lS2_lPT4_lS6_li, .Lfunc_end500-_ZL32rocblas_gemvt_warp_reduce_kernelILb1ELi1024EiDF16_PKffEviiT3_lPKT2_lT1_lS5_lS6_lS2_lPT4_lS6_li
                                        ; -- End function
	.set _ZL32rocblas_gemvt_warp_reduce_kernelILb1ELi1024EiDF16_PKffEviiT3_lPKT2_lT1_lS5_lS6_lS2_lPT4_lS6_li.num_vgpr, 11
	.set _ZL32rocblas_gemvt_warp_reduce_kernelILb1ELi1024EiDF16_PKffEviiT3_lPKT2_lT1_lS5_lS6_lS2_lPT4_lS6_li.num_agpr, 0
	.set _ZL32rocblas_gemvt_warp_reduce_kernelILb1ELi1024EiDF16_PKffEviiT3_lPKT2_lT1_lS5_lS6_lS2_lPT4_lS6_li.numbered_sgpr, 26
	.set _ZL32rocblas_gemvt_warp_reduce_kernelILb1ELi1024EiDF16_PKffEviiT3_lPKT2_lT1_lS5_lS6_lS2_lPT4_lS6_li.num_named_barrier, 0
	.set _ZL32rocblas_gemvt_warp_reduce_kernelILb1ELi1024EiDF16_PKffEviiT3_lPKT2_lT1_lS5_lS6_lS2_lPT4_lS6_li.private_seg_size, 0
	.set _ZL32rocblas_gemvt_warp_reduce_kernelILb1ELi1024EiDF16_PKffEviiT3_lPKT2_lT1_lS5_lS6_lS2_lPT4_lS6_li.uses_vcc, 1
	.set _ZL32rocblas_gemvt_warp_reduce_kernelILb1ELi1024EiDF16_PKffEviiT3_lPKT2_lT1_lS5_lS6_lS2_lPT4_lS6_li.uses_flat_scratch, 0
	.set _ZL32rocblas_gemvt_warp_reduce_kernelILb1ELi1024EiDF16_PKffEviiT3_lPKT2_lT1_lS5_lS6_lS2_lPT4_lS6_li.has_dyn_sized_stack, 0
	.set _ZL32rocblas_gemvt_warp_reduce_kernelILb1ELi1024EiDF16_PKffEviiT3_lPKT2_lT1_lS5_lS6_lS2_lPT4_lS6_li.has_recursion, 0
	.set _ZL32rocblas_gemvt_warp_reduce_kernelILb1ELi1024EiDF16_PKffEviiT3_lPKT2_lT1_lS5_lS6_lS2_lPT4_lS6_li.has_indirect_call, 0
	.section	.AMDGPU.csdata,"",@progbits
; Kernel info:
; codeLenInByte = 1400
; TotalNumSgprs: 28
; NumVgprs: 11
; ScratchSize: 0
; MemoryBound: 0
; FloatMode: 240
; IeeeMode: 1
; LDSByteSize: 128 bytes/workgroup (compile time only)
; SGPRBlocks: 0
; VGPRBlocks: 1
; NumSGPRsForWavesPerEU: 28
; NumVGPRsForWavesPerEU: 11
; Occupancy: 16
; WaveLimiterHint : 1
; COMPUTE_PGM_RSRC2:SCRATCH_EN: 0
; COMPUTE_PGM_RSRC2:USER_SGPR: 6
; COMPUTE_PGM_RSRC2:TRAP_HANDLER: 0
; COMPUTE_PGM_RSRC2:TGID_X_EN: 1
; COMPUTE_PGM_RSRC2:TGID_Y_EN: 0
; COMPUTE_PGM_RSRC2:TGID_Z_EN: 1
; COMPUTE_PGM_RSRC2:TIDIG_COMP_CNT: 0
	.section	.text._ZL32rocblas_gemvt_warp_reduce_kernelILb1ELi1024ElDF16_PKffEviiT3_lPKT2_lT1_lS5_lS6_lS2_lPT4_lS6_li,"axG",@progbits,_ZL32rocblas_gemvt_warp_reduce_kernelILb1ELi1024ElDF16_PKffEviiT3_lPKT2_lT1_lS5_lS6_lS2_lPT4_lS6_li,comdat
	.globl	_ZL32rocblas_gemvt_warp_reduce_kernelILb1ELi1024ElDF16_PKffEviiT3_lPKT2_lT1_lS5_lS6_lS2_lPT4_lS6_li ; -- Begin function _ZL32rocblas_gemvt_warp_reduce_kernelILb1ELi1024ElDF16_PKffEviiT3_lPKT2_lT1_lS5_lS6_lS2_lPT4_lS6_li
	.p2align	8
	.type	_ZL32rocblas_gemvt_warp_reduce_kernelILb1ELi1024ElDF16_PKffEviiT3_lPKT2_lT1_lS5_lS6_lS2_lPT4_lS6_li,@function
_ZL32rocblas_gemvt_warp_reduce_kernelILb1ELi1024ElDF16_PKffEviiT3_lPKT2_lT1_lS5_lS6_lS2_lPT4_lS6_li: ; @_ZL32rocblas_gemvt_warp_reduce_kernelILb1ELi1024ElDF16_PKffEviiT3_lPKT2_lT1_lS5_lS6_lS2_lPT4_lS6_li
; %bb.0:
	s_clause 0x1
	s_load_dwordx16 s[36:51], s[4:5], 0x8
	s_load_dwordx16 s[8:23], s[4:5], 0x48
	s_waitcnt lgkmcnt(0)
	s_mul_i32 s1, s39, s7
	s_mul_hi_u32 s2, s38, s7
	s_mul_i32 s0, s38, s7
	s_add_i32 s1, s2, s1
	s_mul_i32 s2, s15, s7
	s_lshl_b64 s[0:1], s[0:1], 2
	s_mul_hi_u32 s3, s14, s7
	s_add_u32 s0, s36, s0
	s_addc_u32 s1, s37, s1
	s_add_i32 s3, s3, s2
	s_mul_i32 s2, s14, s7
	s_mov_b32 s14, 0
	s_lshl_b64 s[2:3], s[2:3], 2
	s_add_u32 s2, s12, s2
	s_addc_u32 s3, s13, s3
	s_load_dword s15, s[0:1], 0x0
	s_load_dword s13, s[2:3], 0x0
	s_waitcnt lgkmcnt(0)
	v_cmp_eq_f32_e64 s0, s15, 0
	v_cmp_eq_f32_e64 s1, s13, 1.0
	s_and_b32 s0, s0, s1
	s_and_b32 vcc_lo, exec_lo, s0
	s_cbranch_vccnz .LBB501_30
; %bb.1:
	s_mul_i32 s1, s23, s7
	s_mul_hi_u32 s2, s22, s7
	s_mul_i32 s0, s22, s7
	s_add_i32 s1, s2, s1
	v_cmp_neq_f32_e64 s22, s15, 0
	s_lshl_b64 s[0:1], s[0:1], 2
	s_add_u32 s0, s16, s0
	s_addc_u32 s12, s17, s1
	s_lshl_b64 s[2:3], s[18:19], 2
	s_add_u32 s1, s0, s2
	v_cmp_eq_u32_e64 s0, 0, v0
	s_addc_u32 s12, s12, s3
	s_and_b32 vcc_lo, exec_lo, s22
	s_cbranch_vccnz .LBB501_5
; %bb.2:
	s_mov_b32 s16, 0
                                        ; implicit-def: $vgpr1
                                        ; implicit-def: $sgpr2_sgpr3
	s_and_saveexec_b32 s17, s0
	s_cbranch_execz .LBB501_6
; %bb.3:
	s_ashr_i32 s2, s6, 31
	v_cmp_eq_f32_e64 s0, s13, 0
	s_mul_hi_u32 s3, s20, s6
	s_mul_i32 s2, s20, s2
	s_mul_i32 s14, s21, s6
	s_add_i32 s2, s3, s2
	s_and_b32 vcc_lo, exec_lo, s0
	s_add_i32 s3, s2, s14
	s_mul_i32 s2, s20, s6
	s_cbranch_vccnz .LBB501_7
; %bb.4:
	s_lshl_b64 s[18:19], s[2:3], 2
	s_add_u32 s18, s1, s18
	s_addc_u32 s19, s12, s19
	s_load_dword s0, s[18:19], 0x0
	s_waitcnt lgkmcnt(0)
	v_mul_f32_e64 v1, s13, s0
	s_branch .LBB501_8
.LBB501_5:
                                        ; implicit-def: $vgpr1
                                        ; implicit-def: $sgpr2_sgpr3
	s_cbranch_execnz .LBB501_9
	s_branch .LBB501_28
.LBB501_6:
	s_or_b32 exec_lo, exec_lo, s17
	s_and_b32 vcc_lo, exec_lo, s16
	s_cbranch_vccnz .LBB501_9
	s_branch .LBB501_28
.LBB501_7:
	v_mov_b32_e32 v1, 0
.LBB501_8:
	s_mov_b32 s14, exec_lo
	s_or_b32 exec_lo, exec_lo, s17
	s_and_b32 vcc_lo, exec_lo, s16
	s_cbranch_vccz .LBB501_28
.LBB501_9:
	s_load_dword s5, s[4:5], 0x0
	s_mul_i32 s0, s11, s7
	s_mul_i32 s3, s47, s7
	s_mul_hi_u32 s11, s46, s7
	s_mul_i32 s2, s46, s7
	s_add_i32 s3, s11, s3
	s_mul_hi_u32 s4, s10, s7
	s_lshl_b64 s[16:17], s[2:3], 1
	s_add_i32 s3, s4, s0
	s_add_u32 s0, s40, s16
	s_addc_u32 s2, s41, s17
	s_lshl_b64 s[16:17], s[42:43], 1
	s_mul_hi_u32 s4, s44, s6
	s_add_u32 s0, s0, s16
	s_addc_u32 s2, s2, s17
	s_ashr_i32 s16, s6, 31
	s_mul_i32 s11, s45, s6
	s_mul_i32 s17, s44, s16
	;; [unrolled: 1-line block ×3, first 2 shown]
	s_add_i32 s4, s4, s17
	s_waitcnt lgkmcnt(0)
	v_cmp_gt_i32_e32 vcc_lo, s5, v0
	s_add_i32 s19, s4, s11
	s_ashr_i32 s4, s5, 31
	s_lshl_b64 s[18:19], s[18:19], 1
	s_lshr_b32 s4, s4, 22
	v_cndmask_b32_e32 v1, 0, v0, vcc_lo
	v_mov_b32_e32 v7, 0
	s_add_i32 s4, s5, s4
	s_mov_b32 s17, 0
	s_and_b32 s4, s4, 0xfffffc00
	v_lshlrev_b32_e32 v1, 1, v1
	v_add_co_u32 v1, s0, s0, v1
	v_add_co_ci_u32_e64 v2, null, s2, 0, s0
	s_mul_i32 s2, s10, s7
	v_add_co_u32 v1, vcc_lo, v1, s18
	v_add_co_ci_u32_e64 v2, null, s19, v2, vcc_lo
	s_mov_b32 s7, exec_lo
	v_cmpx_gt_i32_e64 s4, v0
	s_cbranch_execz .LBB501_13
; %bb.10:
	v_mad_u64_u32 v[5:6], null, s8, v0, 0
	s_lshl_b64 s[18:19], s[50:51], 1
	s_lshl_b64 s[10:11], s[2:3], 1
	s_add_u32 s0, s48, s18
	s_addc_u32 s18, s49, s19
	s_add_u32 s0, s0, s10
	s_addc_u32 s10, s18, s11
	v_mov_b32_e32 v3, v6
	v_mov_b32_e32 v7, 0
	;; [unrolled: 1-line block ×3, first 2 shown]
	v_mad_u64_u32 v[3:4], null, s9, v0, v[3:4]
	v_mov_b32_e32 v6, v3
	v_mov_b32_e32 v4, v2
	;; [unrolled: 1-line block ×3, first 2 shown]
	v_lshlrev_b64 v[5:6], 1, v[5:6]
	v_add_co_u32 v5, vcc_lo, s0, v5
	v_add_co_ci_u32_e64 v6, null, s10, v6, vcc_lo
	s_lshl_b64 s[10:11], s[8:9], 11
	.p2align	6
.LBB501_11:                             ; =>This Inner Loop Header: Depth=1
	global_load_ushort v9, v[3:4], off
	global_load_ushort v10, v[5:6], off
	v_add_nc_u32_e32 v8, 0x400, v8
	v_add_co_u32 v3, vcc_lo, 0x800, v3
	v_add_co_ci_u32_e64 v4, null, 0, v4, vcc_lo
	v_add_co_u32 v5, vcc_lo, v5, s10
	v_cmp_le_i32_e64 s0, s4, v8
	v_add_co_ci_u32_e64 v6, null, s11, v6, vcc_lo
	s_or_b32 s17, s0, s17
	s_waitcnt vmcnt(0)
	v_mul_f16_e32 v9, v9, v10
	v_cvt_f32_f16_e32 v9, v9
	v_add_f32_e32 v7, v7, v9
	s_andn2_b32 exec_lo, exec_lo, s17
	s_cbranch_execnz .LBB501_11
; %bb.12:
	s_or_b32 exec_lo, exec_lo, s17
.LBB501_13:
	s_or_b32 exec_lo, exec_lo, s7
	v_or_b32_e32 v3, s4, v0
	s_mov_b32 s0, exec_lo
	v_cmpx_gt_i32_e64 s5, v3
	s_cbranch_execz .LBB501_15
; %bb.14:
	v_ashrrev_i32_e32 v5, 31, v3
	v_mul_lo_u32 v6, s9, v3
	v_mad_u64_u32 v[3:4], null, s8, v3, 0
	s_lshl_b64 s[2:3], s[2:3], 1
	v_mul_lo_u32 v5, s8, v5
	s_add_u32 s5, s48, s2
	s_addc_u32 s7, s49, s3
	s_lshl_b64 s[2:3], s[50:51], 1
	s_add_u32 s8, s5, s2
	s_addc_u32 s7, s7, s3
	s_ashr_i32 s5, s4, 31
	v_add3_u32 v4, v4, v5, v6
	s_lshl_b64 s[2:3], s[4:5], 1
	v_add_co_u32 v1, vcc_lo, v1, s2
	v_lshlrev_b64 v[3:4], 1, v[3:4]
	v_add_co_ci_u32_e64 v2, null, s3, v2, vcc_lo
	v_add_co_u32 v3, vcc_lo, s8, v3
	v_add_co_ci_u32_e64 v4, null, s7, v4, vcc_lo
	global_load_ushort v1, v[1:2], off
	global_load_ushort v2, v[3:4], off
	s_waitcnt vmcnt(0)
	v_mul_f16_e32 v1, v1, v2
	v_cvt_f32_f16_e32 v1, v1
	v_add_f32_e32 v7, v7, v1
.LBB501_15:
	s_or_b32 exec_lo, exec_lo, s0
	v_and_b32_e32 v8, 31, v0
	v_cmp_gt_u32_e32 vcc_lo, 32, v0
	v_lshlrev_b32_e32 v1, 2, v8
	s_and_saveexec_b32 s0, vcc_lo
; %bb.16:
	v_mov_b32_e32 v2, 0
	ds_write_b32 v1, v2
; %bb.17:
	s_or_b32 exec_lo, exec_lo, s0
	v_mbcnt_lo_u32_b32 v6, -1, 0
	s_mov_b32 s2, exec_lo
	s_waitcnt lgkmcnt(0)
	s_barrier
	buffer_gl0_inv
	v_lshl_or_b32 v2, v6, 2, 64
	v_cmp_gt_u32_e64 s0, 24, v6
	ds_bpermute_b32 v4, v2, v7
	v_cndmask_b32_e64 v3, 0, 8, s0
	v_cmp_gt_u32_e64 s0, 28, v6
	v_add_lshl_u32 v3, v3, v6, 2
	s_waitcnt lgkmcnt(0)
	v_add_f32_e32 v5, v7, v4
	v_cndmask_b32_e64 v4, 0, 4, s0
	v_cmp_gt_u32_e64 s0, 30, v6
	ds_bpermute_b32 v7, v3, v5
	v_add_lshl_u32 v4, v4, v6, 2
	s_waitcnt lgkmcnt(0)
	v_add_f32_e32 v7, v5, v7
	v_cndmask_b32_e64 v5, 0, 2, s0
	v_cmp_ne_u32_e64 s0, 31, v6
	ds_bpermute_b32 v9, v4, v7
	v_add_lshl_u32 v5, v5, v6, 2
	v_add_co_ci_u32_e64 v6, null, 0, v6, s0
	v_lshlrev_b32_e32 v6, 2, v6
	s_waitcnt lgkmcnt(0)
	v_add_f32_e32 v7, v7, v9
	ds_bpermute_b32 v9, v5, v7
	s_waitcnt lgkmcnt(0)
	v_add_f32_e32 v7, v7, v9
	ds_bpermute_b32 v9, v6, v7
	v_cmpx_eq_u32_e32 0, v8
	s_cbranch_execz .LBB501_19
; %bb.18:
	v_lshrrev_b32_e32 v8, 3, v0
	s_waitcnt lgkmcnt(0)
	v_add_f32_e32 v7, v7, v9
	v_and_b32_e32 v8, 0x7c, v8
	ds_write_b32 v8, v7
.LBB501_19:
	s_or_b32 exec_lo, exec_lo, s2
	v_mov_b32_e32 v7, 0
	s_waitcnt lgkmcnt(0)
	s_barrier
	buffer_gl0_inv
	s_and_saveexec_b32 s0, vcc_lo
; %bb.20:
	ds_read_b32 v7, v1
; %bb.21:
	s_or_b32 exec_lo, exec_lo, s0
	s_and_saveexec_b32 s0, vcc_lo
	s_cbranch_execz .LBB501_23
; %bb.22:
	s_waitcnt lgkmcnt(0)
	ds_bpermute_b32 v1, v2, v7
	s_waitcnt lgkmcnt(0)
	v_add_f32_e32 v1, v7, v1
	ds_bpermute_b32 v2, v3, v1
	s_waitcnt lgkmcnt(0)
	v_add_f32_e32 v1, v1, v2
	;; [unrolled: 3-line block ×5, first 2 shown]
.LBB501_23:
	s_or_b32 exec_lo, exec_lo, s0
	s_mov_b32 s0, exec_lo
                                        ; implicit-def: $vgpr1
                                        ; implicit-def: $sgpr2_sgpr3
	v_cmpx_eq_u32_e32 0, v0
	s_cbranch_execz .LBB501_27
; %bb.24:
	v_cmp_eq_f32_e64 s4, s13, 0
	s_mul_i32 s2, s20, s16
	s_mul_hi_u32 s3, s20, s6
	s_waitcnt lgkmcnt(0)
	v_mul_f32_e32 v1, s15, v7
	s_add_i32 s2, s3, s2
	s_mul_i32 s3, s21, s6
	s_and_b32 vcc_lo, exec_lo, s4
	s_add_i32 s3, s2, s3
	s_mul_i32 s2, s20, s6
	s_cbranch_vccnz .LBB501_26
; %bb.25:
	s_lshl_b64 s[4:5], s[2:3], 2
	s_add_u32 s4, s1, s4
	s_addc_u32 s5, s12, s5
	s_load_dword s4, s[4:5], 0x0
	s_waitcnt lgkmcnt(0)
	v_fmac_f32_e64 v1, s13, s4
.LBB501_26:
	s_or_b32 s14, s14, exec_lo
.LBB501_27:
	s_or_b32 exec_lo, exec_lo, s0
.LBB501_28:
	s_and_saveexec_b32 s0, s14
	s_cbranch_execz .LBB501_30
; %bb.29:
	s_lshl_b64 s[2:3], s[2:3], 2
	v_mov_b32_e32 v0, 0
	s_add_u32 s0, s1, s2
	s_addc_u32 s1, s12, s3
	global_store_dword v0, v1, s[0:1]
.LBB501_30:
	s_endpgm
	.section	.rodata,"a",@progbits
	.p2align	6, 0x0
	.amdhsa_kernel _ZL32rocblas_gemvt_warp_reduce_kernelILb1ELi1024ElDF16_PKffEviiT3_lPKT2_lT1_lS5_lS6_lS2_lPT4_lS6_li
		.amdhsa_group_segment_fixed_size 128
		.amdhsa_private_segment_fixed_size 0
		.amdhsa_kernarg_size 140
		.amdhsa_user_sgpr_count 6
		.amdhsa_user_sgpr_private_segment_buffer 1
		.amdhsa_user_sgpr_dispatch_ptr 0
		.amdhsa_user_sgpr_queue_ptr 0
		.amdhsa_user_sgpr_kernarg_segment_ptr 1
		.amdhsa_user_sgpr_dispatch_id 0
		.amdhsa_user_sgpr_flat_scratch_init 0
		.amdhsa_user_sgpr_private_segment_size 0
		.amdhsa_wavefront_size32 1
		.amdhsa_uses_dynamic_stack 0
		.amdhsa_system_sgpr_private_segment_wavefront_offset 0
		.amdhsa_system_sgpr_workgroup_id_x 1
		.amdhsa_system_sgpr_workgroup_id_y 0
		.amdhsa_system_sgpr_workgroup_id_z 1
		.amdhsa_system_sgpr_workgroup_info 0
		.amdhsa_system_vgpr_workitem_id 0
		.amdhsa_next_free_vgpr 11
		.amdhsa_next_free_sgpr 52
		.amdhsa_reserve_vcc 1
		.amdhsa_reserve_flat_scratch 0
		.amdhsa_float_round_mode_32 0
		.amdhsa_float_round_mode_16_64 0
		.amdhsa_float_denorm_mode_32 3
		.amdhsa_float_denorm_mode_16_64 3
		.amdhsa_dx10_clamp 1
		.amdhsa_ieee_mode 1
		.amdhsa_fp16_overflow 0
		.amdhsa_workgroup_processor_mode 1
		.amdhsa_memory_ordered 1
		.amdhsa_forward_progress 1
		.amdhsa_shared_vgpr_count 0
		.amdhsa_exception_fp_ieee_invalid_op 0
		.amdhsa_exception_fp_denorm_src 0
		.amdhsa_exception_fp_ieee_div_zero 0
		.amdhsa_exception_fp_ieee_overflow 0
		.amdhsa_exception_fp_ieee_underflow 0
		.amdhsa_exception_fp_ieee_inexact 0
		.amdhsa_exception_int_div_zero 0
	.end_amdhsa_kernel
	.section	.text._ZL32rocblas_gemvt_warp_reduce_kernelILb1ELi1024ElDF16_PKffEviiT3_lPKT2_lT1_lS5_lS6_lS2_lPT4_lS6_li,"axG",@progbits,_ZL32rocblas_gemvt_warp_reduce_kernelILb1ELi1024ElDF16_PKffEviiT3_lPKT2_lT1_lS5_lS6_lS2_lPT4_lS6_li,comdat
.Lfunc_end501:
	.size	_ZL32rocblas_gemvt_warp_reduce_kernelILb1ELi1024ElDF16_PKffEviiT3_lPKT2_lT1_lS5_lS6_lS2_lPT4_lS6_li, .Lfunc_end501-_ZL32rocblas_gemvt_warp_reduce_kernelILb1ELi1024ElDF16_PKffEviiT3_lPKT2_lT1_lS5_lS6_lS2_lPT4_lS6_li
                                        ; -- End function
	.set _ZL32rocblas_gemvt_warp_reduce_kernelILb1ELi1024ElDF16_PKffEviiT3_lPKT2_lT1_lS5_lS6_lS2_lPT4_lS6_li.num_vgpr, 11
	.set _ZL32rocblas_gemvt_warp_reduce_kernelILb1ELi1024ElDF16_PKffEviiT3_lPKT2_lT1_lS5_lS6_lS2_lPT4_lS6_li.num_agpr, 0
	.set _ZL32rocblas_gemvt_warp_reduce_kernelILb1ELi1024ElDF16_PKffEviiT3_lPKT2_lT1_lS5_lS6_lS2_lPT4_lS6_li.numbered_sgpr, 52
	.set _ZL32rocblas_gemvt_warp_reduce_kernelILb1ELi1024ElDF16_PKffEviiT3_lPKT2_lT1_lS5_lS6_lS2_lPT4_lS6_li.num_named_barrier, 0
	.set _ZL32rocblas_gemvt_warp_reduce_kernelILb1ELi1024ElDF16_PKffEviiT3_lPKT2_lT1_lS5_lS6_lS2_lPT4_lS6_li.private_seg_size, 0
	.set _ZL32rocblas_gemvt_warp_reduce_kernelILb1ELi1024ElDF16_PKffEviiT3_lPKT2_lT1_lS5_lS6_lS2_lPT4_lS6_li.uses_vcc, 1
	.set _ZL32rocblas_gemvt_warp_reduce_kernelILb1ELi1024ElDF16_PKffEviiT3_lPKT2_lT1_lS5_lS6_lS2_lPT4_lS6_li.uses_flat_scratch, 0
	.set _ZL32rocblas_gemvt_warp_reduce_kernelILb1ELi1024ElDF16_PKffEviiT3_lPKT2_lT1_lS5_lS6_lS2_lPT4_lS6_li.has_dyn_sized_stack, 0
	.set _ZL32rocblas_gemvt_warp_reduce_kernelILb1ELi1024ElDF16_PKffEviiT3_lPKT2_lT1_lS5_lS6_lS2_lPT4_lS6_li.has_recursion, 0
	.set _ZL32rocblas_gemvt_warp_reduce_kernelILb1ELi1024ElDF16_PKffEviiT3_lPKT2_lT1_lS5_lS6_lS2_lPT4_lS6_li.has_indirect_call, 0
	.section	.AMDGPU.csdata,"",@progbits
; Kernel info:
; codeLenInByte = 1448
; TotalNumSgprs: 54
; NumVgprs: 11
; ScratchSize: 0
; MemoryBound: 0
; FloatMode: 240
; IeeeMode: 1
; LDSByteSize: 128 bytes/workgroup (compile time only)
; SGPRBlocks: 0
; VGPRBlocks: 1
; NumSGPRsForWavesPerEU: 54
; NumVGPRsForWavesPerEU: 11
; Occupancy: 16
; WaveLimiterHint : 0
; COMPUTE_PGM_RSRC2:SCRATCH_EN: 0
; COMPUTE_PGM_RSRC2:USER_SGPR: 6
; COMPUTE_PGM_RSRC2:TRAP_HANDLER: 0
; COMPUTE_PGM_RSRC2:TGID_X_EN: 1
; COMPUTE_PGM_RSRC2:TGID_Y_EN: 0
; COMPUTE_PGM_RSRC2:TGID_Z_EN: 1
; COMPUTE_PGM_RSRC2:TIDIG_COMP_CNT: 0
	.section	.text._ZL32rocblas_gemvt_warp_reduce_kernelILb1ELi1024EiDF16_ffEviiT3_lPKT2_lT1_lS3_lS4_lS0_lPT4_lS4_li,"axG",@progbits,_ZL32rocblas_gemvt_warp_reduce_kernelILb1ELi1024EiDF16_ffEviiT3_lPKT2_lT1_lS3_lS4_lS0_lPT4_lS4_li,comdat
	.globl	_ZL32rocblas_gemvt_warp_reduce_kernelILb1ELi1024EiDF16_ffEviiT3_lPKT2_lT1_lS3_lS4_lS0_lPT4_lS4_li ; -- Begin function _ZL32rocblas_gemvt_warp_reduce_kernelILb1ELi1024EiDF16_ffEviiT3_lPKT2_lT1_lS3_lS4_lS0_lPT4_lS4_li
	.p2align	8
	.type	_ZL32rocblas_gemvt_warp_reduce_kernelILb1ELi1024EiDF16_ffEviiT3_lPKT2_lT1_lS3_lS4_lS0_lPT4_lS4_li,@function
_ZL32rocblas_gemvt_warp_reduce_kernelILb1ELi1024EiDF16_ffEviiT3_lPKT2_lT1_lS3_lS4_lS0_lPT4_lS4_li: ; @_ZL32rocblas_gemvt_warp_reduce_kernelILb1ELi1024EiDF16_ffEviiT3_lPKT2_lT1_lS3_lS4_lS0_lPT4_lS4_li
; %bb.0:
	s_clause 0x1
	s_load_dword s12, s[4:5], 0x8
	s_load_dword s10, s[4:5], 0x58
	s_mov_b32 s11, 0
	s_waitcnt lgkmcnt(0)
	v_cmp_eq_f32_e64 s0, s12, 0
	v_cmp_eq_f32_e64 s1, s10, 1.0
	s_and_b32 s0, s0, s1
	s_and_b32 vcc_lo, exec_lo, s0
	s_cbranch_vccnz .LBB502_30
; %bb.1:
	s_clause 0x2
	s_load_dwordx2 s[8:9], s[4:5], 0x80
	s_load_dwordx4 s[0:3], s[4:5], 0x68
	s_load_dword s13, s[4:5], 0x78
	s_waitcnt lgkmcnt(0)
	s_mul_i32 s9, s9, s7
	s_mul_hi_u32 s14, s8, s7
	s_mul_i32 s8, s8, s7
	s_add_i32 s9, s14, s9
	v_cmp_neq_f32_e64 s14, s12, 0
	s_lshl_b64 s[8:9], s[8:9], 2
	s_add_u32 s8, s0, s8
	s_addc_u32 s9, s1, s9
	s_lshl_b64 s[0:1], s[2:3], 2
	s_add_u32 s8, s8, s0
	v_cmp_eq_u32_e64 s0, 0, v0
	s_addc_u32 s9, s9, s1
	s_and_b32 vcc_lo, exec_lo, s14
	s_cbranch_vccnz .LBB502_5
; %bb.2:
	s_mov_b32 s1, 0
                                        ; implicit-def: $vgpr1
                                        ; implicit-def: $sgpr2_sgpr3
	s_and_saveexec_b32 s14, s0
	s_cbranch_execz .LBB502_6
; %bb.3:
	v_cmp_eq_f32_e64 s0, s10, 0
	s_mul_i32 s2, s13, s6
	s_ashr_i32 s3, s2, 31
	s_and_b32 vcc_lo, exec_lo, s0
	s_cbranch_vccnz .LBB502_7
; %bb.4:
	s_lshl_b64 s[16:17], s[2:3], 2
	s_add_u32 s16, s8, s16
	s_addc_u32 s17, s9, s17
	s_load_dword s0, s[16:17], 0x0
	s_waitcnt lgkmcnt(0)
	v_mul_f32_e64 v1, s10, s0
	s_branch .LBB502_8
.LBB502_5:
                                        ; implicit-def: $vgpr1
                                        ; implicit-def: $sgpr2_sgpr3
	s_cbranch_execnz .LBB502_9
	s_branch .LBB502_28
.LBB502_6:
	s_or_b32 exec_lo, exec_lo, s14
	s_and_b32 vcc_lo, exec_lo, s1
	s_cbranch_vccnz .LBB502_9
	s_branch .LBB502_28
.LBB502_7:
	v_mov_b32_e32 v1, 0
.LBB502_8:
	s_mov_b32 s11, exec_lo
	s_or_b32 exec_lo, exec_lo, s14
	s_and_b32 vcc_lo, exec_lo, s1
	s_cbranch_vccz .LBB502_28
.LBB502_9:
	s_clause 0x6
	s_load_dwordx2 s[20:21], s[4:5], 0x50
	s_load_dwordx4 s[16:19], s[4:5], 0x30
	s_load_dwordx2 s[22:23], s[4:5], 0x40
	s_load_dword s14, s[4:5], 0x0
	s_load_dwordx4 s[0:3], s[4:5], 0x18
	s_load_dword s15, s[4:5], 0x28
	s_load_dword s4, s[4:5], 0x48
	v_mov_b32_e32 v7, 0
	s_waitcnt lgkmcnt(0)
	s_mul_i32 s5, s21, s7
	s_mul_hi_u32 s21, s20, s7
	s_mul_i32 s20, s20, s7
	s_add_i32 s21, s21, s5
	v_cmp_gt_i32_e32 vcc_lo, s14, v0
	s_lshl_b64 s[20:21], s[20:21], 1
	s_mul_i32 s17, s17, s7
	s_add_u32 s5, s18, s20
	s_addc_u32 s20, s19, s21
	s_lshl_b64 s[18:19], s[22:23], 1
	s_mul_hi_u32 s24, s16, s7
	s_add_u32 s5, s5, s18
	v_cndmask_b32_e32 v1, 0, v0, vcc_lo
	s_mul_i32 s16, s16, s7
	s_addc_u32 s7, s20, s19
	s_add_i32 s17, s24, s17
	s_mul_i32 s18, s15, s6
	s_lshl_b64 s[16:17], s[16:17], 1
	v_lshlrev_b32_e32 v1, 1, v1
	s_add_u32 s15, s0, s16
	s_addc_u32 s16, s1, s17
	s_lshl_b64 s[0:1], s[2:3], 1
	s_mov_b32 s3, 0
	s_add_u32 s0, s15, s0
	s_addc_u32 s1, s16, s1
	v_add_co_u32 v1, s0, s0, v1
	s_ashr_i32 s19, s18, 31
	v_add_co_ci_u32_e64 v2, null, s1, 0, s0
	s_lshl_b64 s[0:1], s[18:19], 1
	s_ashr_i32 s2, s14, 31
	v_add_co_u32 v1, vcc_lo, v1, s0
	s_lshr_b32 s2, s2, 22
	v_add_co_ci_u32_e64 v2, null, s1, v2, vcc_lo
	s_add_i32 s2, s14, s2
	s_mov_b32 s1, exec_lo
	s_and_b32 s2, s2, 0xfffffc00
	v_cmpx_gt_i32_e64 s2, v0
	s_cbranch_execz .LBB502_13
; %bb.10:
	v_mul_lo_u32 v3, v0, s4
	v_mov_b32_e32 v6, v2
	v_mov_b32_e32 v7, 0
	;; [unrolled: 1-line block ×4, first 2 shown]
	s_lshl_b32 s15, s4, 10
	.p2align	6
.LBB502_11:                             ; =>This Inner Loop Header: Depth=1
	v_ashrrev_i32_e32 v4, 31, v3
	v_add_nc_u32_e32 v8, 0x400, v8
	v_lshlrev_b64 v[9:10], 1, v[3:4]
	v_cmp_le_i32_e64 s0, s2, v8
	v_add_nc_u32_e32 v3, s15, v3
	s_or_b32 s3, s0, s3
	v_add_co_u32 v9, vcc_lo, s5, v9
	v_add_co_ci_u32_e64 v10, null, s7, v10, vcc_lo
	global_load_ushort v4, v[5:6], off
	global_load_ushort v9, v[9:10], off
	v_add_co_u32 v5, vcc_lo, 0x800, v5
	v_add_co_ci_u32_e64 v6, null, 0, v6, vcc_lo
	s_waitcnt vmcnt(0)
	v_mul_f16_e32 v4, v4, v9
	v_cvt_f32_f16_e32 v4, v4
	v_add_f32_e32 v7, v7, v4
	s_andn2_b32 exec_lo, exec_lo, s3
	s_cbranch_execnz .LBB502_11
; %bb.12:
	s_or_b32 exec_lo, exec_lo, s3
.LBB502_13:
	s_or_b32 exec_lo, exec_lo, s1
	v_or_b32_e32 v3, s2, v0
	s_mov_b32 s0, exec_lo
	v_cmpx_gt_i32_e64 s14, v3
	s_cbranch_execz .LBB502_15
; %bb.14:
	v_mul_lo_u32 v3, s4, v3
	s_ashr_i32 s3, s2, 31
	s_lshl_b64 s[2:3], s[2:3], 1
	v_add_co_u32 v1, vcc_lo, v1, s2
	v_add_co_ci_u32_e64 v2, null, s3, v2, vcc_lo
	v_ashrrev_i32_e32 v4, 31, v3
	v_lshlrev_b64 v[3:4], 1, v[3:4]
	v_add_co_u32 v3, vcc_lo, s5, v3
	v_add_co_ci_u32_e64 v4, null, s7, v4, vcc_lo
	global_load_ushort v1, v[1:2], off
	global_load_ushort v2, v[3:4], off
	s_waitcnt vmcnt(0)
	v_mul_f16_e32 v1, v1, v2
	v_cvt_f32_f16_e32 v1, v1
	v_add_f32_e32 v7, v7, v1
.LBB502_15:
	s_or_b32 exec_lo, exec_lo, s0
	v_and_b32_e32 v8, 31, v0
	v_cmp_gt_u32_e32 vcc_lo, 32, v0
	v_lshlrev_b32_e32 v1, 2, v8
	s_and_saveexec_b32 s0, vcc_lo
; %bb.16:
	v_mov_b32_e32 v2, 0
	ds_write_b32 v1, v2
; %bb.17:
	s_or_b32 exec_lo, exec_lo, s0
	v_mbcnt_lo_u32_b32 v6, -1, 0
	s_mov_b32 s1, exec_lo
	s_waitcnt lgkmcnt(0)
	s_barrier
	buffer_gl0_inv
	v_lshl_or_b32 v2, v6, 2, 64
	v_cmp_gt_u32_e64 s0, 24, v6
	ds_bpermute_b32 v4, v2, v7
	v_cndmask_b32_e64 v3, 0, 8, s0
	v_cmp_gt_u32_e64 s0, 28, v6
	v_add_lshl_u32 v3, v3, v6, 2
	s_waitcnt lgkmcnt(0)
	v_add_f32_e32 v5, v7, v4
	v_cndmask_b32_e64 v4, 0, 4, s0
	v_cmp_gt_u32_e64 s0, 30, v6
	ds_bpermute_b32 v7, v3, v5
	v_add_lshl_u32 v4, v4, v6, 2
	s_waitcnt lgkmcnt(0)
	v_add_f32_e32 v7, v5, v7
	v_cndmask_b32_e64 v5, 0, 2, s0
	v_cmp_ne_u32_e64 s0, 31, v6
	ds_bpermute_b32 v9, v4, v7
	v_add_lshl_u32 v5, v5, v6, 2
	v_add_co_ci_u32_e64 v6, null, 0, v6, s0
	v_lshlrev_b32_e32 v6, 2, v6
	s_waitcnt lgkmcnt(0)
	v_add_f32_e32 v7, v7, v9
	ds_bpermute_b32 v9, v5, v7
	s_waitcnt lgkmcnt(0)
	v_add_f32_e32 v7, v7, v9
	ds_bpermute_b32 v9, v6, v7
	v_cmpx_eq_u32_e32 0, v8
	s_cbranch_execz .LBB502_19
; %bb.18:
	v_lshrrev_b32_e32 v8, 3, v0
	s_waitcnt lgkmcnt(0)
	v_add_f32_e32 v7, v7, v9
	v_and_b32_e32 v8, 0x7c, v8
	ds_write_b32 v8, v7
.LBB502_19:
	s_or_b32 exec_lo, exec_lo, s1
	v_mov_b32_e32 v7, 0
	s_waitcnt lgkmcnt(0)
	s_barrier
	buffer_gl0_inv
	s_and_saveexec_b32 s0, vcc_lo
; %bb.20:
	ds_read_b32 v7, v1
; %bb.21:
	s_or_b32 exec_lo, exec_lo, s0
	s_and_saveexec_b32 s0, vcc_lo
	s_cbranch_execz .LBB502_23
; %bb.22:
	s_waitcnt lgkmcnt(0)
	ds_bpermute_b32 v1, v2, v7
	s_waitcnt lgkmcnt(0)
	v_add_f32_e32 v1, v7, v1
	ds_bpermute_b32 v2, v3, v1
	s_waitcnt lgkmcnt(0)
	v_add_f32_e32 v1, v1, v2
	;; [unrolled: 3-line block ×5, first 2 shown]
.LBB502_23:
	s_or_b32 exec_lo, exec_lo, s0
	s_mov_b32 s0, exec_lo
                                        ; implicit-def: $vgpr1
                                        ; implicit-def: $sgpr2_sgpr3
	v_cmpx_eq_u32_e32 0, v0
	s_cbranch_execz .LBB502_27
; %bb.24:
	v_cmp_eq_f32_e64 s1, s10, 0
	s_waitcnt lgkmcnt(0)
	v_mul_f32_e32 v1, s12, v7
	s_mul_i32 s2, s13, s6
	s_ashr_i32 s3, s2, 31
	s_and_b32 vcc_lo, exec_lo, s1
	s_cbranch_vccnz .LBB502_26
; %bb.25:
	s_lshl_b64 s[4:5], s[2:3], 2
	s_add_u32 s4, s8, s4
	s_addc_u32 s5, s9, s5
	s_load_dword s1, s[4:5], 0x0
	s_waitcnt lgkmcnt(0)
	v_fmac_f32_e64 v1, s10, s1
.LBB502_26:
	s_or_b32 s11, s11, exec_lo
.LBB502_27:
	s_or_b32 exec_lo, exec_lo, s0
.LBB502_28:
	s_and_saveexec_b32 s0, s11
	s_cbranch_execz .LBB502_30
; %bb.29:
	s_lshl_b64 s[0:1], s[2:3], 2
	v_mov_b32_e32 v0, 0
	s_add_u32 s0, s8, s0
	s_addc_u32 s1, s9, s1
	global_store_dword v0, v1, s[0:1]
.LBB502_30:
	s_endpgm
	.section	.rodata,"a",@progbits
	.p2align	6, 0x0
	.amdhsa_kernel _ZL32rocblas_gemvt_warp_reduce_kernelILb1ELi1024EiDF16_ffEviiT3_lPKT2_lT1_lS3_lS4_lS0_lPT4_lS4_li
		.amdhsa_group_segment_fixed_size 128
		.amdhsa_private_segment_fixed_size 0
		.amdhsa_kernarg_size 140
		.amdhsa_user_sgpr_count 6
		.amdhsa_user_sgpr_private_segment_buffer 1
		.amdhsa_user_sgpr_dispatch_ptr 0
		.amdhsa_user_sgpr_queue_ptr 0
		.amdhsa_user_sgpr_kernarg_segment_ptr 1
		.amdhsa_user_sgpr_dispatch_id 0
		.amdhsa_user_sgpr_flat_scratch_init 0
		.amdhsa_user_sgpr_private_segment_size 0
		.amdhsa_wavefront_size32 1
		.amdhsa_uses_dynamic_stack 0
		.amdhsa_system_sgpr_private_segment_wavefront_offset 0
		.amdhsa_system_sgpr_workgroup_id_x 1
		.amdhsa_system_sgpr_workgroup_id_y 0
		.amdhsa_system_sgpr_workgroup_id_z 1
		.amdhsa_system_sgpr_workgroup_info 0
		.amdhsa_system_vgpr_workitem_id 0
		.amdhsa_next_free_vgpr 11
		.amdhsa_next_free_sgpr 25
		.amdhsa_reserve_vcc 1
		.amdhsa_reserve_flat_scratch 0
		.amdhsa_float_round_mode_32 0
		.amdhsa_float_round_mode_16_64 0
		.amdhsa_float_denorm_mode_32 3
		.amdhsa_float_denorm_mode_16_64 3
		.amdhsa_dx10_clamp 1
		.amdhsa_ieee_mode 1
		.amdhsa_fp16_overflow 0
		.amdhsa_workgroup_processor_mode 1
		.amdhsa_memory_ordered 1
		.amdhsa_forward_progress 1
		.amdhsa_shared_vgpr_count 0
		.amdhsa_exception_fp_ieee_invalid_op 0
		.amdhsa_exception_fp_denorm_src 0
		.amdhsa_exception_fp_ieee_div_zero 0
		.amdhsa_exception_fp_ieee_overflow 0
		.amdhsa_exception_fp_ieee_underflow 0
		.amdhsa_exception_fp_ieee_inexact 0
		.amdhsa_exception_int_div_zero 0
	.end_amdhsa_kernel
	.section	.text._ZL32rocblas_gemvt_warp_reduce_kernelILb1ELi1024EiDF16_ffEviiT3_lPKT2_lT1_lS3_lS4_lS0_lPT4_lS4_li,"axG",@progbits,_ZL32rocblas_gemvt_warp_reduce_kernelILb1ELi1024EiDF16_ffEviiT3_lPKT2_lT1_lS3_lS4_lS0_lPT4_lS4_li,comdat
.Lfunc_end502:
	.size	_ZL32rocblas_gemvt_warp_reduce_kernelILb1ELi1024EiDF16_ffEviiT3_lPKT2_lT1_lS3_lS4_lS0_lPT4_lS4_li, .Lfunc_end502-_ZL32rocblas_gemvt_warp_reduce_kernelILb1ELi1024EiDF16_ffEviiT3_lPKT2_lT1_lS3_lS4_lS0_lPT4_lS4_li
                                        ; -- End function
	.set _ZL32rocblas_gemvt_warp_reduce_kernelILb1ELi1024EiDF16_ffEviiT3_lPKT2_lT1_lS3_lS4_lS0_lPT4_lS4_li.num_vgpr, 11
	.set _ZL32rocblas_gemvt_warp_reduce_kernelILb1ELi1024EiDF16_ffEviiT3_lPKT2_lT1_lS3_lS4_lS0_lPT4_lS4_li.num_agpr, 0
	.set _ZL32rocblas_gemvt_warp_reduce_kernelILb1ELi1024EiDF16_ffEviiT3_lPKT2_lT1_lS3_lS4_lS0_lPT4_lS4_li.numbered_sgpr, 25
	.set _ZL32rocblas_gemvt_warp_reduce_kernelILb1ELi1024EiDF16_ffEviiT3_lPKT2_lT1_lS3_lS4_lS0_lPT4_lS4_li.num_named_barrier, 0
	.set _ZL32rocblas_gemvt_warp_reduce_kernelILb1ELi1024EiDF16_ffEviiT3_lPKT2_lT1_lS3_lS4_lS0_lPT4_lS4_li.private_seg_size, 0
	.set _ZL32rocblas_gemvt_warp_reduce_kernelILb1ELi1024EiDF16_ffEviiT3_lPKT2_lT1_lS3_lS4_lS0_lPT4_lS4_li.uses_vcc, 1
	.set _ZL32rocblas_gemvt_warp_reduce_kernelILb1ELi1024EiDF16_ffEviiT3_lPKT2_lT1_lS3_lS4_lS0_lPT4_lS4_li.uses_flat_scratch, 0
	.set _ZL32rocblas_gemvt_warp_reduce_kernelILb1ELi1024EiDF16_ffEviiT3_lPKT2_lT1_lS3_lS4_lS0_lPT4_lS4_li.has_dyn_sized_stack, 0
	.set _ZL32rocblas_gemvt_warp_reduce_kernelILb1ELi1024EiDF16_ffEviiT3_lPKT2_lT1_lS3_lS4_lS0_lPT4_lS4_li.has_recursion, 0
	.set _ZL32rocblas_gemvt_warp_reduce_kernelILb1ELi1024EiDF16_ffEviiT3_lPKT2_lT1_lS3_lS4_lS0_lPT4_lS4_li.has_indirect_call, 0
	.section	.AMDGPU.csdata,"",@progbits
; Kernel info:
; codeLenInByte = 1336
; TotalNumSgprs: 27
; NumVgprs: 11
; ScratchSize: 0
; MemoryBound: 0
; FloatMode: 240
; IeeeMode: 1
; LDSByteSize: 128 bytes/workgroup (compile time only)
; SGPRBlocks: 0
; VGPRBlocks: 1
; NumSGPRsForWavesPerEU: 27
; NumVGPRsForWavesPerEU: 11
; Occupancy: 16
; WaveLimiterHint : 1
; COMPUTE_PGM_RSRC2:SCRATCH_EN: 0
; COMPUTE_PGM_RSRC2:USER_SGPR: 6
; COMPUTE_PGM_RSRC2:TRAP_HANDLER: 0
; COMPUTE_PGM_RSRC2:TGID_X_EN: 1
; COMPUTE_PGM_RSRC2:TGID_Y_EN: 0
; COMPUTE_PGM_RSRC2:TGID_Z_EN: 1
; COMPUTE_PGM_RSRC2:TIDIG_COMP_CNT: 0
	.section	.text._ZL32rocblas_gemvt_warp_reduce_kernelILb1ELi1024ElDF16_ffEviiT3_lPKT2_lT1_lS3_lS4_lS0_lPT4_lS4_li,"axG",@progbits,_ZL32rocblas_gemvt_warp_reduce_kernelILb1ELi1024ElDF16_ffEviiT3_lPKT2_lT1_lS3_lS4_lS0_lPT4_lS4_li,comdat
	.globl	_ZL32rocblas_gemvt_warp_reduce_kernelILb1ELi1024ElDF16_ffEviiT3_lPKT2_lT1_lS3_lS4_lS0_lPT4_lS4_li ; -- Begin function _ZL32rocblas_gemvt_warp_reduce_kernelILb1ELi1024ElDF16_ffEviiT3_lPKT2_lT1_lS3_lS4_lS0_lPT4_lS4_li
	.p2align	8
	.type	_ZL32rocblas_gemvt_warp_reduce_kernelILb1ELi1024ElDF16_ffEviiT3_lPKT2_lT1_lS3_lS4_lS0_lPT4_lS4_li,@function
_ZL32rocblas_gemvt_warp_reduce_kernelILb1ELi1024ElDF16_ffEviiT3_lPKT2_lT1_lS3_lS4_lS0_lPT4_lS4_li: ; @_ZL32rocblas_gemvt_warp_reduce_kernelILb1ELi1024ElDF16_ffEviiT3_lPKT2_lT1_lS3_lS4_lS0_lPT4_lS4_li
; %bb.0:
	s_clause 0x1
	s_load_dword s30, s[4:5], 0x8
	s_load_dword s28, s[4:5], 0x58
	s_mov_b32 s29, 0
	s_waitcnt lgkmcnt(0)
	v_cmp_eq_f32_e64 s0, s30, 0
	v_cmp_eq_f32_e64 s1, s28, 1.0
	s_and_b32 s0, s0, s1
	s_and_b32 vcc_lo, exec_lo, s0
	s_cbranch_vccnz .LBB503_30
; %bb.1:
	s_load_dwordx8 s[20:27], s[4:5], 0x68
	v_cmp_neq_f32_e64 s8, s30, 0
	s_waitcnt lgkmcnt(0)
	s_mul_i32 s1, s27, s7
	s_mul_hi_u32 s2, s26, s7
	s_mul_i32 s0, s26, s7
	s_add_i32 s1, s2, s1
	s_lshl_b64 s[0:1], s[0:1], 2
	s_add_u32 s0, s20, s0
	s_addc_u32 s9, s21, s1
	s_lshl_b64 s[2:3], s[22:23], 2
	s_add_u32 s1, s0, s2
	v_cmp_eq_u32_e64 s0, 0, v0
	s_addc_u32 s26, s9, s3
	s_and_b32 vcc_lo, exec_lo, s8
	s_cbranch_vccnz .LBB503_5
; %bb.2:
	s_mov_b32 s8, 0
                                        ; implicit-def: $vgpr1
                                        ; implicit-def: $sgpr2_sgpr3
	s_and_saveexec_b32 s9, s0
	s_cbranch_execz .LBB503_6
; %bb.3:
	s_ashr_i32 s2, s6, 31
	v_cmp_eq_f32_e64 s0, s28, 0
	s_mul_hi_u32 s3, s24, s6
	s_mul_i32 s2, s24, s2
	s_mul_i32 s10, s25, s6
	s_add_i32 s2, s3, s2
	s_and_b32 vcc_lo, exec_lo, s0
	s_add_i32 s3, s2, s10
	s_mul_i32 s2, s24, s6
	s_cbranch_vccnz .LBB503_7
; %bb.4:
	s_lshl_b64 s[10:11], s[2:3], 2
	s_add_u32 s10, s1, s10
	s_addc_u32 s11, s26, s11
	s_load_dword s0, s[10:11], 0x0
	s_waitcnt lgkmcnt(0)
	v_mul_f32_e64 v1, s28, s0
	s_branch .LBB503_8
.LBB503_5:
                                        ; implicit-def: $vgpr1
                                        ; implicit-def: $sgpr2_sgpr3
	s_cbranch_execnz .LBB503_9
	s_branch .LBB503_28
.LBB503_6:
	s_or_b32 exec_lo, exec_lo, s9
	s_and_b32 vcc_lo, exec_lo, s8
	s_cbranch_vccnz .LBB503_9
	s_branch .LBB503_28
.LBB503_7:
	v_mov_b32_e32 v1, 0
.LBB503_8:
	s_mov_b32 s29, exec_lo
	s_or_b32 exec_lo, exec_lo, s9
	s_and_b32 vcc_lo, exec_lo, s8
	s_cbranch_vccz .LBB503_28
.LBB503_9:
	s_clause 0x1
	s_load_dwordx16 s[8:23], s[4:5], 0x18
	s_load_dword s5, s[4:5], 0x0
	v_mov_b32_e32 v7, 0
	s_waitcnt lgkmcnt(0)
	s_mul_i32 s3, s15, s7
	v_cmp_gt_i32_e32 vcc_lo, s5, v0
	s_mul_hi_u32 s15, s14, s7
	s_mul_i32 s2, s14, s7
	s_add_i32 s3, s15, s3
	s_mul_i32 s0, s23, s7
	v_cndmask_b32_e32 v1, 0, v0, vcc_lo
	s_mul_hi_u32 s4, s22, s7
	s_lshl_b64 s[34:35], s[2:3], 1
	s_add_i32 s3, s4, s0
	s_add_u32 s0, s8, s34
	v_lshlrev_b32_e32 v1, 1, v1
	s_addc_u32 s2, s9, s35
	s_lshl_b64 s[8:9], s[10:11], 1
	s_mul_hi_u32 s23, s12, s6
	s_add_u32 s0, s0, s8
	s_addc_u32 s2, s2, s9
	s_ashr_i32 s10, s6, 31
	v_add_co_u32 v1, s0, s0, v1
	v_add_co_ci_u32_e64 v2, null, s2, 0, s0
	s_mul_i32 s0, s12, s10
	s_mul_i32 s13, s13, s6
	s_add_i32 s0, s23, s0
	s_mul_i32 s14, s12, s6
	s_add_i32 s15, s0, s13
	s_ashr_i32 s4, s5, 31
	s_lshl_b64 s[8:9], s[14:15], 1
	s_lshr_b32 s2, s4, 22
	v_add_co_u32 v1, vcc_lo, v1, s8
	v_add_co_ci_u32_e64 v2, null, s9, v2, vcc_lo
	s_add_i32 s2, s5, s2
	s_mov_b32 s11, 0
	s_and_b32 s4, s2, 0xfffffc00
	s_mul_i32 s2, s22, s7
	s_mov_b32 s7, exec_lo
	v_cmpx_gt_i32_e64 s4, v0
	s_cbranch_execz .LBB503_13
; %bb.10:
	v_mad_u64_u32 v[5:6], null, s20, v0, 0
	s_lshl_b64 s[12:13], s[18:19], 1
	s_lshl_b64 s[8:9], s[2:3], 1
	s_add_u32 s0, s16, s12
	s_addc_u32 s12, s17, s13
	s_add_u32 s0, s0, s8
	s_addc_u32 s8, s12, s9
	v_mov_b32_e32 v3, v6
	v_mov_b32_e32 v7, 0
	;; [unrolled: 1-line block ×3, first 2 shown]
	v_mad_u64_u32 v[3:4], null, s21, v0, v[3:4]
	v_mov_b32_e32 v6, v3
	v_mov_b32_e32 v4, v2
	v_mov_b32_e32 v3, v1
	v_lshlrev_b64 v[5:6], 1, v[5:6]
	v_add_co_u32 v5, vcc_lo, s0, v5
	v_add_co_ci_u32_e64 v6, null, s8, v6, vcc_lo
	s_lshl_b64 s[8:9], s[20:21], 11
	.p2align	6
.LBB503_11:                             ; =>This Inner Loop Header: Depth=1
	global_load_ushort v9, v[3:4], off
	global_load_ushort v10, v[5:6], off
	v_add_nc_u32_e32 v8, 0x400, v8
	v_add_co_u32 v3, vcc_lo, 0x800, v3
	v_add_co_ci_u32_e64 v4, null, 0, v4, vcc_lo
	v_add_co_u32 v5, vcc_lo, v5, s8
	v_cmp_le_i32_e64 s0, s4, v8
	v_add_co_ci_u32_e64 v6, null, s9, v6, vcc_lo
	s_or_b32 s11, s0, s11
	s_waitcnt vmcnt(0)
	v_mul_f16_e32 v9, v9, v10
	v_cvt_f32_f16_e32 v9, v9
	v_add_f32_e32 v7, v7, v9
	s_andn2_b32 exec_lo, exec_lo, s11
	s_cbranch_execnz .LBB503_11
; %bb.12:
	s_or_b32 exec_lo, exec_lo, s11
.LBB503_13:
	s_or_b32 exec_lo, exec_lo, s7
	v_or_b32_e32 v3, s4, v0
	s_mov_b32 s0, exec_lo
	v_cmpx_gt_i32_e64 s5, v3
	s_cbranch_execz .LBB503_15
; %bb.14:
	v_ashrrev_i32_e32 v5, 31, v3
	v_mul_lo_u32 v6, s21, v3
	v_mad_u64_u32 v[3:4], null, s20, v3, 0
	s_lshl_b64 s[2:3], s[2:3], 1
	v_mul_lo_u32 v5, s20, v5
	s_add_u32 s5, s16, s2
	s_addc_u32 s7, s17, s3
	s_lshl_b64 s[2:3], s[18:19], 1
	s_add_u32 s8, s5, s2
	s_addc_u32 s7, s7, s3
	s_ashr_i32 s5, s4, 31
	v_add3_u32 v4, v4, v5, v6
	s_lshl_b64 s[2:3], s[4:5], 1
	v_add_co_u32 v1, vcc_lo, v1, s2
	v_lshlrev_b64 v[3:4], 1, v[3:4]
	v_add_co_ci_u32_e64 v2, null, s3, v2, vcc_lo
	v_add_co_u32 v3, vcc_lo, s8, v3
	v_add_co_ci_u32_e64 v4, null, s7, v4, vcc_lo
	global_load_ushort v1, v[1:2], off
	global_load_ushort v2, v[3:4], off
	s_waitcnt vmcnt(0)
	v_mul_f16_e32 v1, v1, v2
	v_cvt_f32_f16_e32 v1, v1
	v_add_f32_e32 v7, v7, v1
.LBB503_15:
	s_or_b32 exec_lo, exec_lo, s0
	v_and_b32_e32 v8, 31, v0
	v_cmp_gt_u32_e32 vcc_lo, 32, v0
	v_lshlrev_b32_e32 v1, 2, v8
	s_and_saveexec_b32 s0, vcc_lo
; %bb.16:
	v_mov_b32_e32 v2, 0
	ds_write_b32 v1, v2
; %bb.17:
	s_or_b32 exec_lo, exec_lo, s0
	v_mbcnt_lo_u32_b32 v6, -1, 0
	s_mov_b32 s2, exec_lo
	s_waitcnt lgkmcnt(0)
	s_barrier
	buffer_gl0_inv
	v_lshl_or_b32 v2, v6, 2, 64
	v_cmp_gt_u32_e64 s0, 24, v6
	ds_bpermute_b32 v4, v2, v7
	v_cndmask_b32_e64 v3, 0, 8, s0
	v_cmp_gt_u32_e64 s0, 28, v6
	v_add_lshl_u32 v3, v3, v6, 2
	s_waitcnt lgkmcnt(0)
	v_add_f32_e32 v5, v7, v4
	v_cndmask_b32_e64 v4, 0, 4, s0
	v_cmp_gt_u32_e64 s0, 30, v6
	ds_bpermute_b32 v7, v3, v5
	v_add_lshl_u32 v4, v4, v6, 2
	s_waitcnt lgkmcnt(0)
	v_add_f32_e32 v7, v5, v7
	v_cndmask_b32_e64 v5, 0, 2, s0
	v_cmp_ne_u32_e64 s0, 31, v6
	ds_bpermute_b32 v9, v4, v7
	v_add_lshl_u32 v5, v5, v6, 2
	v_add_co_ci_u32_e64 v6, null, 0, v6, s0
	v_lshlrev_b32_e32 v6, 2, v6
	s_waitcnt lgkmcnt(0)
	v_add_f32_e32 v7, v7, v9
	ds_bpermute_b32 v9, v5, v7
	s_waitcnt lgkmcnt(0)
	v_add_f32_e32 v7, v7, v9
	ds_bpermute_b32 v9, v6, v7
	v_cmpx_eq_u32_e32 0, v8
	s_cbranch_execz .LBB503_19
; %bb.18:
	v_lshrrev_b32_e32 v8, 3, v0
	s_waitcnt lgkmcnt(0)
	v_add_f32_e32 v7, v7, v9
	v_and_b32_e32 v8, 0x7c, v8
	ds_write_b32 v8, v7
.LBB503_19:
	s_or_b32 exec_lo, exec_lo, s2
	v_mov_b32_e32 v7, 0
	s_waitcnt lgkmcnt(0)
	s_barrier
	buffer_gl0_inv
	s_and_saveexec_b32 s0, vcc_lo
; %bb.20:
	ds_read_b32 v7, v1
; %bb.21:
	s_or_b32 exec_lo, exec_lo, s0
	s_and_saveexec_b32 s0, vcc_lo
	s_cbranch_execz .LBB503_23
; %bb.22:
	s_waitcnt lgkmcnt(0)
	ds_bpermute_b32 v1, v2, v7
	s_waitcnt lgkmcnt(0)
	v_add_f32_e32 v1, v7, v1
	ds_bpermute_b32 v2, v3, v1
	s_waitcnt lgkmcnt(0)
	v_add_f32_e32 v1, v1, v2
	;; [unrolled: 3-line block ×5, first 2 shown]
.LBB503_23:
	s_or_b32 exec_lo, exec_lo, s0
	s_mov_b32 s0, exec_lo
                                        ; implicit-def: $vgpr1
                                        ; implicit-def: $sgpr2_sgpr3
	v_cmpx_eq_u32_e32 0, v0
	s_cbranch_execz .LBB503_27
; %bb.24:
	v_cmp_eq_f32_e64 s4, s28, 0
	s_mul_i32 s2, s24, s10
	s_mul_hi_u32 s3, s24, s6
	s_waitcnt lgkmcnt(0)
	v_mul_f32_e32 v1, s30, v7
	s_add_i32 s2, s3, s2
	s_mul_i32 s3, s25, s6
	s_and_b32 vcc_lo, exec_lo, s4
	s_add_i32 s3, s2, s3
	s_mul_i32 s2, s24, s6
	s_cbranch_vccnz .LBB503_26
; %bb.25:
	s_lshl_b64 s[4:5], s[2:3], 2
	s_add_u32 s4, s1, s4
	s_addc_u32 s5, s26, s5
	s_load_dword s4, s[4:5], 0x0
	s_waitcnt lgkmcnt(0)
	v_fmac_f32_e64 v1, s28, s4
.LBB503_26:
	s_or_b32 s29, s29, exec_lo
.LBB503_27:
	s_or_b32 exec_lo, exec_lo, s0
.LBB503_28:
	s_and_saveexec_b32 s0, s29
	s_cbranch_execz .LBB503_30
; %bb.29:
	s_lshl_b64 s[2:3], s[2:3], 2
	v_mov_b32_e32 v0, 0
	s_add_u32 s0, s1, s2
	s_addc_u32 s1, s26, s3
	global_store_dword v0, v1, s[0:1]
.LBB503_30:
	s_endpgm
	.section	.rodata,"a",@progbits
	.p2align	6, 0x0
	.amdhsa_kernel _ZL32rocblas_gemvt_warp_reduce_kernelILb1ELi1024ElDF16_ffEviiT3_lPKT2_lT1_lS3_lS4_lS0_lPT4_lS4_li
		.amdhsa_group_segment_fixed_size 128
		.amdhsa_private_segment_fixed_size 0
		.amdhsa_kernarg_size 140
		.amdhsa_user_sgpr_count 6
		.amdhsa_user_sgpr_private_segment_buffer 1
		.amdhsa_user_sgpr_dispatch_ptr 0
		.amdhsa_user_sgpr_queue_ptr 0
		.amdhsa_user_sgpr_kernarg_segment_ptr 1
		.amdhsa_user_sgpr_dispatch_id 0
		.amdhsa_user_sgpr_flat_scratch_init 0
		.amdhsa_user_sgpr_private_segment_size 0
		.amdhsa_wavefront_size32 1
		.amdhsa_uses_dynamic_stack 0
		.amdhsa_system_sgpr_private_segment_wavefront_offset 0
		.amdhsa_system_sgpr_workgroup_id_x 1
		.amdhsa_system_sgpr_workgroup_id_y 0
		.amdhsa_system_sgpr_workgroup_id_z 1
		.amdhsa_system_sgpr_workgroup_info 0
		.amdhsa_system_vgpr_workitem_id 0
		.amdhsa_next_free_vgpr 11
		.amdhsa_next_free_sgpr 36
		.amdhsa_reserve_vcc 1
		.amdhsa_reserve_flat_scratch 0
		.amdhsa_float_round_mode_32 0
		.amdhsa_float_round_mode_16_64 0
		.amdhsa_float_denorm_mode_32 3
		.amdhsa_float_denorm_mode_16_64 3
		.amdhsa_dx10_clamp 1
		.amdhsa_ieee_mode 1
		.amdhsa_fp16_overflow 0
		.amdhsa_workgroup_processor_mode 1
		.amdhsa_memory_ordered 1
		.amdhsa_forward_progress 1
		.amdhsa_shared_vgpr_count 0
		.amdhsa_exception_fp_ieee_invalid_op 0
		.amdhsa_exception_fp_denorm_src 0
		.amdhsa_exception_fp_ieee_div_zero 0
		.amdhsa_exception_fp_ieee_overflow 0
		.amdhsa_exception_fp_ieee_underflow 0
		.amdhsa_exception_fp_ieee_inexact 0
		.amdhsa_exception_int_div_zero 0
	.end_amdhsa_kernel
	.section	.text._ZL32rocblas_gemvt_warp_reduce_kernelILb1ELi1024ElDF16_ffEviiT3_lPKT2_lT1_lS3_lS4_lS0_lPT4_lS4_li,"axG",@progbits,_ZL32rocblas_gemvt_warp_reduce_kernelILb1ELi1024ElDF16_ffEviiT3_lPKT2_lT1_lS3_lS4_lS0_lPT4_lS4_li,comdat
.Lfunc_end503:
	.size	_ZL32rocblas_gemvt_warp_reduce_kernelILb1ELi1024ElDF16_ffEviiT3_lPKT2_lT1_lS3_lS4_lS0_lPT4_lS4_li, .Lfunc_end503-_ZL32rocblas_gemvt_warp_reduce_kernelILb1ELi1024ElDF16_ffEviiT3_lPKT2_lT1_lS3_lS4_lS0_lPT4_lS4_li
                                        ; -- End function
	.set _ZL32rocblas_gemvt_warp_reduce_kernelILb1ELi1024ElDF16_ffEviiT3_lPKT2_lT1_lS3_lS4_lS0_lPT4_lS4_li.num_vgpr, 11
	.set _ZL32rocblas_gemvt_warp_reduce_kernelILb1ELi1024ElDF16_ffEviiT3_lPKT2_lT1_lS3_lS4_lS0_lPT4_lS4_li.num_agpr, 0
	.set _ZL32rocblas_gemvt_warp_reduce_kernelILb1ELi1024ElDF16_ffEviiT3_lPKT2_lT1_lS3_lS4_lS0_lPT4_lS4_li.numbered_sgpr, 36
	.set _ZL32rocblas_gemvt_warp_reduce_kernelILb1ELi1024ElDF16_ffEviiT3_lPKT2_lT1_lS3_lS4_lS0_lPT4_lS4_li.num_named_barrier, 0
	.set _ZL32rocblas_gemvt_warp_reduce_kernelILb1ELi1024ElDF16_ffEviiT3_lPKT2_lT1_lS3_lS4_lS0_lPT4_lS4_li.private_seg_size, 0
	.set _ZL32rocblas_gemvt_warp_reduce_kernelILb1ELi1024ElDF16_ffEviiT3_lPKT2_lT1_lS3_lS4_lS0_lPT4_lS4_li.uses_vcc, 1
	.set _ZL32rocblas_gemvt_warp_reduce_kernelILb1ELi1024ElDF16_ffEviiT3_lPKT2_lT1_lS3_lS4_lS0_lPT4_lS4_li.uses_flat_scratch, 0
	.set _ZL32rocblas_gemvt_warp_reduce_kernelILb1ELi1024ElDF16_ffEviiT3_lPKT2_lT1_lS3_lS4_lS0_lPT4_lS4_li.has_dyn_sized_stack, 0
	.set _ZL32rocblas_gemvt_warp_reduce_kernelILb1ELi1024ElDF16_ffEviiT3_lPKT2_lT1_lS3_lS4_lS0_lPT4_lS4_li.has_recursion, 0
	.set _ZL32rocblas_gemvt_warp_reduce_kernelILb1ELi1024ElDF16_ffEviiT3_lPKT2_lT1_lS3_lS4_lS0_lPT4_lS4_li.has_indirect_call, 0
	.section	.AMDGPU.csdata,"",@progbits
; Kernel info:
; codeLenInByte = 1384
; TotalNumSgprs: 38
; NumVgprs: 11
; ScratchSize: 0
; MemoryBound: 0
; FloatMode: 240
; IeeeMode: 1
; LDSByteSize: 128 bytes/workgroup (compile time only)
; SGPRBlocks: 0
; VGPRBlocks: 1
; NumSGPRsForWavesPerEU: 38
; NumVGPRsForWavesPerEU: 11
; Occupancy: 16
; WaveLimiterHint : 1
; COMPUTE_PGM_RSRC2:SCRATCH_EN: 0
; COMPUTE_PGM_RSRC2:USER_SGPR: 6
; COMPUTE_PGM_RSRC2:TRAP_HANDLER: 0
; COMPUTE_PGM_RSRC2:TGID_X_EN: 1
; COMPUTE_PGM_RSRC2:TGID_Y_EN: 0
; COMPUTE_PGM_RSRC2:TGID_Z_EN: 1
; COMPUTE_PGM_RSRC2:TIDIG_COMP_CNT: 0
	.section	.text._ZL34rocblas_gemvn_sm_mn_batched_kernelILi32ELi24EPKDF16_PKfKPfEviiT2_lPKT1_lilS9_lilS6_lPT3_lili,"axG",@progbits,_ZL34rocblas_gemvn_sm_mn_batched_kernelILi32ELi24EPKDF16_PKfKPfEviiT2_lPKT1_lilS9_lilS6_lPT3_lili,comdat
	.globl	_ZL34rocblas_gemvn_sm_mn_batched_kernelILi32ELi24EPKDF16_PKfKPfEviiT2_lPKT1_lilS9_lilS6_lPT3_lili ; -- Begin function _ZL34rocblas_gemvn_sm_mn_batched_kernelILi32ELi24EPKDF16_PKfKPfEviiT2_lPKT1_lilS9_lilS6_lPT3_lili
	.p2align	8
	.type	_ZL34rocblas_gemvn_sm_mn_batched_kernelILi32ELi24EPKDF16_PKfKPfEviiT2_lPKT1_lilS9_lilS6_lPT3_lili,@function
_ZL34rocblas_gemvn_sm_mn_batched_kernelILi32ELi24EPKDF16_PKfKPfEviiT2_lPKT1_lilS9_lilS6_lPT3_lili: ; @_ZL34rocblas_gemvn_sm_mn_batched_kernelILi32ELi24EPKDF16_PKfKPfEviiT2_lPKT1_lilS9_lilS6_lPT3_lili
; %bb.0:
	s_endpgm
	.section	.rodata,"a",@progbits
	.p2align	6, 0x0
	.amdhsa_kernel _ZL34rocblas_gemvn_sm_mn_batched_kernelILi32ELi24EPKDF16_PKfKPfEviiT2_lPKT1_lilS9_lilS6_lPT3_lili
		.amdhsa_group_segment_fixed_size 0
		.amdhsa_private_segment_fixed_size 0
		.amdhsa_kernarg_size 140
		.amdhsa_user_sgpr_count 6
		.amdhsa_user_sgpr_private_segment_buffer 1
		.amdhsa_user_sgpr_dispatch_ptr 0
		.amdhsa_user_sgpr_queue_ptr 0
		.amdhsa_user_sgpr_kernarg_segment_ptr 1
		.amdhsa_user_sgpr_dispatch_id 0
		.amdhsa_user_sgpr_flat_scratch_init 0
		.amdhsa_user_sgpr_private_segment_size 0
		.amdhsa_wavefront_size32 1
		.amdhsa_uses_dynamic_stack 0
		.amdhsa_system_sgpr_private_segment_wavefront_offset 0
		.amdhsa_system_sgpr_workgroup_id_x 1
		.amdhsa_system_sgpr_workgroup_id_y 0
		.amdhsa_system_sgpr_workgroup_id_z 0
		.amdhsa_system_sgpr_workgroup_info 0
		.amdhsa_system_vgpr_workitem_id 0
		.amdhsa_next_free_vgpr 1
		.amdhsa_next_free_sgpr 1
		.amdhsa_reserve_vcc 0
		.amdhsa_reserve_flat_scratch 0
		.amdhsa_float_round_mode_32 0
		.amdhsa_float_round_mode_16_64 0
		.amdhsa_float_denorm_mode_32 3
		.amdhsa_float_denorm_mode_16_64 3
		.amdhsa_dx10_clamp 1
		.amdhsa_ieee_mode 1
		.amdhsa_fp16_overflow 0
		.amdhsa_workgroup_processor_mode 1
		.amdhsa_memory_ordered 1
		.amdhsa_forward_progress 1
		.amdhsa_shared_vgpr_count 0
		.amdhsa_exception_fp_ieee_invalid_op 0
		.amdhsa_exception_fp_denorm_src 0
		.amdhsa_exception_fp_ieee_div_zero 0
		.amdhsa_exception_fp_ieee_overflow 0
		.amdhsa_exception_fp_ieee_underflow 0
		.amdhsa_exception_fp_ieee_inexact 0
		.amdhsa_exception_int_div_zero 0
	.end_amdhsa_kernel
	.section	.text._ZL34rocblas_gemvn_sm_mn_batched_kernelILi32ELi24EPKDF16_PKfKPfEviiT2_lPKT1_lilS9_lilS6_lPT3_lili,"axG",@progbits,_ZL34rocblas_gemvn_sm_mn_batched_kernelILi32ELi24EPKDF16_PKfKPfEviiT2_lPKT1_lilS9_lilS6_lPT3_lili,comdat
.Lfunc_end504:
	.size	_ZL34rocblas_gemvn_sm_mn_batched_kernelILi32ELi24EPKDF16_PKfKPfEviiT2_lPKT1_lilS9_lilS6_lPT3_lili, .Lfunc_end504-_ZL34rocblas_gemvn_sm_mn_batched_kernelILi32ELi24EPKDF16_PKfKPfEviiT2_lPKT1_lilS9_lilS6_lPT3_lili
                                        ; -- End function
	.set _ZL34rocblas_gemvn_sm_mn_batched_kernelILi32ELi24EPKDF16_PKfKPfEviiT2_lPKT1_lilS9_lilS6_lPT3_lili.num_vgpr, 0
	.set _ZL34rocblas_gemvn_sm_mn_batched_kernelILi32ELi24EPKDF16_PKfKPfEviiT2_lPKT1_lilS9_lilS6_lPT3_lili.num_agpr, 0
	.set _ZL34rocblas_gemvn_sm_mn_batched_kernelILi32ELi24EPKDF16_PKfKPfEviiT2_lPKT1_lilS9_lilS6_lPT3_lili.numbered_sgpr, 0
	.set _ZL34rocblas_gemvn_sm_mn_batched_kernelILi32ELi24EPKDF16_PKfKPfEviiT2_lPKT1_lilS9_lilS6_lPT3_lili.num_named_barrier, 0
	.set _ZL34rocblas_gemvn_sm_mn_batched_kernelILi32ELi24EPKDF16_PKfKPfEviiT2_lPKT1_lilS9_lilS6_lPT3_lili.private_seg_size, 0
	.set _ZL34rocblas_gemvn_sm_mn_batched_kernelILi32ELi24EPKDF16_PKfKPfEviiT2_lPKT1_lilS9_lilS6_lPT3_lili.uses_vcc, 0
	.set _ZL34rocblas_gemvn_sm_mn_batched_kernelILi32ELi24EPKDF16_PKfKPfEviiT2_lPKT1_lilS9_lilS6_lPT3_lili.uses_flat_scratch, 0
	.set _ZL34rocblas_gemvn_sm_mn_batched_kernelILi32ELi24EPKDF16_PKfKPfEviiT2_lPKT1_lilS9_lilS6_lPT3_lili.has_dyn_sized_stack, 0
	.set _ZL34rocblas_gemvn_sm_mn_batched_kernelILi32ELi24EPKDF16_PKfKPfEviiT2_lPKT1_lilS9_lilS6_lPT3_lili.has_recursion, 0
	.set _ZL34rocblas_gemvn_sm_mn_batched_kernelILi32ELi24EPKDF16_PKfKPfEviiT2_lPKT1_lilS9_lilS6_lPT3_lili.has_indirect_call, 0
	.section	.AMDGPU.csdata,"",@progbits
; Kernel info:
; codeLenInByte = 4
; TotalNumSgprs: 0
; NumVgprs: 0
; ScratchSize: 0
; MemoryBound: 0
; FloatMode: 240
; IeeeMode: 1
; LDSByteSize: 0 bytes/workgroup (compile time only)
; SGPRBlocks: 0
; VGPRBlocks: 0
; NumSGPRsForWavesPerEU: 1
; NumVGPRsForWavesPerEU: 1
; Occupancy: 16
; WaveLimiterHint : 0
; COMPUTE_PGM_RSRC2:SCRATCH_EN: 0
; COMPUTE_PGM_RSRC2:USER_SGPR: 6
; COMPUTE_PGM_RSRC2:TRAP_HANDLER: 0
; COMPUTE_PGM_RSRC2:TGID_X_EN: 1
; COMPUTE_PGM_RSRC2:TGID_Y_EN: 0
; COMPUTE_PGM_RSRC2:TGID_Z_EN: 0
; COMPUTE_PGM_RSRC2:TIDIG_COMP_CNT: 0
	.section	.text._ZL34rocblas_gemvn_sm_mn_batched_kernelILi32ELi24EPKDF16_fKPfEviiT2_lPKT1_lilS7_lilS4_lPT3_lili,"axG",@progbits,_ZL34rocblas_gemvn_sm_mn_batched_kernelILi32ELi24EPKDF16_fKPfEviiT2_lPKT1_lilS7_lilS4_lPT3_lili,comdat
	.globl	_ZL34rocblas_gemvn_sm_mn_batched_kernelILi32ELi24EPKDF16_fKPfEviiT2_lPKT1_lilS7_lilS4_lPT3_lili ; -- Begin function _ZL34rocblas_gemvn_sm_mn_batched_kernelILi32ELi24EPKDF16_fKPfEviiT2_lPKT1_lilS7_lilS4_lPT3_lili
	.p2align	8
	.type	_ZL34rocblas_gemvn_sm_mn_batched_kernelILi32ELi24EPKDF16_fKPfEviiT2_lPKT1_lilS7_lilS4_lPT3_lili,@function
_ZL34rocblas_gemvn_sm_mn_batched_kernelILi32ELi24EPKDF16_fKPfEviiT2_lPKT1_lilS7_lilS4_lPT3_lili: ; @_ZL34rocblas_gemvn_sm_mn_batched_kernelILi32ELi24EPKDF16_fKPfEviiT2_lPKT1_lilS7_lilS4_lPT3_lili
; %bb.0:
	s_endpgm
	.section	.rodata,"a",@progbits
	.p2align	6, 0x0
	.amdhsa_kernel _ZL34rocblas_gemvn_sm_mn_batched_kernelILi32ELi24EPKDF16_fKPfEviiT2_lPKT1_lilS7_lilS4_lPT3_lili
		.amdhsa_group_segment_fixed_size 0
		.amdhsa_private_segment_fixed_size 0
		.amdhsa_kernarg_size 140
		.amdhsa_user_sgpr_count 6
		.amdhsa_user_sgpr_private_segment_buffer 1
		.amdhsa_user_sgpr_dispatch_ptr 0
		.amdhsa_user_sgpr_queue_ptr 0
		.amdhsa_user_sgpr_kernarg_segment_ptr 1
		.amdhsa_user_sgpr_dispatch_id 0
		.amdhsa_user_sgpr_flat_scratch_init 0
		.amdhsa_user_sgpr_private_segment_size 0
		.amdhsa_wavefront_size32 1
		.amdhsa_uses_dynamic_stack 0
		.amdhsa_system_sgpr_private_segment_wavefront_offset 0
		.amdhsa_system_sgpr_workgroup_id_x 1
		.amdhsa_system_sgpr_workgroup_id_y 0
		.amdhsa_system_sgpr_workgroup_id_z 0
		.amdhsa_system_sgpr_workgroup_info 0
		.amdhsa_system_vgpr_workitem_id 0
		.amdhsa_next_free_vgpr 1
		.amdhsa_next_free_sgpr 1
		.amdhsa_reserve_vcc 0
		.amdhsa_reserve_flat_scratch 0
		.amdhsa_float_round_mode_32 0
		.amdhsa_float_round_mode_16_64 0
		.amdhsa_float_denorm_mode_32 3
		.amdhsa_float_denorm_mode_16_64 3
		.amdhsa_dx10_clamp 1
		.amdhsa_ieee_mode 1
		.amdhsa_fp16_overflow 0
		.amdhsa_workgroup_processor_mode 1
		.amdhsa_memory_ordered 1
		.amdhsa_forward_progress 1
		.amdhsa_shared_vgpr_count 0
		.amdhsa_exception_fp_ieee_invalid_op 0
		.amdhsa_exception_fp_denorm_src 0
		.amdhsa_exception_fp_ieee_div_zero 0
		.amdhsa_exception_fp_ieee_overflow 0
		.amdhsa_exception_fp_ieee_underflow 0
		.amdhsa_exception_fp_ieee_inexact 0
		.amdhsa_exception_int_div_zero 0
	.end_amdhsa_kernel
	.section	.text._ZL34rocblas_gemvn_sm_mn_batched_kernelILi32ELi24EPKDF16_fKPfEviiT2_lPKT1_lilS7_lilS4_lPT3_lili,"axG",@progbits,_ZL34rocblas_gemvn_sm_mn_batched_kernelILi32ELi24EPKDF16_fKPfEviiT2_lPKT1_lilS7_lilS4_lPT3_lili,comdat
.Lfunc_end505:
	.size	_ZL34rocblas_gemvn_sm_mn_batched_kernelILi32ELi24EPKDF16_fKPfEviiT2_lPKT1_lilS7_lilS4_lPT3_lili, .Lfunc_end505-_ZL34rocblas_gemvn_sm_mn_batched_kernelILi32ELi24EPKDF16_fKPfEviiT2_lPKT1_lilS7_lilS4_lPT3_lili
                                        ; -- End function
	.set _ZL34rocblas_gemvn_sm_mn_batched_kernelILi32ELi24EPKDF16_fKPfEviiT2_lPKT1_lilS7_lilS4_lPT3_lili.num_vgpr, 0
	.set _ZL34rocblas_gemvn_sm_mn_batched_kernelILi32ELi24EPKDF16_fKPfEviiT2_lPKT1_lilS7_lilS4_lPT3_lili.num_agpr, 0
	.set _ZL34rocblas_gemvn_sm_mn_batched_kernelILi32ELi24EPKDF16_fKPfEviiT2_lPKT1_lilS7_lilS4_lPT3_lili.numbered_sgpr, 0
	.set _ZL34rocblas_gemvn_sm_mn_batched_kernelILi32ELi24EPKDF16_fKPfEviiT2_lPKT1_lilS7_lilS4_lPT3_lili.num_named_barrier, 0
	.set _ZL34rocblas_gemvn_sm_mn_batched_kernelILi32ELi24EPKDF16_fKPfEviiT2_lPKT1_lilS7_lilS4_lPT3_lili.private_seg_size, 0
	.set _ZL34rocblas_gemvn_sm_mn_batched_kernelILi32ELi24EPKDF16_fKPfEviiT2_lPKT1_lilS7_lilS4_lPT3_lili.uses_vcc, 0
	.set _ZL34rocblas_gemvn_sm_mn_batched_kernelILi32ELi24EPKDF16_fKPfEviiT2_lPKT1_lilS7_lilS4_lPT3_lili.uses_flat_scratch, 0
	.set _ZL34rocblas_gemvn_sm_mn_batched_kernelILi32ELi24EPKDF16_fKPfEviiT2_lPKT1_lilS7_lilS4_lPT3_lili.has_dyn_sized_stack, 0
	.set _ZL34rocblas_gemvn_sm_mn_batched_kernelILi32ELi24EPKDF16_fKPfEviiT2_lPKT1_lilS7_lilS4_lPT3_lili.has_recursion, 0
	.set _ZL34rocblas_gemvn_sm_mn_batched_kernelILi32ELi24EPKDF16_fKPfEviiT2_lPKT1_lilS7_lilS4_lPT3_lili.has_indirect_call, 0
	.section	.AMDGPU.csdata,"",@progbits
; Kernel info:
; codeLenInByte = 4
; TotalNumSgprs: 0
; NumVgprs: 0
; ScratchSize: 0
; MemoryBound: 0
; FloatMode: 240
; IeeeMode: 1
; LDSByteSize: 0 bytes/workgroup (compile time only)
; SGPRBlocks: 0
; VGPRBlocks: 0
; NumSGPRsForWavesPerEU: 1
; NumVGPRsForWavesPerEU: 1
; Occupancy: 16
; WaveLimiterHint : 0
; COMPUTE_PGM_RSRC2:SCRATCH_EN: 0
; COMPUTE_PGM_RSRC2:USER_SGPR: 6
; COMPUTE_PGM_RSRC2:TRAP_HANDLER: 0
; COMPUTE_PGM_RSRC2:TGID_X_EN: 1
; COMPUTE_PGM_RSRC2:TGID_Y_EN: 0
; COMPUTE_PGM_RSRC2:TGID_Z_EN: 0
; COMPUTE_PGM_RSRC2:TIDIG_COMP_CNT: 0
	.section	.text._ZL20rocblas_gemvn_kernelILi64ELi4EiPKDF16_PKfKPfEviiT3_lPKT2_lT1_lS9_lSA_lS6_lPT4_lSA_li,"axG",@progbits,_ZL20rocblas_gemvn_kernelILi64ELi4EiPKDF16_PKfKPfEviiT3_lPKT2_lT1_lS9_lSA_lS6_lPT4_lSA_li,comdat
	.globl	_ZL20rocblas_gemvn_kernelILi64ELi4EiPKDF16_PKfKPfEviiT3_lPKT2_lT1_lS9_lSA_lS6_lPT4_lSA_li ; -- Begin function _ZL20rocblas_gemvn_kernelILi64ELi4EiPKDF16_PKfKPfEviiT3_lPKT2_lT1_lS9_lSA_lS6_lPT4_lSA_li
	.p2align	8
	.type	_ZL20rocblas_gemvn_kernelILi64ELi4EiPKDF16_PKfKPfEviiT3_lPKT2_lT1_lS9_lSA_lS6_lPT4_lSA_li,@function
_ZL20rocblas_gemvn_kernelILi64ELi4EiPKDF16_PKfKPfEviiT3_lPKT2_lT1_lS9_lSA_lS6_lPT4_lSA_li: ; @_ZL20rocblas_gemvn_kernelILi64ELi4EiPKDF16_PKfKPfEviiT3_lPKT2_lT1_lS9_lSA_lS6_lPT4_lSA_li
; %bb.0:
	s_load_dwordx2 s[2:3], s[4:5], 0x9c
	s_waitcnt lgkmcnt(0)
	s_lshr_b32 s1, s2, 16
	s_and_b32 s2, s2, 0xffff
	s_and_b32 s3, s3, 0xffff
	s_mul_i32 s1, s1, s2
	s_mul_i32 s1, s1, s3
	s_cmpk_lg_i32 s1, 0x100
	s_cbranch_scc1 .LBB506_54
; %bb.1:
	s_clause 0x1
	s_load_dwordx8 s[16:23], s[4:5], 0x8
	s_load_dwordx8 s[8:15], s[4:5], 0x58
	s_mov_b32 s0, s7
	s_waitcnt lgkmcnt(0)
	s_mul_i32 s1, s19, s7
	s_mul_hi_u32 s3, s18, s7
	s_mul_i32 s2, s18, s7
	s_add_i32 s3, s3, s1
	s_mul_i32 s1, s11, s7
	s_lshl_b64 s[2:3], s[2:3], 2
	s_mul_hi_u32 s7, s10, s7
	s_add_u32 s2, s16, s2
	s_addc_u32 s3, s17, s3
	s_add_i32 s11, s7, s1
	s_mul_i32 s10, s10, s0
	s_lshl_b64 s[10:11], s[10:11], 2
	s_add_u32 s8, s8, s10
	s_addc_u32 s9, s9, s11
	s_load_dword s18, s[2:3], 0x0
	s_load_dword s7, s[8:9], 0x0
	s_waitcnt lgkmcnt(0)
	v_cmp_eq_f32_e64 s2, s18, 0
	v_cmp_eq_f32_e64 s1, s7, 1.0
	s_and_b32 s1, s2, s1
	s_and_b32 vcc_lo, exec_lo, s1
	s_mov_b32 s1, 0
	s_cbranch_vccnz .LBB506_54
; %bb.2:
	v_cmp_neq_f32_e64 s3, s18, 0
	s_mov_b64 s[16:17], 0
	s_and_b32 vcc_lo, exec_lo, s2
	s_mov_b64 s[10:11], 0
	s_cbranch_vccnz .LBB506_4
; %bb.3:
	s_lshl_b64 s[8:9], s[0:1], 3
	s_add_u32 s8, s20, s8
	s_addc_u32 s9, s21, s9
	s_lshl_b64 s[10:11], s[22:23], 1
	s_load_dwordx2 s[8:9], s[8:9], 0x0
	s_waitcnt lgkmcnt(0)
	s_add_u32 s10, s8, s10
	s_addc_u32 s11, s9, s11
.LBB506_4:
	s_andn2_b32 vcc_lo, exec_lo, s3
	s_cbranch_vccnz .LBB506_6
; %bb.5:
	s_load_dwordx4 s[20:23], s[4:5], 0x38
	s_lshl_b64 s[8:9], s[0:1], 3
	s_waitcnt lgkmcnt(0)
	s_add_u32 s8, s20, s8
	s_addc_u32 s9, s21, s9
	s_lshl_b64 s[16:17], s[22:23], 1
	s_load_dwordx2 s[8:9], s[8:9], 0x0
	s_waitcnt lgkmcnt(0)
	s_add_u32 s16, s8, s16
	s_addc_u32 s17, s9, s17
.LBB506_6:
	s_lshl_b64 s[0:1], s[0:1], 3
	v_lshlrev_b32_e32 v14, 6, v1
	s_add_u32 s0, s12, s0
	s_addc_u32 s1, s13, s1
	s_lshl_b64 s[14:15], s[14:15], 2
	s_load_dwordx2 s[12:13], s[0:1], 0x0
	s_clause 0x1
	s_load_dwordx2 s[8:9], s[4:5], 0x0
	s_load_dword s19, s[4:5], 0x78
	v_add_nc_u32_e32 v13, v14, v0
	v_cmp_gt_u32_e64 s0, 0x100, v13
	s_waitcnt lgkmcnt(0)
	s_add_u32 s12, s12, s14
	s_addc_u32 s13, s13, s15
	s_andn2_b32 vcc_lo, exec_lo, s2
	s_cbranch_vccnz .LBB506_13
; %bb.7:
	s_mov_b32 s1, 0
	s_mov_b32 s14, 0
                                        ; implicit-def: $vgpr3
                                        ; implicit-def: $vgpr4_vgpr5
	s_and_saveexec_b32 s2, s0
	s_cbranch_execz .LBB506_14
; %bb.8:
	v_lshl_or_b32 v2, s6, 8, v13
	v_mov_b32_e32 v3, 0
	s_ashr_i32 s15, s8, 31
	s_mov_b32 s14, s8
	s_mov_b32 s3, 0
	s_mov_b32 s0, exec_lo
                                        ; implicit-def: $vgpr4_vgpr5
	v_cmpx_gt_i64_e64 s[14:15], v[2:3]
	s_cbranch_execz .LBB506_12
; %bb.9:
	v_mad_u64_u32 v[4:5], null, s19, v2, 0
	s_ashr_i32 s3, s19, 31
	v_mad_u64_u32 v[5:6], null, s3, v2, v[5:6]
	v_cmp_eq_f32_e64 s3, s7, 0
	s_and_b32 vcc_lo, exec_lo, s3
	s_cbranch_vccnz .LBB506_11
; %bb.10:
	v_lshlrev_b64 v[2:3], 2, v[4:5]
	v_add_co_u32 v2, vcc_lo, s12, v2
	v_add_co_ci_u32_e64 v3, null, s13, v3, vcc_lo
	flat_load_dword v2, v[2:3]
	s_waitcnt vmcnt(0) lgkmcnt(0)
	v_mul_f32_e32 v3, s7, v2
.LBB506_11:
	s_mov_b32 s3, exec_lo
.LBB506_12:
	s_or_b32 exec_lo, exec_lo, s0
	s_and_b32 s14, s3, exec_lo
	s_or_b32 exec_lo, exec_lo, s2
	s_and_b32 vcc_lo, exec_lo, s1
	s_cbranch_vccnz .LBB506_15
	s_branch .LBB506_52
.LBB506_13:
	s_mov_b32 s14, 0
                                        ; implicit-def: $vgpr3
                                        ; implicit-def: $vgpr4_vgpr5
	s_cbranch_execnz .LBB506_15
	s_branch .LBB506_52
.LBB506_14:
	s_or_b32 exec_lo, exec_lo, s2
	s_and_b32 vcc_lo, exec_lo, s1
	s_cbranch_vccz .LBB506_52
.LBB506_15:
	s_clause 0x1
	s_load_dword s15, s[4:5], 0x28
	s_load_dword s4, s[4:5], 0x48
	s_ashr_i32 s0, s9, 31
	s_lshl_b32 s5, s6, 8
	s_lshr_b32 s0, s0, 28
	v_lshlrev_b32_e32 v20, 2, v1
	v_or_b32_e32 v16, s5, v0
	v_mov_b32_e32 v19, 0
	v_mov_b32_e32 v18, 0
	;; [unrolled: 1-line block ×4, first 2 shown]
	s_add_i32 s0, s9, s0
	s_mov_b32 s20, exec_lo
	s_and_b32 s6, s0, -16
	v_cmpx_gt_i32_e64 s6, v20
	s_cbranch_execz .LBB506_27
; %bb.16:
	v_add_nc_u32_e32 v5, 0xc0, v16
	s_waitcnt lgkmcnt(0)
	v_mul_lo_u32 v3, s15, v20
	v_add_nc_u32_e32 v2, 64, v16
	v_add_nc_u32_e32 v6, 2, v20
	;; [unrolled: 1-line block ×3, first 2 shown]
	v_cmp_gt_i32_e64 s2, s8, v5
	v_mul_lo_u32 v5, v1, s15
	v_add_nc_u32_e32 v7, 3, v20
	v_mul_lo_u32 v8, v1, s4
	v_cmp_gt_i32_e64 s0, s8, v2
	v_add3_u32 v21, v3, s15, v0
	v_mad_u64_u32 v[2:3], null, s15, v6, v[0:1]
	v_cmp_gt_i32_e64 s1, s8, v4
	v_mad_u64_u32 v[3:4], null, s15, v7, v[0:1]
	v_lshl_add_u32 v22, v5, 2, v0
	v_mad_u64_u32 v[4:5], null, s4, v20, s[4:5]
	v_mul_lo_u32 v23, s4, v6
	v_mul_lo_u32 v24, s4, v7
	v_lshlrev_b32_e32 v25, 2, v8
	v_mov_b32_e32 v19, 0
	v_mov_b32_e32 v18, 0
	;; [unrolled: 1-line block ×4, first 2 shown]
	s_lshl_b32 s21, s15, 4
	s_lshl_b32 s23, s4, 4
	s_mov_b32 s22, 0
	s_mov_b32 s24, 0
	v_cmp_gt_i32_e32 vcc_lo, s8, v16
	s_branch .LBB506_21
.LBB506_17:                             ;   in Loop: Header=BB506_21 Depth=1
	s_or_b32 exec_lo, exec_lo, s27
	s_waitcnt vmcnt(3) lgkmcnt(3)
	v_fma_mix_f32 v5, v38, v42, v17 op_sel_hi:[0,1,0]
	s_waitcnt vmcnt(2) lgkmcnt(2)
	v_fma_mix_f32 v5, v39, v43, v5 op_sel_hi:[0,1,0]
	;; [unrolled: 2-line block ×4, first 2 shown]
.LBB506_18:                             ;   in Loop: Header=BB506_21 Depth=1
	s_or_b32 exec_lo, exec_lo, s26
	s_waitcnt vmcnt(3) lgkmcnt(3)
	v_fma_mix_f32 v5, v38, v34, v18 op_sel_hi:[0,1,0]
	s_waitcnt vmcnt(2) lgkmcnt(2)
	v_fma_mix_f32 v5, v39, v35, v5 op_sel_hi:[0,1,0]
	;; [unrolled: 2-line block ×4, first 2 shown]
.LBB506_19:                             ;   in Loop: Header=BB506_21 Depth=1
	s_or_b32 exec_lo, exec_lo, s3
	s_waitcnt vmcnt(3) lgkmcnt(3)
	v_fma_mix_f32 v5, v26, v30, v19 op_sel_hi:[1,1,0]
	s_waitcnt vmcnt(2) lgkmcnt(2)
	v_fma_mix_f32 v5, v27, v31, v5 op_sel_hi:[1,1,0]
	s_waitcnt vmcnt(1) lgkmcnt(1)
	v_fma_mix_f32 v5, v28, v32, v5 op_sel_hi:[1,1,0]
	s_waitcnt vmcnt(0) lgkmcnt(0)
	v_fma_mix_f32 v19, v29, v33, v5 op_sel_hi:[1,1,0]
.LBB506_20:                             ;   in Loop: Header=BB506_21 Depth=1
	s_or_b32 exec_lo, exec_lo, s25
	v_add_nc_u32_e32 v20, 16, v20
	v_add_nc_u32_e32 v21, s21, v21
	;; [unrolled: 1-line block ×5, first 2 shown]
	v_cmp_le_i32_e64 s3, s6, v20
	s_add_i32 s24, s24, s23
	s_or_b32 s22, s3, s22
	s_andn2_b32 exec_lo, exec_lo, s22
	s_cbranch_execz .LBB506_26
.LBB506_21:                             ; =>This Inner Loop Header: Depth=1
	s_and_saveexec_b32 s25, vcc_lo
	s_cbranch_execz .LBB506_20
; %bb.22:                               ;   in Loop: Header=BB506_21 Depth=1
	v_add_nc_u32_e32 v5, s24, v25
	v_add_nc_u32_e32 v7, s24, v4
	;; [unrolled: 1-line block ×5, first 2 shown]
	v_ashrrev_i32_e32 v6, 31, v5
	v_ashrrev_i32_e32 v8, 31, v7
	;; [unrolled: 1-line block ×5, first 2 shown]
	v_lshlrev_b64 v[5:6], 1, v[5:6]
	v_lshlrev_b64 v[7:8], 1, v[7:8]
	;; [unrolled: 1-line block ×3, first 2 shown]
	v_add_co_u32 v28, s3, s16, v5
	v_add_co_ci_u32_e64 v29, null, s17, v6, s3
	v_add_co_u32 v30, s3, s16, v7
	v_add_nc_u32_e32 v7, s5, v21
	v_add_co_ci_u32_e64 v31, null, s17, v8, s3
	v_lshlrev_b64 v[5:6], 1, v[11:12]
	v_add_co_u32 v32, s3, s16, v9
	v_add_nc_u32_e32 v11, s5, v2
	v_add_co_ci_u32_e64 v33, null, s17, v10, s3
	v_lshlrev_b64 v[9:10], 1, v[26:27]
	v_add_nc_u32_e32 v26, s5, v3
	v_ashrrev_i32_e32 v8, 31, v7
	v_ashrrev_i32_e32 v12, 31, v11
	v_add_co_u32 v34, s3, s16, v5
	v_ashrrev_i32_e32 v27, 31, v26
	v_add_co_ci_u32_e64 v35, null, s17, v6, s3
	v_lshlrev_b64 v[7:8], 1, v[7:8]
	v_add_co_u32 v5, s3, s10, v9
	v_add_co_ci_u32_e64 v6, null, s11, v10, s3
	v_lshlrev_b64 v[9:10], 1, v[11:12]
	v_lshlrev_b64 v[11:12], 1, v[26:27]
	v_add_co_u32 v7, s3, s10, v7
	v_add_co_ci_u32_e64 v8, null, s11, v8, s3
	v_add_co_u32 v9, s3, s10, v9
	v_add_co_ci_u32_e64 v10, null, s11, v10, s3
	;; [unrolled: 2-line block ×3, first 2 shown]
	s_clause 0x3
	flat_load_ushort v26, v[28:29]
	flat_load_ushort v27, v[30:31]
	;; [unrolled: 1-line block ×4, first 2 shown]
	s_clause 0x3
	flat_load_ushort v30, v[5:6]
	flat_load_ushort v31, v[7:8]
	flat_load_ushort v32, v[9:10]
	flat_load_ushort v33, v[11:12]
	s_and_saveexec_b32 s3, s0
	s_cbranch_execz .LBB506_19
; %bb.23:                               ;   in Loop: Header=BB506_21 Depth=1
	s_clause 0x3
	flat_load_ushort v34, v[5:6] offset:128
	flat_load_ushort v35, v[7:8] offset:128
	;; [unrolled: 1-line block ×4, first 2 shown]
	s_waitcnt vmcnt(11) lgkmcnt(11)
	v_cvt_f32_f16_e32 v38, v26
	s_waitcnt vmcnt(10) lgkmcnt(10)
	v_cvt_f32_f16_e32 v39, v27
	s_waitcnt vmcnt(9) lgkmcnt(9)
	v_cvt_f32_f16_e32 v40, v28
	s_waitcnt vmcnt(8) lgkmcnt(8)
	v_cvt_f32_f16_e32 v41, v29
	s_and_saveexec_b32 s26, s1
	s_cbranch_execz .LBB506_18
; %bb.24:                               ;   in Loop: Header=BB506_21 Depth=1
	s_clause 0x3
	flat_load_ushort v42, v[5:6] offset:256
	flat_load_ushort v43, v[7:8] offset:256
	;; [unrolled: 1-line block ×4, first 2 shown]
	s_and_saveexec_b32 s27, s2
	s_cbranch_execz .LBB506_17
; %bb.25:                               ;   in Loop: Header=BB506_21 Depth=1
	s_clause 0x3
	flat_load_ushort v5, v[5:6] offset:384
	flat_load_ushort v6, v[7:8] offset:384
	;; [unrolled: 1-line block ×4, first 2 shown]
	s_waitcnt vmcnt(3) lgkmcnt(3)
	v_fma_mix_f32 v5, v38, v5, v15 op_sel_hi:[0,1,0]
	s_waitcnt vmcnt(2) lgkmcnt(2)
	v_fma_mix_f32 v5, v39, v6, v5 op_sel_hi:[0,1,0]
	;; [unrolled: 2-line block ×4, first 2 shown]
	s_branch .LBB506_17
.LBB506_26:
	s_or_b32 exec_lo, exec_lo, s22
.LBB506_27:
	s_or_b32 exec_lo, exec_lo, s20
	s_sub_i32 s0, s9, s6
	s_cmp_lt_i32 s0, 1
	s_cbranch_scc1 .LBB506_45
; %bb.28:
	v_cmp_gt_i32_e32 vcc_lo, s9, v20
	v_mov_b32_e32 v10, 0
	v_or_b32_e32 v2, 1, v20
	v_mov_b32_e32 v11, 0
	v_mov_b32_e32 v12, 0
	;; [unrolled: 1-line block ×3, first 2 shown]
	s_and_saveexec_b32 s1, vcc_lo
	s_cbranch_execz .LBB506_36
; %bb.29:
	s_waitcnt lgkmcnt(0)
	v_mul_lo_u32 v3, v20, s4
	v_mov_b32_e32 v12, 0
	v_mov_b32_e32 v11, 0
	;; [unrolled: 1-line block ×3, first 2 shown]
	s_mov_b32 s2, exec_lo
	v_ashrrev_i32_e32 v4, 31, v3
	v_lshlrev_b64 v[3:4], 1, v[3:4]
	v_add_co_u32 v3, s0, s16, v3
	v_add_co_ci_u32_e64 v4, null, s17, v4, s0
	flat_load_ushort v3, v[3:4]
	v_cmpx_gt_i32_e64 s9, v2
	s_cbranch_execz .LBB506_35
; %bb.30:
	v_mul_lo_u32 v4, v2, s4
	v_mov_b32_e32 v11, 0
	v_mov_b32_e32 v10, 0
	s_mov_b32 s3, exec_lo
	v_ashrrev_i32_e32 v5, 31, v4
	v_lshlrev_b64 v[4:5], 1, v[4:5]
	v_add_co_u32 v4, s0, s16, v4
	v_add_co_ci_u32_e64 v5, null, s17, v5, s0
	flat_load_ushort v4, v[4:5]
	v_or_b32_e32 v5, 2, v20
	v_cmpx_gt_i32_e64 s9, v5
	s_cbranch_execz .LBB506_34
; %bb.31:
	v_mul_lo_u32 v5, v5, s4
	v_mov_b32_e32 v10, 0
	s_mov_b32 s6, exec_lo
	v_ashrrev_i32_e32 v6, 31, v5
	v_lshlrev_b64 v[5:6], 1, v[5:6]
	v_add_co_u32 v5, s0, s16, v5
	v_add_co_ci_u32_e64 v6, null, s17, v6, s0
	flat_load_ushort v5, v[5:6]
	v_or_b32_e32 v6, 3, v20
	v_cmpx_gt_i32_e64 s9, v6
	s_cbranch_execz .LBB506_33
; %bb.32:
	v_mul_lo_u32 v6, v6, s4
	v_ashrrev_i32_e32 v7, 31, v6
	v_lshlrev_b64 v[6:7], 1, v[6:7]
	v_add_co_u32 v6, s0, s16, v6
	v_add_co_ci_u32_e64 v7, null, s17, v7, s0
	flat_load_ushort v6, v[6:7]
	s_waitcnt vmcnt(0) lgkmcnt(0)
	v_cvt_f32_f16_e32 v10, v6
.LBB506_33:
	s_or_b32 exec_lo, exec_lo, s6
	s_waitcnt vmcnt(0) lgkmcnt(0)
	v_cvt_f32_f16_e32 v11, v5
.LBB506_34:
	s_or_b32 exec_lo, exec_lo, s3
	s_waitcnt vmcnt(0) lgkmcnt(0)
	v_cvt_f32_f16_e32 v12, v4
.LBB506_35:
	s_or_b32 exec_lo, exec_lo, s2
	s_waitcnt vmcnt(0) lgkmcnt(0)
	v_cvt_f32_f16_e32 v21, v3
.LBB506_36:
	s_or_b32 exec_lo, exec_lo, s1
	s_mov_b32 s1, exec_lo
	v_cmpx_gt_i32_e64 s8, v16
	s_cbranch_execz .LBB506_44
; %bb.37:
	s_waitcnt lgkmcnt(0)
	v_mul_lo_u32 v3, v20, s15
	v_or_b32_e32 v4, 2, v20
	v_mul_lo_u32 v5, v2, s15
	v_or_b32_e32 v6, 3, v20
	s_mov_b32 s0, exec_lo
	v_mul_lo_u32 v7, v4, s15
	v_mul_lo_u32 v8, v6, s15
	v_cndmask_b32_e32 v3, 0, v3, vcc_lo
	v_cmp_gt_i32_e32 vcc_lo, s9, v2
	v_add_nc_u32_e32 v2, v3, v16
	v_cndmask_b32_e32 v5, 0, v5, vcc_lo
	v_cmp_gt_i32_e32 vcc_lo, s9, v4
	v_ashrrev_i32_e32 v3, 31, v2
	v_add_nc_u32_e32 v4, v5, v16
	v_cndmask_b32_e32 v7, 0, v7, vcc_lo
	v_cmp_gt_i32_e32 vcc_lo, s9, v6
	v_lshlrev_b64 v[2:3], 1, v[2:3]
	v_ashrrev_i32_e32 v5, 31, v4
	v_add_nc_u32_e32 v6, v7, v16
	v_cndmask_b32_e32 v8, 0, v8, vcc_lo
	v_lshlrev_b64 v[4:5], 1, v[4:5]
	v_ashrrev_i32_e32 v7, 31, v6
	v_add_nc_u32_e32 v8, v8, v16
	v_add_co_u32 v2, vcc_lo, s10, v2
	v_add_co_ci_u32_e64 v3, null, s11, v3, vcc_lo
	v_lshlrev_b64 v[6:7], 1, v[6:7]
	v_ashrrev_i32_e32 v9, 31, v8
	v_add_co_u32 v4, vcc_lo, s10, v4
	v_add_co_ci_u32_e64 v5, null, s11, v5, vcc_lo
	flat_load_ushort v22, v[2:3]
	v_add_co_u32 v6, vcc_lo, s10, v6
	v_add_co_ci_u32_e64 v7, null, s11, v7, vcc_lo
	v_lshlrev_b64 v[8:9], 1, v[8:9]
	s_clause 0x1
	flat_load_ushort v23, v[4:5]
	flat_load_ushort v24, v[6:7]
	v_add_co_u32 v8, vcc_lo, s10, v8
	v_add_co_ci_u32_e64 v9, null, s11, v9, vcc_lo
	flat_load_ushort v20, v[8:9]
	s_waitcnt vmcnt(3) lgkmcnt(3)
	v_fma_mix_f32 v19, v21, v22, v19 op_sel_hi:[0,1,0]
	v_add_nc_u32_e32 v22, 64, v16
	s_waitcnt vmcnt(2) lgkmcnt(2)
	v_fma_mix_f32 v19, v12, v23, v19 op_sel_hi:[0,1,0]
	s_waitcnt vmcnt(1) lgkmcnt(1)
	v_fma_mix_f32 v19, v11, v24, v19 op_sel_hi:[0,1,0]
	v_cmpx_gt_i32_e64 s8, v22
	s_cbranch_execz .LBB506_43
; %bb.38:
	s_clause 0x3
	flat_load_ushort v23, v[2:3] offset:128
	flat_load_ushort v24, v[4:5] offset:128
	;; [unrolled: 1-line block ×4, first 2 shown]
	s_mov_b32 s2, exec_lo
	s_waitcnt vmcnt(3) lgkmcnt(3)
	v_fma_mix_f32 v18, v21, v23, v18 op_sel_hi:[0,1,0]
	v_add_nc_u32_e32 v23, 0x80, v16
	s_waitcnt vmcnt(2) lgkmcnt(2)
	v_fma_mix_f32 v18, v12, v24, v18 op_sel_hi:[0,1,0]
	s_waitcnt vmcnt(1) lgkmcnt(1)
	v_fma_mix_f32 v18, v11, v25, v18 op_sel_hi:[0,1,0]
	v_cmpx_gt_i32_e64 s8, v23
	s_cbranch_execz .LBB506_42
; %bb.39:
	s_clause 0x3
	flat_load_ushort v24, v[2:3] offset:256
	flat_load_ushort v25, v[4:5] offset:256
	;; [unrolled: 1-line block ×4, first 2 shown]
	s_mov_b32 s3, exec_lo
	s_waitcnt vmcnt(3) lgkmcnt(3)
	v_fma_mix_f32 v17, v21, v24, v17 op_sel_hi:[0,1,0]
	v_add_nc_u32_e32 v24, 0xc0, v16
	s_waitcnt vmcnt(2) lgkmcnt(2)
	v_fma_mix_f32 v17, v12, v25, v17 op_sel_hi:[0,1,0]
	s_waitcnt vmcnt(1) lgkmcnt(1)
	v_fma_mix_f32 v16, v11, v26, v17 op_sel_hi:[0,1,0]
	v_cmpx_gt_i32_e64 s8, v24
	s_cbranch_execz .LBB506_41
; %bb.40:
	s_clause 0x3
	flat_load_ushort v2, v[2:3] offset:384
	flat_load_ushort v3, v[4:5] offset:384
	;; [unrolled: 1-line block ×4, first 2 shown]
	s_waitcnt vmcnt(3) lgkmcnt(3)
	v_fma_mix_f32 v2, v21, v2, v15 op_sel_hi:[0,1,0]
	s_waitcnt vmcnt(2) lgkmcnt(2)
	v_fma_mix_f32 v2, v12, v3, v2 op_sel_hi:[0,1,0]
	;; [unrolled: 2-line block ×4, first 2 shown]
.LBB506_41:
	s_or_b32 exec_lo, exec_lo, s3
	s_waitcnt vmcnt(0) lgkmcnt(0)
	v_fma_mix_f32 v17, v10, v23, v16 op_sel_hi:[0,1,0]
.LBB506_42:
	s_or_b32 exec_lo, exec_lo, s2
	s_waitcnt vmcnt(0) lgkmcnt(0)
	v_fma_mix_f32 v18, v10, v22, v18 op_sel_hi:[0,1,0]
.LBB506_43:
	s_or_b32 exec_lo, exec_lo, s0
	s_waitcnt vmcnt(0) lgkmcnt(0)
	v_fma_mix_f32 v19, v10, v20, v19 op_sel_hi:[0,1,0]
.LBB506_44:
	s_or_b32 exec_lo, exec_lo, s1
.LBB506_45:
	v_lshlrev_b32_e32 v0, 2, v0
	s_mov_b32 s0, exec_lo
                                        ; implicit-def: $vgpr3
                                        ; implicit-def: $vgpr4_vgpr5
	v_lshl_or_b32 v1, v1, 10, v0
	ds_write2st64_b32 v1, v19, v18 offset1:1
	ds_write2st64_b32 v1, v17, v15 offset0:2 offset1:3
	s_waitcnt lgkmcnt(0)
	s_barrier
	buffer_gl0_inv
	v_cmpx_gt_u32_e32 0x100, v13
	s_cbranch_execz .LBB506_51
; %bb.46:
	v_lshl_add_u32 v4, v14, 2, v0
	s_mov_b32 s2, s14
	s_mov_b32 s1, exec_lo
	ds_read2st64_b32 v[0:1], v4 offset1:4
	ds_read2st64_b32 v[2:3], v4 offset0:8 offset1:12
	s_waitcnt lgkmcnt(1)
	v_add_f32_e32 v0, v0, v1
	v_or_b32_e32 v1, s5, v13
	s_waitcnt lgkmcnt(0)
	v_add_f32_e32 v0, v2, v0
	v_add_f32_e32 v0, v3, v0
                                        ; implicit-def: $vgpr3
	ds_write_b32 v4, v0
                                        ; implicit-def: $vgpr4_vgpr5
	v_cmpx_gt_i32_e64 s8, v1
	s_cbranch_execz .LBB506_50
; %bb.47:
	v_mul_lo_u32 v4, s19, v1
	v_cmp_eq_f32_e64 s2, s7, 0
	v_mul_f32_e32 v3, s18, v0
	s_and_b32 vcc_lo, exec_lo, s2
	v_ashrrev_i32_e32 v5, 31, v4
	s_cbranch_vccnz .LBB506_49
; %bb.48:
	v_lshlrev_b64 v[0:1], 2, v[4:5]
	v_add_co_u32 v0, vcc_lo, s12, v0
	v_add_co_ci_u32_e64 v1, null, s13, v1, vcc_lo
	flat_load_dword v0, v[0:1]
	s_waitcnt vmcnt(0) lgkmcnt(0)
	v_fmac_f32_e32 v3, s7, v0
.LBB506_49:
	s_or_b32 s2, s14, exec_lo
.LBB506_50:
	s_or_b32 exec_lo, exec_lo, s1
	s_andn2_b32 s1, s14, exec_lo
	s_and_b32 s2, s2, exec_lo
	s_or_b32 s14, s1, s2
.LBB506_51:
	s_or_b32 exec_lo, exec_lo, s0
.LBB506_52:
	s_and_saveexec_b32 s0, s14
	s_cbranch_execz .LBB506_54
; %bb.53:
	v_lshlrev_b64 v[0:1], 2, v[4:5]
	v_add_co_u32 v0, vcc_lo, s12, v0
	v_add_co_ci_u32_e64 v1, null, s13, v1, vcc_lo
	flat_store_dword v[0:1], v3
.LBB506_54:
	s_endpgm
	.section	.rodata,"a",@progbits
	.p2align	6, 0x0
	.amdhsa_kernel _ZL20rocblas_gemvn_kernelILi64ELi4EiPKDF16_PKfKPfEviiT3_lPKT2_lT1_lS9_lSA_lS6_lPT4_lSA_li
		.amdhsa_group_segment_fixed_size 4096
		.amdhsa_private_segment_fixed_size 0
		.amdhsa_kernarg_size 400
		.amdhsa_user_sgpr_count 6
		.amdhsa_user_sgpr_private_segment_buffer 1
		.amdhsa_user_sgpr_dispatch_ptr 0
		.amdhsa_user_sgpr_queue_ptr 0
		.amdhsa_user_sgpr_kernarg_segment_ptr 1
		.amdhsa_user_sgpr_dispatch_id 0
		.amdhsa_user_sgpr_flat_scratch_init 0
		.amdhsa_user_sgpr_private_segment_size 0
		.amdhsa_wavefront_size32 1
		.amdhsa_uses_dynamic_stack 0
		.amdhsa_system_sgpr_private_segment_wavefront_offset 0
		.amdhsa_system_sgpr_workgroup_id_x 1
		.amdhsa_system_sgpr_workgroup_id_y 0
		.amdhsa_system_sgpr_workgroup_id_z 1
		.amdhsa_system_sgpr_workgroup_info 0
		.amdhsa_system_vgpr_workitem_id 1
		.amdhsa_next_free_vgpr 46
		.amdhsa_next_free_sgpr 28
		.amdhsa_reserve_vcc 1
		.amdhsa_reserve_flat_scratch 1
		.amdhsa_float_round_mode_32 0
		.amdhsa_float_round_mode_16_64 0
		.amdhsa_float_denorm_mode_32 3
		.amdhsa_float_denorm_mode_16_64 3
		.amdhsa_dx10_clamp 1
		.amdhsa_ieee_mode 1
		.amdhsa_fp16_overflow 0
		.amdhsa_workgroup_processor_mode 1
		.amdhsa_memory_ordered 1
		.amdhsa_forward_progress 1
		.amdhsa_shared_vgpr_count 0
		.amdhsa_exception_fp_ieee_invalid_op 0
		.amdhsa_exception_fp_denorm_src 0
		.amdhsa_exception_fp_ieee_div_zero 0
		.amdhsa_exception_fp_ieee_overflow 0
		.amdhsa_exception_fp_ieee_underflow 0
		.amdhsa_exception_fp_ieee_inexact 0
		.amdhsa_exception_int_div_zero 0
	.end_amdhsa_kernel
	.section	.text._ZL20rocblas_gemvn_kernelILi64ELi4EiPKDF16_PKfKPfEviiT3_lPKT2_lT1_lS9_lSA_lS6_lPT4_lSA_li,"axG",@progbits,_ZL20rocblas_gemvn_kernelILi64ELi4EiPKDF16_PKfKPfEviiT3_lPKT2_lT1_lS9_lSA_lS6_lPT4_lSA_li,comdat
.Lfunc_end506:
	.size	_ZL20rocblas_gemvn_kernelILi64ELi4EiPKDF16_PKfKPfEviiT3_lPKT2_lT1_lS9_lSA_lS6_lPT4_lSA_li, .Lfunc_end506-_ZL20rocblas_gemvn_kernelILi64ELi4EiPKDF16_PKfKPfEviiT3_lPKT2_lT1_lS9_lSA_lS6_lPT4_lSA_li
                                        ; -- End function
	.set _ZL20rocblas_gemvn_kernelILi64ELi4EiPKDF16_PKfKPfEviiT3_lPKT2_lT1_lS9_lSA_lS6_lPT4_lSA_li.num_vgpr, 46
	.set _ZL20rocblas_gemvn_kernelILi64ELi4EiPKDF16_PKfKPfEviiT3_lPKT2_lT1_lS9_lSA_lS6_lPT4_lSA_li.num_agpr, 0
	.set _ZL20rocblas_gemvn_kernelILi64ELi4EiPKDF16_PKfKPfEviiT3_lPKT2_lT1_lS9_lSA_lS6_lPT4_lSA_li.numbered_sgpr, 28
	.set _ZL20rocblas_gemvn_kernelILi64ELi4EiPKDF16_PKfKPfEviiT3_lPKT2_lT1_lS9_lSA_lS6_lPT4_lSA_li.num_named_barrier, 0
	.set _ZL20rocblas_gemvn_kernelILi64ELi4EiPKDF16_PKfKPfEviiT3_lPKT2_lT1_lS9_lSA_lS6_lPT4_lSA_li.private_seg_size, 0
	.set _ZL20rocblas_gemvn_kernelILi64ELi4EiPKDF16_PKfKPfEviiT3_lPKT2_lT1_lS9_lSA_lS6_lPT4_lSA_li.uses_vcc, 1
	.set _ZL20rocblas_gemvn_kernelILi64ELi4EiPKDF16_PKfKPfEviiT3_lPKT2_lT1_lS9_lSA_lS6_lPT4_lSA_li.uses_flat_scratch, 1
	.set _ZL20rocblas_gemvn_kernelILi64ELi4EiPKDF16_PKfKPfEviiT3_lPKT2_lT1_lS9_lSA_lS6_lPT4_lSA_li.has_dyn_sized_stack, 0
	.set _ZL20rocblas_gemvn_kernelILi64ELi4EiPKDF16_PKfKPfEviiT3_lPKT2_lT1_lS9_lSA_lS6_lPT4_lSA_li.has_recursion, 0
	.set _ZL20rocblas_gemvn_kernelILi64ELi4EiPKDF16_PKfKPfEviiT3_lPKT2_lT1_lS9_lSA_lS6_lPT4_lSA_li.has_indirect_call, 0
	.section	.AMDGPU.csdata,"",@progbits
; Kernel info:
; codeLenInByte = 2856
; TotalNumSgprs: 30
; NumVgprs: 46
; ScratchSize: 0
; MemoryBound: 0
; FloatMode: 240
; IeeeMode: 1
; LDSByteSize: 4096 bytes/workgroup (compile time only)
; SGPRBlocks: 0
; VGPRBlocks: 5
; NumSGPRsForWavesPerEU: 30
; NumVGPRsForWavesPerEU: 46
; Occupancy: 16
; WaveLimiterHint : 1
; COMPUTE_PGM_RSRC2:SCRATCH_EN: 0
; COMPUTE_PGM_RSRC2:USER_SGPR: 6
; COMPUTE_PGM_RSRC2:TRAP_HANDLER: 0
; COMPUTE_PGM_RSRC2:TGID_X_EN: 1
; COMPUTE_PGM_RSRC2:TGID_Y_EN: 0
; COMPUTE_PGM_RSRC2:TGID_Z_EN: 1
; COMPUTE_PGM_RSRC2:TIDIG_COMP_CNT: 1
	.section	.text._ZL20rocblas_gemvn_kernelILi64ELi4ElPKDF16_PKfKPfEviiT3_lPKT2_lT1_lS9_lSA_lS6_lPT4_lSA_li,"axG",@progbits,_ZL20rocblas_gemvn_kernelILi64ELi4ElPKDF16_PKfKPfEviiT3_lPKT2_lT1_lS9_lSA_lS6_lPT4_lSA_li,comdat
	.globl	_ZL20rocblas_gemvn_kernelILi64ELi4ElPKDF16_PKfKPfEviiT3_lPKT2_lT1_lS9_lSA_lS6_lPT4_lSA_li ; -- Begin function _ZL20rocblas_gemvn_kernelILi64ELi4ElPKDF16_PKfKPfEviiT3_lPKT2_lT1_lS9_lSA_lS6_lPT4_lSA_li
	.p2align	8
	.type	_ZL20rocblas_gemvn_kernelILi64ELi4ElPKDF16_PKfKPfEviiT3_lPKT2_lT1_lS9_lSA_lS6_lPT4_lSA_li,@function
_ZL20rocblas_gemvn_kernelILi64ELi4ElPKDF16_PKfKPfEviiT3_lPKT2_lT1_lS9_lSA_lS6_lPT4_lSA_li: ; @_ZL20rocblas_gemvn_kernelILi64ELi4ElPKDF16_PKfKPfEviiT3_lPKT2_lT1_lS9_lSA_lS6_lPT4_lSA_li
; %bb.0:
	s_load_dwordx2 s[0:1], s[4:5], 0x9c
	s_waitcnt lgkmcnt(0)
	s_lshr_b32 s2, s0, 16
	s_and_b32 s0, s0, 0xffff
	s_and_b32 s1, s1, 0xffff
	s_mul_i32 s0, s2, s0
	s_mul_i32 s0, s0, s1
	s_cmpk_lg_i32 s0, 0x100
	s_cbranch_scc1 .LBB507_54
; %bb.1:
	s_clause 0x1
	s_load_dwordx8 s[16:23], s[4:5], 0x8
	s_load_dwordx8 s[8:15], s[4:5], 0x58
	s_mov_b32 s26, s7
	s_mov_b32 s27, 0
	s_waitcnt lgkmcnt(0)
	s_mul_i32 s1, s19, s7
	s_mul_hi_u32 s2, s18, s7
	s_mul_i32 s0, s18, s7
	s_add_i32 s1, s2, s1
	s_mul_i32 s2, s11, s7
	s_lshl_b64 s[0:1], s[0:1], 2
	s_mul_hi_u32 s3, s10, s7
	s_add_u32 s0, s16, s0
	s_addc_u32 s1, s17, s1
	s_add_i32 s3, s3, s2
	s_mul_i32 s2, s10, s7
	s_lshl_b64 s[2:3], s[2:3], 2
	s_add_u32 s2, s8, s2
	s_addc_u32 s3, s9, s3
	s_load_dword s29, s[0:1], 0x0
	s_load_dword s28, s[2:3], 0x0
	s_waitcnt lgkmcnt(0)
	v_cmp_eq_f32_e64 s7, s29, 0
	v_cmp_eq_f32_e64 s0, s28, 1.0
	s_and_b32 s0, s7, s0
	s_and_b32 vcc_lo, exec_lo, s0
	s_cbranch_vccnz .LBB507_54
; %bb.2:
	s_clause 0x1
	s_load_dwordx2 s[16:17], s[4:5], 0x28
	s_load_dwordx2 s[8:9], s[4:5], 0x78
	v_cmp_neq_f32_e64 s10, s29, 0
	s_mov_b64 s[24:25], 0
	s_and_b32 vcc_lo, exec_lo, s7
	s_mov_b64 s[18:19], 0
	s_cbranch_vccnz .LBB507_4
; %bb.3:
	s_lshl_b64 s[0:1], s[26:27], 3
	s_add_u32 s0, s20, s0
	s_addc_u32 s1, s21, s1
	s_lshl_b64 s[2:3], s[22:23], 1
	s_load_dwordx2 s[0:1], s[0:1], 0x0
	s_waitcnt lgkmcnt(0)
	s_add_u32 s18, s0, s2
	s_addc_u32 s19, s1, s3
.LBB507_4:
	s_clause 0x1
	s_load_dwordx4 s[0:3], s[4:5], 0x38
	s_load_dwordx2 s[20:21], s[4:5], 0x48
	s_andn2_b32 vcc_lo, exec_lo, s10
	s_cbranch_vccnz .LBB507_6
; %bb.5:
	s_lshl_b64 s[10:11], s[26:27], 3
	s_waitcnt lgkmcnt(0)
	s_add_u32 s0, s0, s10
	s_addc_u32 s1, s1, s11
	s_lshl_b64 s[2:3], s[2:3], 1
	s_load_dwordx2 s[0:1], s[0:1], 0x0
	s_waitcnt lgkmcnt(0)
	s_add_u32 s24, s0, s2
	s_addc_u32 s25, s1, s3
.LBB507_6:
	s_waitcnt lgkmcnt(0)
	s_lshl_b64 s[0:1], s[26:27], 3
	v_lshlrev_b32_e32 v22, 6, v1
	s_add_u32 s0, s12, s0
	s_addc_u32 s1, s13, s1
	s_lshl_b64 s[12:13], s[14:15], 2
	s_load_dwordx2 s[2:3], s[0:1], 0x0
	s_load_dwordx2 s[10:11], s[4:5], 0x0
	v_add_nc_u32_e32 v21, v22, v0
	v_cmp_gt_u32_e64 s0, 0x100, v21
	s_waitcnt lgkmcnt(0)
	s_add_u32 s5, s2, s12
	s_addc_u32 s22, s3, s13
	s_andn2_b32 vcc_lo, exec_lo, s7
	s_cbranch_vccnz .LBB507_13
; %bb.7:
	s_mov_b32 s1, 0
	s_mov_b32 s23, 0
                                        ; implicit-def: $vgpr3
                                        ; implicit-def: $vgpr4_vgpr5
	s_and_saveexec_b32 s2, s0
	s_cbranch_execz .LBB507_14
; %bb.8:
	v_lshl_or_b32 v2, s6, 8, v21
	v_mov_b32_e32 v3, 0
	s_ashr_i32 s13, s10, 31
	s_mov_b32 s12, s10
	s_mov_b32 s3, 0
	s_mov_b32 s0, exec_lo
                                        ; implicit-def: $vgpr4_vgpr5
	v_cmpx_gt_i64_e64 s[12:13], v[2:3]
	s_cbranch_execz .LBB507_12
; %bb.9:
	v_mad_u64_u32 v[4:5], null, s8, v2, 0
	v_cmp_eq_f32_e64 s3, s28, 0
	s_and_b32 vcc_lo, exec_lo, s3
	v_mad_u64_u32 v[5:6], null, s9, v2, v[5:6]
	s_cbranch_vccnz .LBB507_11
; %bb.10:
	v_lshlrev_b64 v[2:3], 2, v[4:5]
	v_add_co_u32 v2, vcc_lo, s5, v2
	v_add_co_ci_u32_e64 v3, null, s22, v3, vcc_lo
	flat_load_dword v2, v[2:3]
	s_waitcnt vmcnt(0) lgkmcnt(0)
	v_mul_f32_e32 v3, s28, v2
.LBB507_11:
	s_mov_b32 s3, exec_lo
.LBB507_12:
	s_or_b32 exec_lo, exec_lo, s0
	s_and_b32 s23, s3, exec_lo
	s_or_b32 exec_lo, exec_lo, s2
	s_and_b32 vcc_lo, exec_lo, s1
	s_cbranch_vccnz .LBB507_15
	s_branch .LBB507_52
.LBB507_13:
	s_mov_b32 s23, 0
                                        ; implicit-def: $vgpr3
                                        ; implicit-def: $vgpr4_vgpr5
	s_cbranch_execnz .LBB507_15
	s_branch .LBB507_52
.LBB507_14:
	s_or_b32 exec_lo, exec_lo, s2
	s_and_b32 vcc_lo, exec_lo, s1
	s_cbranch_vccz .LBB507_52
.LBB507_15:
	s_ashr_i32 s0, s11, 31
	s_lshl_b32 s26, s6, 8
	s_lshr_b32 s0, s0, 28
	v_lshlrev_b32_e32 v24, 2, v1
	v_mov_b32_e32 v27, 0
	v_or_b32_e32 v2, s26, v0
	v_mov_b32_e32 v26, 0
	v_mov_b32_e32 v25, 0
	;; [unrolled: 1-line block ×3, first 2 shown]
	s_add_i32 s0, s11, s0
	s_mov_b32 s30, exec_lo
	s_and_b32 s27, s0, -16
	v_cmpx_gt_i32_e64 s27, v24
	s_cbranch_execz .LBB507_27
; %bb.16:
	v_lshlrev_b32_e32 v23, 2, v1
	v_add_nc_u32_e32 v4, 64, v2
	v_mad_u64_u32 v[7:8], null, s20, v1, 0
	v_mad_u64_u32 v[9:10], null, s16, v1, 0
	v_or_b32_e32 v27, 3, v23
	v_add_nc_u32_e32 v11, 0x80, v2
	v_add_nc_u32_e32 v12, 0xc0, v2
	v_cmp_gt_i32_e64 s0, s10, v4
	v_or_b32_e32 v32, 2, v23
	v_mad_u64_u32 v[5:6], null, s16, v27, 0
	v_cmp_gt_i32_e64 s1, s10, v11
	v_cmp_gt_i32_e64 s2, s10, v12
	v_mad_u64_u32 v[16:17], null, s16, v32, 0
	v_mad_u64_u32 v[18:19], null, s20, v27, 0
	v_mov_b32_e32 v4, v6
	v_mov_b32_e32 v6, v8
	;; [unrolled: 1-line block ×3, first 2 shown]
	v_ashrrev_i32_e32 v3, 31, v2
	s_lshl_b64 s[6:7], s[16:17], 5
	v_mad_u64_u32 v[11:12], null, s17, v27, v[4:5]
	v_mad_u64_u32 v[12:13], null, s21, v1, v[6:7]
	;; [unrolled: 1-line block ×4, first 2 shown]
	v_mov_b32_e32 v6, v11
	v_lshlrev_b64 v[3:4], 1, v[2:3]
	v_mov_b32_e32 v8, v12
	s_lshl_b64 s[12:13], s[20:21], 5
	v_mov_b32_e32 v10, v13
	v_lshlrev_b64 v[11:12], 1, v[5:6]
	s_mov_b32 s31, 0
	v_lshlrev_b64 v[5:6], 3, v[7:8]
	v_mov_b32_e32 v7, v17
	v_mov_b32_e32 v8, v15
	v_lshlrev_b64 v[9:10], 3, v[9:10]
	v_add_co_u32 v28, s3, s18, v11
	v_add_co_ci_u32_e64 v29, null, s19, v12, s3
	v_mad_u64_u32 v[11:12], null, s16, v23, s[16:17]
	v_mad_u64_u32 v[25:26], null, s17, v32, v[7:8]
	v_mov_b32_e32 v7, v19
	v_mad_u64_u32 v[19:20], null, s21, v23, v[8:9]
	v_add_co_u32 v30, s3, s18, v9
	v_mad_u64_u32 v[7:8], null, s21, v27, v[7:8]
	v_mov_b32_e32 v8, v12
	v_mov_b32_e32 v17, v25
	v_mad_u64_u32 v[25:26], null, s20, v32, 0
	v_mov_b32_e32 v15, v19
	v_mad_u64_u32 v[12:13], null, s17, v23, v[8:9]
	v_lshlrev_b64 v[16:17], 1, v[16:17]
	v_mov_b32_e32 v19, v7
	v_add_co_ci_u32_e64 v31, null, s19, v10, s3
	v_mov_b32_e32 v8, v26
	v_mov_b32_e32 v23, 0
	v_lshlrev_b64 v[11:12], 1, v[11:12]
	s_mov_b64 s[14:15], s[24:25]
	v_cmp_gt_i32_e32 vcc_lo, s10, v2
	v_mad_u64_u32 v[26:27], null, s21, v32, v[8:9]
	v_add_co_u32 v32, s3, s18, v16
	v_add_co_ci_u32_e64 v33, null, s19, v17, s3
	v_add_co_u32 v34, s3, s18, v11
	v_lshlrev_b64 v[7:8], 1, v[14:15]
	v_lshlrev_b64 v[9:10], 1, v[18:19]
	v_add_co_ci_u32_e64 v35, null, s19, v12, s3
	v_lshlrev_b64 v[11:12], 1, v[25:26]
	v_mov_b32_e32 v27, 0
	v_mov_b32_e32 v26, 0
	;; [unrolled: 1-line block ×3, first 2 shown]
	s_branch .LBB507_21
.LBB507_17:                             ;   in Loop: Header=BB507_21 Depth=1
	s_or_b32 exec_lo, exec_lo, s34
	s_waitcnt vmcnt(3) lgkmcnt(3)
	v_fma_mix_f32 v13, v48, v52, v25 op_sel_hi:[0,1,0]
	s_waitcnt vmcnt(2) lgkmcnt(2)
	v_fma_mix_f32 v13, v49, v53, v13 op_sel_hi:[0,1,0]
	;; [unrolled: 2-line block ×4, first 2 shown]
.LBB507_18:                             ;   in Loop: Header=BB507_21 Depth=1
	s_or_b32 exec_lo, exec_lo, s33
	s_waitcnt vmcnt(3) lgkmcnt(3)
	v_fma_mix_f32 v13, v48, v44, v26 op_sel_hi:[0,1,0]
	s_waitcnt vmcnt(2) lgkmcnt(2)
	v_fma_mix_f32 v13, v49, v45, v13 op_sel_hi:[0,1,0]
	;; [unrolled: 2-line block ×4, first 2 shown]
.LBB507_19:                             ;   in Loop: Header=BB507_21 Depth=1
	s_or_b32 exec_lo, exec_lo, s3
	s_waitcnt vmcnt(3) lgkmcnt(3)
	v_fma_mix_f32 v13, v36, v40, v27 op_sel_hi:[1,1,0]
	s_waitcnt vmcnt(2) lgkmcnt(2)
	v_fma_mix_f32 v13, v37, v41, v13 op_sel_hi:[1,1,0]
	;; [unrolled: 2-line block ×4, first 2 shown]
.LBB507_20:                             ;   in Loop: Header=BB507_21 Depth=1
	s_or_b32 exec_lo, exec_lo, s4
	v_add_co_u32 v28, s3, v28, s6
	v_add_nc_u32_e32 v24, 16, v24
	v_add_co_ci_u32_e64 v29, null, s7, v29, s3
	v_add_co_u32 v30, s3, v30, s6
	v_add_co_ci_u32_e64 v31, null, s7, v31, s3
	v_add_co_u32 v32, s3, v32, s6
	v_add_co_ci_u32_e64 v33, null, s7, v33, s3
	v_cmp_le_i32_e64 s3, s27, v24
	v_add_co_u32 v34, s4, v34, s6
	v_add_co_ci_u32_e64 v35, null, s7, v35, s4
	s_add_u32 s14, s14, s12
	s_addc_u32 s15, s15, s13
	s_or_b32 s31, s3, s31
	s_andn2_b32 exec_lo, exec_lo, s31
	s_cbranch_execz .LBB507_26
.LBB507_21:                             ; =>This Inner Loop Header: Depth=1
	s_and_saveexec_b32 s4, vcc_lo
	s_cbranch_execz .LBB507_20
; %bb.22:                               ;   in Loop: Header=BB507_21 Depth=1
	v_add_co_u32 v36, s3, s14, v5
	v_add_co_ci_u32_e64 v37, null, s15, v6, s3
	v_add_co_u32 v38, s3, s14, v7
	v_add_co_ci_u32_e64 v39, null, s15, v8, s3
	;; [unrolled: 2-line block ×8, first 2 shown]
	s_clause 0x3
	flat_load_ushort v36, v[36:37]
	flat_load_ushort v37, v[38:39]
	;; [unrolled: 1-line block ×8, first 2 shown]
	s_and_saveexec_b32 s3, s0
	s_cbranch_execz .LBB507_19
; %bb.23:                               ;   in Loop: Header=BB507_21 Depth=1
	flat_load_ushort v44, v[13:14] offset:128
	flat_load_ushort v45, v[15:16] offset:128
	;; [unrolled: 1-line block ×4, first 2 shown]
	s_waitcnt vmcnt(11) lgkmcnt(11)
	v_cvt_f32_f16_e32 v48, v36
	s_waitcnt vmcnt(10) lgkmcnt(10)
	v_cvt_f32_f16_e32 v49, v37
	s_waitcnt vmcnt(9) lgkmcnt(9)
	v_cvt_f32_f16_e32 v50, v38
	s_waitcnt vmcnt(8) lgkmcnt(8)
	v_cvt_f32_f16_e32 v51, v39
	s_and_saveexec_b32 s33, s1
	s_cbranch_execz .LBB507_18
; %bb.24:                               ;   in Loop: Header=BB507_21 Depth=1
	flat_load_ushort v52, v[13:14] offset:256
	flat_load_ushort v53, v[15:16] offset:256
	;; [unrolled: 1-line block ×4, first 2 shown]
	s_and_saveexec_b32 s34, s2
	s_cbranch_execz .LBB507_17
; %bb.25:                               ;   in Loop: Header=BB507_21 Depth=1
	flat_load_ushort v13, v[13:14] offset:384
	flat_load_ushort v14, v[15:16] offset:384
	;; [unrolled: 1-line block ×4, first 2 shown]
	s_waitcnt vmcnt(3) lgkmcnt(3)
	v_fma_mix_f32 v13, v48, v13, v23 op_sel_hi:[0,1,0]
	s_waitcnt vmcnt(2) lgkmcnt(2)
	v_fma_mix_f32 v13, v49, v14, v13 op_sel_hi:[0,1,0]
	;; [unrolled: 2-line block ×4, first 2 shown]
	s_branch .LBB507_17
.LBB507_26:
	s_or_b32 exec_lo, exec_lo, s31
.LBB507_27:
	s_or_b32 exec_lo, exec_lo, s30
	s_sub_i32 s0, s11, s27
	s_cmp_lt_i32 s0, 1
	s_cbranch_scc1 .LBB507_45
; %bb.28:
	v_cmp_gt_i32_e32 vcc_lo, s11, v24
	v_mov_b32_e32 v11, 0
	v_or_b32_e32 v4, 1, v24
	v_mov_b32_e32 v12, 0
	v_mov_b32_e32 v13, 0
	;; [unrolled: 1-line block ×3, first 2 shown]
	s_and_saveexec_b32 s1, vcc_lo
	s_cbranch_execz .LBB507_36
; %bb.29:
	v_mad_u64_u32 v[5:6], null, s20, v24, 0
	v_mov_b32_e32 v13, 0
	v_mov_b32_e32 v12, 0
	;; [unrolled: 1-line block ×3, first 2 shown]
	s_mov_b32 s2, exec_lo
	v_mov_b32_e32 v3, v6
	v_mad_u64_u32 v[6:7], null, s21, v24, v[3:4]
	v_lshlrev_b64 v[5:6], 1, v[5:6]
	v_add_co_u32 v5, s0, s24, v5
	v_add_co_ci_u32_e64 v6, null, s25, v6, s0
	flat_load_ushort v3, v[5:6]
	v_cmpx_gt_i32_e64 s11, v4
	s_cbranch_execz .LBB507_35
; %bb.30:
	v_mad_u64_u32 v[5:6], null, s20, v4, 0
	v_mov_b32_e32 v12, 0
	v_mov_b32_e32 v11, 0
	s_mov_b32 s3, exec_lo
	v_mad_u64_u32 v[6:7], null, s21, v4, v[6:7]
	v_lshlrev_b64 v[5:6], 1, v[5:6]
	v_add_co_u32 v5, s0, s24, v5
	v_add_co_ci_u32_e64 v6, null, s25, v6, s0
	flat_load_ushort v5, v[5:6]
	v_or_b32_e32 v6, 2, v24
	v_cmpx_gt_i32_e64 s11, v6
	s_cbranch_execz .LBB507_34
; %bb.31:
	v_mad_u64_u32 v[7:8], null, s20, v6, 0
	v_mov_b32_e32 v11, 0
	s_mov_b32 s4, exec_lo
	v_mad_u64_u32 v[8:9], null, s21, v6, v[8:9]
	v_lshlrev_b64 v[6:7], 1, v[7:8]
	v_add_co_u32 v6, s0, s24, v6
	v_add_co_ci_u32_e64 v7, null, s25, v7, s0
	flat_load_ushort v6, v[6:7]
	v_or_b32_e32 v7, 3, v24
	v_cmpx_gt_i32_e64 s11, v7
	s_cbranch_execz .LBB507_33
; %bb.32:
	v_mad_u64_u32 v[8:9], null, s20, v7, 0
	v_mad_u64_u32 v[9:10], null, s21, v7, v[9:10]
	v_lshlrev_b64 v[7:8], 1, v[8:9]
	v_add_co_u32 v7, s0, s24, v7
	v_add_co_ci_u32_e64 v8, null, s25, v8, s0
	flat_load_ushort v7, v[7:8]
	s_waitcnt vmcnt(0) lgkmcnt(0)
	v_cvt_f32_f16_e32 v11, v7
.LBB507_33:
	s_or_b32 exec_lo, exec_lo, s4
	s_waitcnt vmcnt(0) lgkmcnt(0)
	v_cvt_f32_f16_e32 v12, v6
.LBB507_34:
	s_or_b32 exec_lo, exec_lo, s3
	s_waitcnt vmcnt(0) lgkmcnt(0)
	v_cvt_f32_f16_e32 v13, v5
.LBB507_35:
	s_or_b32 exec_lo, exec_lo, s2
	s_waitcnt vmcnt(0) lgkmcnt(0)
	v_cvt_f32_f16_e32 v14, v3
.LBB507_36:
	s_or_b32 exec_lo, exec_lo, s1
	s_mov_b32 s1, exec_lo
	v_cmpx_gt_i32_e64 s10, v2
	s_cbranch_execz .LBB507_44
; %bb.37:
	v_mad_u64_u32 v[5:6], null, s16, v24, 0
	v_mad_u64_u32 v[7:8], null, s16, v4, 0
	v_ashrrev_i32_e32 v3, 31, v2
	v_or_b32_e32 v20, 2, v24
	v_or_b32_e32 v30, 3, v24
	v_cndmask_b32_e32 v5, 0, v5, vcc_lo
	v_lshlrev_b64 v[9:10], 1, v[2:3]
	v_mad_u64_u32 v[15:16], null, s17, v24, v[6:7]
	v_mov_b32_e32 v3, v8
	v_mad_u64_u32 v[16:17], null, s16, v20, 0
	v_mad_u64_u32 v[18:19], null, s16, v30, 0
	;; [unrolled: 1-line block ×3, first 2 shown]
	v_cndmask_b32_e32 v6, 0, v15, vcc_lo
	v_cmp_gt_i32_e32 vcc_lo, s11, v4
	v_mov_b32_e32 v3, v17
	v_cmp_gt_i32_e64 s0, s11, v20
	v_mov_b32_e32 v8, v19
	v_cndmask_b32_e32 v4, 0, v7, vcc_lo
	v_lshlrev_b64 v[6:7], 1, v[5:6]
	v_cndmask_b32_e32 v5, 0, v28, vcc_lo
	v_cndmask_b32_e64 v15, 0, v16, s0
	v_mad_u64_u32 v[19:20], null, s17, v20, v[3:4]
	v_add_co_u32 v3, vcc_lo, s18, v6
	v_lshlrev_b64 v[5:6], 1, v[4:5]
	v_add_co_ci_u32_e64 v7, null, s19, v7, vcc_lo
	v_add_co_u32 v3, vcc_lo, v3, v9
	v_cndmask_b32_e64 v16, 0, v19, s0
	v_add_co_ci_u32_e64 v4, null, v7, v10, vcc_lo
	v_add_co_u32 v5, vcc_lo, s18, v5
	v_add_co_ci_u32_e64 v6, null, s19, v6, vcc_lo
	v_mad_u64_u32 v[7:8], null, s17, v30, v[8:9]
	v_add_co_u32 v5, vcc_lo, v5, v9
	v_add_co_ci_u32_e64 v6, null, v6, v10, vcc_lo
	v_cmp_gt_i32_e32 vcc_lo, s11, v30
	v_lshlrev_b64 v[15:16], 1, v[15:16]
	s_clause 0x1
	flat_load_ushort v19, v[3:4]
	flat_load_ushort v20, v[5:6]
	s_mov_b32 s0, exec_lo
	v_cndmask_b32_e32 v17, 0, v18, vcc_lo
	v_cndmask_b32_e32 v18, 0, v7, vcc_lo
	v_add_co_u32 v7, vcc_lo, s18, v15
	v_add_co_ci_u32_e64 v8, null, s19, v16, vcc_lo
	v_lshlrev_b64 v[15:16], 1, v[17:18]
	v_add_co_u32 v7, vcc_lo, v7, v9
	v_add_co_ci_u32_e64 v8, null, v8, v10, vcc_lo
	v_add_nc_u32_e32 v18, 64, v2
	v_add_co_u32 v15, vcc_lo, s18, v15
	v_add_co_ci_u32_e64 v16, null, s19, v16, vcc_lo
	flat_load_ushort v17, v[7:8]
	v_add_co_u32 v9, vcc_lo, v15, v9
	v_add_co_ci_u32_e64 v10, null, v16, v10, vcc_lo
	flat_load_ushort v15, v[9:10]
	s_waitcnt vmcnt(3) lgkmcnt(3)
	v_fma_mix_f32 v16, v14, v19, v27 op_sel_hi:[0,1,0]
	s_waitcnt vmcnt(2) lgkmcnt(2)
	v_fma_mix_f32 v16, v13, v20, v16 op_sel_hi:[0,1,0]
	;; [unrolled: 2-line block ×3, first 2 shown]
	v_cmpx_gt_i32_e64 s10, v18
	s_cbranch_execz .LBB507_43
; %bb.38:
	s_clause 0x3
	flat_load_ushort v18, v[3:4] offset:128
	flat_load_ushort v19, v[5:6] offset:128
	;; [unrolled: 1-line block ×4, first 2 shown]
	s_mov_b32 s2, exec_lo
	s_waitcnt vmcnt(3) lgkmcnt(3)
	v_fma_mix_f32 v18, v14, v18, v26 op_sel_hi:[0,1,0]
	s_waitcnt vmcnt(2) lgkmcnt(2)
	v_fma_mix_f32 v18, v13, v19, v18 op_sel_hi:[0,1,0]
	v_add_nc_u32_e32 v19, 0x80, v2
	s_waitcnt vmcnt(1) lgkmcnt(1)
	v_fma_mix_f32 v18, v12, v20, v18 op_sel_hi:[0,1,0]
	v_cmpx_gt_i32_e64 s10, v19
	s_cbranch_execz .LBB507_42
; %bb.39:
	s_clause 0x3
	flat_load_ushort v20, v[3:4] offset:256
	flat_load_ushort v24, v[5:6] offset:256
	;; [unrolled: 1-line block ×4, first 2 shown]
	s_mov_b32 s3, exec_lo
	s_waitcnt vmcnt(3) lgkmcnt(3)
	v_fma_mix_f32 v20, v14, v20, v25 op_sel_hi:[0,1,0]
	s_waitcnt vmcnt(2) lgkmcnt(2)
	v_fma_mix_f32 v20, v13, v24, v20 op_sel_hi:[0,1,0]
	v_add_nc_u32_e32 v24, 0xc0, v2
	s_waitcnt vmcnt(1) lgkmcnt(1)
	v_fma_mix_f32 v2, v12, v26, v20 op_sel_hi:[0,1,0]
	v_cmpx_gt_i32_e64 s10, v24
	s_cbranch_execz .LBB507_41
; %bb.40:
	s_clause 0x3
	flat_load_ushort v3, v[3:4] offset:384
	flat_load_ushort v4, v[5:6] offset:384
	;; [unrolled: 1-line block ×4, first 2 shown]
	s_waitcnt vmcnt(3) lgkmcnt(3)
	v_fma_mix_f32 v3, v14, v3, v23 op_sel_hi:[0,1,0]
	s_waitcnt vmcnt(2) lgkmcnt(2)
	v_fma_mix_f32 v3, v13, v4, v3 op_sel_hi:[0,1,0]
	;; [unrolled: 2-line block ×4, first 2 shown]
.LBB507_41:
	s_or_b32 exec_lo, exec_lo, s3
	s_waitcnt vmcnt(0) lgkmcnt(0)
	v_fma_mix_f32 v25, v11, v19, v2 op_sel_hi:[0,1,0]
.LBB507_42:
	s_or_b32 exec_lo, exec_lo, s2
	s_waitcnt vmcnt(0) lgkmcnt(0)
	v_fma_mix_f32 v26, v11, v17, v18 op_sel_hi:[0,1,0]
.LBB507_43:
	s_or_b32 exec_lo, exec_lo, s0
	s_waitcnt vmcnt(0) lgkmcnt(0)
	v_fma_mix_f32 v27, v11, v15, v16 op_sel_hi:[0,1,0]
.LBB507_44:
	s_or_b32 exec_lo, exec_lo, s1
.LBB507_45:
	v_lshlrev_b32_e32 v0, 2, v0
	s_mov_b32 s0, exec_lo
                                        ; implicit-def: $vgpr3
                                        ; implicit-def: $vgpr4_vgpr5
	v_lshl_or_b32 v1, v1, 10, v0
	ds_write2st64_b32 v1, v27, v26 offset1:1
	ds_write2st64_b32 v1, v25, v23 offset0:2 offset1:3
	s_waitcnt lgkmcnt(0)
	s_barrier
	buffer_gl0_inv
	v_cmpx_gt_u32_e32 0x100, v21
	s_cbranch_execz .LBB507_51
; %bb.46:
	v_lshl_add_u32 v4, v22, 2, v0
	s_mov_b32 s2, s23
	s_mov_b32 s1, exec_lo
	ds_read2st64_b32 v[0:1], v4 offset1:4
	ds_read2st64_b32 v[2:3], v4 offset0:8 offset1:12
	s_waitcnt lgkmcnt(1)
	v_add_f32_e32 v0, v0, v1
	v_or_b32_e32 v1, s26, v21
	s_waitcnt lgkmcnt(0)
	v_add_f32_e32 v0, v2, v0
	v_add_f32_e32 v0, v3, v0
                                        ; implicit-def: $vgpr3
	ds_write_b32 v4, v0
                                        ; implicit-def: $vgpr4_vgpr5
	v_cmpx_gt_i32_e64 s10, v1
	s_cbranch_execz .LBB507_50
; %bb.47:
	v_ashrrev_i32_e32 v2, 31, v1
	v_mul_lo_u32 v6, s9, v1
	v_mad_u64_u32 v[4:5], null, s8, v1, 0
	v_cmp_eq_f32_e64 s2, s28, 0
	v_mul_lo_u32 v1, s8, v2
	v_mul_f32_e32 v3, s29, v0
	s_and_b32 vcc_lo, exec_lo, s2
	v_add3_u32 v5, v5, v1, v6
	s_cbranch_vccnz .LBB507_49
; %bb.48:
	v_lshlrev_b64 v[0:1], 2, v[4:5]
	v_add_co_u32 v0, vcc_lo, s5, v0
	v_add_co_ci_u32_e64 v1, null, s22, v1, vcc_lo
	flat_load_dword v0, v[0:1]
	s_waitcnt vmcnt(0) lgkmcnt(0)
	v_fmac_f32_e32 v3, s28, v0
.LBB507_49:
	s_or_b32 s2, s23, exec_lo
.LBB507_50:
	s_or_b32 exec_lo, exec_lo, s1
	s_andn2_b32 s1, s23, exec_lo
	s_and_b32 s2, s2, exec_lo
	s_or_b32 s23, s1, s2
.LBB507_51:
	s_or_b32 exec_lo, exec_lo, s0
.LBB507_52:
	s_and_saveexec_b32 s0, s23
	s_cbranch_execz .LBB507_54
; %bb.53:
	v_lshlrev_b64 v[0:1], 2, v[4:5]
	v_add_co_u32 v0, vcc_lo, s5, v0
	v_add_co_ci_u32_e64 v1, null, s22, v1, vcc_lo
	flat_store_dword v[0:1], v3
.LBB507_54:
	s_endpgm
	.section	.rodata,"a",@progbits
	.p2align	6, 0x0
	.amdhsa_kernel _ZL20rocblas_gemvn_kernelILi64ELi4ElPKDF16_PKfKPfEviiT3_lPKT2_lT1_lS9_lSA_lS6_lPT4_lSA_li
		.amdhsa_group_segment_fixed_size 4096
		.amdhsa_private_segment_fixed_size 0
		.amdhsa_kernarg_size 400
		.amdhsa_user_sgpr_count 6
		.amdhsa_user_sgpr_private_segment_buffer 1
		.amdhsa_user_sgpr_dispatch_ptr 0
		.amdhsa_user_sgpr_queue_ptr 0
		.amdhsa_user_sgpr_kernarg_segment_ptr 1
		.amdhsa_user_sgpr_dispatch_id 0
		.amdhsa_user_sgpr_flat_scratch_init 0
		.amdhsa_user_sgpr_private_segment_size 0
		.amdhsa_wavefront_size32 1
		.amdhsa_uses_dynamic_stack 0
		.amdhsa_system_sgpr_private_segment_wavefront_offset 0
		.amdhsa_system_sgpr_workgroup_id_x 1
		.amdhsa_system_sgpr_workgroup_id_y 0
		.amdhsa_system_sgpr_workgroup_id_z 1
		.amdhsa_system_sgpr_workgroup_info 0
		.amdhsa_system_vgpr_workitem_id 1
		.amdhsa_next_free_vgpr 56
		.amdhsa_next_free_sgpr 35
		.amdhsa_reserve_vcc 1
		.amdhsa_reserve_flat_scratch 1
		.amdhsa_float_round_mode_32 0
		.amdhsa_float_round_mode_16_64 0
		.amdhsa_float_denorm_mode_32 3
		.amdhsa_float_denorm_mode_16_64 3
		.amdhsa_dx10_clamp 1
		.amdhsa_ieee_mode 1
		.amdhsa_fp16_overflow 0
		.amdhsa_workgroup_processor_mode 1
		.amdhsa_memory_ordered 1
		.amdhsa_forward_progress 1
		.amdhsa_shared_vgpr_count 0
		.amdhsa_exception_fp_ieee_invalid_op 0
		.amdhsa_exception_fp_denorm_src 0
		.amdhsa_exception_fp_ieee_div_zero 0
		.amdhsa_exception_fp_ieee_overflow 0
		.amdhsa_exception_fp_ieee_underflow 0
		.amdhsa_exception_fp_ieee_inexact 0
		.amdhsa_exception_int_div_zero 0
	.end_amdhsa_kernel
	.section	.text._ZL20rocblas_gemvn_kernelILi64ELi4ElPKDF16_PKfKPfEviiT3_lPKT2_lT1_lS9_lSA_lS6_lPT4_lSA_li,"axG",@progbits,_ZL20rocblas_gemvn_kernelILi64ELi4ElPKDF16_PKfKPfEviiT3_lPKT2_lT1_lS9_lSA_lS6_lPT4_lSA_li,comdat
.Lfunc_end507:
	.size	_ZL20rocblas_gemvn_kernelILi64ELi4ElPKDF16_PKfKPfEviiT3_lPKT2_lT1_lS9_lSA_lS6_lPT4_lSA_li, .Lfunc_end507-_ZL20rocblas_gemvn_kernelILi64ELi4ElPKDF16_PKfKPfEviiT3_lPKT2_lT1_lS9_lSA_lS6_lPT4_lSA_li
                                        ; -- End function
	.set _ZL20rocblas_gemvn_kernelILi64ELi4ElPKDF16_PKfKPfEviiT3_lPKT2_lT1_lS9_lSA_lS6_lPT4_lSA_li.num_vgpr, 56
	.set _ZL20rocblas_gemvn_kernelILi64ELi4ElPKDF16_PKfKPfEviiT3_lPKT2_lT1_lS9_lSA_lS6_lPT4_lSA_li.num_agpr, 0
	.set _ZL20rocblas_gemvn_kernelILi64ELi4ElPKDF16_PKfKPfEviiT3_lPKT2_lT1_lS9_lSA_lS6_lPT4_lSA_li.numbered_sgpr, 35
	.set _ZL20rocblas_gemvn_kernelILi64ELi4ElPKDF16_PKfKPfEviiT3_lPKT2_lT1_lS9_lSA_lS6_lPT4_lSA_li.num_named_barrier, 0
	.set _ZL20rocblas_gemvn_kernelILi64ELi4ElPKDF16_PKfKPfEviiT3_lPKT2_lT1_lS9_lSA_lS6_lPT4_lSA_li.private_seg_size, 0
	.set _ZL20rocblas_gemvn_kernelILi64ELi4ElPKDF16_PKfKPfEviiT3_lPKT2_lT1_lS9_lSA_lS6_lPT4_lSA_li.uses_vcc, 1
	.set _ZL20rocblas_gemvn_kernelILi64ELi4ElPKDF16_PKfKPfEviiT3_lPKT2_lT1_lS9_lSA_lS6_lPT4_lSA_li.uses_flat_scratch, 1
	.set _ZL20rocblas_gemvn_kernelILi64ELi4ElPKDF16_PKfKPfEviiT3_lPKT2_lT1_lS9_lSA_lS6_lPT4_lSA_li.has_dyn_sized_stack, 0
	.set _ZL20rocblas_gemvn_kernelILi64ELi4ElPKDF16_PKfKPfEviiT3_lPKT2_lT1_lS9_lSA_lS6_lPT4_lSA_li.has_recursion, 0
	.set _ZL20rocblas_gemvn_kernelILi64ELi4ElPKDF16_PKfKPfEviiT3_lPKT2_lT1_lS9_lSA_lS6_lPT4_lSA_li.has_indirect_call, 0
	.section	.AMDGPU.csdata,"",@progbits
; Kernel info:
; codeLenInByte = 3156
; TotalNumSgprs: 37
; NumVgprs: 56
; ScratchSize: 0
; MemoryBound: 0
; FloatMode: 240
; IeeeMode: 1
; LDSByteSize: 4096 bytes/workgroup (compile time only)
; SGPRBlocks: 0
; VGPRBlocks: 6
; NumSGPRsForWavesPerEU: 37
; NumVGPRsForWavesPerEU: 56
; Occupancy: 16
; WaveLimiterHint : 1
; COMPUTE_PGM_RSRC2:SCRATCH_EN: 0
; COMPUTE_PGM_RSRC2:USER_SGPR: 6
; COMPUTE_PGM_RSRC2:TRAP_HANDLER: 0
; COMPUTE_PGM_RSRC2:TGID_X_EN: 1
; COMPUTE_PGM_RSRC2:TGID_Y_EN: 0
; COMPUTE_PGM_RSRC2:TGID_Z_EN: 1
; COMPUTE_PGM_RSRC2:TIDIG_COMP_CNT: 1
	.section	.text._ZL20rocblas_gemvn_kernelILi64ELi4EiPKDF16_fKPfEviiT3_lPKT2_lT1_lS7_lS8_lS4_lPT4_lS8_li,"axG",@progbits,_ZL20rocblas_gemvn_kernelILi64ELi4EiPKDF16_fKPfEviiT3_lPKT2_lT1_lS7_lS8_lS4_lPT4_lS8_li,comdat
	.globl	_ZL20rocblas_gemvn_kernelILi64ELi4EiPKDF16_fKPfEviiT3_lPKT2_lT1_lS7_lS8_lS4_lPT4_lS8_li ; -- Begin function _ZL20rocblas_gemvn_kernelILi64ELi4EiPKDF16_fKPfEviiT3_lPKT2_lT1_lS7_lS8_lS4_lPT4_lS8_li
	.p2align	8
	.type	_ZL20rocblas_gemvn_kernelILi64ELi4EiPKDF16_fKPfEviiT3_lPKT2_lT1_lS7_lS8_lS4_lPT4_lS8_li,@function
_ZL20rocblas_gemvn_kernelILi64ELi4EiPKDF16_fKPfEviiT3_lPKT2_lT1_lS7_lS8_lS4_lPT4_lS8_li: ; @_ZL20rocblas_gemvn_kernelILi64ELi4EiPKDF16_fKPfEviiT3_lPKT2_lT1_lS7_lS8_lS4_lPT4_lS8_li
; %bb.0:
	s_load_dwordx2 s[0:1], s[4:5], 0x9c
	s_waitcnt lgkmcnt(0)
	s_lshr_b32 s3, s0, 16
	s_and_b32 s0, s0, 0xffff
	s_and_b32 s1, s1, 0xffff
	s_mul_i32 s0, s3, s0
	s_mul_i32 s0, s0, s1
	s_cmpk_lg_i32 s0, 0x100
	s_cbranch_scc1 .LBB508_56
; %bb.1:
	s_mov_b32 s2, s7
	s_clause 0x1
	s_load_dwordx4 s[8:11], s[4:5], 0x0
	s_load_dword s7, s[4:5], 0x58
	s_mov_b32 s3, 0
	s_waitcnt lgkmcnt(0)
	v_cmp_eq_f32_e64 s18, s10, 0
	v_cmp_eq_f32_e64 s0, s7, 1.0
	s_and_b32 s0, s18, s0
	s_and_b32 vcc_lo, exec_lo, s0
	s_cbranch_vccnz .LBB508_56
; %bb.2:
	v_cmp_neq_f32_e64 s11, s10, 0
	s_and_b32 vcc_lo, exec_lo, s11
	s_cbranch_vccnz .LBB508_4
; %bb.3:
	s_mov_b32 s1, 0
	s_mov_b32 s0, s2
	s_mov_b32 s12, s1
	s_mov_b64 s[14:15], 0
	s_andn2_b32 vcc_lo, exec_lo, s12
	s_mov_b64 s[12:13], 0
	s_cbranch_vccz .LBB508_5
	s_branch .LBB508_6
.LBB508_4:
	s_mov_b64 s[0:1], s[2:3]
	s_mov_b64 s[14:15], 0
	;; [unrolled: 1-line block ×3, first 2 shown]
.LBB508_5:
	s_load_dwordx4 s[20:23], s[4:5], 0x18
	s_lshl_b64 s[2:3], s[2:3], 3
	s_waitcnt lgkmcnt(0)
	s_add_u32 s2, s20, s2
	s_addc_u32 s3, s21, s3
	s_lshl_b64 s[12:13], s[22:23], 1
	s_load_dwordx2 s[2:3], s[2:3], 0x0
	s_waitcnt lgkmcnt(0)
	s_add_u32 s12, s2, s12
	s_addc_u32 s13, s3, s13
.LBB508_6:
	s_andn2_b32 vcc_lo, exec_lo, s11
	s_cbranch_vccnz .LBB508_8
; %bb.7:
	s_load_dwordx4 s[20:23], s[4:5], 0x38
	s_lshl_b64 s[2:3], s[0:1], 3
	s_waitcnt lgkmcnt(0)
	s_add_u32 s2, s20, s2
	s_addc_u32 s3, s21, s3
	s_lshl_b64 s[14:15], s[22:23], 1
	s_load_dwordx2 s[2:3], s[2:3], 0x0
	s_waitcnt lgkmcnt(0)
	s_add_u32 s14, s2, s14
	s_addc_u32 s15, s3, s15
.LBB508_8:
	s_clause 0x1
	s_load_dwordx4 s[20:23], s[4:5], 0x68
	s_load_dword s17, s[4:5], 0x78
	s_lshl_b64 s[0:1], s[0:1], 3
	v_lshlrev_b32_e32 v14, 6, v1
	v_add_nc_u32_e32 v13, v14, v0
	s_waitcnt lgkmcnt(0)
	s_add_u32 s0, s20, s0
	s_addc_u32 s1, s21, s1
	s_lshl_b64 s[20:21], s[22:23], 2
	s_load_dwordx2 s[2:3], s[0:1], 0x0
	v_cmp_gt_u32_e64 s0, 0x100, v13
	s_waitcnt lgkmcnt(0)
	s_add_u32 s11, s2, s20
	s_addc_u32 s16, s3, s21
	s_andn2_b32 vcc_lo, exec_lo, s18
	s_cbranch_vccnz .LBB508_15
; %bb.9:
	s_mov_b32 s1, 0
	s_mov_b32 s18, 0
                                        ; implicit-def: $vgpr3
                                        ; implicit-def: $vgpr4_vgpr5
	s_and_saveexec_b32 s2, s0
	s_cbranch_execz .LBB508_16
; %bb.10:
	v_lshl_or_b32 v2, s6, 8, v13
	v_mov_b32_e32 v3, 0
	s_ashr_i32 s19, s8, 31
	s_mov_b32 s18, s8
	s_mov_b32 s3, 0
	s_mov_b32 s0, exec_lo
                                        ; implicit-def: $vgpr4_vgpr5
	v_cmpx_gt_i64_e64 s[18:19], v[2:3]
	s_cbranch_execz .LBB508_14
; %bb.11:
	v_mad_u64_u32 v[4:5], null, s17, v2, 0
	s_ashr_i32 s3, s17, 31
	v_mad_u64_u32 v[5:6], null, s3, v2, v[5:6]
	v_cmp_eq_f32_e64 s3, s7, 0
	s_and_b32 vcc_lo, exec_lo, s3
	s_cbranch_vccnz .LBB508_13
; %bb.12:
	v_lshlrev_b64 v[2:3], 2, v[4:5]
	v_add_co_u32 v2, vcc_lo, s11, v2
	v_add_co_ci_u32_e64 v3, null, s16, v3, vcc_lo
	flat_load_dword v2, v[2:3]
	s_waitcnt vmcnt(0) lgkmcnt(0)
	v_mul_f32_e32 v3, s7, v2
.LBB508_13:
	s_mov_b32 s3, exec_lo
.LBB508_14:
	s_or_b32 exec_lo, exec_lo, s0
	s_and_b32 s18, s3, exec_lo
	s_or_b32 exec_lo, exec_lo, s2
	s_and_b32 vcc_lo, exec_lo, s1
	s_cbranch_vccnz .LBB508_17
	s_branch .LBB508_54
.LBB508_15:
	s_mov_b32 s18, 0
                                        ; implicit-def: $vgpr3
                                        ; implicit-def: $vgpr4_vgpr5
	s_cbranch_execnz .LBB508_17
	s_branch .LBB508_54
.LBB508_16:
	s_or_b32 exec_lo, exec_lo, s2
	s_and_b32 vcc_lo, exec_lo, s1
	s_cbranch_vccz .LBB508_54
.LBB508_17:
	s_clause 0x1
	s_load_dword s19, s[4:5], 0x28
	s_load_dword s4, s[4:5], 0x48
	s_ashr_i32 s0, s9, 31
	s_lshl_b32 s5, s6, 8
	s_lshr_b32 s0, s0, 28
	v_lshlrev_b32_e32 v20, 2, v1
	v_or_b32_e32 v16, s5, v0
	v_mov_b32_e32 v19, 0
	v_mov_b32_e32 v18, 0
	;; [unrolled: 1-line block ×4, first 2 shown]
	s_add_i32 s0, s9, s0
	s_mov_b32 s20, exec_lo
	s_and_b32 s6, s0, -16
	v_cmpx_gt_i32_e64 s6, v20
	s_cbranch_execz .LBB508_29
; %bb.18:
	v_add_nc_u32_e32 v5, 0xc0, v16
	s_waitcnt lgkmcnt(0)
	v_mul_lo_u32 v3, s19, v20
	v_add_nc_u32_e32 v2, 64, v16
	v_add_nc_u32_e32 v6, 2, v20
	;; [unrolled: 1-line block ×3, first 2 shown]
	v_cmp_gt_i32_e64 s2, s8, v5
	v_mul_lo_u32 v5, v1, s19
	v_add_nc_u32_e32 v7, 3, v20
	v_mul_lo_u32 v8, v1, s4
	v_cmp_gt_i32_e64 s0, s8, v2
	v_add3_u32 v21, v3, s19, v0
	v_mad_u64_u32 v[2:3], null, s19, v6, v[0:1]
	v_cmp_gt_i32_e64 s1, s8, v4
	v_mad_u64_u32 v[3:4], null, s19, v7, v[0:1]
	v_lshl_add_u32 v22, v5, 2, v0
	v_mad_u64_u32 v[4:5], null, s4, v20, s[4:5]
	v_mul_lo_u32 v23, s4, v6
	v_mul_lo_u32 v24, s4, v7
	v_lshlrev_b32_e32 v25, 2, v8
	v_mov_b32_e32 v19, 0
	v_mov_b32_e32 v18, 0
	v_mov_b32_e32 v17, 0
	v_mov_b32_e32 v15, 0
	s_lshl_b32 s21, s19, 4
	s_lshl_b32 s23, s4, 4
	s_mov_b32 s22, 0
	s_mov_b32 s24, 0
	v_cmp_gt_i32_e32 vcc_lo, s8, v16
	s_branch .LBB508_23
.LBB508_19:                             ;   in Loop: Header=BB508_23 Depth=1
	s_or_b32 exec_lo, exec_lo, s27
	s_waitcnt vmcnt(3) lgkmcnt(3)
	v_fma_mix_f32 v5, v38, v42, v17 op_sel_hi:[0,1,0]
	s_waitcnt vmcnt(2) lgkmcnt(2)
	v_fma_mix_f32 v5, v39, v43, v5 op_sel_hi:[0,1,0]
	;; [unrolled: 2-line block ×4, first 2 shown]
.LBB508_20:                             ;   in Loop: Header=BB508_23 Depth=1
	s_or_b32 exec_lo, exec_lo, s26
	s_waitcnt vmcnt(3) lgkmcnt(3)
	v_fma_mix_f32 v5, v38, v34, v18 op_sel_hi:[0,1,0]
	s_waitcnt vmcnt(2) lgkmcnt(2)
	v_fma_mix_f32 v5, v39, v35, v5 op_sel_hi:[0,1,0]
	;; [unrolled: 2-line block ×4, first 2 shown]
.LBB508_21:                             ;   in Loop: Header=BB508_23 Depth=1
	s_or_b32 exec_lo, exec_lo, s3
	s_waitcnt vmcnt(3) lgkmcnt(3)
	v_fma_mix_f32 v5, v26, v30, v19 op_sel_hi:[1,1,0]
	s_waitcnt vmcnt(2) lgkmcnt(2)
	v_fma_mix_f32 v5, v27, v31, v5 op_sel_hi:[1,1,0]
	;; [unrolled: 2-line block ×4, first 2 shown]
.LBB508_22:                             ;   in Loop: Header=BB508_23 Depth=1
	s_or_b32 exec_lo, exec_lo, s25
	v_add_nc_u32_e32 v20, 16, v20
	v_add_nc_u32_e32 v21, s21, v21
	;; [unrolled: 1-line block ×5, first 2 shown]
	v_cmp_le_i32_e64 s3, s6, v20
	s_add_i32 s24, s24, s23
	s_or_b32 s22, s3, s22
	s_andn2_b32 exec_lo, exec_lo, s22
	s_cbranch_execz .LBB508_28
.LBB508_23:                             ; =>This Inner Loop Header: Depth=1
	s_and_saveexec_b32 s25, vcc_lo
	s_cbranch_execz .LBB508_22
; %bb.24:                               ;   in Loop: Header=BB508_23 Depth=1
	v_add_nc_u32_e32 v5, s24, v25
	v_add_nc_u32_e32 v7, s24, v4
	v_add_nc_u32_e32 v9, s24, v23
	v_add_nc_u32_e32 v11, s24, v24
	v_add_nc_u32_e32 v26, s5, v22
	v_ashrrev_i32_e32 v6, 31, v5
	v_ashrrev_i32_e32 v8, 31, v7
	;; [unrolled: 1-line block ×5, first 2 shown]
	v_lshlrev_b64 v[5:6], 1, v[5:6]
	v_lshlrev_b64 v[7:8], 1, v[7:8]
	;; [unrolled: 1-line block ×3, first 2 shown]
	v_add_co_u32 v28, s3, s14, v5
	v_add_co_ci_u32_e64 v29, null, s15, v6, s3
	v_add_co_u32 v30, s3, s14, v7
	v_add_nc_u32_e32 v7, s5, v21
	v_add_co_ci_u32_e64 v31, null, s15, v8, s3
	v_lshlrev_b64 v[5:6], 1, v[11:12]
	v_add_co_u32 v32, s3, s14, v9
	v_add_nc_u32_e32 v11, s5, v2
	v_add_co_ci_u32_e64 v33, null, s15, v10, s3
	v_lshlrev_b64 v[9:10], 1, v[26:27]
	v_add_nc_u32_e32 v26, s5, v3
	v_ashrrev_i32_e32 v8, 31, v7
	v_ashrrev_i32_e32 v12, 31, v11
	v_add_co_u32 v34, s3, s14, v5
	v_ashrrev_i32_e32 v27, 31, v26
	v_add_co_ci_u32_e64 v35, null, s15, v6, s3
	v_lshlrev_b64 v[7:8], 1, v[7:8]
	v_add_co_u32 v5, s3, s12, v9
	v_add_co_ci_u32_e64 v6, null, s13, v10, s3
	v_lshlrev_b64 v[9:10], 1, v[11:12]
	v_lshlrev_b64 v[11:12], 1, v[26:27]
	v_add_co_u32 v7, s3, s12, v7
	v_add_co_ci_u32_e64 v8, null, s13, v8, s3
	v_add_co_u32 v9, s3, s12, v9
	v_add_co_ci_u32_e64 v10, null, s13, v10, s3
	;; [unrolled: 2-line block ×3, first 2 shown]
	s_clause 0x3
	flat_load_ushort v26, v[28:29]
	flat_load_ushort v27, v[30:31]
	;; [unrolled: 1-line block ×4, first 2 shown]
	s_clause 0x3
	flat_load_ushort v30, v[5:6]
	flat_load_ushort v31, v[7:8]
	;; [unrolled: 1-line block ×4, first 2 shown]
	s_and_saveexec_b32 s3, s0
	s_cbranch_execz .LBB508_21
; %bb.25:                               ;   in Loop: Header=BB508_23 Depth=1
	s_clause 0x3
	flat_load_ushort v34, v[5:6] offset:128
	flat_load_ushort v35, v[7:8] offset:128
	;; [unrolled: 1-line block ×4, first 2 shown]
	s_waitcnt vmcnt(11) lgkmcnt(11)
	v_cvt_f32_f16_e32 v38, v26
	s_waitcnt vmcnt(10) lgkmcnt(10)
	v_cvt_f32_f16_e32 v39, v27
	;; [unrolled: 2-line block ×4, first 2 shown]
	s_and_saveexec_b32 s26, s1
	s_cbranch_execz .LBB508_20
; %bb.26:                               ;   in Loop: Header=BB508_23 Depth=1
	s_clause 0x3
	flat_load_ushort v42, v[5:6] offset:256
	flat_load_ushort v43, v[7:8] offset:256
	;; [unrolled: 1-line block ×4, first 2 shown]
	s_and_saveexec_b32 s27, s2
	s_cbranch_execz .LBB508_19
; %bb.27:                               ;   in Loop: Header=BB508_23 Depth=1
	s_clause 0x3
	flat_load_ushort v5, v[5:6] offset:384
	flat_load_ushort v6, v[7:8] offset:384
	;; [unrolled: 1-line block ×4, first 2 shown]
	s_waitcnt vmcnt(3) lgkmcnt(3)
	v_fma_mix_f32 v5, v38, v5, v15 op_sel_hi:[0,1,0]
	s_waitcnt vmcnt(2) lgkmcnt(2)
	v_fma_mix_f32 v5, v39, v6, v5 op_sel_hi:[0,1,0]
	;; [unrolled: 2-line block ×4, first 2 shown]
	s_branch .LBB508_19
.LBB508_28:
	s_or_b32 exec_lo, exec_lo, s22
.LBB508_29:
	s_or_b32 exec_lo, exec_lo, s20
	s_sub_i32 s0, s9, s6
	s_cmp_lt_i32 s0, 1
	s_cbranch_scc1 .LBB508_47
; %bb.30:
	v_cmp_gt_i32_e32 vcc_lo, s9, v20
	v_mov_b32_e32 v10, 0
	v_or_b32_e32 v2, 1, v20
	v_mov_b32_e32 v11, 0
	v_mov_b32_e32 v12, 0
	;; [unrolled: 1-line block ×3, first 2 shown]
	s_and_saveexec_b32 s1, vcc_lo
	s_cbranch_execz .LBB508_38
; %bb.31:
	s_waitcnt lgkmcnt(0)
	v_mul_lo_u32 v3, v20, s4
	v_mov_b32_e32 v12, 0
	v_mov_b32_e32 v11, 0
	;; [unrolled: 1-line block ×3, first 2 shown]
	s_mov_b32 s2, exec_lo
	v_ashrrev_i32_e32 v4, 31, v3
	v_lshlrev_b64 v[3:4], 1, v[3:4]
	v_add_co_u32 v3, s0, s14, v3
	v_add_co_ci_u32_e64 v4, null, s15, v4, s0
	flat_load_ushort v3, v[3:4]
	v_cmpx_gt_i32_e64 s9, v2
	s_cbranch_execz .LBB508_37
; %bb.32:
	v_mul_lo_u32 v4, v2, s4
	v_mov_b32_e32 v11, 0
	v_mov_b32_e32 v10, 0
	s_mov_b32 s3, exec_lo
	v_ashrrev_i32_e32 v5, 31, v4
	v_lshlrev_b64 v[4:5], 1, v[4:5]
	v_add_co_u32 v4, s0, s14, v4
	v_add_co_ci_u32_e64 v5, null, s15, v5, s0
	flat_load_ushort v4, v[4:5]
	v_or_b32_e32 v5, 2, v20
	v_cmpx_gt_i32_e64 s9, v5
	s_cbranch_execz .LBB508_36
; %bb.33:
	v_mul_lo_u32 v5, v5, s4
	v_mov_b32_e32 v10, 0
	s_mov_b32 s6, exec_lo
	v_ashrrev_i32_e32 v6, 31, v5
	v_lshlrev_b64 v[5:6], 1, v[5:6]
	v_add_co_u32 v5, s0, s14, v5
	v_add_co_ci_u32_e64 v6, null, s15, v6, s0
	flat_load_ushort v5, v[5:6]
	v_or_b32_e32 v6, 3, v20
	v_cmpx_gt_i32_e64 s9, v6
	s_cbranch_execz .LBB508_35
; %bb.34:
	v_mul_lo_u32 v6, v6, s4
	v_ashrrev_i32_e32 v7, 31, v6
	v_lshlrev_b64 v[6:7], 1, v[6:7]
	v_add_co_u32 v6, s0, s14, v6
	v_add_co_ci_u32_e64 v7, null, s15, v7, s0
	flat_load_ushort v6, v[6:7]
	s_waitcnt vmcnt(0) lgkmcnt(0)
	v_cvt_f32_f16_e32 v10, v6
.LBB508_35:
	s_or_b32 exec_lo, exec_lo, s6
	s_waitcnt vmcnt(0) lgkmcnt(0)
	v_cvt_f32_f16_e32 v11, v5
.LBB508_36:
	s_or_b32 exec_lo, exec_lo, s3
	s_waitcnt vmcnt(0) lgkmcnt(0)
	v_cvt_f32_f16_e32 v12, v4
.LBB508_37:
	s_or_b32 exec_lo, exec_lo, s2
	s_waitcnt vmcnt(0) lgkmcnt(0)
	v_cvt_f32_f16_e32 v21, v3
.LBB508_38:
	s_or_b32 exec_lo, exec_lo, s1
	s_mov_b32 s1, exec_lo
	v_cmpx_gt_i32_e64 s8, v16
	s_cbranch_execz .LBB508_46
; %bb.39:
	s_waitcnt lgkmcnt(0)
	v_mul_lo_u32 v3, v20, s19
	v_or_b32_e32 v4, 2, v20
	v_mul_lo_u32 v5, v2, s19
	v_or_b32_e32 v6, 3, v20
	s_mov_b32 s0, exec_lo
	v_mul_lo_u32 v7, v4, s19
	v_mul_lo_u32 v8, v6, s19
	v_cndmask_b32_e32 v3, 0, v3, vcc_lo
	v_cmp_gt_i32_e32 vcc_lo, s9, v2
	v_add_nc_u32_e32 v2, v3, v16
	v_cndmask_b32_e32 v5, 0, v5, vcc_lo
	v_cmp_gt_i32_e32 vcc_lo, s9, v4
	v_ashrrev_i32_e32 v3, 31, v2
	v_add_nc_u32_e32 v4, v5, v16
	v_cndmask_b32_e32 v7, 0, v7, vcc_lo
	v_cmp_gt_i32_e32 vcc_lo, s9, v6
	v_lshlrev_b64 v[2:3], 1, v[2:3]
	v_ashrrev_i32_e32 v5, 31, v4
	v_add_nc_u32_e32 v6, v7, v16
	v_cndmask_b32_e32 v8, 0, v8, vcc_lo
	v_lshlrev_b64 v[4:5], 1, v[4:5]
	v_ashrrev_i32_e32 v7, 31, v6
	v_add_nc_u32_e32 v8, v8, v16
	v_add_co_u32 v2, vcc_lo, s12, v2
	v_add_co_ci_u32_e64 v3, null, s13, v3, vcc_lo
	v_lshlrev_b64 v[6:7], 1, v[6:7]
	v_ashrrev_i32_e32 v9, 31, v8
	v_add_co_u32 v4, vcc_lo, s12, v4
	v_add_co_ci_u32_e64 v5, null, s13, v5, vcc_lo
	flat_load_ushort v22, v[2:3]
	v_add_co_u32 v6, vcc_lo, s12, v6
	v_add_co_ci_u32_e64 v7, null, s13, v7, vcc_lo
	v_lshlrev_b64 v[8:9], 1, v[8:9]
	s_clause 0x1
	flat_load_ushort v23, v[4:5]
	flat_load_ushort v24, v[6:7]
	v_add_co_u32 v8, vcc_lo, s12, v8
	v_add_co_ci_u32_e64 v9, null, s13, v9, vcc_lo
	flat_load_ushort v20, v[8:9]
	s_waitcnt vmcnt(3) lgkmcnt(3)
	v_fma_mix_f32 v19, v21, v22, v19 op_sel_hi:[0,1,0]
	v_add_nc_u32_e32 v22, 64, v16
	s_waitcnt vmcnt(2) lgkmcnt(2)
	v_fma_mix_f32 v19, v12, v23, v19 op_sel_hi:[0,1,0]
	s_waitcnt vmcnt(1) lgkmcnt(1)
	v_fma_mix_f32 v19, v11, v24, v19 op_sel_hi:[0,1,0]
	v_cmpx_gt_i32_e64 s8, v22
	s_cbranch_execz .LBB508_45
; %bb.40:
	s_clause 0x3
	flat_load_ushort v23, v[2:3] offset:128
	flat_load_ushort v24, v[4:5] offset:128
	;; [unrolled: 1-line block ×4, first 2 shown]
	s_mov_b32 s2, exec_lo
	s_waitcnt vmcnt(3) lgkmcnt(3)
	v_fma_mix_f32 v18, v21, v23, v18 op_sel_hi:[0,1,0]
	v_add_nc_u32_e32 v23, 0x80, v16
	s_waitcnt vmcnt(2) lgkmcnt(2)
	v_fma_mix_f32 v18, v12, v24, v18 op_sel_hi:[0,1,0]
	s_waitcnt vmcnt(1) lgkmcnt(1)
	v_fma_mix_f32 v18, v11, v25, v18 op_sel_hi:[0,1,0]
	v_cmpx_gt_i32_e64 s8, v23
	s_cbranch_execz .LBB508_44
; %bb.41:
	s_clause 0x3
	flat_load_ushort v24, v[2:3] offset:256
	flat_load_ushort v25, v[4:5] offset:256
	;; [unrolled: 1-line block ×4, first 2 shown]
	s_mov_b32 s3, exec_lo
	s_waitcnt vmcnt(3) lgkmcnt(3)
	v_fma_mix_f32 v17, v21, v24, v17 op_sel_hi:[0,1,0]
	v_add_nc_u32_e32 v24, 0xc0, v16
	s_waitcnt vmcnt(2) lgkmcnt(2)
	v_fma_mix_f32 v17, v12, v25, v17 op_sel_hi:[0,1,0]
	s_waitcnt vmcnt(1) lgkmcnt(1)
	v_fma_mix_f32 v16, v11, v26, v17 op_sel_hi:[0,1,0]
	v_cmpx_gt_i32_e64 s8, v24
	s_cbranch_execz .LBB508_43
; %bb.42:
	s_clause 0x3
	flat_load_ushort v2, v[2:3] offset:384
	flat_load_ushort v3, v[4:5] offset:384
	;; [unrolled: 1-line block ×4, first 2 shown]
	s_waitcnt vmcnt(3) lgkmcnt(3)
	v_fma_mix_f32 v2, v21, v2, v15 op_sel_hi:[0,1,0]
	s_waitcnt vmcnt(2) lgkmcnt(2)
	v_fma_mix_f32 v2, v12, v3, v2 op_sel_hi:[0,1,0]
	;; [unrolled: 2-line block ×4, first 2 shown]
.LBB508_43:
	s_or_b32 exec_lo, exec_lo, s3
	s_waitcnt vmcnt(0) lgkmcnt(0)
	v_fma_mix_f32 v17, v10, v23, v16 op_sel_hi:[0,1,0]
.LBB508_44:
	s_or_b32 exec_lo, exec_lo, s2
	s_waitcnt vmcnt(0) lgkmcnt(0)
	v_fma_mix_f32 v18, v10, v22, v18 op_sel_hi:[0,1,0]
.LBB508_45:
	s_or_b32 exec_lo, exec_lo, s0
	s_waitcnt vmcnt(0) lgkmcnt(0)
	v_fma_mix_f32 v19, v10, v20, v19 op_sel_hi:[0,1,0]
.LBB508_46:
	s_or_b32 exec_lo, exec_lo, s1
.LBB508_47:
	v_lshlrev_b32_e32 v0, 2, v0
	s_mov_b32 s0, exec_lo
                                        ; implicit-def: $vgpr3
                                        ; implicit-def: $vgpr4_vgpr5
	v_lshl_or_b32 v1, v1, 10, v0
	ds_write2st64_b32 v1, v19, v18 offset1:1
	ds_write2st64_b32 v1, v17, v15 offset0:2 offset1:3
	s_waitcnt lgkmcnt(0)
	s_barrier
	buffer_gl0_inv
	v_cmpx_gt_u32_e32 0x100, v13
	s_cbranch_execz .LBB508_53
; %bb.48:
	v_lshl_add_u32 v4, v14, 2, v0
	s_mov_b32 s2, s18
	s_mov_b32 s1, exec_lo
	ds_read2st64_b32 v[0:1], v4 offset1:4
	ds_read2st64_b32 v[2:3], v4 offset0:8 offset1:12
	s_waitcnt lgkmcnt(1)
	v_add_f32_e32 v0, v0, v1
	v_or_b32_e32 v1, s5, v13
	s_waitcnt lgkmcnt(0)
	v_add_f32_e32 v0, v2, v0
	v_add_f32_e32 v0, v3, v0
                                        ; implicit-def: $vgpr3
	ds_write_b32 v4, v0
                                        ; implicit-def: $vgpr4_vgpr5
	v_cmpx_gt_i32_e64 s8, v1
	s_cbranch_execz .LBB508_52
; %bb.49:
	v_mul_lo_u32 v4, s17, v1
	v_cmp_eq_f32_e64 s2, s7, 0
	v_mul_f32_e32 v3, s10, v0
	s_and_b32 vcc_lo, exec_lo, s2
	v_ashrrev_i32_e32 v5, 31, v4
	s_cbranch_vccnz .LBB508_51
; %bb.50:
	v_lshlrev_b64 v[0:1], 2, v[4:5]
	v_add_co_u32 v0, vcc_lo, s11, v0
	v_add_co_ci_u32_e64 v1, null, s16, v1, vcc_lo
	flat_load_dword v0, v[0:1]
	s_waitcnt vmcnt(0) lgkmcnt(0)
	v_fmac_f32_e32 v3, s7, v0
.LBB508_51:
	s_or_b32 s2, s18, exec_lo
.LBB508_52:
	s_or_b32 exec_lo, exec_lo, s1
	s_andn2_b32 s1, s18, exec_lo
	s_and_b32 s2, s2, exec_lo
	s_or_b32 s18, s1, s2
.LBB508_53:
	s_or_b32 exec_lo, exec_lo, s0
.LBB508_54:
	s_and_saveexec_b32 s0, s18
	s_cbranch_execz .LBB508_56
; %bb.55:
	v_lshlrev_b64 v[0:1], 2, v[4:5]
	v_add_co_u32 v0, vcc_lo, s11, v0
	v_add_co_ci_u32_e64 v1, null, s16, v1, vcc_lo
	flat_store_dword v[0:1], v3
.LBB508_56:
	s_endpgm
	.section	.rodata,"a",@progbits
	.p2align	6, 0x0
	.amdhsa_kernel _ZL20rocblas_gemvn_kernelILi64ELi4EiPKDF16_fKPfEviiT3_lPKT2_lT1_lS7_lS8_lS4_lPT4_lS8_li
		.amdhsa_group_segment_fixed_size 4096
		.amdhsa_private_segment_fixed_size 0
		.amdhsa_kernarg_size 400
		.amdhsa_user_sgpr_count 6
		.amdhsa_user_sgpr_private_segment_buffer 1
		.amdhsa_user_sgpr_dispatch_ptr 0
		.amdhsa_user_sgpr_queue_ptr 0
		.amdhsa_user_sgpr_kernarg_segment_ptr 1
		.amdhsa_user_sgpr_dispatch_id 0
		.amdhsa_user_sgpr_flat_scratch_init 0
		.amdhsa_user_sgpr_private_segment_size 0
		.amdhsa_wavefront_size32 1
		.amdhsa_uses_dynamic_stack 0
		.amdhsa_system_sgpr_private_segment_wavefront_offset 0
		.amdhsa_system_sgpr_workgroup_id_x 1
		.amdhsa_system_sgpr_workgroup_id_y 0
		.amdhsa_system_sgpr_workgroup_id_z 1
		.amdhsa_system_sgpr_workgroup_info 0
		.amdhsa_system_vgpr_workitem_id 1
		.amdhsa_next_free_vgpr 46
		.amdhsa_next_free_sgpr 28
		.amdhsa_reserve_vcc 1
		.amdhsa_reserve_flat_scratch 1
		.amdhsa_float_round_mode_32 0
		.amdhsa_float_round_mode_16_64 0
		.amdhsa_float_denorm_mode_32 3
		.amdhsa_float_denorm_mode_16_64 3
		.amdhsa_dx10_clamp 1
		.amdhsa_ieee_mode 1
		.amdhsa_fp16_overflow 0
		.amdhsa_workgroup_processor_mode 1
		.amdhsa_memory_ordered 1
		.amdhsa_forward_progress 1
		.amdhsa_shared_vgpr_count 0
		.amdhsa_exception_fp_ieee_invalid_op 0
		.amdhsa_exception_fp_denorm_src 0
		.amdhsa_exception_fp_ieee_div_zero 0
		.amdhsa_exception_fp_ieee_overflow 0
		.amdhsa_exception_fp_ieee_underflow 0
		.amdhsa_exception_fp_ieee_inexact 0
		.amdhsa_exception_int_div_zero 0
	.end_amdhsa_kernel
	.section	.text._ZL20rocblas_gemvn_kernelILi64ELi4EiPKDF16_fKPfEviiT3_lPKT2_lT1_lS7_lS8_lS4_lPT4_lS8_li,"axG",@progbits,_ZL20rocblas_gemvn_kernelILi64ELi4EiPKDF16_fKPfEviiT3_lPKT2_lT1_lS7_lS8_lS4_lPT4_lS8_li,comdat
.Lfunc_end508:
	.size	_ZL20rocblas_gemvn_kernelILi64ELi4EiPKDF16_fKPfEviiT3_lPKT2_lT1_lS7_lS8_lS4_lPT4_lS8_li, .Lfunc_end508-_ZL20rocblas_gemvn_kernelILi64ELi4EiPKDF16_fKPfEviiT3_lPKT2_lT1_lS7_lS8_lS4_lPT4_lS8_li
                                        ; -- End function
	.set _ZL20rocblas_gemvn_kernelILi64ELi4EiPKDF16_fKPfEviiT3_lPKT2_lT1_lS7_lS8_lS4_lPT4_lS8_li.num_vgpr, 46
	.set _ZL20rocblas_gemvn_kernelILi64ELi4EiPKDF16_fKPfEviiT3_lPKT2_lT1_lS7_lS8_lS4_lPT4_lS8_li.num_agpr, 0
	.set _ZL20rocblas_gemvn_kernelILi64ELi4EiPKDF16_fKPfEviiT3_lPKT2_lT1_lS7_lS8_lS4_lPT4_lS8_li.numbered_sgpr, 28
	.set _ZL20rocblas_gemvn_kernelILi64ELi4EiPKDF16_fKPfEviiT3_lPKT2_lT1_lS7_lS8_lS4_lPT4_lS8_li.num_named_barrier, 0
	.set _ZL20rocblas_gemvn_kernelILi64ELi4EiPKDF16_fKPfEviiT3_lPKT2_lT1_lS7_lS8_lS4_lPT4_lS8_li.private_seg_size, 0
	.set _ZL20rocblas_gemvn_kernelILi64ELi4EiPKDF16_fKPfEviiT3_lPKT2_lT1_lS7_lS8_lS4_lPT4_lS8_li.uses_vcc, 1
	.set _ZL20rocblas_gemvn_kernelILi64ELi4EiPKDF16_fKPfEviiT3_lPKT2_lT1_lS7_lS8_lS4_lPT4_lS8_li.uses_flat_scratch, 1
	.set _ZL20rocblas_gemvn_kernelILi64ELi4EiPKDF16_fKPfEviiT3_lPKT2_lT1_lS7_lS8_lS4_lPT4_lS8_li.has_dyn_sized_stack, 0
	.set _ZL20rocblas_gemvn_kernelILi64ELi4EiPKDF16_fKPfEviiT3_lPKT2_lT1_lS7_lS8_lS4_lPT4_lS8_li.has_recursion, 0
	.set _ZL20rocblas_gemvn_kernelILi64ELi4EiPKDF16_fKPfEviiT3_lPKT2_lT1_lS7_lS8_lS4_lPT4_lS8_li.has_indirect_call, 0
	.section	.AMDGPU.csdata,"",@progbits
; Kernel info:
; codeLenInByte = 2832
; TotalNumSgprs: 30
; NumVgprs: 46
; ScratchSize: 0
; MemoryBound: 0
; FloatMode: 240
; IeeeMode: 1
; LDSByteSize: 4096 bytes/workgroup (compile time only)
; SGPRBlocks: 0
; VGPRBlocks: 5
; NumSGPRsForWavesPerEU: 30
; NumVGPRsForWavesPerEU: 46
; Occupancy: 16
; WaveLimiterHint : 1
; COMPUTE_PGM_RSRC2:SCRATCH_EN: 0
; COMPUTE_PGM_RSRC2:USER_SGPR: 6
; COMPUTE_PGM_RSRC2:TRAP_HANDLER: 0
; COMPUTE_PGM_RSRC2:TGID_X_EN: 1
; COMPUTE_PGM_RSRC2:TGID_Y_EN: 0
; COMPUTE_PGM_RSRC2:TGID_Z_EN: 1
; COMPUTE_PGM_RSRC2:TIDIG_COMP_CNT: 1
	.section	.text._ZL20rocblas_gemvn_kernelILi64ELi4ElPKDF16_fKPfEviiT3_lPKT2_lT1_lS7_lS8_lS4_lPT4_lS8_li,"axG",@progbits,_ZL20rocblas_gemvn_kernelILi64ELi4ElPKDF16_fKPfEviiT3_lPKT2_lT1_lS7_lS8_lS4_lPT4_lS8_li,comdat
	.globl	_ZL20rocblas_gemvn_kernelILi64ELi4ElPKDF16_fKPfEviiT3_lPKT2_lT1_lS7_lS8_lS4_lPT4_lS8_li ; -- Begin function _ZL20rocblas_gemvn_kernelILi64ELi4ElPKDF16_fKPfEviiT3_lPKT2_lT1_lS7_lS8_lS4_lPT4_lS8_li
	.p2align	8
	.type	_ZL20rocblas_gemvn_kernelILi64ELi4ElPKDF16_fKPfEviiT3_lPKT2_lT1_lS7_lS8_lS4_lPT4_lS8_li,@function
_ZL20rocblas_gemvn_kernelILi64ELi4ElPKDF16_fKPfEviiT3_lPKT2_lT1_lS7_lS8_lS4_lPT4_lS8_li: ; @_ZL20rocblas_gemvn_kernelILi64ELi4ElPKDF16_fKPfEviiT3_lPKT2_lT1_lS7_lS8_lS4_lPT4_lS8_li
; %bb.0:
	s_load_dwordx2 s[0:1], s[4:5], 0x9c
	s_waitcnt lgkmcnt(0)
	s_lshr_b32 s2, s0, 16
	s_and_b32 s0, s0, 0xffff
	s_and_b32 s1, s1, 0xffff
	s_mul_i32 s0, s2, s0
	s_mul_i32 s0, s0, s1
	s_cmpk_lg_i32 s0, 0x100
	s_cbranch_scc1 .LBB509_56
; %bb.1:
	s_load_dwordx4 s[8:11], s[4:5], 0x0
	s_waitcnt lgkmcnt(0)
	s_load_dword s11, s[4:5], 0x58
	s_mov_b32 s20, s7
	s_mov_b32 s21, 0
	v_cmp_eq_f32_e64 s7, s10, 0
	s_waitcnt lgkmcnt(0)
	v_cmp_eq_f32_e64 s0, s11, 1.0
	s_and_b32 s0, s7, s0
	s_and_b32 vcc_lo, exec_lo, s0
	s_cbranch_vccnz .LBB509_56
; %bb.2:
	s_clause 0x1
	s_load_dwordx4 s[0:3], s[4:5], 0x18
	s_load_dwordx2 s[14:15], s[4:5], 0x28
	v_cmp_neq_f32_e64 s22, s10, 0
	s_and_b32 vcc_lo, exec_lo, s22
	s_cbranch_vccnz .LBB509_4
; %bb.3:
	s_mov_b32 s13, 0
	s_mov_b32 s12, s20
	;; [unrolled: 1-line block ×3, first 2 shown]
	s_mov_b64 s[18:19], 0
	s_andn2_b32 vcc_lo, exec_lo, s16
	s_mov_b64 s[16:17], 0
	s_cbranch_vccz .LBB509_5
	s_branch .LBB509_6
.LBB509_4:
	s_mov_b64 s[12:13], s[20:21]
	s_mov_b64 s[18:19], 0
	;; [unrolled: 1-line block ×3, first 2 shown]
.LBB509_5:
	s_lshl_b64 s[16:17], s[20:21], 3
	s_waitcnt lgkmcnt(0)
	s_add_u32 s0, s0, s16
	s_addc_u32 s1, s1, s17
	s_lshl_b64 s[2:3], s[2:3], 1
	s_load_dwordx2 s[0:1], s[0:1], 0x0
	s_waitcnt lgkmcnt(0)
	s_add_u32 s16, s0, s2
	s_addc_u32 s17, s1, s3
.LBB509_6:
	s_waitcnt lgkmcnt(0)
	s_clause 0x1
	s_load_dwordx4 s[0:3], s[4:5], 0x38
	s_load_dwordx2 s[20:21], s[4:5], 0x48
	s_andn2_b32 vcc_lo, exec_lo, s22
	s_cbranch_vccnz .LBB509_8
; %bb.7:
	s_lshl_b64 s[18:19], s[12:13], 3
	s_waitcnt lgkmcnt(0)
	s_add_u32 s0, s0, s18
	s_addc_u32 s1, s1, s19
	s_lshl_b64 s[2:3], s[2:3], 1
	s_load_dwordx2 s[0:1], s[0:1], 0x0
	s_waitcnt lgkmcnt(0)
	s_add_u32 s18, s0, s2
	s_addc_u32 s19, s1, s3
.LBB509_8:
	s_waitcnt lgkmcnt(0)
	s_load_dwordx4 s[0:3], s[4:5], 0x68
	s_lshl_b64 s[22:23], s[12:13], 3
	s_load_dwordx2 s[12:13], s[4:5], 0x78
	v_lshlrev_b32_e32 v22, 6, v1
	v_add_nc_u32_e32 v21, v22, v0
	s_waitcnt lgkmcnt(0)
	s_add_u32 s0, s0, s22
	s_addc_u32 s1, s1, s23
	s_lshl_b64 s[2:3], s[2:3], 2
	s_load_dwordx2 s[22:23], s[0:1], 0x0
	v_cmp_gt_u32_e64 s0, 0x100, v21
	s_waitcnt lgkmcnt(0)
	s_add_u32 s5, s22, s2
	s_addc_u32 s26, s23, s3
	s_andn2_b32 vcc_lo, exec_lo, s7
	s_cbranch_vccnz .LBB509_15
; %bb.9:
	s_mov_b32 s1, 0
	s_mov_b32 s27, 0
                                        ; implicit-def: $vgpr3
                                        ; implicit-def: $vgpr4_vgpr5
	s_and_saveexec_b32 s2, s0
	s_cbranch_execz .LBB509_16
; %bb.10:
	v_lshl_or_b32 v2, s6, 8, v21
	v_mov_b32_e32 v3, 0
	s_ashr_i32 s23, s8, 31
	s_mov_b32 s22, s8
	s_mov_b32 s3, 0
	s_mov_b32 s0, exec_lo
                                        ; implicit-def: $vgpr4_vgpr5
	v_cmpx_gt_i64_e64 s[22:23], v[2:3]
	s_cbranch_execz .LBB509_14
; %bb.11:
	v_mad_u64_u32 v[4:5], null, s12, v2, 0
	v_cmp_eq_f32_e64 s3, s11, 0
	s_and_b32 vcc_lo, exec_lo, s3
	v_mad_u64_u32 v[5:6], null, s13, v2, v[5:6]
	s_cbranch_vccnz .LBB509_13
; %bb.12:
	v_lshlrev_b64 v[2:3], 2, v[4:5]
	v_add_co_u32 v2, vcc_lo, s5, v2
	v_add_co_ci_u32_e64 v3, null, s26, v3, vcc_lo
	flat_load_dword v2, v[2:3]
	s_waitcnt vmcnt(0) lgkmcnt(0)
	v_mul_f32_e32 v3, s11, v2
.LBB509_13:
	s_mov_b32 s3, exec_lo
.LBB509_14:
	s_or_b32 exec_lo, exec_lo, s0
	s_and_b32 s27, s3, exec_lo
	s_or_b32 exec_lo, exec_lo, s2
	s_and_b32 vcc_lo, exec_lo, s1
	s_cbranch_vccnz .LBB509_17
	s_branch .LBB509_54
.LBB509_15:
	s_mov_b32 s27, 0
                                        ; implicit-def: $vgpr3
                                        ; implicit-def: $vgpr4_vgpr5
	s_cbranch_execnz .LBB509_17
	s_branch .LBB509_54
.LBB509_16:
	s_or_b32 exec_lo, exec_lo, s2
	s_and_b32 vcc_lo, exec_lo, s1
	s_cbranch_vccz .LBB509_54
.LBB509_17:
	s_ashr_i32 s0, s9, 31
	s_lshl_b32 s28, s6, 8
	s_lshr_b32 s0, s0, 28
	v_lshlrev_b32_e32 v24, 2, v1
	v_mov_b32_e32 v27, 0
	v_or_b32_e32 v2, s28, v0
	v_mov_b32_e32 v26, 0
	v_mov_b32_e32 v25, 0
	;; [unrolled: 1-line block ×3, first 2 shown]
	s_add_i32 s0, s9, s0
	s_mov_b32 s30, exec_lo
	s_and_b32 s29, s0, -16
	v_cmpx_gt_i32_e64 s29, v24
	s_cbranch_execz .LBB509_29
; %bb.18:
	v_lshlrev_b32_e32 v23, 2, v1
	v_add_nc_u32_e32 v4, 64, v2
	v_mad_u64_u32 v[7:8], null, s20, v1, 0
	v_mad_u64_u32 v[9:10], null, s14, v1, 0
	v_or_b32_e32 v27, 3, v23
	v_add_nc_u32_e32 v11, 0x80, v2
	v_add_nc_u32_e32 v12, 0xc0, v2
	v_cmp_gt_i32_e64 s0, s8, v4
	v_or_b32_e32 v32, 2, v23
	v_mad_u64_u32 v[5:6], null, s14, v27, 0
	v_cmp_gt_i32_e64 s1, s8, v11
	v_cmp_gt_i32_e64 s2, s8, v12
	v_mad_u64_u32 v[16:17], null, s14, v32, 0
	v_mad_u64_u32 v[18:19], null, s20, v27, 0
	v_mov_b32_e32 v4, v6
	v_mov_b32_e32 v6, v8
	;; [unrolled: 1-line block ×3, first 2 shown]
	v_ashrrev_i32_e32 v3, 31, v2
	s_lshl_b64 s[6:7], s[14:15], 5
	v_mad_u64_u32 v[11:12], null, s15, v27, v[4:5]
	v_mad_u64_u32 v[12:13], null, s21, v1, v[6:7]
	;; [unrolled: 1-line block ×4, first 2 shown]
	v_mov_b32_e32 v6, v11
	v_lshlrev_b64 v[3:4], 1, v[2:3]
	v_mov_b32_e32 v8, v12
	s_lshl_b64 s[22:23], s[20:21], 5
	v_mov_b32_e32 v10, v13
	v_lshlrev_b64 v[11:12], 1, v[5:6]
	s_mov_b32 s31, 0
	v_lshlrev_b64 v[5:6], 3, v[7:8]
	v_mov_b32_e32 v7, v17
	v_mov_b32_e32 v8, v15
	v_lshlrev_b64 v[9:10], 3, v[9:10]
	v_add_co_u32 v28, s3, s16, v11
	v_add_co_ci_u32_e64 v29, null, s17, v12, s3
	v_mad_u64_u32 v[11:12], null, s14, v23, s[14:15]
	v_mad_u64_u32 v[25:26], null, s15, v32, v[7:8]
	v_mov_b32_e32 v7, v19
	v_mad_u64_u32 v[19:20], null, s21, v23, v[8:9]
	v_add_co_u32 v30, s3, s16, v9
	v_mad_u64_u32 v[7:8], null, s21, v27, v[7:8]
	v_mov_b32_e32 v8, v12
	v_mov_b32_e32 v17, v25
	v_mad_u64_u32 v[25:26], null, s20, v32, 0
	v_mov_b32_e32 v15, v19
	v_mad_u64_u32 v[12:13], null, s15, v23, v[8:9]
	v_lshlrev_b64 v[16:17], 1, v[16:17]
	v_mov_b32_e32 v19, v7
	v_add_co_ci_u32_e64 v31, null, s17, v10, s3
	v_mov_b32_e32 v8, v26
	v_mov_b32_e32 v23, 0
	v_lshlrev_b64 v[11:12], 1, v[11:12]
	s_mov_b64 s[24:25], s[18:19]
	v_cmp_gt_i32_e32 vcc_lo, s8, v2
	v_mad_u64_u32 v[26:27], null, s21, v32, v[8:9]
	v_add_co_u32 v32, s3, s16, v16
	v_add_co_ci_u32_e64 v33, null, s17, v17, s3
	v_add_co_u32 v34, s3, s16, v11
	v_lshlrev_b64 v[7:8], 1, v[14:15]
	v_lshlrev_b64 v[9:10], 1, v[18:19]
	v_add_co_ci_u32_e64 v35, null, s17, v12, s3
	v_lshlrev_b64 v[11:12], 1, v[25:26]
	v_mov_b32_e32 v27, 0
	v_mov_b32_e32 v26, 0
	;; [unrolled: 1-line block ×3, first 2 shown]
	s_branch .LBB509_23
.LBB509_19:                             ;   in Loop: Header=BB509_23 Depth=1
	s_or_b32 exec_lo, exec_lo, s34
	s_waitcnt vmcnt(3) lgkmcnt(3)
	v_fma_mix_f32 v13, v48, v52, v25 op_sel_hi:[0,1,0]
	s_waitcnt vmcnt(2) lgkmcnt(2)
	v_fma_mix_f32 v13, v49, v53, v13 op_sel_hi:[0,1,0]
	;; [unrolled: 2-line block ×4, first 2 shown]
.LBB509_20:                             ;   in Loop: Header=BB509_23 Depth=1
	s_or_b32 exec_lo, exec_lo, s33
	s_waitcnt vmcnt(3) lgkmcnt(3)
	v_fma_mix_f32 v13, v48, v44, v26 op_sel_hi:[0,1,0]
	s_waitcnt vmcnt(2) lgkmcnt(2)
	v_fma_mix_f32 v13, v49, v45, v13 op_sel_hi:[0,1,0]
	;; [unrolled: 2-line block ×4, first 2 shown]
.LBB509_21:                             ;   in Loop: Header=BB509_23 Depth=1
	s_or_b32 exec_lo, exec_lo, s3
	s_waitcnt vmcnt(3) lgkmcnt(3)
	v_fma_mix_f32 v13, v36, v40, v27 op_sel_hi:[1,1,0]
	s_waitcnt vmcnt(2) lgkmcnt(2)
	v_fma_mix_f32 v13, v37, v41, v13 op_sel_hi:[1,1,0]
	s_waitcnt vmcnt(1) lgkmcnt(1)
	v_fma_mix_f32 v13, v38, v42, v13 op_sel_hi:[1,1,0]
	s_waitcnt vmcnt(0) lgkmcnt(0)
	v_fma_mix_f32 v27, v39, v43, v13 op_sel_hi:[1,1,0]
.LBB509_22:                             ;   in Loop: Header=BB509_23 Depth=1
	s_or_b32 exec_lo, exec_lo, s4
	v_add_co_u32 v28, s3, v28, s6
	v_add_nc_u32_e32 v24, 16, v24
	v_add_co_ci_u32_e64 v29, null, s7, v29, s3
	v_add_co_u32 v30, s3, v30, s6
	v_add_co_ci_u32_e64 v31, null, s7, v31, s3
	v_add_co_u32 v32, s3, v32, s6
	v_add_co_ci_u32_e64 v33, null, s7, v33, s3
	v_cmp_le_i32_e64 s3, s29, v24
	v_add_co_u32 v34, s4, v34, s6
	v_add_co_ci_u32_e64 v35, null, s7, v35, s4
	s_add_u32 s24, s24, s22
	s_addc_u32 s25, s25, s23
	s_or_b32 s31, s3, s31
	s_andn2_b32 exec_lo, exec_lo, s31
	s_cbranch_execz .LBB509_28
.LBB509_23:                             ; =>This Inner Loop Header: Depth=1
	s_and_saveexec_b32 s4, vcc_lo
	s_cbranch_execz .LBB509_22
; %bb.24:                               ;   in Loop: Header=BB509_23 Depth=1
	v_add_co_u32 v36, s3, s24, v5
	v_add_co_ci_u32_e64 v37, null, s25, v6, s3
	v_add_co_u32 v38, s3, s24, v7
	v_add_co_ci_u32_e64 v39, null, s25, v8, s3
	;; [unrolled: 2-line block ×8, first 2 shown]
	s_clause 0x3
	flat_load_ushort v36, v[36:37]
	flat_load_ushort v37, v[38:39]
	;; [unrolled: 1-line block ×8, first 2 shown]
	s_and_saveexec_b32 s3, s0
	s_cbranch_execz .LBB509_21
; %bb.25:                               ;   in Loop: Header=BB509_23 Depth=1
	flat_load_ushort v44, v[13:14] offset:128
	flat_load_ushort v45, v[15:16] offset:128
	;; [unrolled: 1-line block ×4, first 2 shown]
	s_waitcnt vmcnt(11) lgkmcnt(11)
	v_cvt_f32_f16_e32 v48, v36
	s_waitcnt vmcnt(10) lgkmcnt(10)
	v_cvt_f32_f16_e32 v49, v37
	;; [unrolled: 2-line block ×4, first 2 shown]
	s_and_saveexec_b32 s33, s1
	s_cbranch_execz .LBB509_20
; %bb.26:                               ;   in Loop: Header=BB509_23 Depth=1
	flat_load_ushort v52, v[13:14] offset:256
	flat_load_ushort v53, v[15:16] offset:256
	;; [unrolled: 1-line block ×4, first 2 shown]
	s_and_saveexec_b32 s34, s2
	s_cbranch_execz .LBB509_19
; %bb.27:                               ;   in Loop: Header=BB509_23 Depth=1
	flat_load_ushort v13, v[13:14] offset:384
	flat_load_ushort v14, v[15:16] offset:384
	;; [unrolled: 1-line block ×4, first 2 shown]
	s_waitcnt vmcnt(3) lgkmcnt(3)
	v_fma_mix_f32 v13, v48, v13, v23 op_sel_hi:[0,1,0]
	s_waitcnt vmcnt(2) lgkmcnt(2)
	v_fma_mix_f32 v13, v49, v14, v13 op_sel_hi:[0,1,0]
	;; [unrolled: 2-line block ×4, first 2 shown]
	s_branch .LBB509_19
.LBB509_28:
	s_or_b32 exec_lo, exec_lo, s31
.LBB509_29:
	s_or_b32 exec_lo, exec_lo, s30
	s_sub_i32 s0, s9, s29
	s_cmp_lt_i32 s0, 1
	s_cbranch_scc1 .LBB509_47
; %bb.30:
	v_cmp_gt_i32_e32 vcc_lo, s9, v24
	v_mov_b32_e32 v11, 0
	v_or_b32_e32 v4, 1, v24
	v_mov_b32_e32 v12, 0
	v_mov_b32_e32 v13, 0
	;; [unrolled: 1-line block ×3, first 2 shown]
	s_and_saveexec_b32 s1, vcc_lo
	s_cbranch_execz .LBB509_38
; %bb.31:
	v_mad_u64_u32 v[5:6], null, s20, v24, 0
	v_mov_b32_e32 v13, 0
	v_mov_b32_e32 v12, 0
	;; [unrolled: 1-line block ×3, first 2 shown]
	s_mov_b32 s2, exec_lo
	v_mov_b32_e32 v3, v6
	v_mad_u64_u32 v[6:7], null, s21, v24, v[3:4]
	v_lshlrev_b64 v[5:6], 1, v[5:6]
	v_add_co_u32 v5, s0, s18, v5
	v_add_co_ci_u32_e64 v6, null, s19, v6, s0
	flat_load_ushort v3, v[5:6]
	v_cmpx_gt_i32_e64 s9, v4
	s_cbranch_execz .LBB509_37
; %bb.32:
	v_mad_u64_u32 v[5:6], null, s20, v4, 0
	v_mov_b32_e32 v12, 0
	v_mov_b32_e32 v11, 0
	s_mov_b32 s3, exec_lo
	v_mad_u64_u32 v[6:7], null, s21, v4, v[6:7]
	v_lshlrev_b64 v[5:6], 1, v[5:6]
	v_add_co_u32 v5, s0, s18, v5
	v_add_co_ci_u32_e64 v6, null, s19, v6, s0
	flat_load_ushort v5, v[5:6]
	v_or_b32_e32 v6, 2, v24
	v_cmpx_gt_i32_e64 s9, v6
	s_cbranch_execz .LBB509_36
; %bb.33:
	v_mad_u64_u32 v[7:8], null, s20, v6, 0
	v_mov_b32_e32 v11, 0
	s_mov_b32 s4, exec_lo
	v_mad_u64_u32 v[8:9], null, s21, v6, v[8:9]
	v_lshlrev_b64 v[6:7], 1, v[7:8]
	v_add_co_u32 v6, s0, s18, v6
	v_add_co_ci_u32_e64 v7, null, s19, v7, s0
	flat_load_ushort v6, v[6:7]
	v_or_b32_e32 v7, 3, v24
	v_cmpx_gt_i32_e64 s9, v7
	s_cbranch_execz .LBB509_35
; %bb.34:
	v_mad_u64_u32 v[8:9], null, s20, v7, 0
	v_mad_u64_u32 v[9:10], null, s21, v7, v[9:10]
	v_lshlrev_b64 v[7:8], 1, v[8:9]
	v_add_co_u32 v7, s0, s18, v7
	v_add_co_ci_u32_e64 v8, null, s19, v8, s0
	flat_load_ushort v7, v[7:8]
	s_waitcnt vmcnt(0) lgkmcnt(0)
	v_cvt_f32_f16_e32 v11, v7
.LBB509_35:
	s_or_b32 exec_lo, exec_lo, s4
	s_waitcnt vmcnt(0) lgkmcnt(0)
	v_cvt_f32_f16_e32 v12, v6
.LBB509_36:
	s_or_b32 exec_lo, exec_lo, s3
	s_waitcnt vmcnt(0) lgkmcnt(0)
	v_cvt_f32_f16_e32 v13, v5
.LBB509_37:
	s_or_b32 exec_lo, exec_lo, s2
	s_waitcnt vmcnt(0) lgkmcnt(0)
	v_cvt_f32_f16_e32 v14, v3
.LBB509_38:
	s_or_b32 exec_lo, exec_lo, s1
	s_mov_b32 s1, exec_lo
	v_cmpx_gt_i32_e64 s8, v2
	s_cbranch_execz .LBB509_46
; %bb.39:
	v_mad_u64_u32 v[5:6], null, s14, v24, 0
	v_mad_u64_u32 v[7:8], null, s14, v4, 0
	v_ashrrev_i32_e32 v3, 31, v2
	v_or_b32_e32 v20, 2, v24
	v_or_b32_e32 v30, 3, v24
	v_cndmask_b32_e32 v5, 0, v5, vcc_lo
	v_lshlrev_b64 v[9:10], 1, v[2:3]
	v_mad_u64_u32 v[15:16], null, s15, v24, v[6:7]
	v_mov_b32_e32 v3, v8
	v_mad_u64_u32 v[16:17], null, s14, v20, 0
	v_mad_u64_u32 v[18:19], null, s14, v30, 0
	;; [unrolled: 1-line block ×3, first 2 shown]
	v_cndmask_b32_e32 v6, 0, v15, vcc_lo
	v_cmp_gt_i32_e32 vcc_lo, s9, v4
	v_mov_b32_e32 v3, v17
	v_cmp_gt_i32_e64 s0, s9, v20
	v_mov_b32_e32 v8, v19
	v_cndmask_b32_e32 v4, 0, v7, vcc_lo
	v_lshlrev_b64 v[6:7], 1, v[5:6]
	v_cndmask_b32_e32 v5, 0, v28, vcc_lo
	v_cndmask_b32_e64 v15, 0, v16, s0
	v_mad_u64_u32 v[19:20], null, s15, v20, v[3:4]
	v_add_co_u32 v3, vcc_lo, s16, v6
	v_lshlrev_b64 v[5:6], 1, v[4:5]
	v_add_co_ci_u32_e64 v7, null, s17, v7, vcc_lo
	v_add_co_u32 v3, vcc_lo, v3, v9
	v_cndmask_b32_e64 v16, 0, v19, s0
	v_add_co_ci_u32_e64 v4, null, v7, v10, vcc_lo
	v_add_co_u32 v5, vcc_lo, s16, v5
	v_add_co_ci_u32_e64 v6, null, s17, v6, vcc_lo
	v_mad_u64_u32 v[7:8], null, s15, v30, v[8:9]
	v_add_co_u32 v5, vcc_lo, v5, v9
	v_add_co_ci_u32_e64 v6, null, v6, v10, vcc_lo
	v_cmp_gt_i32_e32 vcc_lo, s9, v30
	v_lshlrev_b64 v[15:16], 1, v[15:16]
	s_clause 0x1
	flat_load_ushort v19, v[3:4]
	flat_load_ushort v20, v[5:6]
	s_mov_b32 s0, exec_lo
	v_cndmask_b32_e32 v17, 0, v18, vcc_lo
	v_cndmask_b32_e32 v18, 0, v7, vcc_lo
	v_add_co_u32 v7, vcc_lo, s16, v15
	v_add_co_ci_u32_e64 v8, null, s17, v16, vcc_lo
	v_lshlrev_b64 v[15:16], 1, v[17:18]
	v_add_co_u32 v7, vcc_lo, v7, v9
	v_add_co_ci_u32_e64 v8, null, v8, v10, vcc_lo
	v_add_nc_u32_e32 v18, 64, v2
	v_add_co_u32 v15, vcc_lo, s16, v15
	v_add_co_ci_u32_e64 v16, null, s17, v16, vcc_lo
	flat_load_ushort v17, v[7:8]
	v_add_co_u32 v9, vcc_lo, v15, v9
	v_add_co_ci_u32_e64 v10, null, v16, v10, vcc_lo
	flat_load_ushort v15, v[9:10]
	s_waitcnt vmcnt(3) lgkmcnt(3)
	v_fma_mix_f32 v16, v14, v19, v27 op_sel_hi:[0,1,0]
	s_waitcnt vmcnt(2) lgkmcnt(2)
	v_fma_mix_f32 v16, v13, v20, v16 op_sel_hi:[0,1,0]
	;; [unrolled: 2-line block ×3, first 2 shown]
	v_cmpx_gt_i32_e64 s8, v18
	s_cbranch_execz .LBB509_45
; %bb.40:
	s_clause 0x3
	flat_load_ushort v18, v[3:4] offset:128
	flat_load_ushort v19, v[5:6] offset:128
	;; [unrolled: 1-line block ×4, first 2 shown]
	s_mov_b32 s2, exec_lo
	s_waitcnt vmcnt(3) lgkmcnt(3)
	v_fma_mix_f32 v18, v14, v18, v26 op_sel_hi:[0,1,0]
	s_waitcnt vmcnt(2) lgkmcnt(2)
	v_fma_mix_f32 v18, v13, v19, v18 op_sel_hi:[0,1,0]
	v_add_nc_u32_e32 v19, 0x80, v2
	s_waitcnt vmcnt(1) lgkmcnt(1)
	v_fma_mix_f32 v18, v12, v20, v18 op_sel_hi:[0,1,0]
	v_cmpx_gt_i32_e64 s8, v19
	s_cbranch_execz .LBB509_44
; %bb.41:
	s_clause 0x3
	flat_load_ushort v20, v[3:4] offset:256
	flat_load_ushort v24, v[5:6] offset:256
	;; [unrolled: 1-line block ×4, first 2 shown]
	s_mov_b32 s3, exec_lo
	s_waitcnt vmcnt(3) lgkmcnt(3)
	v_fma_mix_f32 v20, v14, v20, v25 op_sel_hi:[0,1,0]
	s_waitcnt vmcnt(2) lgkmcnt(2)
	v_fma_mix_f32 v20, v13, v24, v20 op_sel_hi:[0,1,0]
	v_add_nc_u32_e32 v24, 0xc0, v2
	s_waitcnt vmcnt(1) lgkmcnt(1)
	v_fma_mix_f32 v2, v12, v26, v20 op_sel_hi:[0,1,0]
	v_cmpx_gt_i32_e64 s8, v24
	s_cbranch_execz .LBB509_43
; %bb.42:
	s_clause 0x3
	flat_load_ushort v3, v[3:4] offset:384
	flat_load_ushort v4, v[5:6] offset:384
	;; [unrolled: 1-line block ×4, first 2 shown]
	s_waitcnt vmcnt(3) lgkmcnt(3)
	v_fma_mix_f32 v3, v14, v3, v23 op_sel_hi:[0,1,0]
	s_waitcnt vmcnt(2) lgkmcnt(2)
	v_fma_mix_f32 v3, v13, v4, v3 op_sel_hi:[0,1,0]
	;; [unrolled: 2-line block ×4, first 2 shown]
.LBB509_43:
	s_or_b32 exec_lo, exec_lo, s3
	s_waitcnt vmcnt(0) lgkmcnt(0)
	v_fma_mix_f32 v25, v11, v19, v2 op_sel_hi:[0,1,0]
.LBB509_44:
	s_or_b32 exec_lo, exec_lo, s2
	s_waitcnt vmcnt(0) lgkmcnt(0)
	v_fma_mix_f32 v26, v11, v17, v18 op_sel_hi:[0,1,0]
.LBB509_45:
	s_or_b32 exec_lo, exec_lo, s0
	s_waitcnt vmcnt(0) lgkmcnt(0)
	v_fma_mix_f32 v27, v11, v15, v16 op_sel_hi:[0,1,0]
.LBB509_46:
	s_or_b32 exec_lo, exec_lo, s1
.LBB509_47:
	v_lshlrev_b32_e32 v0, 2, v0
	s_mov_b32 s0, exec_lo
                                        ; implicit-def: $vgpr3
                                        ; implicit-def: $vgpr4_vgpr5
	v_lshl_or_b32 v1, v1, 10, v0
	ds_write2st64_b32 v1, v27, v26 offset1:1
	ds_write2st64_b32 v1, v25, v23 offset0:2 offset1:3
	s_waitcnt lgkmcnt(0)
	s_barrier
	buffer_gl0_inv
	v_cmpx_gt_u32_e32 0x100, v21
	s_cbranch_execz .LBB509_53
; %bb.48:
	v_lshl_add_u32 v4, v22, 2, v0
	s_mov_b32 s2, s27
	s_mov_b32 s1, exec_lo
	ds_read2st64_b32 v[0:1], v4 offset1:4
	ds_read2st64_b32 v[2:3], v4 offset0:8 offset1:12
	s_waitcnt lgkmcnt(1)
	v_add_f32_e32 v0, v0, v1
	v_or_b32_e32 v1, s28, v21
	s_waitcnt lgkmcnt(0)
	v_add_f32_e32 v0, v2, v0
	v_add_f32_e32 v0, v3, v0
                                        ; implicit-def: $vgpr3
	ds_write_b32 v4, v0
                                        ; implicit-def: $vgpr4_vgpr5
	v_cmpx_gt_i32_e64 s8, v1
	s_cbranch_execz .LBB509_52
; %bb.49:
	v_ashrrev_i32_e32 v2, 31, v1
	v_mul_lo_u32 v6, s13, v1
	v_mad_u64_u32 v[4:5], null, s12, v1, 0
	v_cmp_eq_f32_e64 s2, s11, 0
	v_mul_lo_u32 v1, s12, v2
	v_mul_f32_e32 v3, s10, v0
	s_and_b32 vcc_lo, exec_lo, s2
	v_add3_u32 v5, v5, v1, v6
	s_cbranch_vccnz .LBB509_51
; %bb.50:
	v_lshlrev_b64 v[0:1], 2, v[4:5]
	v_add_co_u32 v0, vcc_lo, s5, v0
	v_add_co_ci_u32_e64 v1, null, s26, v1, vcc_lo
	flat_load_dword v0, v[0:1]
	s_waitcnt vmcnt(0) lgkmcnt(0)
	v_fmac_f32_e32 v3, s11, v0
.LBB509_51:
	s_or_b32 s2, s27, exec_lo
.LBB509_52:
	s_or_b32 exec_lo, exec_lo, s1
	s_andn2_b32 s1, s27, exec_lo
	s_and_b32 s2, s2, exec_lo
	s_or_b32 s27, s1, s2
.LBB509_53:
	s_or_b32 exec_lo, exec_lo, s0
.LBB509_54:
	s_and_saveexec_b32 s0, s27
	s_cbranch_execz .LBB509_56
; %bb.55:
	v_lshlrev_b64 v[0:1], 2, v[4:5]
	v_add_co_u32 v0, vcc_lo, s5, v0
	v_add_co_ci_u32_e64 v1, null, s26, v1, vcc_lo
	flat_store_dword v[0:1], v3
.LBB509_56:
	s_endpgm
	.section	.rodata,"a",@progbits
	.p2align	6, 0x0
	.amdhsa_kernel _ZL20rocblas_gemvn_kernelILi64ELi4ElPKDF16_fKPfEviiT3_lPKT2_lT1_lS7_lS8_lS4_lPT4_lS8_li
		.amdhsa_group_segment_fixed_size 4096
		.amdhsa_private_segment_fixed_size 0
		.amdhsa_kernarg_size 400
		.amdhsa_user_sgpr_count 6
		.amdhsa_user_sgpr_private_segment_buffer 1
		.amdhsa_user_sgpr_dispatch_ptr 0
		.amdhsa_user_sgpr_queue_ptr 0
		.amdhsa_user_sgpr_kernarg_segment_ptr 1
		.amdhsa_user_sgpr_dispatch_id 0
		.amdhsa_user_sgpr_flat_scratch_init 0
		.amdhsa_user_sgpr_private_segment_size 0
		.amdhsa_wavefront_size32 1
		.amdhsa_uses_dynamic_stack 0
		.amdhsa_system_sgpr_private_segment_wavefront_offset 0
		.amdhsa_system_sgpr_workgroup_id_x 1
		.amdhsa_system_sgpr_workgroup_id_y 0
		.amdhsa_system_sgpr_workgroup_id_z 1
		.amdhsa_system_sgpr_workgroup_info 0
		.amdhsa_system_vgpr_workitem_id 1
		.amdhsa_next_free_vgpr 56
		.amdhsa_next_free_sgpr 35
		.amdhsa_reserve_vcc 1
		.amdhsa_reserve_flat_scratch 1
		.amdhsa_float_round_mode_32 0
		.amdhsa_float_round_mode_16_64 0
		.amdhsa_float_denorm_mode_32 3
		.amdhsa_float_denorm_mode_16_64 3
		.amdhsa_dx10_clamp 1
		.amdhsa_ieee_mode 1
		.amdhsa_fp16_overflow 0
		.amdhsa_workgroup_processor_mode 1
		.amdhsa_memory_ordered 1
		.amdhsa_forward_progress 1
		.amdhsa_shared_vgpr_count 0
		.amdhsa_exception_fp_ieee_invalid_op 0
		.amdhsa_exception_fp_denorm_src 0
		.amdhsa_exception_fp_ieee_div_zero 0
		.amdhsa_exception_fp_ieee_overflow 0
		.amdhsa_exception_fp_ieee_underflow 0
		.amdhsa_exception_fp_ieee_inexact 0
		.amdhsa_exception_int_div_zero 0
	.end_amdhsa_kernel
	.section	.text._ZL20rocblas_gemvn_kernelILi64ELi4ElPKDF16_fKPfEviiT3_lPKT2_lT1_lS7_lS8_lS4_lPT4_lS8_li,"axG",@progbits,_ZL20rocblas_gemvn_kernelILi64ELi4ElPKDF16_fKPfEviiT3_lPKT2_lT1_lS7_lS8_lS4_lPT4_lS8_li,comdat
.Lfunc_end509:
	.size	_ZL20rocblas_gemvn_kernelILi64ELi4ElPKDF16_fKPfEviiT3_lPKT2_lT1_lS7_lS8_lS4_lPT4_lS8_li, .Lfunc_end509-_ZL20rocblas_gemvn_kernelILi64ELi4ElPKDF16_fKPfEviiT3_lPKT2_lT1_lS7_lS8_lS4_lPT4_lS8_li
                                        ; -- End function
	.set _ZL20rocblas_gemvn_kernelILi64ELi4ElPKDF16_fKPfEviiT3_lPKT2_lT1_lS7_lS8_lS4_lPT4_lS8_li.num_vgpr, 56
	.set _ZL20rocblas_gemvn_kernelILi64ELi4ElPKDF16_fKPfEviiT3_lPKT2_lT1_lS7_lS8_lS4_lPT4_lS8_li.num_agpr, 0
	.set _ZL20rocblas_gemvn_kernelILi64ELi4ElPKDF16_fKPfEviiT3_lPKT2_lT1_lS7_lS8_lS4_lPT4_lS8_li.numbered_sgpr, 35
	.set _ZL20rocblas_gemvn_kernelILi64ELi4ElPKDF16_fKPfEviiT3_lPKT2_lT1_lS7_lS8_lS4_lPT4_lS8_li.num_named_barrier, 0
	.set _ZL20rocblas_gemvn_kernelILi64ELi4ElPKDF16_fKPfEviiT3_lPKT2_lT1_lS7_lS8_lS4_lPT4_lS8_li.private_seg_size, 0
	.set _ZL20rocblas_gemvn_kernelILi64ELi4ElPKDF16_fKPfEviiT3_lPKT2_lT1_lS7_lS8_lS4_lPT4_lS8_li.uses_vcc, 1
	.set _ZL20rocblas_gemvn_kernelILi64ELi4ElPKDF16_fKPfEviiT3_lPKT2_lT1_lS7_lS8_lS4_lPT4_lS8_li.uses_flat_scratch, 1
	.set _ZL20rocblas_gemvn_kernelILi64ELi4ElPKDF16_fKPfEviiT3_lPKT2_lT1_lS7_lS8_lS4_lPT4_lS8_li.has_dyn_sized_stack, 0
	.set _ZL20rocblas_gemvn_kernelILi64ELi4ElPKDF16_fKPfEviiT3_lPKT2_lT1_lS7_lS8_lS4_lPT4_lS8_li.has_recursion, 0
	.set _ZL20rocblas_gemvn_kernelILi64ELi4ElPKDF16_fKPfEviiT3_lPKT2_lT1_lS7_lS8_lS4_lPT4_lS8_li.has_indirect_call, 0
	.section	.AMDGPU.csdata,"",@progbits
; Kernel info:
; codeLenInByte = 3136
; TotalNumSgprs: 37
; NumVgprs: 56
; ScratchSize: 0
; MemoryBound: 0
; FloatMode: 240
; IeeeMode: 1
; LDSByteSize: 4096 bytes/workgroup (compile time only)
; SGPRBlocks: 0
; VGPRBlocks: 6
; NumSGPRsForWavesPerEU: 37
; NumVGPRsForWavesPerEU: 56
; Occupancy: 16
; WaveLimiterHint : 1
; COMPUTE_PGM_RSRC2:SCRATCH_EN: 0
; COMPUTE_PGM_RSRC2:USER_SGPR: 6
; COMPUTE_PGM_RSRC2:TRAP_HANDLER: 0
; COMPUTE_PGM_RSRC2:TGID_X_EN: 1
; COMPUTE_PGM_RSRC2:TGID_Y_EN: 0
; COMPUTE_PGM_RSRC2:TGID_Z_EN: 1
; COMPUTE_PGM_RSRC2:TIDIG_COMP_CNT: 1
	.section	.text._ZL20rocblas_gemvn_kernelILi32ELi16EiPKDF16_PKfKPfEviiT3_lPKT2_lT1_lS9_lSA_lS6_lPT4_lSA_li,"axG",@progbits,_ZL20rocblas_gemvn_kernelILi32ELi16EiPKDF16_PKfKPfEviiT3_lPKT2_lT1_lS9_lSA_lS6_lPT4_lSA_li,comdat
	.globl	_ZL20rocblas_gemvn_kernelILi32ELi16EiPKDF16_PKfKPfEviiT3_lPKT2_lT1_lS9_lSA_lS6_lPT4_lSA_li ; -- Begin function _ZL20rocblas_gemvn_kernelILi32ELi16EiPKDF16_PKfKPfEviiT3_lPKT2_lT1_lS9_lSA_lS6_lPT4_lSA_li
	.p2align	8
	.type	_ZL20rocblas_gemvn_kernelILi32ELi16EiPKDF16_PKfKPfEviiT3_lPKT2_lT1_lS9_lSA_lS6_lPT4_lSA_li,@function
_ZL20rocblas_gemvn_kernelILi32ELi16EiPKDF16_PKfKPfEviiT3_lPKT2_lT1_lS9_lSA_lS6_lPT4_lSA_li: ; @_ZL20rocblas_gemvn_kernelILi32ELi16EiPKDF16_PKfKPfEviiT3_lPKT2_lT1_lS9_lSA_lS6_lPT4_lSA_li
; %bb.0:
	s_load_dwordx2 s[2:3], s[4:5], 0x9c
	s_waitcnt lgkmcnt(0)
	s_lshr_b32 s1, s2, 16
	s_and_b32 s2, s2, 0xffff
	s_and_b32 s3, s3, 0xffff
	s_mul_i32 s1, s1, s2
	s_mul_i32 s1, s1, s3
	s_cmpk_lg_i32 s1, 0x200
	s_cbranch_scc1 .LBB510_54
; %bb.1:
	s_clause 0x1
	s_load_dwordx8 s[16:23], s[4:5], 0x8
	s_load_dwordx8 s[8:15], s[4:5], 0x58
	s_mov_b32 s0, s7
	s_waitcnt lgkmcnt(0)
	s_mul_i32 s1, s19, s7
	s_mul_hi_u32 s3, s18, s7
	s_mul_i32 s2, s18, s7
	s_add_i32 s3, s3, s1
	s_mul_i32 s1, s11, s7
	s_lshl_b64 s[2:3], s[2:3], 2
	s_mul_hi_u32 s7, s10, s7
	s_add_u32 s2, s16, s2
	s_addc_u32 s3, s17, s3
	s_add_i32 s11, s7, s1
	s_mul_i32 s10, s10, s0
	s_lshl_b64 s[10:11], s[10:11], 2
	s_add_u32 s8, s8, s10
	s_addc_u32 s9, s9, s11
	s_load_dword s18, s[2:3], 0x0
	s_load_dword s7, s[8:9], 0x0
	s_waitcnt lgkmcnt(0)
	v_cmp_eq_f32_e64 s2, s18, 0
	v_cmp_eq_f32_e64 s1, s7, 1.0
	s_and_b32 s1, s2, s1
	s_and_b32 vcc_lo, exec_lo, s1
	s_mov_b32 s1, 0
	s_cbranch_vccnz .LBB510_54
; %bb.2:
	v_cmp_neq_f32_e64 s3, s18, 0
	s_mov_b64 s[16:17], 0
	s_and_b32 vcc_lo, exec_lo, s2
	s_mov_b64 s[10:11], 0
	s_cbranch_vccnz .LBB510_4
; %bb.3:
	s_lshl_b64 s[8:9], s[0:1], 3
	s_add_u32 s8, s20, s8
	s_addc_u32 s9, s21, s9
	s_lshl_b64 s[10:11], s[22:23], 1
	s_load_dwordx2 s[8:9], s[8:9], 0x0
	s_waitcnt lgkmcnt(0)
	s_add_u32 s10, s8, s10
	s_addc_u32 s11, s9, s11
.LBB510_4:
	s_andn2_b32 vcc_lo, exec_lo, s3
	s_cbranch_vccnz .LBB510_6
; %bb.5:
	s_load_dwordx4 s[20:23], s[4:5], 0x38
	s_lshl_b64 s[8:9], s[0:1], 3
	s_waitcnt lgkmcnt(0)
	s_add_u32 s8, s20, s8
	s_addc_u32 s9, s21, s9
	s_lshl_b64 s[16:17], s[22:23], 1
	s_load_dwordx2 s[8:9], s[8:9], 0x0
	s_waitcnt lgkmcnt(0)
	s_add_u32 s16, s8, s16
	s_addc_u32 s17, s9, s17
.LBB510_6:
	s_lshl_b64 s[0:1], s[0:1], 3
	v_lshlrev_b32_e32 v14, 5, v1
	s_add_u32 s0, s12, s0
	s_addc_u32 s1, s13, s1
	s_lshl_b64 s[14:15], s[14:15], 2
	s_load_dwordx2 s[12:13], s[0:1], 0x0
	s_clause 0x1
	s_load_dwordx2 s[8:9], s[4:5], 0x0
	s_load_dword s19, s[4:5], 0x78
	v_add_nc_u32_e32 v13, v14, v0
	v_cmp_gt_u32_e64 s0, 0x80, v13
	s_waitcnt lgkmcnt(0)
	s_add_u32 s12, s12, s14
	s_addc_u32 s13, s13, s15
	s_andn2_b32 vcc_lo, exec_lo, s2
	s_cbranch_vccnz .LBB510_13
; %bb.7:
	s_mov_b32 s1, 0
	s_mov_b32 s14, 0
                                        ; implicit-def: $vgpr3
                                        ; implicit-def: $vgpr4_vgpr5
	s_and_saveexec_b32 s2, s0
	s_cbranch_execz .LBB510_14
; %bb.8:
	v_lshl_or_b32 v2, s6, 7, v13
	v_mov_b32_e32 v3, 0
	s_ashr_i32 s15, s8, 31
	s_mov_b32 s14, s8
	s_mov_b32 s3, 0
	s_mov_b32 s0, exec_lo
                                        ; implicit-def: $vgpr4_vgpr5
	v_cmpx_gt_i64_e64 s[14:15], v[2:3]
	s_cbranch_execz .LBB510_12
; %bb.9:
	v_mad_u64_u32 v[4:5], null, s19, v2, 0
	s_ashr_i32 s3, s19, 31
	v_mad_u64_u32 v[5:6], null, s3, v2, v[5:6]
	v_cmp_eq_f32_e64 s3, s7, 0
	s_and_b32 vcc_lo, exec_lo, s3
	s_cbranch_vccnz .LBB510_11
; %bb.10:
	v_lshlrev_b64 v[2:3], 2, v[4:5]
	v_add_co_u32 v2, vcc_lo, s12, v2
	v_add_co_ci_u32_e64 v3, null, s13, v3, vcc_lo
	flat_load_dword v2, v[2:3]
	s_waitcnt vmcnt(0) lgkmcnt(0)
	v_mul_f32_e32 v3, s7, v2
.LBB510_11:
	s_mov_b32 s3, exec_lo
.LBB510_12:
	s_or_b32 exec_lo, exec_lo, s0
	s_and_b32 s14, s3, exec_lo
	s_or_b32 exec_lo, exec_lo, s2
	s_and_b32 vcc_lo, exec_lo, s1
	s_cbranch_vccnz .LBB510_15
	s_branch .LBB510_52
.LBB510_13:
	s_mov_b32 s14, 0
                                        ; implicit-def: $vgpr3
                                        ; implicit-def: $vgpr4_vgpr5
	s_cbranch_execnz .LBB510_15
	s_branch .LBB510_52
.LBB510_14:
	s_or_b32 exec_lo, exec_lo, s2
	s_and_b32 vcc_lo, exec_lo, s1
	s_cbranch_vccz .LBB510_52
.LBB510_15:
	s_clause 0x1
	s_load_dword s15, s[4:5], 0x28
	s_load_dword s4, s[4:5], 0x48
	s_ashr_i32 s0, s9, 31
	s_lshl_b32 s5, s6, 7
	s_lshr_b32 s0, s0, 26
	v_lshlrev_b32_e32 v20, 2, v1
	v_add_nc_u32_e32 v16, s5, v0
	v_mov_b32_e32 v19, 0
	v_mov_b32_e32 v18, 0
	;; [unrolled: 1-line block ×4, first 2 shown]
	s_add_i32 s0, s9, s0
	s_mov_b32 s20, exec_lo
	s_and_b32 s6, s0, 0xffffffc0
	v_cmpx_gt_i32_e64 s6, v20
	s_cbranch_execz .LBB510_27
; %bb.16:
	v_add_nc_u32_e32 v5, 0x60, v16
	s_waitcnt lgkmcnt(0)
	v_mul_lo_u32 v3, s15, v20
	v_add_nc_u32_e32 v2, 32, v16
	v_add_nc_u32_e32 v6, 2, v20
	;; [unrolled: 1-line block ×3, first 2 shown]
	v_cmp_gt_i32_e64 s2, s8, v5
	v_mul_lo_u32 v5, v1, s15
	v_add_nc_u32_e32 v7, 3, v20
	v_mul_lo_u32 v8, v1, s4
	v_cmp_gt_i32_e64 s0, s8, v2
	v_add3_u32 v21, v3, s15, v0
	v_mad_u64_u32 v[2:3], null, s15, v6, v[0:1]
	v_cmp_gt_i32_e64 s1, s8, v4
	v_mad_u64_u32 v[3:4], null, s15, v7, v[0:1]
	v_lshl_add_u32 v22, v5, 2, v0
	v_mad_u64_u32 v[4:5], null, s4, v20, s[4:5]
	v_mul_lo_u32 v23, s4, v6
	v_mul_lo_u32 v24, s4, v7
	v_lshlrev_b32_e32 v25, 2, v8
	v_mov_b32_e32 v19, 0
	v_mov_b32_e32 v18, 0
	;; [unrolled: 1-line block ×4, first 2 shown]
	s_lshl_b32 s21, s15, 6
	s_lshl_b32 s23, s4, 6
	s_mov_b32 s22, 0
	s_mov_b32 s24, 0
	v_cmp_gt_i32_e32 vcc_lo, s8, v16
	s_branch .LBB510_21
.LBB510_17:                             ;   in Loop: Header=BB510_21 Depth=1
	s_or_b32 exec_lo, exec_lo, s27
	s_waitcnt vmcnt(3) lgkmcnt(3)
	v_fma_mix_f32 v5, v38, v42, v17 op_sel_hi:[0,1,0]
	s_waitcnt vmcnt(2) lgkmcnt(2)
	v_fma_mix_f32 v5, v39, v43, v5 op_sel_hi:[0,1,0]
	s_waitcnt vmcnt(1) lgkmcnt(1)
	v_fma_mix_f32 v5, v40, v44, v5 op_sel_hi:[0,1,0]
	s_waitcnt vmcnt(0) lgkmcnt(0)
	v_fma_mix_f32 v17, v41, v45, v5 op_sel_hi:[0,1,0]
.LBB510_18:                             ;   in Loop: Header=BB510_21 Depth=1
	s_or_b32 exec_lo, exec_lo, s26
	s_waitcnt vmcnt(3) lgkmcnt(3)
	v_fma_mix_f32 v5, v38, v34, v18 op_sel_hi:[0,1,0]
	s_waitcnt vmcnt(2) lgkmcnt(2)
	v_fma_mix_f32 v5, v39, v35, v5 op_sel_hi:[0,1,0]
	;; [unrolled: 2-line block ×4, first 2 shown]
.LBB510_19:                             ;   in Loop: Header=BB510_21 Depth=1
	s_or_b32 exec_lo, exec_lo, s3
	s_waitcnt vmcnt(3) lgkmcnt(3)
	v_fma_mix_f32 v5, v26, v30, v19 op_sel_hi:[1,1,0]
	s_waitcnt vmcnt(2) lgkmcnt(2)
	v_fma_mix_f32 v5, v27, v31, v5 op_sel_hi:[1,1,0]
	s_waitcnt vmcnt(1) lgkmcnt(1)
	v_fma_mix_f32 v5, v28, v32, v5 op_sel_hi:[1,1,0]
	s_waitcnt vmcnt(0) lgkmcnt(0)
	v_fma_mix_f32 v19, v29, v33, v5 op_sel_hi:[1,1,0]
.LBB510_20:                             ;   in Loop: Header=BB510_21 Depth=1
	s_or_b32 exec_lo, exec_lo, s25
	v_add_nc_u32_e32 v20, 64, v20
	v_add_nc_u32_e32 v21, s21, v21
	;; [unrolled: 1-line block ×5, first 2 shown]
	v_cmp_le_i32_e64 s3, s6, v20
	s_add_i32 s24, s24, s23
	s_or_b32 s22, s3, s22
	s_andn2_b32 exec_lo, exec_lo, s22
	s_cbranch_execz .LBB510_26
.LBB510_21:                             ; =>This Inner Loop Header: Depth=1
	s_and_saveexec_b32 s25, vcc_lo
	s_cbranch_execz .LBB510_20
; %bb.22:                               ;   in Loop: Header=BB510_21 Depth=1
	v_add_nc_u32_e32 v5, s24, v25
	v_add_nc_u32_e32 v7, s24, v4
	;; [unrolled: 1-line block ×5, first 2 shown]
	v_ashrrev_i32_e32 v6, 31, v5
	v_ashrrev_i32_e32 v8, 31, v7
	;; [unrolled: 1-line block ×5, first 2 shown]
	v_lshlrev_b64 v[5:6], 1, v[5:6]
	v_lshlrev_b64 v[7:8], 1, v[7:8]
	;; [unrolled: 1-line block ×3, first 2 shown]
	v_add_co_u32 v28, s3, s16, v5
	v_add_co_ci_u32_e64 v29, null, s17, v6, s3
	v_add_co_u32 v30, s3, s16, v7
	v_add_nc_u32_e32 v7, s5, v21
	v_add_co_ci_u32_e64 v31, null, s17, v8, s3
	v_lshlrev_b64 v[5:6], 1, v[11:12]
	v_add_co_u32 v32, s3, s16, v9
	v_add_nc_u32_e32 v11, s5, v2
	v_add_co_ci_u32_e64 v33, null, s17, v10, s3
	v_lshlrev_b64 v[9:10], 1, v[26:27]
	v_add_nc_u32_e32 v26, s5, v3
	v_ashrrev_i32_e32 v8, 31, v7
	v_ashrrev_i32_e32 v12, 31, v11
	v_add_co_u32 v34, s3, s16, v5
	v_ashrrev_i32_e32 v27, 31, v26
	v_add_co_ci_u32_e64 v35, null, s17, v6, s3
	v_lshlrev_b64 v[7:8], 1, v[7:8]
	v_add_co_u32 v5, s3, s10, v9
	v_add_co_ci_u32_e64 v6, null, s11, v10, s3
	v_lshlrev_b64 v[9:10], 1, v[11:12]
	v_lshlrev_b64 v[11:12], 1, v[26:27]
	v_add_co_u32 v7, s3, s10, v7
	v_add_co_ci_u32_e64 v8, null, s11, v8, s3
	v_add_co_u32 v9, s3, s10, v9
	v_add_co_ci_u32_e64 v10, null, s11, v10, s3
	v_add_co_u32 v11, s3, s10, v11
	v_add_co_ci_u32_e64 v12, null, s11, v12, s3
	s_clause 0x3
	flat_load_ushort v26, v[28:29]
	flat_load_ushort v27, v[30:31]
	;; [unrolled: 1-line block ×4, first 2 shown]
	s_clause 0x3
	flat_load_ushort v30, v[5:6]
	flat_load_ushort v31, v[7:8]
	;; [unrolled: 1-line block ×4, first 2 shown]
	s_and_saveexec_b32 s3, s0
	s_cbranch_execz .LBB510_19
; %bb.23:                               ;   in Loop: Header=BB510_21 Depth=1
	s_clause 0x3
	flat_load_ushort v34, v[5:6] offset:64
	flat_load_ushort v35, v[7:8] offset:64
	;; [unrolled: 1-line block ×4, first 2 shown]
	s_waitcnt vmcnt(11) lgkmcnt(11)
	v_cvt_f32_f16_e32 v38, v26
	s_waitcnt vmcnt(10) lgkmcnt(10)
	v_cvt_f32_f16_e32 v39, v27
	;; [unrolled: 2-line block ×4, first 2 shown]
	s_and_saveexec_b32 s26, s1
	s_cbranch_execz .LBB510_18
; %bb.24:                               ;   in Loop: Header=BB510_21 Depth=1
	s_clause 0x3
	flat_load_ushort v42, v[5:6] offset:128
	flat_load_ushort v43, v[7:8] offset:128
	flat_load_ushort v44, v[9:10] offset:128
	flat_load_ushort v45, v[11:12] offset:128
	s_and_saveexec_b32 s27, s2
	s_cbranch_execz .LBB510_17
; %bb.25:                               ;   in Loop: Header=BB510_21 Depth=1
	s_clause 0x3
	flat_load_ushort v5, v[5:6] offset:192
	flat_load_ushort v6, v[7:8] offset:192
	;; [unrolled: 1-line block ×4, first 2 shown]
	s_waitcnt vmcnt(3) lgkmcnt(3)
	v_fma_mix_f32 v5, v38, v5, v15 op_sel_hi:[0,1,0]
	s_waitcnt vmcnt(2) lgkmcnt(2)
	v_fma_mix_f32 v5, v39, v6, v5 op_sel_hi:[0,1,0]
	;; [unrolled: 2-line block ×4, first 2 shown]
	s_branch .LBB510_17
.LBB510_26:
	s_or_b32 exec_lo, exec_lo, s22
.LBB510_27:
	s_or_b32 exec_lo, exec_lo, s20
	s_sub_i32 s0, s9, s6
	s_cmp_lt_i32 s0, 1
	s_cbranch_scc1 .LBB510_45
; %bb.28:
	v_cmp_gt_i32_e32 vcc_lo, s9, v20
	v_mov_b32_e32 v10, 0
	v_or_b32_e32 v2, 1, v20
	v_mov_b32_e32 v11, 0
	v_mov_b32_e32 v12, 0
	;; [unrolled: 1-line block ×3, first 2 shown]
	s_and_saveexec_b32 s1, vcc_lo
	s_cbranch_execz .LBB510_36
; %bb.29:
	s_waitcnt lgkmcnt(0)
	v_mul_lo_u32 v3, v20, s4
	v_mov_b32_e32 v12, 0
	v_mov_b32_e32 v11, 0
	;; [unrolled: 1-line block ×3, first 2 shown]
	s_mov_b32 s2, exec_lo
	v_ashrrev_i32_e32 v4, 31, v3
	v_lshlrev_b64 v[3:4], 1, v[3:4]
	v_add_co_u32 v3, s0, s16, v3
	v_add_co_ci_u32_e64 v4, null, s17, v4, s0
	flat_load_ushort v3, v[3:4]
	v_cmpx_gt_i32_e64 s9, v2
	s_cbranch_execz .LBB510_35
; %bb.30:
	v_mul_lo_u32 v4, v2, s4
	v_mov_b32_e32 v11, 0
	v_mov_b32_e32 v10, 0
	s_mov_b32 s3, exec_lo
	v_ashrrev_i32_e32 v5, 31, v4
	v_lshlrev_b64 v[4:5], 1, v[4:5]
	v_add_co_u32 v4, s0, s16, v4
	v_add_co_ci_u32_e64 v5, null, s17, v5, s0
	flat_load_ushort v4, v[4:5]
	v_or_b32_e32 v5, 2, v20
	v_cmpx_gt_i32_e64 s9, v5
	s_cbranch_execz .LBB510_34
; %bb.31:
	v_mul_lo_u32 v5, v5, s4
	v_mov_b32_e32 v10, 0
	s_mov_b32 s6, exec_lo
	v_ashrrev_i32_e32 v6, 31, v5
	v_lshlrev_b64 v[5:6], 1, v[5:6]
	v_add_co_u32 v5, s0, s16, v5
	v_add_co_ci_u32_e64 v6, null, s17, v6, s0
	flat_load_ushort v5, v[5:6]
	v_or_b32_e32 v6, 3, v20
	v_cmpx_gt_i32_e64 s9, v6
	s_cbranch_execz .LBB510_33
; %bb.32:
	v_mul_lo_u32 v6, v6, s4
	v_ashrrev_i32_e32 v7, 31, v6
	v_lshlrev_b64 v[6:7], 1, v[6:7]
	v_add_co_u32 v6, s0, s16, v6
	v_add_co_ci_u32_e64 v7, null, s17, v7, s0
	flat_load_ushort v6, v[6:7]
	s_waitcnt vmcnt(0) lgkmcnt(0)
	v_cvt_f32_f16_e32 v10, v6
.LBB510_33:
	s_or_b32 exec_lo, exec_lo, s6
	s_waitcnt vmcnt(0) lgkmcnt(0)
	v_cvt_f32_f16_e32 v11, v5
.LBB510_34:
	s_or_b32 exec_lo, exec_lo, s3
	s_waitcnt vmcnt(0) lgkmcnt(0)
	v_cvt_f32_f16_e32 v12, v4
.LBB510_35:
	s_or_b32 exec_lo, exec_lo, s2
	s_waitcnt vmcnt(0) lgkmcnt(0)
	v_cvt_f32_f16_e32 v21, v3
.LBB510_36:
	s_or_b32 exec_lo, exec_lo, s1
	s_mov_b32 s1, exec_lo
	v_cmpx_gt_i32_e64 s8, v16
	s_cbranch_execz .LBB510_44
; %bb.37:
	s_waitcnt lgkmcnt(0)
	v_mul_lo_u32 v3, v20, s15
	v_or_b32_e32 v4, 2, v20
	v_mul_lo_u32 v5, v2, s15
	v_or_b32_e32 v6, 3, v20
	s_mov_b32 s0, exec_lo
	v_mul_lo_u32 v7, v4, s15
	v_mul_lo_u32 v8, v6, s15
	v_cndmask_b32_e32 v3, 0, v3, vcc_lo
	v_cmp_gt_i32_e32 vcc_lo, s9, v2
	v_add_nc_u32_e32 v2, v3, v16
	v_cndmask_b32_e32 v5, 0, v5, vcc_lo
	v_cmp_gt_i32_e32 vcc_lo, s9, v4
	v_ashrrev_i32_e32 v3, 31, v2
	v_add_nc_u32_e32 v4, v5, v16
	v_cndmask_b32_e32 v7, 0, v7, vcc_lo
	v_cmp_gt_i32_e32 vcc_lo, s9, v6
	v_lshlrev_b64 v[2:3], 1, v[2:3]
	v_ashrrev_i32_e32 v5, 31, v4
	v_add_nc_u32_e32 v6, v7, v16
	v_cndmask_b32_e32 v8, 0, v8, vcc_lo
	v_lshlrev_b64 v[4:5], 1, v[4:5]
	v_ashrrev_i32_e32 v7, 31, v6
	v_add_nc_u32_e32 v8, v8, v16
	v_add_co_u32 v2, vcc_lo, s10, v2
	v_add_co_ci_u32_e64 v3, null, s11, v3, vcc_lo
	v_lshlrev_b64 v[6:7], 1, v[6:7]
	v_ashrrev_i32_e32 v9, 31, v8
	v_add_co_u32 v4, vcc_lo, s10, v4
	v_add_co_ci_u32_e64 v5, null, s11, v5, vcc_lo
	flat_load_ushort v22, v[2:3]
	v_add_co_u32 v6, vcc_lo, s10, v6
	v_add_co_ci_u32_e64 v7, null, s11, v7, vcc_lo
	v_lshlrev_b64 v[8:9], 1, v[8:9]
	s_clause 0x1
	flat_load_ushort v23, v[4:5]
	flat_load_ushort v24, v[6:7]
	v_add_co_u32 v8, vcc_lo, s10, v8
	v_add_co_ci_u32_e64 v9, null, s11, v9, vcc_lo
	flat_load_ushort v20, v[8:9]
	s_waitcnt vmcnt(3) lgkmcnt(3)
	v_fma_mix_f32 v19, v21, v22, v19 op_sel_hi:[0,1,0]
	v_add_nc_u32_e32 v22, 32, v16
	s_waitcnt vmcnt(2) lgkmcnt(2)
	v_fma_mix_f32 v19, v12, v23, v19 op_sel_hi:[0,1,0]
	s_waitcnt vmcnt(1) lgkmcnt(1)
	v_fma_mix_f32 v19, v11, v24, v19 op_sel_hi:[0,1,0]
	v_cmpx_gt_i32_e64 s8, v22
	s_cbranch_execz .LBB510_43
; %bb.38:
	s_clause 0x3
	flat_load_ushort v23, v[2:3] offset:64
	flat_load_ushort v24, v[4:5] offset:64
	;; [unrolled: 1-line block ×4, first 2 shown]
	s_mov_b32 s2, exec_lo
	s_waitcnt vmcnt(3) lgkmcnt(3)
	v_fma_mix_f32 v18, v21, v23, v18 op_sel_hi:[0,1,0]
	v_add_nc_u32_e32 v23, 64, v16
	s_waitcnt vmcnt(2) lgkmcnt(2)
	v_fma_mix_f32 v18, v12, v24, v18 op_sel_hi:[0,1,0]
	s_waitcnt vmcnt(1) lgkmcnt(1)
	v_fma_mix_f32 v18, v11, v25, v18 op_sel_hi:[0,1,0]
	v_cmpx_gt_i32_e64 s8, v23
	s_cbranch_execz .LBB510_42
; %bb.39:
	s_clause 0x3
	flat_load_ushort v24, v[2:3] offset:128
	flat_load_ushort v25, v[4:5] offset:128
	;; [unrolled: 1-line block ×4, first 2 shown]
	s_mov_b32 s3, exec_lo
	s_waitcnt vmcnt(3) lgkmcnt(3)
	v_fma_mix_f32 v17, v21, v24, v17 op_sel_hi:[0,1,0]
	v_add_nc_u32_e32 v24, 0x60, v16
	s_waitcnt vmcnt(2) lgkmcnt(2)
	v_fma_mix_f32 v17, v12, v25, v17 op_sel_hi:[0,1,0]
	s_waitcnt vmcnt(1) lgkmcnt(1)
	v_fma_mix_f32 v16, v11, v26, v17 op_sel_hi:[0,1,0]
	v_cmpx_gt_i32_e64 s8, v24
	s_cbranch_execz .LBB510_41
; %bb.40:
	s_clause 0x3
	flat_load_ushort v2, v[2:3] offset:192
	flat_load_ushort v3, v[4:5] offset:192
	;; [unrolled: 1-line block ×4, first 2 shown]
	s_waitcnt vmcnt(3) lgkmcnt(3)
	v_fma_mix_f32 v2, v21, v2, v15 op_sel_hi:[0,1,0]
	s_waitcnt vmcnt(2) lgkmcnt(2)
	v_fma_mix_f32 v2, v12, v3, v2 op_sel_hi:[0,1,0]
	s_waitcnt vmcnt(1) lgkmcnt(1)
	v_fma_mix_f32 v2, v11, v4, v2 op_sel_hi:[0,1,0]
	s_waitcnt vmcnt(0) lgkmcnt(0)
	v_fma_mix_f32 v15, v10, v5, v2 op_sel_hi:[0,1,0]
.LBB510_41:
	s_or_b32 exec_lo, exec_lo, s3
	s_waitcnt vmcnt(0) lgkmcnt(0)
	v_fma_mix_f32 v17, v10, v23, v16 op_sel_hi:[0,1,0]
.LBB510_42:
	s_or_b32 exec_lo, exec_lo, s2
	s_waitcnt vmcnt(0) lgkmcnt(0)
	v_fma_mix_f32 v18, v10, v22, v18 op_sel_hi:[0,1,0]
.LBB510_43:
	s_or_b32 exec_lo, exec_lo, s0
	s_waitcnt vmcnt(0) lgkmcnt(0)
	v_fma_mix_f32 v19, v10, v20, v19 op_sel_hi:[0,1,0]
.LBB510_44:
	s_or_b32 exec_lo, exec_lo, s1
.LBB510_45:
	v_lshlrev_b32_e32 v0, 2, v0
	s_mov_b32 s0, exec_lo
                                        ; implicit-def: $vgpr3
                                        ; implicit-def: $vgpr4_vgpr5
	v_lshl_add_u32 v1, v1, 9, v0
	ds_write2_b32 v1, v19, v18 offset1:32
	ds_write2_b32 v1, v17, v15 offset0:64 offset1:96
	s_waitcnt lgkmcnt(0)
	s_barrier
	buffer_gl0_inv
	v_cmpx_gt_u32_e32 0x80, v13
	s_cbranch_execz .LBB510_51
; %bb.46:
	v_lshl_add_u32 v6, v14, 2, v0
	s_mov_b32 s2, s14
	s_mov_b32 s1, exec_lo
	ds_read2st64_b32 v[0:1], v6 offset1:2
	ds_read2st64_b32 v[2:3], v6 offset0:4 offset1:6
	ds_read2st64_b32 v[4:5], v6 offset0:8 offset1:10
	s_waitcnt lgkmcnt(2)
	v_add_f32_e32 v7, v0, v1
	ds_read2st64_b32 v[0:1], v6 offset0:12 offset1:14
	s_waitcnt lgkmcnt(2)
	v_add_f32_e32 v2, v2, v7
	v_add_f32_e32 v7, v3, v2
	ds_read2st64_b32 v[2:3], v6 offset0:16 offset1:18
	s_waitcnt lgkmcnt(2)
	v_add_f32_e32 v4, v4, v7
	;; [unrolled: 4-line block ×3, first 2 shown]
	v_add_f32_e32 v0, v1, v0
	s_waitcnt lgkmcnt(1)
	v_add_f32_e32 v2, v2, v0
	ds_read2st64_b32 v[0:1], v6 offset0:24 offset1:26
	v_add_f32_e32 v2, v3, v2
	s_waitcnt lgkmcnt(1)
	v_add_f32_e32 v4, v4, v2
	ds_read2st64_b32 v[2:3], v6 offset0:28 offset1:30
	v_add_f32_e32 v4, v5, v4
	s_waitcnt lgkmcnt(1)
	v_add_f32_e32 v0, v0, v4
                                        ; implicit-def: $vgpr4_vgpr5
	v_add_f32_e32 v0, v1, v0
	v_or_b32_e32 v1, s5, v13
	s_waitcnt lgkmcnt(0)
	v_add_f32_e32 v0, v2, v0
	v_add_f32_e32 v0, v3, v0
                                        ; implicit-def: $vgpr3
	ds_write_b32 v6, v0
	v_cmpx_gt_i32_e64 s8, v1
	s_cbranch_execz .LBB510_50
; %bb.47:
	v_mul_lo_u32 v4, s19, v1
	v_cmp_eq_f32_e64 s2, s7, 0
	v_mul_f32_e32 v3, s18, v0
	s_and_b32 vcc_lo, exec_lo, s2
	v_ashrrev_i32_e32 v5, 31, v4
	s_cbranch_vccnz .LBB510_49
; %bb.48:
	v_lshlrev_b64 v[0:1], 2, v[4:5]
	v_add_co_u32 v0, vcc_lo, s12, v0
	v_add_co_ci_u32_e64 v1, null, s13, v1, vcc_lo
	flat_load_dword v0, v[0:1]
	s_waitcnt vmcnt(0) lgkmcnt(0)
	v_fmac_f32_e32 v3, s7, v0
.LBB510_49:
	s_or_b32 s2, s14, exec_lo
.LBB510_50:
	s_or_b32 exec_lo, exec_lo, s1
	s_andn2_b32 s1, s14, exec_lo
	s_and_b32 s2, s2, exec_lo
	s_or_b32 s14, s1, s2
.LBB510_51:
	s_or_b32 exec_lo, exec_lo, s0
.LBB510_52:
	s_and_saveexec_b32 s0, s14
	s_cbranch_execz .LBB510_54
; %bb.53:
	v_lshlrev_b64 v[0:1], 2, v[4:5]
	v_add_co_u32 v0, vcc_lo, s12, v0
	v_add_co_ci_u32_e64 v1, null, s13, v1, vcc_lo
	flat_store_dword v[0:1], v3
.LBB510_54:
	s_endpgm
	.section	.rodata,"a",@progbits
	.p2align	6, 0x0
	.amdhsa_kernel _ZL20rocblas_gemvn_kernelILi32ELi16EiPKDF16_PKfKPfEviiT3_lPKT2_lT1_lS9_lSA_lS6_lPT4_lSA_li
		.amdhsa_group_segment_fixed_size 8192
		.amdhsa_private_segment_fixed_size 0
		.amdhsa_kernarg_size 400
		.amdhsa_user_sgpr_count 6
		.amdhsa_user_sgpr_private_segment_buffer 1
		.amdhsa_user_sgpr_dispatch_ptr 0
		.amdhsa_user_sgpr_queue_ptr 0
		.amdhsa_user_sgpr_kernarg_segment_ptr 1
		.amdhsa_user_sgpr_dispatch_id 0
		.amdhsa_user_sgpr_flat_scratch_init 0
		.amdhsa_user_sgpr_private_segment_size 0
		.amdhsa_wavefront_size32 1
		.amdhsa_uses_dynamic_stack 0
		.amdhsa_system_sgpr_private_segment_wavefront_offset 0
		.amdhsa_system_sgpr_workgroup_id_x 1
		.amdhsa_system_sgpr_workgroup_id_y 0
		.amdhsa_system_sgpr_workgroup_id_z 1
		.amdhsa_system_sgpr_workgroup_info 0
		.amdhsa_system_vgpr_workitem_id 1
		.amdhsa_next_free_vgpr 46
		.amdhsa_next_free_sgpr 28
		.amdhsa_reserve_vcc 1
		.amdhsa_reserve_flat_scratch 1
		.amdhsa_float_round_mode_32 0
		.amdhsa_float_round_mode_16_64 0
		.amdhsa_float_denorm_mode_32 3
		.amdhsa_float_denorm_mode_16_64 3
		.amdhsa_dx10_clamp 1
		.amdhsa_ieee_mode 1
		.amdhsa_fp16_overflow 0
		.amdhsa_workgroup_processor_mode 1
		.amdhsa_memory_ordered 1
		.amdhsa_forward_progress 1
		.amdhsa_shared_vgpr_count 0
		.amdhsa_exception_fp_ieee_invalid_op 0
		.amdhsa_exception_fp_denorm_src 0
		.amdhsa_exception_fp_ieee_div_zero 0
		.amdhsa_exception_fp_ieee_overflow 0
		.amdhsa_exception_fp_ieee_underflow 0
		.amdhsa_exception_fp_ieee_inexact 0
		.amdhsa_exception_int_div_zero 0
	.end_amdhsa_kernel
	.section	.text._ZL20rocblas_gemvn_kernelILi32ELi16EiPKDF16_PKfKPfEviiT3_lPKT2_lT1_lS9_lSA_lS6_lPT4_lSA_li,"axG",@progbits,_ZL20rocblas_gemvn_kernelILi32ELi16EiPKDF16_PKfKPfEviiT3_lPKT2_lT1_lS9_lSA_lS6_lPT4_lSA_li,comdat
.Lfunc_end510:
	.size	_ZL20rocblas_gemvn_kernelILi32ELi16EiPKDF16_PKfKPfEviiT3_lPKT2_lT1_lS9_lSA_lS6_lPT4_lSA_li, .Lfunc_end510-_ZL20rocblas_gemvn_kernelILi32ELi16EiPKDF16_PKfKPfEviiT3_lPKT2_lT1_lS9_lSA_lS6_lPT4_lSA_li
                                        ; -- End function
	.set _ZL20rocblas_gemvn_kernelILi32ELi16EiPKDF16_PKfKPfEviiT3_lPKT2_lT1_lS9_lSA_lS6_lPT4_lSA_li.num_vgpr, 46
	.set _ZL20rocblas_gemvn_kernelILi32ELi16EiPKDF16_PKfKPfEviiT3_lPKT2_lT1_lS9_lSA_lS6_lPT4_lSA_li.num_agpr, 0
	.set _ZL20rocblas_gemvn_kernelILi32ELi16EiPKDF16_PKfKPfEviiT3_lPKT2_lT1_lS9_lSA_lS6_lPT4_lSA_li.numbered_sgpr, 28
	.set _ZL20rocblas_gemvn_kernelILi32ELi16EiPKDF16_PKfKPfEviiT3_lPKT2_lT1_lS9_lSA_lS6_lPT4_lSA_li.num_named_barrier, 0
	.set _ZL20rocblas_gemvn_kernelILi32ELi16EiPKDF16_PKfKPfEviiT3_lPKT2_lT1_lS9_lSA_lS6_lPT4_lSA_li.private_seg_size, 0
	.set _ZL20rocblas_gemvn_kernelILi32ELi16EiPKDF16_PKfKPfEviiT3_lPKT2_lT1_lS9_lSA_lS6_lPT4_lSA_li.uses_vcc, 1
	.set _ZL20rocblas_gemvn_kernelILi32ELi16EiPKDF16_PKfKPfEviiT3_lPKT2_lT1_lS9_lSA_lS6_lPT4_lSA_li.uses_flat_scratch, 1
	.set _ZL20rocblas_gemvn_kernelILi32ELi16EiPKDF16_PKfKPfEviiT3_lPKT2_lT1_lS9_lSA_lS6_lPT4_lSA_li.has_dyn_sized_stack, 0
	.set _ZL20rocblas_gemvn_kernelILi32ELi16EiPKDF16_PKfKPfEviiT3_lPKT2_lT1_lS9_lSA_lS6_lPT4_lSA_li.has_recursion, 0
	.set _ZL20rocblas_gemvn_kernelILi32ELi16EiPKDF16_PKfKPfEviiT3_lPKT2_lT1_lS9_lSA_lS6_lPT4_lSA_li.has_indirect_call, 0
	.section	.AMDGPU.csdata,"",@progbits
; Kernel info:
; codeLenInByte = 2972
; TotalNumSgprs: 30
; NumVgprs: 46
; ScratchSize: 0
; MemoryBound: 0
; FloatMode: 240
; IeeeMode: 1
; LDSByteSize: 8192 bytes/workgroup (compile time only)
; SGPRBlocks: 0
; VGPRBlocks: 5
; NumSGPRsForWavesPerEU: 30
; NumVGPRsForWavesPerEU: 46
; Occupancy: 16
; WaveLimiterHint : 1
; COMPUTE_PGM_RSRC2:SCRATCH_EN: 0
; COMPUTE_PGM_RSRC2:USER_SGPR: 6
; COMPUTE_PGM_RSRC2:TRAP_HANDLER: 0
; COMPUTE_PGM_RSRC2:TGID_X_EN: 1
; COMPUTE_PGM_RSRC2:TGID_Y_EN: 0
; COMPUTE_PGM_RSRC2:TGID_Z_EN: 1
; COMPUTE_PGM_RSRC2:TIDIG_COMP_CNT: 1
	.section	.text._ZL20rocblas_gemvn_kernelILi32ELi16ElPKDF16_PKfKPfEviiT3_lPKT2_lT1_lS9_lSA_lS6_lPT4_lSA_li,"axG",@progbits,_ZL20rocblas_gemvn_kernelILi32ELi16ElPKDF16_PKfKPfEviiT3_lPKT2_lT1_lS9_lSA_lS6_lPT4_lSA_li,comdat
	.globl	_ZL20rocblas_gemvn_kernelILi32ELi16ElPKDF16_PKfKPfEviiT3_lPKT2_lT1_lS9_lSA_lS6_lPT4_lSA_li ; -- Begin function _ZL20rocblas_gemvn_kernelILi32ELi16ElPKDF16_PKfKPfEviiT3_lPKT2_lT1_lS9_lSA_lS6_lPT4_lSA_li
	.p2align	8
	.type	_ZL20rocblas_gemvn_kernelILi32ELi16ElPKDF16_PKfKPfEviiT3_lPKT2_lT1_lS9_lSA_lS6_lPT4_lSA_li,@function
_ZL20rocblas_gemvn_kernelILi32ELi16ElPKDF16_PKfKPfEviiT3_lPKT2_lT1_lS9_lSA_lS6_lPT4_lSA_li: ; @_ZL20rocblas_gemvn_kernelILi32ELi16ElPKDF16_PKfKPfEviiT3_lPKT2_lT1_lS9_lSA_lS6_lPT4_lSA_li
; %bb.0:
	s_load_dwordx2 s[0:1], s[4:5], 0x9c
	s_waitcnt lgkmcnt(0)
	s_lshr_b32 s2, s0, 16
	s_and_b32 s0, s0, 0xffff
	s_and_b32 s1, s1, 0xffff
	s_mul_i32 s0, s2, s0
	s_mul_i32 s0, s0, s1
	s_cmpk_lg_i32 s0, 0x200
	s_cbranch_scc1 .LBB511_54
; %bb.1:
	s_clause 0x1
	s_load_dwordx8 s[16:23], s[4:5], 0x8
	s_load_dwordx8 s[8:15], s[4:5], 0x58
	s_mov_b32 s26, s7
	s_mov_b32 s27, 0
	s_waitcnt lgkmcnt(0)
	s_mul_i32 s1, s19, s7
	s_mul_hi_u32 s2, s18, s7
	s_mul_i32 s0, s18, s7
	s_add_i32 s1, s2, s1
	s_mul_i32 s2, s11, s7
	s_lshl_b64 s[0:1], s[0:1], 2
	s_mul_hi_u32 s3, s10, s7
	s_add_u32 s0, s16, s0
	s_addc_u32 s1, s17, s1
	s_add_i32 s3, s3, s2
	s_mul_i32 s2, s10, s7
	s_lshl_b64 s[2:3], s[2:3], 2
	s_add_u32 s2, s8, s2
	s_addc_u32 s3, s9, s3
	s_load_dword s29, s[0:1], 0x0
	s_load_dword s28, s[2:3], 0x0
	s_waitcnt lgkmcnt(0)
	v_cmp_eq_f32_e64 s7, s29, 0
	v_cmp_eq_f32_e64 s0, s28, 1.0
	s_and_b32 s0, s7, s0
	s_and_b32 vcc_lo, exec_lo, s0
	s_cbranch_vccnz .LBB511_54
; %bb.2:
	s_clause 0x1
	s_load_dwordx2 s[16:17], s[4:5], 0x28
	s_load_dwordx2 s[8:9], s[4:5], 0x78
	v_cmp_neq_f32_e64 s10, s29, 0
	s_mov_b64 s[24:25], 0
	s_and_b32 vcc_lo, exec_lo, s7
	s_mov_b64 s[18:19], 0
	s_cbranch_vccnz .LBB511_4
; %bb.3:
	s_lshl_b64 s[0:1], s[26:27], 3
	s_add_u32 s0, s20, s0
	s_addc_u32 s1, s21, s1
	s_lshl_b64 s[2:3], s[22:23], 1
	s_load_dwordx2 s[0:1], s[0:1], 0x0
	s_waitcnt lgkmcnt(0)
	s_add_u32 s18, s0, s2
	s_addc_u32 s19, s1, s3
.LBB511_4:
	s_clause 0x1
	s_load_dwordx4 s[0:3], s[4:5], 0x38
	s_load_dwordx2 s[20:21], s[4:5], 0x48
	s_andn2_b32 vcc_lo, exec_lo, s10
	s_cbranch_vccnz .LBB511_6
; %bb.5:
	s_lshl_b64 s[10:11], s[26:27], 3
	s_waitcnt lgkmcnt(0)
	s_add_u32 s0, s0, s10
	s_addc_u32 s1, s1, s11
	s_lshl_b64 s[2:3], s[2:3], 1
	s_load_dwordx2 s[0:1], s[0:1], 0x0
	s_waitcnt lgkmcnt(0)
	s_add_u32 s24, s0, s2
	s_addc_u32 s25, s1, s3
.LBB511_6:
	s_waitcnt lgkmcnt(0)
	s_lshl_b64 s[0:1], s[26:27], 3
	v_lshlrev_b32_e32 v22, 5, v1
	s_add_u32 s0, s12, s0
	s_addc_u32 s1, s13, s1
	s_lshl_b64 s[12:13], s[14:15], 2
	s_load_dwordx2 s[2:3], s[0:1], 0x0
	s_load_dwordx2 s[10:11], s[4:5], 0x0
	v_add_nc_u32_e32 v21, v22, v0
	v_cmp_gt_u32_e64 s0, 0x80, v21
	s_waitcnt lgkmcnt(0)
	s_add_u32 s5, s2, s12
	s_addc_u32 s22, s3, s13
	s_andn2_b32 vcc_lo, exec_lo, s7
	s_cbranch_vccnz .LBB511_13
; %bb.7:
	s_mov_b32 s1, 0
	s_mov_b32 s23, 0
                                        ; implicit-def: $vgpr3
                                        ; implicit-def: $vgpr4_vgpr5
	s_and_saveexec_b32 s2, s0
	s_cbranch_execz .LBB511_14
; %bb.8:
	v_lshl_or_b32 v2, s6, 7, v21
	v_mov_b32_e32 v3, 0
	s_ashr_i32 s13, s10, 31
	s_mov_b32 s12, s10
	s_mov_b32 s3, 0
	s_mov_b32 s0, exec_lo
                                        ; implicit-def: $vgpr4_vgpr5
	v_cmpx_gt_i64_e64 s[12:13], v[2:3]
	s_cbranch_execz .LBB511_12
; %bb.9:
	v_mad_u64_u32 v[4:5], null, s8, v2, 0
	v_cmp_eq_f32_e64 s3, s28, 0
	s_and_b32 vcc_lo, exec_lo, s3
	v_mad_u64_u32 v[5:6], null, s9, v2, v[5:6]
	s_cbranch_vccnz .LBB511_11
; %bb.10:
	v_lshlrev_b64 v[2:3], 2, v[4:5]
	v_add_co_u32 v2, vcc_lo, s5, v2
	v_add_co_ci_u32_e64 v3, null, s22, v3, vcc_lo
	flat_load_dword v2, v[2:3]
	s_waitcnt vmcnt(0) lgkmcnt(0)
	v_mul_f32_e32 v3, s28, v2
.LBB511_11:
	s_mov_b32 s3, exec_lo
.LBB511_12:
	s_or_b32 exec_lo, exec_lo, s0
	s_and_b32 s23, s3, exec_lo
	s_or_b32 exec_lo, exec_lo, s2
	s_and_b32 vcc_lo, exec_lo, s1
	s_cbranch_vccnz .LBB511_15
	s_branch .LBB511_52
.LBB511_13:
	s_mov_b32 s23, 0
                                        ; implicit-def: $vgpr3
                                        ; implicit-def: $vgpr4_vgpr5
	s_cbranch_execnz .LBB511_15
	s_branch .LBB511_52
.LBB511_14:
	s_or_b32 exec_lo, exec_lo, s2
	s_and_b32 vcc_lo, exec_lo, s1
	s_cbranch_vccz .LBB511_52
.LBB511_15:
	s_ashr_i32 s0, s11, 31
	s_lshl_b32 s26, s6, 7
	s_lshr_b32 s0, s0, 26
	v_lshlrev_b32_e32 v24, 2, v1
	v_mov_b32_e32 v27, 0
	v_add_nc_u32_e32 v2, s26, v0
	v_mov_b32_e32 v26, 0
	v_mov_b32_e32 v25, 0
	;; [unrolled: 1-line block ×3, first 2 shown]
	s_add_i32 s27, s11, s0
	s_mov_b32 s30, exec_lo
	s_andn2_b32 s27, s27, 63
	v_cmpx_gt_i32_e64 s27, v24
	s_cbranch_execz .LBB511_27
; %bb.16:
	v_lshlrev_b32_e32 v23, 2, v1
	v_add_nc_u32_e32 v4, 32, v2
	v_mad_u64_u32 v[7:8], null, s20, v1, 0
	v_mad_u64_u32 v[9:10], null, s16, v1, 0
	v_or_b32_e32 v27, 3, v23
	v_add_nc_u32_e32 v11, 64, v2
	v_add_nc_u32_e32 v12, 0x60, v2
	v_cmp_gt_i32_e64 s0, s10, v4
	v_or_b32_e32 v32, 2, v23
	v_mad_u64_u32 v[5:6], null, s16, v27, 0
	v_cmp_gt_i32_e64 s1, s10, v11
	v_cmp_gt_i32_e64 s2, s10, v12
	v_mad_u64_u32 v[16:17], null, s16, v32, 0
	v_mad_u64_u32 v[18:19], null, s20, v27, 0
	v_mov_b32_e32 v4, v6
	v_mov_b32_e32 v6, v8
	;; [unrolled: 1-line block ×3, first 2 shown]
	v_ashrrev_i32_e32 v3, 31, v2
	s_lshl_b64 s[6:7], s[16:17], 7
	v_mad_u64_u32 v[11:12], null, s17, v27, v[4:5]
	v_mad_u64_u32 v[12:13], null, s21, v1, v[6:7]
	;; [unrolled: 1-line block ×4, first 2 shown]
	v_mov_b32_e32 v6, v11
	v_lshlrev_b64 v[3:4], 1, v[2:3]
	v_mov_b32_e32 v8, v12
	s_lshl_b64 s[12:13], s[20:21], 7
	v_mov_b32_e32 v10, v13
	v_lshlrev_b64 v[11:12], 1, v[5:6]
	s_mov_b32 s31, 0
	v_lshlrev_b64 v[5:6], 3, v[7:8]
	v_mov_b32_e32 v7, v17
	v_mov_b32_e32 v8, v15
	v_lshlrev_b64 v[9:10], 3, v[9:10]
	v_add_co_u32 v28, s3, s18, v11
	v_add_co_ci_u32_e64 v29, null, s19, v12, s3
	v_mad_u64_u32 v[11:12], null, s16, v23, s[16:17]
	v_mad_u64_u32 v[25:26], null, s17, v32, v[7:8]
	v_mov_b32_e32 v7, v19
	v_mad_u64_u32 v[19:20], null, s21, v23, v[8:9]
	v_add_co_u32 v30, s3, s18, v9
	v_mad_u64_u32 v[7:8], null, s21, v27, v[7:8]
	v_mov_b32_e32 v8, v12
	v_mov_b32_e32 v17, v25
	v_mad_u64_u32 v[25:26], null, s20, v32, 0
	v_mov_b32_e32 v15, v19
	v_mad_u64_u32 v[12:13], null, s17, v23, v[8:9]
	v_lshlrev_b64 v[16:17], 1, v[16:17]
	v_mov_b32_e32 v19, v7
	v_add_co_ci_u32_e64 v31, null, s19, v10, s3
	v_mov_b32_e32 v8, v26
	v_mov_b32_e32 v23, 0
	v_lshlrev_b64 v[11:12], 1, v[11:12]
	s_mov_b64 s[14:15], s[24:25]
	v_cmp_gt_i32_e32 vcc_lo, s10, v2
	v_mad_u64_u32 v[26:27], null, s21, v32, v[8:9]
	v_add_co_u32 v32, s3, s18, v16
	v_add_co_ci_u32_e64 v33, null, s19, v17, s3
	v_add_co_u32 v34, s3, s18, v11
	v_lshlrev_b64 v[7:8], 1, v[14:15]
	v_lshlrev_b64 v[9:10], 1, v[18:19]
	v_add_co_ci_u32_e64 v35, null, s19, v12, s3
	v_lshlrev_b64 v[11:12], 1, v[25:26]
	v_mov_b32_e32 v27, 0
	v_mov_b32_e32 v26, 0
	;; [unrolled: 1-line block ×3, first 2 shown]
	s_branch .LBB511_21
.LBB511_17:                             ;   in Loop: Header=BB511_21 Depth=1
	s_or_b32 exec_lo, exec_lo, s34
	s_waitcnt vmcnt(3) lgkmcnt(3)
	v_fma_mix_f32 v13, v48, v52, v25 op_sel_hi:[0,1,0]
	s_waitcnt vmcnt(2) lgkmcnt(2)
	v_fma_mix_f32 v13, v49, v53, v13 op_sel_hi:[0,1,0]
	;; [unrolled: 2-line block ×4, first 2 shown]
.LBB511_18:                             ;   in Loop: Header=BB511_21 Depth=1
	s_or_b32 exec_lo, exec_lo, s33
	s_waitcnt vmcnt(3) lgkmcnt(3)
	v_fma_mix_f32 v13, v48, v44, v26 op_sel_hi:[0,1,0]
	s_waitcnt vmcnt(2) lgkmcnt(2)
	v_fma_mix_f32 v13, v49, v45, v13 op_sel_hi:[0,1,0]
	;; [unrolled: 2-line block ×4, first 2 shown]
.LBB511_19:                             ;   in Loop: Header=BB511_21 Depth=1
	s_or_b32 exec_lo, exec_lo, s3
	s_waitcnt vmcnt(3) lgkmcnt(3)
	v_fma_mix_f32 v13, v36, v40, v27 op_sel_hi:[1,1,0]
	s_waitcnt vmcnt(2) lgkmcnt(2)
	v_fma_mix_f32 v13, v37, v41, v13 op_sel_hi:[1,1,0]
	;; [unrolled: 2-line block ×4, first 2 shown]
.LBB511_20:                             ;   in Loop: Header=BB511_21 Depth=1
	s_or_b32 exec_lo, exec_lo, s4
	v_add_co_u32 v28, s3, v28, s6
	v_add_nc_u32_e32 v24, 64, v24
	v_add_co_ci_u32_e64 v29, null, s7, v29, s3
	v_add_co_u32 v30, s3, v30, s6
	v_add_co_ci_u32_e64 v31, null, s7, v31, s3
	v_add_co_u32 v32, s3, v32, s6
	v_add_co_ci_u32_e64 v33, null, s7, v33, s3
	v_cmp_le_i32_e64 s3, s27, v24
	v_add_co_u32 v34, s4, v34, s6
	v_add_co_ci_u32_e64 v35, null, s7, v35, s4
	s_add_u32 s14, s14, s12
	s_addc_u32 s15, s15, s13
	s_or_b32 s31, s3, s31
	s_andn2_b32 exec_lo, exec_lo, s31
	s_cbranch_execz .LBB511_26
.LBB511_21:                             ; =>This Inner Loop Header: Depth=1
	s_and_saveexec_b32 s4, vcc_lo
	s_cbranch_execz .LBB511_20
; %bb.22:                               ;   in Loop: Header=BB511_21 Depth=1
	v_add_co_u32 v36, s3, s14, v5
	v_add_co_ci_u32_e64 v37, null, s15, v6, s3
	v_add_co_u32 v38, s3, s14, v7
	v_add_co_ci_u32_e64 v39, null, s15, v8, s3
	;; [unrolled: 2-line block ×8, first 2 shown]
	s_clause 0x3
	flat_load_ushort v36, v[36:37]
	flat_load_ushort v37, v[38:39]
	;; [unrolled: 1-line block ×8, first 2 shown]
	s_and_saveexec_b32 s3, s0
	s_cbranch_execz .LBB511_19
; %bb.23:                               ;   in Loop: Header=BB511_21 Depth=1
	flat_load_ushort v44, v[13:14] offset:64
	flat_load_ushort v45, v[15:16] offset:64
	;; [unrolled: 1-line block ×4, first 2 shown]
	s_waitcnt vmcnt(11) lgkmcnt(11)
	v_cvt_f32_f16_e32 v48, v36
	s_waitcnt vmcnt(10) lgkmcnt(10)
	v_cvt_f32_f16_e32 v49, v37
	;; [unrolled: 2-line block ×4, first 2 shown]
	s_and_saveexec_b32 s33, s1
	s_cbranch_execz .LBB511_18
; %bb.24:                               ;   in Loop: Header=BB511_21 Depth=1
	flat_load_ushort v52, v[13:14] offset:128
	flat_load_ushort v53, v[15:16] offset:128
	;; [unrolled: 1-line block ×4, first 2 shown]
	s_and_saveexec_b32 s34, s2
	s_cbranch_execz .LBB511_17
; %bb.25:                               ;   in Loop: Header=BB511_21 Depth=1
	flat_load_ushort v13, v[13:14] offset:192
	flat_load_ushort v14, v[15:16] offset:192
	;; [unrolled: 1-line block ×4, first 2 shown]
	s_waitcnt vmcnt(3) lgkmcnt(3)
	v_fma_mix_f32 v13, v48, v13, v23 op_sel_hi:[0,1,0]
	s_waitcnt vmcnt(2) lgkmcnt(2)
	v_fma_mix_f32 v13, v49, v14, v13 op_sel_hi:[0,1,0]
	s_waitcnt vmcnt(1) lgkmcnt(1)
	v_fma_mix_f32 v13, v50, v15, v13 op_sel_hi:[0,1,0]
	s_waitcnt vmcnt(0) lgkmcnt(0)
	v_fma_mix_f32 v23, v51, v16, v13 op_sel_hi:[0,1,0]
	s_branch .LBB511_17
.LBB511_26:
	s_or_b32 exec_lo, exec_lo, s31
.LBB511_27:
	s_or_b32 exec_lo, exec_lo, s30
	s_sub_i32 s0, s11, s27
	s_cmp_lt_i32 s0, 1
	s_cbranch_scc1 .LBB511_45
; %bb.28:
	v_cmp_gt_i32_e32 vcc_lo, s11, v24
	v_mov_b32_e32 v11, 0
	v_or_b32_e32 v4, 1, v24
	v_mov_b32_e32 v12, 0
	v_mov_b32_e32 v13, 0
	;; [unrolled: 1-line block ×3, first 2 shown]
	s_and_saveexec_b32 s1, vcc_lo
	s_cbranch_execz .LBB511_36
; %bb.29:
	v_mad_u64_u32 v[5:6], null, s20, v24, 0
	v_mov_b32_e32 v13, 0
	v_mov_b32_e32 v12, 0
	;; [unrolled: 1-line block ×3, first 2 shown]
	s_mov_b32 s2, exec_lo
	v_mov_b32_e32 v3, v6
	v_mad_u64_u32 v[6:7], null, s21, v24, v[3:4]
	v_lshlrev_b64 v[5:6], 1, v[5:6]
	v_add_co_u32 v5, s0, s24, v5
	v_add_co_ci_u32_e64 v6, null, s25, v6, s0
	flat_load_ushort v3, v[5:6]
	v_cmpx_gt_i32_e64 s11, v4
	s_cbranch_execz .LBB511_35
; %bb.30:
	v_mad_u64_u32 v[5:6], null, s20, v4, 0
	v_mov_b32_e32 v12, 0
	v_mov_b32_e32 v11, 0
	s_mov_b32 s3, exec_lo
	v_mad_u64_u32 v[6:7], null, s21, v4, v[6:7]
	v_lshlrev_b64 v[5:6], 1, v[5:6]
	v_add_co_u32 v5, s0, s24, v5
	v_add_co_ci_u32_e64 v6, null, s25, v6, s0
	flat_load_ushort v5, v[5:6]
	v_or_b32_e32 v6, 2, v24
	v_cmpx_gt_i32_e64 s11, v6
	s_cbranch_execz .LBB511_34
; %bb.31:
	v_mad_u64_u32 v[7:8], null, s20, v6, 0
	v_mov_b32_e32 v11, 0
	s_mov_b32 s4, exec_lo
	v_mad_u64_u32 v[8:9], null, s21, v6, v[8:9]
	v_lshlrev_b64 v[6:7], 1, v[7:8]
	v_add_co_u32 v6, s0, s24, v6
	v_add_co_ci_u32_e64 v7, null, s25, v7, s0
	flat_load_ushort v6, v[6:7]
	v_or_b32_e32 v7, 3, v24
	v_cmpx_gt_i32_e64 s11, v7
	s_cbranch_execz .LBB511_33
; %bb.32:
	v_mad_u64_u32 v[8:9], null, s20, v7, 0
	v_mad_u64_u32 v[9:10], null, s21, v7, v[9:10]
	v_lshlrev_b64 v[7:8], 1, v[8:9]
	v_add_co_u32 v7, s0, s24, v7
	v_add_co_ci_u32_e64 v8, null, s25, v8, s0
	flat_load_ushort v7, v[7:8]
	s_waitcnt vmcnt(0) lgkmcnt(0)
	v_cvt_f32_f16_e32 v11, v7
.LBB511_33:
	s_or_b32 exec_lo, exec_lo, s4
	s_waitcnt vmcnt(0) lgkmcnt(0)
	v_cvt_f32_f16_e32 v12, v6
.LBB511_34:
	s_or_b32 exec_lo, exec_lo, s3
	s_waitcnt vmcnt(0) lgkmcnt(0)
	v_cvt_f32_f16_e32 v13, v5
.LBB511_35:
	s_or_b32 exec_lo, exec_lo, s2
	s_waitcnt vmcnt(0) lgkmcnt(0)
	v_cvt_f32_f16_e32 v14, v3
.LBB511_36:
	s_or_b32 exec_lo, exec_lo, s1
	s_mov_b32 s1, exec_lo
	v_cmpx_gt_i32_e64 s10, v2
	s_cbranch_execz .LBB511_44
; %bb.37:
	v_mad_u64_u32 v[5:6], null, s16, v24, 0
	v_mad_u64_u32 v[7:8], null, s16, v4, 0
	v_ashrrev_i32_e32 v3, 31, v2
	v_or_b32_e32 v20, 2, v24
	v_or_b32_e32 v30, 3, v24
	v_cndmask_b32_e32 v5, 0, v5, vcc_lo
	v_lshlrev_b64 v[9:10], 1, v[2:3]
	v_mad_u64_u32 v[15:16], null, s17, v24, v[6:7]
	v_mov_b32_e32 v3, v8
	v_mad_u64_u32 v[16:17], null, s16, v20, 0
	v_mad_u64_u32 v[18:19], null, s16, v30, 0
	;; [unrolled: 1-line block ×3, first 2 shown]
	v_cndmask_b32_e32 v6, 0, v15, vcc_lo
	v_cmp_gt_i32_e32 vcc_lo, s11, v4
	v_mov_b32_e32 v3, v17
	v_cmp_gt_i32_e64 s0, s11, v20
	v_mov_b32_e32 v8, v19
	v_cndmask_b32_e32 v4, 0, v7, vcc_lo
	v_lshlrev_b64 v[6:7], 1, v[5:6]
	v_cndmask_b32_e32 v5, 0, v28, vcc_lo
	v_cndmask_b32_e64 v15, 0, v16, s0
	v_mad_u64_u32 v[19:20], null, s17, v20, v[3:4]
	v_add_co_u32 v3, vcc_lo, s18, v6
	v_lshlrev_b64 v[5:6], 1, v[4:5]
	v_add_co_ci_u32_e64 v7, null, s19, v7, vcc_lo
	v_add_co_u32 v3, vcc_lo, v3, v9
	v_cndmask_b32_e64 v16, 0, v19, s0
	v_add_co_ci_u32_e64 v4, null, v7, v10, vcc_lo
	v_add_co_u32 v5, vcc_lo, s18, v5
	v_add_co_ci_u32_e64 v6, null, s19, v6, vcc_lo
	v_mad_u64_u32 v[7:8], null, s17, v30, v[8:9]
	v_add_co_u32 v5, vcc_lo, v5, v9
	v_add_co_ci_u32_e64 v6, null, v6, v10, vcc_lo
	v_cmp_gt_i32_e32 vcc_lo, s11, v30
	v_lshlrev_b64 v[15:16], 1, v[15:16]
	s_clause 0x1
	flat_load_ushort v19, v[3:4]
	flat_load_ushort v20, v[5:6]
	s_mov_b32 s0, exec_lo
	v_cndmask_b32_e32 v17, 0, v18, vcc_lo
	v_cndmask_b32_e32 v18, 0, v7, vcc_lo
	v_add_co_u32 v7, vcc_lo, s18, v15
	v_add_co_ci_u32_e64 v8, null, s19, v16, vcc_lo
	v_lshlrev_b64 v[15:16], 1, v[17:18]
	v_add_co_u32 v7, vcc_lo, v7, v9
	v_add_co_ci_u32_e64 v8, null, v8, v10, vcc_lo
	v_add_nc_u32_e32 v18, 32, v2
	v_add_co_u32 v15, vcc_lo, s18, v15
	v_add_co_ci_u32_e64 v16, null, s19, v16, vcc_lo
	flat_load_ushort v17, v[7:8]
	v_add_co_u32 v9, vcc_lo, v15, v9
	v_add_co_ci_u32_e64 v10, null, v16, v10, vcc_lo
	flat_load_ushort v15, v[9:10]
	s_waitcnt vmcnt(3) lgkmcnt(3)
	v_fma_mix_f32 v16, v14, v19, v27 op_sel_hi:[0,1,0]
	s_waitcnt vmcnt(2) lgkmcnt(2)
	v_fma_mix_f32 v16, v13, v20, v16 op_sel_hi:[0,1,0]
	;; [unrolled: 2-line block ×3, first 2 shown]
	v_cmpx_gt_i32_e64 s10, v18
	s_cbranch_execz .LBB511_43
; %bb.38:
	s_clause 0x3
	flat_load_ushort v18, v[3:4] offset:64
	flat_load_ushort v19, v[5:6] offset:64
	;; [unrolled: 1-line block ×4, first 2 shown]
	s_mov_b32 s2, exec_lo
	s_waitcnt vmcnt(3) lgkmcnt(3)
	v_fma_mix_f32 v18, v14, v18, v26 op_sel_hi:[0,1,0]
	s_waitcnt vmcnt(2) lgkmcnt(2)
	v_fma_mix_f32 v18, v13, v19, v18 op_sel_hi:[0,1,0]
	v_add_nc_u32_e32 v19, 64, v2
	s_waitcnt vmcnt(1) lgkmcnt(1)
	v_fma_mix_f32 v18, v12, v20, v18 op_sel_hi:[0,1,0]
	v_cmpx_gt_i32_e64 s10, v19
	s_cbranch_execz .LBB511_42
; %bb.39:
	s_clause 0x3
	flat_load_ushort v20, v[3:4] offset:128
	flat_load_ushort v24, v[5:6] offset:128
	;; [unrolled: 1-line block ×4, first 2 shown]
	s_mov_b32 s3, exec_lo
	s_waitcnt vmcnt(3) lgkmcnt(3)
	v_fma_mix_f32 v20, v14, v20, v25 op_sel_hi:[0,1,0]
	s_waitcnt vmcnt(2) lgkmcnt(2)
	v_fma_mix_f32 v20, v13, v24, v20 op_sel_hi:[0,1,0]
	v_add_nc_u32_e32 v24, 0x60, v2
	s_waitcnt vmcnt(1) lgkmcnt(1)
	v_fma_mix_f32 v2, v12, v26, v20 op_sel_hi:[0,1,0]
	v_cmpx_gt_i32_e64 s10, v24
	s_cbranch_execz .LBB511_41
; %bb.40:
	s_clause 0x3
	flat_load_ushort v3, v[3:4] offset:192
	flat_load_ushort v4, v[5:6] offset:192
	;; [unrolled: 1-line block ×4, first 2 shown]
	s_waitcnt vmcnt(3) lgkmcnt(3)
	v_fma_mix_f32 v3, v14, v3, v23 op_sel_hi:[0,1,0]
	s_waitcnt vmcnt(2) lgkmcnt(2)
	v_fma_mix_f32 v3, v13, v4, v3 op_sel_hi:[0,1,0]
	;; [unrolled: 2-line block ×4, first 2 shown]
.LBB511_41:
	s_or_b32 exec_lo, exec_lo, s3
	s_waitcnt vmcnt(0) lgkmcnt(0)
	v_fma_mix_f32 v25, v11, v19, v2 op_sel_hi:[0,1,0]
.LBB511_42:
	s_or_b32 exec_lo, exec_lo, s2
	s_waitcnt vmcnt(0) lgkmcnt(0)
	v_fma_mix_f32 v26, v11, v17, v18 op_sel_hi:[0,1,0]
.LBB511_43:
	s_or_b32 exec_lo, exec_lo, s0
	s_waitcnt vmcnt(0) lgkmcnt(0)
	v_fma_mix_f32 v27, v11, v15, v16 op_sel_hi:[0,1,0]
.LBB511_44:
	s_or_b32 exec_lo, exec_lo, s1
.LBB511_45:
	v_lshlrev_b32_e32 v0, 2, v0
	s_mov_b32 s0, exec_lo
                                        ; implicit-def: $vgpr3
                                        ; implicit-def: $vgpr4_vgpr5
	v_lshl_add_u32 v1, v1, 9, v0
	ds_write2_b32 v1, v27, v26 offset1:32
	ds_write2_b32 v1, v25, v23 offset0:64 offset1:96
	s_waitcnt lgkmcnt(0)
	s_barrier
	buffer_gl0_inv
	v_cmpx_gt_u32_e32 0x80, v21
	s_cbranch_execz .LBB511_51
; %bb.46:
	v_lshl_add_u32 v6, v22, 2, v0
	s_mov_b32 s2, s23
	s_mov_b32 s1, exec_lo
	ds_read2st64_b32 v[0:1], v6 offset1:2
	ds_read2st64_b32 v[2:3], v6 offset0:4 offset1:6
	ds_read2st64_b32 v[4:5], v6 offset0:8 offset1:10
	s_waitcnt lgkmcnt(2)
	v_add_f32_e32 v7, v0, v1
	ds_read2st64_b32 v[0:1], v6 offset0:12 offset1:14
	s_waitcnt lgkmcnt(2)
	v_add_f32_e32 v2, v2, v7
	v_add_f32_e32 v7, v3, v2
	ds_read2st64_b32 v[2:3], v6 offset0:16 offset1:18
	s_waitcnt lgkmcnt(2)
	v_add_f32_e32 v4, v4, v7
	;; [unrolled: 4-line block ×3, first 2 shown]
	v_add_f32_e32 v0, v1, v0
	s_waitcnt lgkmcnt(1)
	v_add_f32_e32 v2, v2, v0
	ds_read2st64_b32 v[0:1], v6 offset0:24 offset1:26
	v_add_f32_e32 v2, v3, v2
	s_waitcnt lgkmcnt(1)
	v_add_f32_e32 v4, v4, v2
	ds_read2st64_b32 v[2:3], v6 offset0:28 offset1:30
	v_add_f32_e32 v4, v5, v4
	s_waitcnt lgkmcnt(1)
	v_add_f32_e32 v0, v0, v4
                                        ; implicit-def: $vgpr4_vgpr5
	v_add_f32_e32 v0, v1, v0
	v_or_b32_e32 v1, s26, v21
	s_waitcnt lgkmcnt(0)
	v_add_f32_e32 v0, v2, v0
	v_add_f32_e32 v0, v3, v0
                                        ; implicit-def: $vgpr3
	ds_write_b32 v6, v0
	v_cmpx_gt_i32_e64 s10, v1
	s_cbranch_execz .LBB511_50
; %bb.47:
	v_ashrrev_i32_e32 v2, 31, v1
	v_mul_lo_u32 v6, s9, v1
	v_mad_u64_u32 v[4:5], null, s8, v1, 0
	v_cmp_eq_f32_e64 s2, s28, 0
	v_mul_lo_u32 v1, s8, v2
	v_mul_f32_e32 v3, s29, v0
	s_and_b32 vcc_lo, exec_lo, s2
	v_add3_u32 v5, v5, v1, v6
	s_cbranch_vccnz .LBB511_49
; %bb.48:
	v_lshlrev_b64 v[0:1], 2, v[4:5]
	v_add_co_u32 v0, vcc_lo, s5, v0
	v_add_co_ci_u32_e64 v1, null, s22, v1, vcc_lo
	flat_load_dword v0, v[0:1]
	s_waitcnt vmcnt(0) lgkmcnt(0)
	v_fmac_f32_e32 v3, s28, v0
.LBB511_49:
	s_or_b32 s2, s23, exec_lo
.LBB511_50:
	s_or_b32 exec_lo, exec_lo, s1
	s_andn2_b32 s1, s23, exec_lo
	s_and_b32 s2, s2, exec_lo
	s_or_b32 s23, s1, s2
.LBB511_51:
	s_or_b32 exec_lo, exec_lo, s0
.LBB511_52:
	s_and_saveexec_b32 s0, s23
	s_cbranch_execz .LBB511_54
; %bb.53:
	v_lshlrev_b64 v[0:1], 2, v[4:5]
	v_add_co_u32 v0, vcc_lo, s5, v0
	v_add_co_ci_u32_e64 v1, null, s22, v1, vcc_lo
	flat_store_dword v[0:1], v3
.LBB511_54:
	s_endpgm
	.section	.rodata,"a",@progbits
	.p2align	6, 0x0
	.amdhsa_kernel _ZL20rocblas_gemvn_kernelILi32ELi16ElPKDF16_PKfKPfEviiT3_lPKT2_lT1_lS9_lSA_lS6_lPT4_lSA_li
		.amdhsa_group_segment_fixed_size 8192
		.amdhsa_private_segment_fixed_size 0
		.amdhsa_kernarg_size 400
		.amdhsa_user_sgpr_count 6
		.amdhsa_user_sgpr_private_segment_buffer 1
		.amdhsa_user_sgpr_dispatch_ptr 0
		.amdhsa_user_sgpr_queue_ptr 0
		.amdhsa_user_sgpr_kernarg_segment_ptr 1
		.amdhsa_user_sgpr_dispatch_id 0
		.amdhsa_user_sgpr_flat_scratch_init 0
		.amdhsa_user_sgpr_private_segment_size 0
		.amdhsa_wavefront_size32 1
		.amdhsa_uses_dynamic_stack 0
		.amdhsa_system_sgpr_private_segment_wavefront_offset 0
		.amdhsa_system_sgpr_workgroup_id_x 1
		.amdhsa_system_sgpr_workgroup_id_y 0
		.amdhsa_system_sgpr_workgroup_id_z 1
		.amdhsa_system_sgpr_workgroup_info 0
		.amdhsa_system_vgpr_workitem_id 1
		.amdhsa_next_free_vgpr 56
		.amdhsa_next_free_sgpr 35
		.amdhsa_reserve_vcc 1
		.amdhsa_reserve_flat_scratch 1
		.amdhsa_float_round_mode_32 0
		.amdhsa_float_round_mode_16_64 0
		.amdhsa_float_denorm_mode_32 3
		.amdhsa_float_denorm_mode_16_64 3
		.amdhsa_dx10_clamp 1
		.amdhsa_ieee_mode 1
		.amdhsa_fp16_overflow 0
		.amdhsa_workgroup_processor_mode 1
		.amdhsa_memory_ordered 1
		.amdhsa_forward_progress 1
		.amdhsa_shared_vgpr_count 0
		.amdhsa_exception_fp_ieee_invalid_op 0
		.amdhsa_exception_fp_denorm_src 0
		.amdhsa_exception_fp_ieee_div_zero 0
		.amdhsa_exception_fp_ieee_overflow 0
		.amdhsa_exception_fp_ieee_underflow 0
		.amdhsa_exception_fp_ieee_inexact 0
		.amdhsa_exception_int_div_zero 0
	.end_amdhsa_kernel
	.section	.text._ZL20rocblas_gemvn_kernelILi32ELi16ElPKDF16_PKfKPfEviiT3_lPKT2_lT1_lS9_lSA_lS6_lPT4_lSA_li,"axG",@progbits,_ZL20rocblas_gemvn_kernelILi32ELi16ElPKDF16_PKfKPfEviiT3_lPKT2_lT1_lS9_lSA_lS6_lPT4_lSA_li,comdat
.Lfunc_end511:
	.size	_ZL20rocblas_gemvn_kernelILi32ELi16ElPKDF16_PKfKPfEviiT3_lPKT2_lT1_lS9_lSA_lS6_lPT4_lSA_li, .Lfunc_end511-_ZL20rocblas_gemvn_kernelILi32ELi16ElPKDF16_PKfKPfEviiT3_lPKT2_lT1_lS9_lSA_lS6_lPT4_lSA_li
                                        ; -- End function
	.set _ZL20rocblas_gemvn_kernelILi32ELi16ElPKDF16_PKfKPfEviiT3_lPKT2_lT1_lS9_lSA_lS6_lPT4_lSA_li.num_vgpr, 56
	.set _ZL20rocblas_gemvn_kernelILi32ELi16ElPKDF16_PKfKPfEviiT3_lPKT2_lT1_lS9_lSA_lS6_lPT4_lSA_li.num_agpr, 0
	.set _ZL20rocblas_gemvn_kernelILi32ELi16ElPKDF16_PKfKPfEviiT3_lPKT2_lT1_lS9_lSA_lS6_lPT4_lSA_li.numbered_sgpr, 35
	.set _ZL20rocblas_gemvn_kernelILi32ELi16ElPKDF16_PKfKPfEviiT3_lPKT2_lT1_lS9_lSA_lS6_lPT4_lSA_li.num_named_barrier, 0
	.set _ZL20rocblas_gemvn_kernelILi32ELi16ElPKDF16_PKfKPfEviiT3_lPKT2_lT1_lS9_lSA_lS6_lPT4_lSA_li.private_seg_size, 0
	.set _ZL20rocblas_gemvn_kernelILi32ELi16ElPKDF16_PKfKPfEviiT3_lPKT2_lT1_lS9_lSA_lS6_lPT4_lSA_li.uses_vcc, 1
	.set _ZL20rocblas_gemvn_kernelILi32ELi16ElPKDF16_PKfKPfEviiT3_lPKT2_lT1_lS9_lSA_lS6_lPT4_lSA_li.uses_flat_scratch, 1
	.set _ZL20rocblas_gemvn_kernelILi32ELi16ElPKDF16_PKfKPfEviiT3_lPKT2_lT1_lS9_lSA_lS6_lPT4_lSA_li.has_dyn_sized_stack, 0
	.set _ZL20rocblas_gemvn_kernelILi32ELi16ElPKDF16_PKfKPfEviiT3_lPKT2_lT1_lS9_lSA_lS6_lPT4_lSA_li.has_recursion, 0
	.set _ZL20rocblas_gemvn_kernelILi32ELi16ElPKDF16_PKfKPfEviiT3_lPKT2_lT1_lS9_lSA_lS6_lPT4_lSA_li.has_indirect_call, 0
	.section	.AMDGPU.csdata,"",@progbits
; Kernel info:
; codeLenInByte = 3268
; TotalNumSgprs: 37
; NumVgprs: 56
; ScratchSize: 0
; MemoryBound: 0
; FloatMode: 240
; IeeeMode: 1
; LDSByteSize: 8192 bytes/workgroup (compile time only)
; SGPRBlocks: 0
; VGPRBlocks: 6
; NumSGPRsForWavesPerEU: 37
; NumVGPRsForWavesPerEU: 56
; Occupancy: 16
; WaveLimiterHint : 1
; COMPUTE_PGM_RSRC2:SCRATCH_EN: 0
; COMPUTE_PGM_RSRC2:USER_SGPR: 6
; COMPUTE_PGM_RSRC2:TRAP_HANDLER: 0
; COMPUTE_PGM_RSRC2:TGID_X_EN: 1
; COMPUTE_PGM_RSRC2:TGID_Y_EN: 0
; COMPUTE_PGM_RSRC2:TGID_Z_EN: 1
; COMPUTE_PGM_RSRC2:TIDIG_COMP_CNT: 1
	.section	.text._ZL20rocblas_gemvn_kernelILi32ELi16EiPKDF16_fKPfEviiT3_lPKT2_lT1_lS7_lS8_lS4_lPT4_lS8_li,"axG",@progbits,_ZL20rocblas_gemvn_kernelILi32ELi16EiPKDF16_fKPfEviiT3_lPKT2_lT1_lS7_lS8_lS4_lPT4_lS8_li,comdat
	.globl	_ZL20rocblas_gemvn_kernelILi32ELi16EiPKDF16_fKPfEviiT3_lPKT2_lT1_lS7_lS8_lS4_lPT4_lS8_li ; -- Begin function _ZL20rocblas_gemvn_kernelILi32ELi16EiPKDF16_fKPfEviiT3_lPKT2_lT1_lS7_lS8_lS4_lPT4_lS8_li
	.p2align	8
	.type	_ZL20rocblas_gemvn_kernelILi32ELi16EiPKDF16_fKPfEviiT3_lPKT2_lT1_lS7_lS8_lS4_lPT4_lS8_li,@function
_ZL20rocblas_gemvn_kernelILi32ELi16EiPKDF16_fKPfEviiT3_lPKT2_lT1_lS7_lS8_lS4_lPT4_lS8_li: ; @_ZL20rocblas_gemvn_kernelILi32ELi16EiPKDF16_fKPfEviiT3_lPKT2_lT1_lS7_lS8_lS4_lPT4_lS8_li
; %bb.0:
	s_load_dwordx2 s[0:1], s[4:5], 0x9c
	s_waitcnt lgkmcnt(0)
	s_lshr_b32 s3, s0, 16
	s_and_b32 s0, s0, 0xffff
	s_and_b32 s1, s1, 0xffff
	s_mul_i32 s0, s3, s0
	s_mul_i32 s0, s0, s1
	s_cmpk_lg_i32 s0, 0x200
	s_cbranch_scc1 .LBB512_56
; %bb.1:
	s_mov_b32 s2, s7
	s_clause 0x1
	s_load_dwordx4 s[8:11], s[4:5], 0x0
	s_load_dword s7, s[4:5], 0x58
	s_mov_b32 s3, 0
	s_waitcnt lgkmcnt(0)
	v_cmp_eq_f32_e64 s18, s10, 0
	v_cmp_eq_f32_e64 s0, s7, 1.0
	s_and_b32 s0, s18, s0
	s_and_b32 vcc_lo, exec_lo, s0
	s_cbranch_vccnz .LBB512_56
; %bb.2:
	v_cmp_neq_f32_e64 s11, s10, 0
	s_and_b32 vcc_lo, exec_lo, s11
	s_cbranch_vccnz .LBB512_4
; %bb.3:
	s_mov_b32 s1, 0
	s_mov_b32 s0, s2
	;; [unrolled: 1-line block ×3, first 2 shown]
	s_mov_b64 s[14:15], 0
	s_andn2_b32 vcc_lo, exec_lo, s12
	s_mov_b64 s[12:13], 0
	s_cbranch_vccz .LBB512_5
	s_branch .LBB512_6
.LBB512_4:
	s_mov_b64 s[0:1], s[2:3]
	s_mov_b64 s[14:15], 0
	;; [unrolled: 1-line block ×3, first 2 shown]
.LBB512_5:
	s_load_dwordx4 s[20:23], s[4:5], 0x18
	s_lshl_b64 s[2:3], s[2:3], 3
	s_waitcnt lgkmcnt(0)
	s_add_u32 s2, s20, s2
	s_addc_u32 s3, s21, s3
	s_lshl_b64 s[12:13], s[22:23], 1
	s_load_dwordx2 s[2:3], s[2:3], 0x0
	s_waitcnt lgkmcnt(0)
	s_add_u32 s12, s2, s12
	s_addc_u32 s13, s3, s13
.LBB512_6:
	s_andn2_b32 vcc_lo, exec_lo, s11
	s_cbranch_vccnz .LBB512_8
; %bb.7:
	s_load_dwordx4 s[20:23], s[4:5], 0x38
	s_lshl_b64 s[2:3], s[0:1], 3
	s_waitcnt lgkmcnt(0)
	s_add_u32 s2, s20, s2
	s_addc_u32 s3, s21, s3
	s_lshl_b64 s[14:15], s[22:23], 1
	s_load_dwordx2 s[2:3], s[2:3], 0x0
	s_waitcnt lgkmcnt(0)
	s_add_u32 s14, s2, s14
	s_addc_u32 s15, s3, s15
.LBB512_8:
	s_clause 0x1
	s_load_dwordx4 s[20:23], s[4:5], 0x68
	s_load_dword s17, s[4:5], 0x78
	s_lshl_b64 s[0:1], s[0:1], 3
	v_lshlrev_b32_e32 v14, 5, v1
	v_add_nc_u32_e32 v13, v14, v0
	s_waitcnt lgkmcnt(0)
	s_add_u32 s0, s20, s0
	s_addc_u32 s1, s21, s1
	s_lshl_b64 s[20:21], s[22:23], 2
	s_load_dwordx2 s[2:3], s[0:1], 0x0
	v_cmp_gt_u32_e64 s0, 0x80, v13
	s_waitcnt lgkmcnt(0)
	s_add_u32 s11, s2, s20
	s_addc_u32 s16, s3, s21
	s_andn2_b32 vcc_lo, exec_lo, s18
	s_cbranch_vccnz .LBB512_15
; %bb.9:
	s_mov_b32 s1, 0
	s_mov_b32 s18, 0
                                        ; implicit-def: $vgpr3
                                        ; implicit-def: $vgpr4_vgpr5
	s_and_saveexec_b32 s2, s0
	s_cbranch_execz .LBB512_16
; %bb.10:
	v_lshl_or_b32 v2, s6, 7, v13
	v_mov_b32_e32 v3, 0
	s_ashr_i32 s19, s8, 31
	s_mov_b32 s18, s8
	s_mov_b32 s3, 0
	s_mov_b32 s0, exec_lo
                                        ; implicit-def: $vgpr4_vgpr5
	v_cmpx_gt_i64_e64 s[18:19], v[2:3]
	s_cbranch_execz .LBB512_14
; %bb.11:
	v_mad_u64_u32 v[4:5], null, s17, v2, 0
	s_ashr_i32 s3, s17, 31
	v_mad_u64_u32 v[5:6], null, s3, v2, v[5:6]
	v_cmp_eq_f32_e64 s3, s7, 0
	s_and_b32 vcc_lo, exec_lo, s3
	s_cbranch_vccnz .LBB512_13
; %bb.12:
	v_lshlrev_b64 v[2:3], 2, v[4:5]
	v_add_co_u32 v2, vcc_lo, s11, v2
	v_add_co_ci_u32_e64 v3, null, s16, v3, vcc_lo
	flat_load_dword v2, v[2:3]
	s_waitcnt vmcnt(0) lgkmcnt(0)
	v_mul_f32_e32 v3, s7, v2
.LBB512_13:
	s_mov_b32 s3, exec_lo
.LBB512_14:
	s_or_b32 exec_lo, exec_lo, s0
	s_and_b32 s18, s3, exec_lo
	s_or_b32 exec_lo, exec_lo, s2
	s_and_b32 vcc_lo, exec_lo, s1
	s_cbranch_vccnz .LBB512_17
	s_branch .LBB512_54
.LBB512_15:
	s_mov_b32 s18, 0
                                        ; implicit-def: $vgpr3
                                        ; implicit-def: $vgpr4_vgpr5
	s_cbranch_execnz .LBB512_17
	s_branch .LBB512_54
.LBB512_16:
	s_or_b32 exec_lo, exec_lo, s2
	s_and_b32 vcc_lo, exec_lo, s1
	s_cbranch_vccz .LBB512_54
.LBB512_17:
	s_clause 0x1
	s_load_dword s19, s[4:5], 0x28
	s_load_dword s4, s[4:5], 0x48
	s_ashr_i32 s0, s9, 31
	s_lshl_b32 s5, s6, 7
	s_lshr_b32 s0, s0, 26
	v_lshlrev_b32_e32 v20, 2, v1
	v_add_nc_u32_e32 v16, s5, v0
	v_mov_b32_e32 v19, 0
	v_mov_b32_e32 v18, 0
	;; [unrolled: 1-line block ×4, first 2 shown]
	s_add_i32 s0, s9, s0
	s_mov_b32 s20, exec_lo
	s_and_b32 s6, s0, 0xffffffc0
	v_cmpx_gt_i32_e64 s6, v20
	s_cbranch_execz .LBB512_29
; %bb.18:
	v_add_nc_u32_e32 v5, 0x60, v16
	s_waitcnt lgkmcnt(0)
	v_mul_lo_u32 v3, s19, v20
	v_add_nc_u32_e32 v2, 32, v16
	v_add_nc_u32_e32 v6, 2, v20
	v_add_nc_u32_e32 v4, 64, v16
	v_cmp_gt_i32_e64 s2, s8, v5
	v_mul_lo_u32 v5, v1, s19
	v_add_nc_u32_e32 v7, 3, v20
	v_mul_lo_u32 v8, v1, s4
	v_cmp_gt_i32_e64 s0, s8, v2
	v_add3_u32 v21, v3, s19, v0
	v_mad_u64_u32 v[2:3], null, s19, v6, v[0:1]
	v_cmp_gt_i32_e64 s1, s8, v4
	v_mad_u64_u32 v[3:4], null, s19, v7, v[0:1]
	v_lshl_add_u32 v22, v5, 2, v0
	v_mad_u64_u32 v[4:5], null, s4, v20, s[4:5]
	v_mul_lo_u32 v23, s4, v6
	v_mul_lo_u32 v24, s4, v7
	v_lshlrev_b32_e32 v25, 2, v8
	v_mov_b32_e32 v19, 0
	v_mov_b32_e32 v18, 0
	;; [unrolled: 1-line block ×4, first 2 shown]
	s_lshl_b32 s21, s19, 6
	s_lshl_b32 s23, s4, 6
	s_mov_b32 s22, 0
	s_mov_b32 s24, 0
	v_cmp_gt_i32_e32 vcc_lo, s8, v16
	s_branch .LBB512_23
.LBB512_19:                             ;   in Loop: Header=BB512_23 Depth=1
	s_or_b32 exec_lo, exec_lo, s27
	s_waitcnt vmcnt(3) lgkmcnt(3)
	v_fma_mix_f32 v5, v38, v42, v17 op_sel_hi:[0,1,0]
	s_waitcnt vmcnt(2) lgkmcnt(2)
	v_fma_mix_f32 v5, v39, v43, v5 op_sel_hi:[0,1,0]
	;; [unrolled: 2-line block ×4, first 2 shown]
.LBB512_20:                             ;   in Loop: Header=BB512_23 Depth=1
	s_or_b32 exec_lo, exec_lo, s26
	s_waitcnt vmcnt(3) lgkmcnt(3)
	v_fma_mix_f32 v5, v38, v34, v18 op_sel_hi:[0,1,0]
	s_waitcnt vmcnt(2) lgkmcnt(2)
	v_fma_mix_f32 v5, v39, v35, v5 op_sel_hi:[0,1,0]
	;; [unrolled: 2-line block ×4, first 2 shown]
.LBB512_21:                             ;   in Loop: Header=BB512_23 Depth=1
	s_or_b32 exec_lo, exec_lo, s3
	s_waitcnt vmcnt(3) lgkmcnt(3)
	v_fma_mix_f32 v5, v26, v30, v19 op_sel_hi:[1,1,0]
	s_waitcnt vmcnt(2) lgkmcnt(2)
	v_fma_mix_f32 v5, v27, v31, v5 op_sel_hi:[1,1,0]
	;; [unrolled: 2-line block ×4, first 2 shown]
.LBB512_22:                             ;   in Loop: Header=BB512_23 Depth=1
	s_or_b32 exec_lo, exec_lo, s25
	v_add_nc_u32_e32 v20, 64, v20
	v_add_nc_u32_e32 v21, s21, v21
	;; [unrolled: 1-line block ×5, first 2 shown]
	v_cmp_le_i32_e64 s3, s6, v20
	s_add_i32 s24, s24, s23
	s_or_b32 s22, s3, s22
	s_andn2_b32 exec_lo, exec_lo, s22
	s_cbranch_execz .LBB512_28
.LBB512_23:                             ; =>This Inner Loop Header: Depth=1
	s_and_saveexec_b32 s25, vcc_lo
	s_cbranch_execz .LBB512_22
; %bb.24:                               ;   in Loop: Header=BB512_23 Depth=1
	v_add_nc_u32_e32 v5, s24, v25
	v_add_nc_u32_e32 v7, s24, v4
	;; [unrolled: 1-line block ×5, first 2 shown]
	v_ashrrev_i32_e32 v6, 31, v5
	v_ashrrev_i32_e32 v8, 31, v7
	;; [unrolled: 1-line block ×5, first 2 shown]
	v_lshlrev_b64 v[5:6], 1, v[5:6]
	v_lshlrev_b64 v[7:8], 1, v[7:8]
	;; [unrolled: 1-line block ×3, first 2 shown]
	v_add_co_u32 v28, s3, s14, v5
	v_add_co_ci_u32_e64 v29, null, s15, v6, s3
	v_add_co_u32 v30, s3, s14, v7
	v_add_nc_u32_e32 v7, s5, v21
	v_add_co_ci_u32_e64 v31, null, s15, v8, s3
	v_lshlrev_b64 v[5:6], 1, v[11:12]
	v_add_co_u32 v32, s3, s14, v9
	v_add_nc_u32_e32 v11, s5, v2
	v_add_co_ci_u32_e64 v33, null, s15, v10, s3
	v_lshlrev_b64 v[9:10], 1, v[26:27]
	v_add_nc_u32_e32 v26, s5, v3
	v_ashrrev_i32_e32 v8, 31, v7
	v_ashrrev_i32_e32 v12, 31, v11
	v_add_co_u32 v34, s3, s14, v5
	v_ashrrev_i32_e32 v27, 31, v26
	v_add_co_ci_u32_e64 v35, null, s15, v6, s3
	v_lshlrev_b64 v[7:8], 1, v[7:8]
	v_add_co_u32 v5, s3, s12, v9
	v_add_co_ci_u32_e64 v6, null, s13, v10, s3
	v_lshlrev_b64 v[9:10], 1, v[11:12]
	v_lshlrev_b64 v[11:12], 1, v[26:27]
	v_add_co_u32 v7, s3, s12, v7
	v_add_co_ci_u32_e64 v8, null, s13, v8, s3
	v_add_co_u32 v9, s3, s12, v9
	v_add_co_ci_u32_e64 v10, null, s13, v10, s3
	;; [unrolled: 2-line block ×3, first 2 shown]
	s_clause 0x3
	flat_load_ushort v26, v[28:29]
	flat_load_ushort v27, v[30:31]
	;; [unrolled: 1-line block ×4, first 2 shown]
	s_clause 0x3
	flat_load_ushort v30, v[5:6]
	flat_load_ushort v31, v[7:8]
	;; [unrolled: 1-line block ×4, first 2 shown]
	s_and_saveexec_b32 s3, s0
	s_cbranch_execz .LBB512_21
; %bb.25:                               ;   in Loop: Header=BB512_23 Depth=1
	s_clause 0x3
	flat_load_ushort v34, v[5:6] offset:64
	flat_load_ushort v35, v[7:8] offset:64
	;; [unrolled: 1-line block ×4, first 2 shown]
	s_waitcnt vmcnt(11) lgkmcnt(11)
	v_cvt_f32_f16_e32 v38, v26
	s_waitcnt vmcnt(10) lgkmcnt(10)
	v_cvt_f32_f16_e32 v39, v27
	;; [unrolled: 2-line block ×4, first 2 shown]
	s_and_saveexec_b32 s26, s1
	s_cbranch_execz .LBB512_20
; %bb.26:                               ;   in Loop: Header=BB512_23 Depth=1
	s_clause 0x3
	flat_load_ushort v42, v[5:6] offset:128
	flat_load_ushort v43, v[7:8] offset:128
	;; [unrolled: 1-line block ×4, first 2 shown]
	s_and_saveexec_b32 s27, s2
	s_cbranch_execz .LBB512_19
; %bb.27:                               ;   in Loop: Header=BB512_23 Depth=1
	s_clause 0x3
	flat_load_ushort v5, v[5:6] offset:192
	flat_load_ushort v6, v[7:8] offset:192
	;; [unrolled: 1-line block ×4, first 2 shown]
	s_waitcnt vmcnt(3) lgkmcnt(3)
	v_fma_mix_f32 v5, v38, v5, v15 op_sel_hi:[0,1,0]
	s_waitcnt vmcnt(2) lgkmcnt(2)
	v_fma_mix_f32 v5, v39, v6, v5 op_sel_hi:[0,1,0]
	;; [unrolled: 2-line block ×4, first 2 shown]
	s_branch .LBB512_19
.LBB512_28:
	s_or_b32 exec_lo, exec_lo, s22
.LBB512_29:
	s_or_b32 exec_lo, exec_lo, s20
	s_sub_i32 s0, s9, s6
	s_cmp_lt_i32 s0, 1
	s_cbranch_scc1 .LBB512_47
; %bb.30:
	v_cmp_gt_i32_e32 vcc_lo, s9, v20
	v_mov_b32_e32 v10, 0
	v_or_b32_e32 v2, 1, v20
	v_mov_b32_e32 v11, 0
	v_mov_b32_e32 v12, 0
	v_mov_b32_e32 v21, 0
	s_and_saveexec_b32 s1, vcc_lo
	s_cbranch_execz .LBB512_38
; %bb.31:
	s_waitcnt lgkmcnt(0)
	v_mul_lo_u32 v3, v20, s4
	v_mov_b32_e32 v12, 0
	v_mov_b32_e32 v11, 0
	;; [unrolled: 1-line block ×3, first 2 shown]
	s_mov_b32 s2, exec_lo
	v_ashrrev_i32_e32 v4, 31, v3
	v_lshlrev_b64 v[3:4], 1, v[3:4]
	v_add_co_u32 v3, s0, s14, v3
	v_add_co_ci_u32_e64 v4, null, s15, v4, s0
	flat_load_ushort v3, v[3:4]
	v_cmpx_gt_i32_e64 s9, v2
	s_cbranch_execz .LBB512_37
; %bb.32:
	v_mul_lo_u32 v4, v2, s4
	v_mov_b32_e32 v11, 0
	v_mov_b32_e32 v10, 0
	s_mov_b32 s3, exec_lo
	v_ashrrev_i32_e32 v5, 31, v4
	v_lshlrev_b64 v[4:5], 1, v[4:5]
	v_add_co_u32 v4, s0, s14, v4
	v_add_co_ci_u32_e64 v5, null, s15, v5, s0
	flat_load_ushort v4, v[4:5]
	v_or_b32_e32 v5, 2, v20
	v_cmpx_gt_i32_e64 s9, v5
	s_cbranch_execz .LBB512_36
; %bb.33:
	v_mul_lo_u32 v5, v5, s4
	v_mov_b32_e32 v10, 0
	s_mov_b32 s6, exec_lo
	v_ashrrev_i32_e32 v6, 31, v5
	v_lshlrev_b64 v[5:6], 1, v[5:6]
	v_add_co_u32 v5, s0, s14, v5
	v_add_co_ci_u32_e64 v6, null, s15, v6, s0
	flat_load_ushort v5, v[5:6]
	v_or_b32_e32 v6, 3, v20
	v_cmpx_gt_i32_e64 s9, v6
	s_cbranch_execz .LBB512_35
; %bb.34:
	v_mul_lo_u32 v6, v6, s4
	v_ashrrev_i32_e32 v7, 31, v6
	v_lshlrev_b64 v[6:7], 1, v[6:7]
	v_add_co_u32 v6, s0, s14, v6
	v_add_co_ci_u32_e64 v7, null, s15, v7, s0
	flat_load_ushort v6, v[6:7]
	s_waitcnt vmcnt(0) lgkmcnt(0)
	v_cvt_f32_f16_e32 v10, v6
.LBB512_35:
	s_or_b32 exec_lo, exec_lo, s6
	s_waitcnt vmcnt(0) lgkmcnt(0)
	v_cvt_f32_f16_e32 v11, v5
.LBB512_36:
	s_or_b32 exec_lo, exec_lo, s3
	s_waitcnt vmcnt(0) lgkmcnt(0)
	v_cvt_f32_f16_e32 v12, v4
.LBB512_37:
	s_or_b32 exec_lo, exec_lo, s2
	s_waitcnt vmcnt(0) lgkmcnt(0)
	v_cvt_f32_f16_e32 v21, v3
.LBB512_38:
	s_or_b32 exec_lo, exec_lo, s1
	s_mov_b32 s1, exec_lo
	v_cmpx_gt_i32_e64 s8, v16
	s_cbranch_execz .LBB512_46
; %bb.39:
	s_waitcnt lgkmcnt(0)
	v_mul_lo_u32 v3, v20, s19
	v_or_b32_e32 v4, 2, v20
	v_mul_lo_u32 v5, v2, s19
	v_or_b32_e32 v6, 3, v20
	s_mov_b32 s0, exec_lo
	v_mul_lo_u32 v7, v4, s19
	v_mul_lo_u32 v8, v6, s19
	v_cndmask_b32_e32 v3, 0, v3, vcc_lo
	v_cmp_gt_i32_e32 vcc_lo, s9, v2
	v_add_nc_u32_e32 v2, v3, v16
	v_cndmask_b32_e32 v5, 0, v5, vcc_lo
	v_cmp_gt_i32_e32 vcc_lo, s9, v4
	v_ashrrev_i32_e32 v3, 31, v2
	v_add_nc_u32_e32 v4, v5, v16
	v_cndmask_b32_e32 v7, 0, v7, vcc_lo
	v_cmp_gt_i32_e32 vcc_lo, s9, v6
	v_lshlrev_b64 v[2:3], 1, v[2:3]
	v_ashrrev_i32_e32 v5, 31, v4
	v_add_nc_u32_e32 v6, v7, v16
	v_cndmask_b32_e32 v8, 0, v8, vcc_lo
	v_lshlrev_b64 v[4:5], 1, v[4:5]
	v_ashrrev_i32_e32 v7, 31, v6
	v_add_nc_u32_e32 v8, v8, v16
	v_add_co_u32 v2, vcc_lo, s12, v2
	v_add_co_ci_u32_e64 v3, null, s13, v3, vcc_lo
	v_lshlrev_b64 v[6:7], 1, v[6:7]
	v_ashrrev_i32_e32 v9, 31, v8
	v_add_co_u32 v4, vcc_lo, s12, v4
	v_add_co_ci_u32_e64 v5, null, s13, v5, vcc_lo
	flat_load_ushort v22, v[2:3]
	v_add_co_u32 v6, vcc_lo, s12, v6
	v_add_co_ci_u32_e64 v7, null, s13, v7, vcc_lo
	v_lshlrev_b64 v[8:9], 1, v[8:9]
	s_clause 0x1
	flat_load_ushort v23, v[4:5]
	flat_load_ushort v24, v[6:7]
	v_add_co_u32 v8, vcc_lo, s12, v8
	v_add_co_ci_u32_e64 v9, null, s13, v9, vcc_lo
	flat_load_ushort v20, v[8:9]
	s_waitcnt vmcnt(3) lgkmcnt(3)
	v_fma_mix_f32 v19, v21, v22, v19 op_sel_hi:[0,1,0]
	v_add_nc_u32_e32 v22, 32, v16
	s_waitcnt vmcnt(2) lgkmcnt(2)
	v_fma_mix_f32 v19, v12, v23, v19 op_sel_hi:[0,1,0]
	s_waitcnt vmcnt(1) lgkmcnt(1)
	v_fma_mix_f32 v19, v11, v24, v19 op_sel_hi:[0,1,0]
	v_cmpx_gt_i32_e64 s8, v22
	s_cbranch_execz .LBB512_45
; %bb.40:
	s_clause 0x3
	flat_load_ushort v23, v[2:3] offset:64
	flat_load_ushort v24, v[4:5] offset:64
	;; [unrolled: 1-line block ×4, first 2 shown]
	s_mov_b32 s2, exec_lo
	s_waitcnt vmcnt(3) lgkmcnt(3)
	v_fma_mix_f32 v18, v21, v23, v18 op_sel_hi:[0,1,0]
	v_add_nc_u32_e32 v23, 64, v16
	s_waitcnt vmcnt(2) lgkmcnt(2)
	v_fma_mix_f32 v18, v12, v24, v18 op_sel_hi:[0,1,0]
	s_waitcnt vmcnt(1) lgkmcnt(1)
	v_fma_mix_f32 v18, v11, v25, v18 op_sel_hi:[0,1,0]
	v_cmpx_gt_i32_e64 s8, v23
	s_cbranch_execz .LBB512_44
; %bb.41:
	s_clause 0x3
	flat_load_ushort v24, v[2:3] offset:128
	flat_load_ushort v25, v[4:5] offset:128
	;; [unrolled: 1-line block ×4, first 2 shown]
	s_mov_b32 s3, exec_lo
	s_waitcnt vmcnt(3) lgkmcnt(3)
	v_fma_mix_f32 v17, v21, v24, v17 op_sel_hi:[0,1,0]
	v_add_nc_u32_e32 v24, 0x60, v16
	s_waitcnt vmcnt(2) lgkmcnt(2)
	v_fma_mix_f32 v17, v12, v25, v17 op_sel_hi:[0,1,0]
	s_waitcnt vmcnt(1) lgkmcnt(1)
	v_fma_mix_f32 v16, v11, v26, v17 op_sel_hi:[0,1,0]
	v_cmpx_gt_i32_e64 s8, v24
	s_cbranch_execz .LBB512_43
; %bb.42:
	s_clause 0x3
	flat_load_ushort v2, v[2:3] offset:192
	flat_load_ushort v3, v[4:5] offset:192
	;; [unrolled: 1-line block ×4, first 2 shown]
	s_waitcnt vmcnt(3) lgkmcnt(3)
	v_fma_mix_f32 v2, v21, v2, v15 op_sel_hi:[0,1,0]
	s_waitcnt vmcnt(2) lgkmcnt(2)
	v_fma_mix_f32 v2, v12, v3, v2 op_sel_hi:[0,1,0]
	s_waitcnt vmcnt(1) lgkmcnt(1)
	v_fma_mix_f32 v2, v11, v4, v2 op_sel_hi:[0,1,0]
	s_waitcnt vmcnt(0) lgkmcnt(0)
	v_fma_mix_f32 v15, v10, v5, v2 op_sel_hi:[0,1,0]
.LBB512_43:
	s_or_b32 exec_lo, exec_lo, s3
	s_waitcnt vmcnt(0) lgkmcnt(0)
	v_fma_mix_f32 v17, v10, v23, v16 op_sel_hi:[0,1,0]
.LBB512_44:
	s_or_b32 exec_lo, exec_lo, s2
	s_waitcnt vmcnt(0) lgkmcnt(0)
	v_fma_mix_f32 v18, v10, v22, v18 op_sel_hi:[0,1,0]
.LBB512_45:
	s_or_b32 exec_lo, exec_lo, s0
	s_waitcnt vmcnt(0) lgkmcnt(0)
	v_fma_mix_f32 v19, v10, v20, v19 op_sel_hi:[0,1,0]
.LBB512_46:
	s_or_b32 exec_lo, exec_lo, s1
.LBB512_47:
	v_lshlrev_b32_e32 v0, 2, v0
	s_mov_b32 s0, exec_lo
                                        ; implicit-def: $vgpr3
                                        ; implicit-def: $vgpr4_vgpr5
	v_lshl_add_u32 v1, v1, 9, v0
	ds_write2_b32 v1, v19, v18 offset1:32
	ds_write2_b32 v1, v17, v15 offset0:64 offset1:96
	s_waitcnt lgkmcnt(0)
	s_barrier
	buffer_gl0_inv
	v_cmpx_gt_u32_e32 0x80, v13
	s_cbranch_execz .LBB512_53
; %bb.48:
	v_lshl_add_u32 v6, v14, 2, v0
	s_mov_b32 s2, s18
	s_mov_b32 s1, exec_lo
	ds_read2st64_b32 v[0:1], v6 offset1:2
	ds_read2st64_b32 v[2:3], v6 offset0:4 offset1:6
	ds_read2st64_b32 v[4:5], v6 offset0:8 offset1:10
	s_waitcnt lgkmcnt(2)
	v_add_f32_e32 v7, v0, v1
	ds_read2st64_b32 v[0:1], v6 offset0:12 offset1:14
	s_waitcnt lgkmcnt(2)
	v_add_f32_e32 v2, v2, v7
	v_add_f32_e32 v7, v3, v2
	ds_read2st64_b32 v[2:3], v6 offset0:16 offset1:18
	s_waitcnt lgkmcnt(2)
	v_add_f32_e32 v4, v4, v7
	;; [unrolled: 4-line block ×3, first 2 shown]
	v_add_f32_e32 v0, v1, v0
	s_waitcnt lgkmcnt(1)
	v_add_f32_e32 v2, v2, v0
	ds_read2st64_b32 v[0:1], v6 offset0:24 offset1:26
	v_add_f32_e32 v2, v3, v2
	s_waitcnt lgkmcnt(1)
	v_add_f32_e32 v4, v4, v2
	ds_read2st64_b32 v[2:3], v6 offset0:28 offset1:30
	v_add_f32_e32 v4, v5, v4
	s_waitcnt lgkmcnt(1)
	v_add_f32_e32 v0, v0, v4
                                        ; implicit-def: $vgpr4_vgpr5
	v_add_f32_e32 v0, v1, v0
	v_or_b32_e32 v1, s5, v13
	s_waitcnt lgkmcnt(0)
	v_add_f32_e32 v0, v2, v0
	v_add_f32_e32 v0, v3, v0
                                        ; implicit-def: $vgpr3
	ds_write_b32 v6, v0
	v_cmpx_gt_i32_e64 s8, v1
	s_cbranch_execz .LBB512_52
; %bb.49:
	v_mul_lo_u32 v4, s17, v1
	v_cmp_eq_f32_e64 s2, s7, 0
	v_mul_f32_e32 v3, s10, v0
	s_and_b32 vcc_lo, exec_lo, s2
	v_ashrrev_i32_e32 v5, 31, v4
	s_cbranch_vccnz .LBB512_51
; %bb.50:
	v_lshlrev_b64 v[0:1], 2, v[4:5]
	v_add_co_u32 v0, vcc_lo, s11, v0
	v_add_co_ci_u32_e64 v1, null, s16, v1, vcc_lo
	flat_load_dword v0, v[0:1]
	s_waitcnt vmcnt(0) lgkmcnt(0)
	v_fmac_f32_e32 v3, s7, v0
.LBB512_51:
	s_or_b32 s2, s18, exec_lo
.LBB512_52:
	s_or_b32 exec_lo, exec_lo, s1
	s_andn2_b32 s1, s18, exec_lo
	s_and_b32 s2, s2, exec_lo
	s_or_b32 s18, s1, s2
.LBB512_53:
	s_or_b32 exec_lo, exec_lo, s0
.LBB512_54:
	s_and_saveexec_b32 s0, s18
	s_cbranch_execz .LBB512_56
; %bb.55:
	v_lshlrev_b64 v[0:1], 2, v[4:5]
	v_add_co_u32 v0, vcc_lo, s11, v0
	v_add_co_ci_u32_e64 v1, null, s16, v1, vcc_lo
	flat_store_dword v[0:1], v3
.LBB512_56:
	s_endpgm
	.section	.rodata,"a",@progbits
	.p2align	6, 0x0
	.amdhsa_kernel _ZL20rocblas_gemvn_kernelILi32ELi16EiPKDF16_fKPfEviiT3_lPKT2_lT1_lS7_lS8_lS4_lPT4_lS8_li
		.amdhsa_group_segment_fixed_size 8192
		.amdhsa_private_segment_fixed_size 0
		.amdhsa_kernarg_size 400
		.amdhsa_user_sgpr_count 6
		.amdhsa_user_sgpr_private_segment_buffer 1
		.amdhsa_user_sgpr_dispatch_ptr 0
		.amdhsa_user_sgpr_queue_ptr 0
		.amdhsa_user_sgpr_kernarg_segment_ptr 1
		.amdhsa_user_sgpr_dispatch_id 0
		.amdhsa_user_sgpr_flat_scratch_init 0
		.amdhsa_user_sgpr_private_segment_size 0
		.amdhsa_wavefront_size32 1
		.amdhsa_uses_dynamic_stack 0
		.amdhsa_system_sgpr_private_segment_wavefront_offset 0
		.amdhsa_system_sgpr_workgroup_id_x 1
		.amdhsa_system_sgpr_workgroup_id_y 0
		.amdhsa_system_sgpr_workgroup_id_z 1
		.amdhsa_system_sgpr_workgroup_info 0
		.amdhsa_system_vgpr_workitem_id 1
		.amdhsa_next_free_vgpr 46
		.amdhsa_next_free_sgpr 28
		.amdhsa_reserve_vcc 1
		.amdhsa_reserve_flat_scratch 1
		.amdhsa_float_round_mode_32 0
		.amdhsa_float_round_mode_16_64 0
		.amdhsa_float_denorm_mode_32 3
		.amdhsa_float_denorm_mode_16_64 3
		.amdhsa_dx10_clamp 1
		.amdhsa_ieee_mode 1
		.amdhsa_fp16_overflow 0
		.amdhsa_workgroup_processor_mode 1
		.amdhsa_memory_ordered 1
		.amdhsa_forward_progress 1
		.amdhsa_shared_vgpr_count 0
		.amdhsa_exception_fp_ieee_invalid_op 0
		.amdhsa_exception_fp_denorm_src 0
		.amdhsa_exception_fp_ieee_div_zero 0
		.amdhsa_exception_fp_ieee_overflow 0
		.amdhsa_exception_fp_ieee_underflow 0
		.amdhsa_exception_fp_ieee_inexact 0
		.amdhsa_exception_int_div_zero 0
	.end_amdhsa_kernel
	.section	.text._ZL20rocblas_gemvn_kernelILi32ELi16EiPKDF16_fKPfEviiT3_lPKT2_lT1_lS7_lS8_lS4_lPT4_lS8_li,"axG",@progbits,_ZL20rocblas_gemvn_kernelILi32ELi16EiPKDF16_fKPfEviiT3_lPKT2_lT1_lS7_lS8_lS4_lPT4_lS8_li,comdat
.Lfunc_end512:
	.size	_ZL20rocblas_gemvn_kernelILi32ELi16EiPKDF16_fKPfEviiT3_lPKT2_lT1_lS7_lS8_lS4_lPT4_lS8_li, .Lfunc_end512-_ZL20rocblas_gemvn_kernelILi32ELi16EiPKDF16_fKPfEviiT3_lPKT2_lT1_lS7_lS8_lS4_lPT4_lS8_li
                                        ; -- End function
	.set _ZL20rocblas_gemvn_kernelILi32ELi16EiPKDF16_fKPfEviiT3_lPKT2_lT1_lS7_lS8_lS4_lPT4_lS8_li.num_vgpr, 46
	.set _ZL20rocblas_gemvn_kernelILi32ELi16EiPKDF16_fKPfEviiT3_lPKT2_lT1_lS7_lS8_lS4_lPT4_lS8_li.num_agpr, 0
	.set _ZL20rocblas_gemvn_kernelILi32ELi16EiPKDF16_fKPfEviiT3_lPKT2_lT1_lS7_lS8_lS4_lPT4_lS8_li.numbered_sgpr, 28
	.set _ZL20rocblas_gemvn_kernelILi32ELi16EiPKDF16_fKPfEviiT3_lPKT2_lT1_lS7_lS8_lS4_lPT4_lS8_li.num_named_barrier, 0
	.set _ZL20rocblas_gemvn_kernelILi32ELi16EiPKDF16_fKPfEviiT3_lPKT2_lT1_lS7_lS8_lS4_lPT4_lS8_li.private_seg_size, 0
	.set _ZL20rocblas_gemvn_kernelILi32ELi16EiPKDF16_fKPfEviiT3_lPKT2_lT1_lS7_lS8_lS4_lPT4_lS8_li.uses_vcc, 1
	.set _ZL20rocblas_gemvn_kernelILi32ELi16EiPKDF16_fKPfEviiT3_lPKT2_lT1_lS7_lS8_lS4_lPT4_lS8_li.uses_flat_scratch, 1
	.set _ZL20rocblas_gemvn_kernelILi32ELi16EiPKDF16_fKPfEviiT3_lPKT2_lT1_lS7_lS8_lS4_lPT4_lS8_li.has_dyn_sized_stack, 0
	.set _ZL20rocblas_gemvn_kernelILi32ELi16EiPKDF16_fKPfEviiT3_lPKT2_lT1_lS7_lS8_lS4_lPT4_lS8_li.has_recursion, 0
	.set _ZL20rocblas_gemvn_kernelILi32ELi16EiPKDF16_fKPfEviiT3_lPKT2_lT1_lS7_lS8_lS4_lPT4_lS8_li.has_indirect_call, 0
	.section	.AMDGPU.csdata,"",@progbits
; Kernel info:
; codeLenInByte = 2948
; TotalNumSgprs: 30
; NumVgprs: 46
; ScratchSize: 0
; MemoryBound: 0
; FloatMode: 240
; IeeeMode: 1
; LDSByteSize: 8192 bytes/workgroup (compile time only)
; SGPRBlocks: 0
; VGPRBlocks: 5
; NumSGPRsForWavesPerEU: 30
; NumVGPRsForWavesPerEU: 46
; Occupancy: 16
; WaveLimiterHint : 1
; COMPUTE_PGM_RSRC2:SCRATCH_EN: 0
; COMPUTE_PGM_RSRC2:USER_SGPR: 6
; COMPUTE_PGM_RSRC2:TRAP_HANDLER: 0
; COMPUTE_PGM_RSRC2:TGID_X_EN: 1
; COMPUTE_PGM_RSRC2:TGID_Y_EN: 0
; COMPUTE_PGM_RSRC2:TGID_Z_EN: 1
; COMPUTE_PGM_RSRC2:TIDIG_COMP_CNT: 1
	.section	.text._ZL20rocblas_gemvn_kernelILi32ELi16ElPKDF16_fKPfEviiT3_lPKT2_lT1_lS7_lS8_lS4_lPT4_lS8_li,"axG",@progbits,_ZL20rocblas_gemvn_kernelILi32ELi16ElPKDF16_fKPfEviiT3_lPKT2_lT1_lS7_lS8_lS4_lPT4_lS8_li,comdat
	.globl	_ZL20rocblas_gemvn_kernelILi32ELi16ElPKDF16_fKPfEviiT3_lPKT2_lT1_lS7_lS8_lS4_lPT4_lS8_li ; -- Begin function _ZL20rocblas_gemvn_kernelILi32ELi16ElPKDF16_fKPfEviiT3_lPKT2_lT1_lS7_lS8_lS4_lPT4_lS8_li
	.p2align	8
	.type	_ZL20rocblas_gemvn_kernelILi32ELi16ElPKDF16_fKPfEviiT3_lPKT2_lT1_lS7_lS8_lS4_lPT4_lS8_li,@function
_ZL20rocblas_gemvn_kernelILi32ELi16ElPKDF16_fKPfEviiT3_lPKT2_lT1_lS7_lS8_lS4_lPT4_lS8_li: ; @_ZL20rocblas_gemvn_kernelILi32ELi16ElPKDF16_fKPfEviiT3_lPKT2_lT1_lS7_lS8_lS4_lPT4_lS8_li
; %bb.0:
	s_load_dwordx2 s[0:1], s[4:5], 0x9c
	s_waitcnt lgkmcnt(0)
	s_lshr_b32 s2, s0, 16
	s_and_b32 s0, s0, 0xffff
	s_and_b32 s1, s1, 0xffff
	s_mul_i32 s0, s2, s0
	s_mul_i32 s0, s0, s1
	s_cmpk_lg_i32 s0, 0x200
	s_cbranch_scc1 .LBB513_56
; %bb.1:
	s_load_dwordx4 s[8:11], s[4:5], 0x0
	s_waitcnt lgkmcnt(0)
	s_load_dword s11, s[4:5], 0x58
	s_mov_b32 s20, s7
	s_mov_b32 s21, 0
	v_cmp_eq_f32_e64 s7, s10, 0
	s_waitcnt lgkmcnt(0)
	v_cmp_eq_f32_e64 s0, s11, 1.0
	s_and_b32 s0, s7, s0
	s_and_b32 vcc_lo, exec_lo, s0
	s_cbranch_vccnz .LBB513_56
; %bb.2:
	s_clause 0x1
	s_load_dwordx4 s[0:3], s[4:5], 0x18
	s_load_dwordx2 s[14:15], s[4:5], 0x28
	v_cmp_neq_f32_e64 s22, s10, 0
	s_and_b32 vcc_lo, exec_lo, s22
	s_cbranch_vccnz .LBB513_4
; %bb.3:
	s_mov_b32 s13, 0
	s_mov_b32 s12, s20
	;; [unrolled: 1-line block ×3, first 2 shown]
	s_mov_b64 s[18:19], 0
	s_andn2_b32 vcc_lo, exec_lo, s16
	s_mov_b64 s[16:17], 0
	s_cbranch_vccz .LBB513_5
	s_branch .LBB513_6
.LBB513_4:
	s_mov_b64 s[12:13], s[20:21]
	s_mov_b64 s[18:19], 0
	;; [unrolled: 1-line block ×3, first 2 shown]
.LBB513_5:
	s_lshl_b64 s[16:17], s[20:21], 3
	s_waitcnt lgkmcnt(0)
	s_add_u32 s0, s0, s16
	s_addc_u32 s1, s1, s17
	s_lshl_b64 s[2:3], s[2:3], 1
	s_load_dwordx2 s[0:1], s[0:1], 0x0
	s_waitcnt lgkmcnt(0)
	s_add_u32 s16, s0, s2
	s_addc_u32 s17, s1, s3
.LBB513_6:
	s_waitcnt lgkmcnt(0)
	s_clause 0x1
	s_load_dwordx4 s[0:3], s[4:5], 0x38
	s_load_dwordx2 s[20:21], s[4:5], 0x48
	s_andn2_b32 vcc_lo, exec_lo, s22
	s_cbranch_vccnz .LBB513_8
; %bb.7:
	s_lshl_b64 s[18:19], s[12:13], 3
	s_waitcnt lgkmcnt(0)
	s_add_u32 s0, s0, s18
	s_addc_u32 s1, s1, s19
	s_lshl_b64 s[2:3], s[2:3], 1
	s_load_dwordx2 s[0:1], s[0:1], 0x0
	s_waitcnt lgkmcnt(0)
	s_add_u32 s18, s0, s2
	s_addc_u32 s19, s1, s3
.LBB513_8:
	s_waitcnt lgkmcnt(0)
	s_load_dwordx4 s[0:3], s[4:5], 0x68
	s_lshl_b64 s[22:23], s[12:13], 3
	s_load_dwordx2 s[12:13], s[4:5], 0x78
	v_lshlrev_b32_e32 v22, 5, v1
	v_add_nc_u32_e32 v21, v22, v0
	s_waitcnt lgkmcnt(0)
	s_add_u32 s0, s0, s22
	s_addc_u32 s1, s1, s23
	s_lshl_b64 s[2:3], s[2:3], 2
	s_load_dwordx2 s[22:23], s[0:1], 0x0
	v_cmp_gt_u32_e64 s0, 0x80, v21
	s_waitcnt lgkmcnt(0)
	s_add_u32 s5, s22, s2
	s_addc_u32 s26, s23, s3
	s_andn2_b32 vcc_lo, exec_lo, s7
	s_cbranch_vccnz .LBB513_15
; %bb.9:
	s_mov_b32 s1, 0
	s_mov_b32 s27, 0
                                        ; implicit-def: $vgpr3
                                        ; implicit-def: $vgpr4_vgpr5
	s_and_saveexec_b32 s2, s0
	s_cbranch_execz .LBB513_16
; %bb.10:
	v_lshl_or_b32 v2, s6, 7, v21
	v_mov_b32_e32 v3, 0
	s_ashr_i32 s23, s8, 31
	s_mov_b32 s22, s8
	s_mov_b32 s3, 0
	s_mov_b32 s0, exec_lo
                                        ; implicit-def: $vgpr4_vgpr5
	v_cmpx_gt_i64_e64 s[22:23], v[2:3]
	s_cbranch_execz .LBB513_14
; %bb.11:
	v_mad_u64_u32 v[4:5], null, s12, v2, 0
	v_cmp_eq_f32_e64 s3, s11, 0
	s_and_b32 vcc_lo, exec_lo, s3
	v_mad_u64_u32 v[5:6], null, s13, v2, v[5:6]
	s_cbranch_vccnz .LBB513_13
; %bb.12:
	v_lshlrev_b64 v[2:3], 2, v[4:5]
	v_add_co_u32 v2, vcc_lo, s5, v2
	v_add_co_ci_u32_e64 v3, null, s26, v3, vcc_lo
	flat_load_dword v2, v[2:3]
	s_waitcnt vmcnt(0) lgkmcnt(0)
	v_mul_f32_e32 v3, s11, v2
.LBB513_13:
	s_mov_b32 s3, exec_lo
.LBB513_14:
	s_or_b32 exec_lo, exec_lo, s0
	s_and_b32 s27, s3, exec_lo
	s_or_b32 exec_lo, exec_lo, s2
	s_and_b32 vcc_lo, exec_lo, s1
	s_cbranch_vccnz .LBB513_17
	s_branch .LBB513_54
.LBB513_15:
	s_mov_b32 s27, 0
                                        ; implicit-def: $vgpr3
                                        ; implicit-def: $vgpr4_vgpr5
	s_cbranch_execnz .LBB513_17
	s_branch .LBB513_54
.LBB513_16:
	s_or_b32 exec_lo, exec_lo, s2
	s_and_b32 vcc_lo, exec_lo, s1
	s_cbranch_vccz .LBB513_54
.LBB513_17:
	s_ashr_i32 s0, s9, 31
	s_lshl_b32 s28, s6, 7
	s_lshr_b32 s0, s0, 26
	v_lshlrev_b32_e32 v24, 2, v1
	v_mov_b32_e32 v27, 0
	v_add_nc_u32_e32 v2, s28, v0
	v_mov_b32_e32 v26, 0
	v_mov_b32_e32 v25, 0
	;; [unrolled: 1-line block ×3, first 2 shown]
	s_add_i32 s29, s9, s0
	s_mov_b32 s30, exec_lo
	s_andn2_b32 s29, s29, 63
	v_cmpx_gt_i32_e64 s29, v24
	s_cbranch_execz .LBB513_29
; %bb.18:
	v_lshlrev_b32_e32 v23, 2, v1
	v_add_nc_u32_e32 v4, 32, v2
	v_mad_u64_u32 v[7:8], null, s20, v1, 0
	v_mad_u64_u32 v[9:10], null, s14, v1, 0
	v_or_b32_e32 v27, 3, v23
	v_add_nc_u32_e32 v11, 64, v2
	v_add_nc_u32_e32 v12, 0x60, v2
	v_cmp_gt_i32_e64 s0, s8, v4
	v_or_b32_e32 v32, 2, v23
	v_mad_u64_u32 v[5:6], null, s14, v27, 0
	v_cmp_gt_i32_e64 s1, s8, v11
	v_cmp_gt_i32_e64 s2, s8, v12
	v_mad_u64_u32 v[16:17], null, s14, v32, 0
	v_mad_u64_u32 v[18:19], null, s20, v27, 0
	v_mov_b32_e32 v4, v6
	v_mov_b32_e32 v6, v8
	;; [unrolled: 1-line block ×3, first 2 shown]
	v_ashrrev_i32_e32 v3, 31, v2
	s_lshl_b64 s[6:7], s[14:15], 7
	v_mad_u64_u32 v[11:12], null, s15, v27, v[4:5]
	v_mad_u64_u32 v[12:13], null, s21, v1, v[6:7]
	;; [unrolled: 1-line block ×4, first 2 shown]
	v_mov_b32_e32 v6, v11
	v_lshlrev_b64 v[3:4], 1, v[2:3]
	v_mov_b32_e32 v8, v12
	s_lshl_b64 s[22:23], s[20:21], 7
	v_mov_b32_e32 v10, v13
	v_lshlrev_b64 v[11:12], 1, v[5:6]
	s_mov_b32 s31, 0
	v_lshlrev_b64 v[5:6], 3, v[7:8]
	v_mov_b32_e32 v7, v17
	v_mov_b32_e32 v8, v15
	v_lshlrev_b64 v[9:10], 3, v[9:10]
	v_add_co_u32 v28, s3, s16, v11
	v_add_co_ci_u32_e64 v29, null, s17, v12, s3
	v_mad_u64_u32 v[11:12], null, s14, v23, s[14:15]
	v_mad_u64_u32 v[25:26], null, s15, v32, v[7:8]
	v_mov_b32_e32 v7, v19
	v_mad_u64_u32 v[19:20], null, s21, v23, v[8:9]
	v_add_co_u32 v30, s3, s16, v9
	v_mad_u64_u32 v[7:8], null, s21, v27, v[7:8]
	v_mov_b32_e32 v8, v12
	v_mov_b32_e32 v17, v25
	v_mad_u64_u32 v[25:26], null, s20, v32, 0
	v_mov_b32_e32 v15, v19
	v_mad_u64_u32 v[12:13], null, s15, v23, v[8:9]
	v_lshlrev_b64 v[16:17], 1, v[16:17]
	v_mov_b32_e32 v19, v7
	v_add_co_ci_u32_e64 v31, null, s17, v10, s3
	v_mov_b32_e32 v8, v26
	v_mov_b32_e32 v23, 0
	v_lshlrev_b64 v[11:12], 1, v[11:12]
	s_mov_b64 s[24:25], s[18:19]
	v_cmp_gt_i32_e32 vcc_lo, s8, v2
	v_mad_u64_u32 v[26:27], null, s21, v32, v[8:9]
	v_add_co_u32 v32, s3, s16, v16
	v_add_co_ci_u32_e64 v33, null, s17, v17, s3
	v_add_co_u32 v34, s3, s16, v11
	v_lshlrev_b64 v[7:8], 1, v[14:15]
	v_lshlrev_b64 v[9:10], 1, v[18:19]
	v_add_co_ci_u32_e64 v35, null, s17, v12, s3
	v_lshlrev_b64 v[11:12], 1, v[25:26]
	v_mov_b32_e32 v27, 0
	v_mov_b32_e32 v26, 0
	;; [unrolled: 1-line block ×3, first 2 shown]
	s_branch .LBB513_23
.LBB513_19:                             ;   in Loop: Header=BB513_23 Depth=1
	s_or_b32 exec_lo, exec_lo, s34
	s_waitcnt vmcnt(3) lgkmcnt(3)
	v_fma_mix_f32 v13, v48, v52, v25 op_sel_hi:[0,1,0]
	s_waitcnt vmcnt(2) lgkmcnt(2)
	v_fma_mix_f32 v13, v49, v53, v13 op_sel_hi:[0,1,0]
	;; [unrolled: 2-line block ×4, first 2 shown]
.LBB513_20:                             ;   in Loop: Header=BB513_23 Depth=1
	s_or_b32 exec_lo, exec_lo, s33
	s_waitcnt vmcnt(3) lgkmcnt(3)
	v_fma_mix_f32 v13, v48, v44, v26 op_sel_hi:[0,1,0]
	s_waitcnt vmcnt(2) lgkmcnt(2)
	v_fma_mix_f32 v13, v49, v45, v13 op_sel_hi:[0,1,0]
	;; [unrolled: 2-line block ×4, first 2 shown]
.LBB513_21:                             ;   in Loop: Header=BB513_23 Depth=1
	s_or_b32 exec_lo, exec_lo, s3
	s_waitcnt vmcnt(3) lgkmcnt(3)
	v_fma_mix_f32 v13, v36, v40, v27 op_sel_hi:[1,1,0]
	s_waitcnt vmcnt(2) lgkmcnt(2)
	v_fma_mix_f32 v13, v37, v41, v13 op_sel_hi:[1,1,0]
	;; [unrolled: 2-line block ×4, first 2 shown]
.LBB513_22:                             ;   in Loop: Header=BB513_23 Depth=1
	s_or_b32 exec_lo, exec_lo, s4
	v_add_co_u32 v28, s3, v28, s6
	v_add_nc_u32_e32 v24, 64, v24
	v_add_co_ci_u32_e64 v29, null, s7, v29, s3
	v_add_co_u32 v30, s3, v30, s6
	v_add_co_ci_u32_e64 v31, null, s7, v31, s3
	v_add_co_u32 v32, s3, v32, s6
	v_add_co_ci_u32_e64 v33, null, s7, v33, s3
	v_cmp_le_i32_e64 s3, s29, v24
	v_add_co_u32 v34, s4, v34, s6
	v_add_co_ci_u32_e64 v35, null, s7, v35, s4
	s_add_u32 s24, s24, s22
	s_addc_u32 s25, s25, s23
	s_or_b32 s31, s3, s31
	s_andn2_b32 exec_lo, exec_lo, s31
	s_cbranch_execz .LBB513_28
.LBB513_23:                             ; =>This Inner Loop Header: Depth=1
	s_and_saveexec_b32 s4, vcc_lo
	s_cbranch_execz .LBB513_22
; %bb.24:                               ;   in Loop: Header=BB513_23 Depth=1
	v_add_co_u32 v36, s3, s24, v5
	v_add_co_ci_u32_e64 v37, null, s25, v6, s3
	v_add_co_u32 v38, s3, s24, v7
	v_add_co_ci_u32_e64 v39, null, s25, v8, s3
	;; [unrolled: 2-line block ×8, first 2 shown]
	s_clause 0x3
	flat_load_ushort v36, v[36:37]
	flat_load_ushort v37, v[38:39]
	;; [unrolled: 1-line block ×8, first 2 shown]
	s_and_saveexec_b32 s3, s0
	s_cbranch_execz .LBB513_21
; %bb.25:                               ;   in Loop: Header=BB513_23 Depth=1
	flat_load_ushort v44, v[13:14] offset:64
	flat_load_ushort v45, v[15:16] offset:64
	;; [unrolled: 1-line block ×4, first 2 shown]
	s_waitcnt vmcnt(11) lgkmcnt(11)
	v_cvt_f32_f16_e32 v48, v36
	s_waitcnt vmcnt(10) lgkmcnt(10)
	v_cvt_f32_f16_e32 v49, v37
	;; [unrolled: 2-line block ×4, first 2 shown]
	s_and_saveexec_b32 s33, s1
	s_cbranch_execz .LBB513_20
; %bb.26:                               ;   in Loop: Header=BB513_23 Depth=1
	flat_load_ushort v52, v[13:14] offset:128
	flat_load_ushort v53, v[15:16] offset:128
	;; [unrolled: 1-line block ×4, first 2 shown]
	s_and_saveexec_b32 s34, s2
	s_cbranch_execz .LBB513_19
; %bb.27:                               ;   in Loop: Header=BB513_23 Depth=1
	flat_load_ushort v13, v[13:14] offset:192
	flat_load_ushort v14, v[15:16] offset:192
	;; [unrolled: 1-line block ×4, first 2 shown]
	s_waitcnt vmcnt(3) lgkmcnt(3)
	v_fma_mix_f32 v13, v48, v13, v23 op_sel_hi:[0,1,0]
	s_waitcnt vmcnt(2) lgkmcnt(2)
	v_fma_mix_f32 v13, v49, v14, v13 op_sel_hi:[0,1,0]
	;; [unrolled: 2-line block ×4, first 2 shown]
	s_branch .LBB513_19
.LBB513_28:
	s_or_b32 exec_lo, exec_lo, s31
.LBB513_29:
	s_or_b32 exec_lo, exec_lo, s30
	s_sub_i32 s0, s9, s29
	s_cmp_lt_i32 s0, 1
	s_cbranch_scc1 .LBB513_47
; %bb.30:
	v_cmp_gt_i32_e32 vcc_lo, s9, v24
	v_mov_b32_e32 v11, 0
	v_or_b32_e32 v4, 1, v24
	v_mov_b32_e32 v12, 0
	v_mov_b32_e32 v13, 0
	;; [unrolled: 1-line block ×3, first 2 shown]
	s_and_saveexec_b32 s1, vcc_lo
	s_cbranch_execz .LBB513_38
; %bb.31:
	v_mad_u64_u32 v[5:6], null, s20, v24, 0
	v_mov_b32_e32 v13, 0
	v_mov_b32_e32 v12, 0
	;; [unrolled: 1-line block ×3, first 2 shown]
	s_mov_b32 s2, exec_lo
	v_mov_b32_e32 v3, v6
	v_mad_u64_u32 v[6:7], null, s21, v24, v[3:4]
	v_lshlrev_b64 v[5:6], 1, v[5:6]
	v_add_co_u32 v5, s0, s18, v5
	v_add_co_ci_u32_e64 v6, null, s19, v6, s0
	flat_load_ushort v3, v[5:6]
	v_cmpx_gt_i32_e64 s9, v4
	s_cbranch_execz .LBB513_37
; %bb.32:
	v_mad_u64_u32 v[5:6], null, s20, v4, 0
	v_mov_b32_e32 v12, 0
	v_mov_b32_e32 v11, 0
	s_mov_b32 s3, exec_lo
	v_mad_u64_u32 v[6:7], null, s21, v4, v[6:7]
	v_lshlrev_b64 v[5:6], 1, v[5:6]
	v_add_co_u32 v5, s0, s18, v5
	v_add_co_ci_u32_e64 v6, null, s19, v6, s0
	flat_load_ushort v5, v[5:6]
	v_or_b32_e32 v6, 2, v24
	v_cmpx_gt_i32_e64 s9, v6
	s_cbranch_execz .LBB513_36
; %bb.33:
	v_mad_u64_u32 v[7:8], null, s20, v6, 0
	v_mov_b32_e32 v11, 0
	s_mov_b32 s4, exec_lo
	v_mad_u64_u32 v[8:9], null, s21, v6, v[8:9]
	v_lshlrev_b64 v[6:7], 1, v[7:8]
	v_add_co_u32 v6, s0, s18, v6
	v_add_co_ci_u32_e64 v7, null, s19, v7, s0
	flat_load_ushort v6, v[6:7]
	v_or_b32_e32 v7, 3, v24
	v_cmpx_gt_i32_e64 s9, v7
	s_cbranch_execz .LBB513_35
; %bb.34:
	v_mad_u64_u32 v[8:9], null, s20, v7, 0
	v_mad_u64_u32 v[9:10], null, s21, v7, v[9:10]
	v_lshlrev_b64 v[7:8], 1, v[8:9]
	v_add_co_u32 v7, s0, s18, v7
	v_add_co_ci_u32_e64 v8, null, s19, v8, s0
	flat_load_ushort v7, v[7:8]
	s_waitcnt vmcnt(0) lgkmcnt(0)
	v_cvt_f32_f16_e32 v11, v7
.LBB513_35:
	s_or_b32 exec_lo, exec_lo, s4
	s_waitcnt vmcnt(0) lgkmcnt(0)
	v_cvt_f32_f16_e32 v12, v6
.LBB513_36:
	s_or_b32 exec_lo, exec_lo, s3
	s_waitcnt vmcnt(0) lgkmcnt(0)
	v_cvt_f32_f16_e32 v13, v5
.LBB513_37:
	s_or_b32 exec_lo, exec_lo, s2
	s_waitcnt vmcnt(0) lgkmcnt(0)
	v_cvt_f32_f16_e32 v14, v3
.LBB513_38:
	s_or_b32 exec_lo, exec_lo, s1
	s_mov_b32 s1, exec_lo
	v_cmpx_gt_i32_e64 s8, v2
	s_cbranch_execz .LBB513_46
; %bb.39:
	v_mad_u64_u32 v[5:6], null, s14, v24, 0
	v_mad_u64_u32 v[7:8], null, s14, v4, 0
	v_ashrrev_i32_e32 v3, 31, v2
	v_or_b32_e32 v20, 2, v24
	v_or_b32_e32 v30, 3, v24
	v_cndmask_b32_e32 v5, 0, v5, vcc_lo
	v_lshlrev_b64 v[9:10], 1, v[2:3]
	v_mad_u64_u32 v[15:16], null, s15, v24, v[6:7]
	v_mov_b32_e32 v3, v8
	v_mad_u64_u32 v[16:17], null, s14, v20, 0
	v_mad_u64_u32 v[18:19], null, s14, v30, 0
	;; [unrolled: 1-line block ×3, first 2 shown]
	v_cndmask_b32_e32 v6, 0, v15, vcc_lo
	v_cmp_gt_i32_e32 vcc_lo, s9, v4
	v_mov_b32_e32 v3, v17
	v_cmp_gt_i32_e64 s0, s9, v20
	v_mov_b32_e32 v8, v19
	v_cndmask_b32_e32 v4, 0, v7, vcc_lo
	v_lshlrev_b64 v[6:7], 1, v[5:6]
	v_cndmask_b32_e32 v5, 0, v28, vcc_lo
	v_cndmask_b32_e64 v15, 0, v16, s0
	v_mad_u64_u32 v[19:20], null, s15, v20, v[3:4]
	v_add_co_u32 v3, vcc_lo, s16, v6
	v_lshlrev_b64 v[5:6], 1, v[4:5]
	v_add_co_ci_u32_e64 v7, null, s17, v7, vcc_lo
	v_add_co_u32 v3, vcc_lo, v3, v9
	v_cndmask_b32_e64 v16, 0, v19, s0
	v_add_co_ci_u32_e64 v4, null, v7, v10, vcc_lo
	v_add_co_u32 v5, vcc_lo, s16, v5
	v_add_co_ci_u32_e64 v6, null, s17, v6, vcc_lo
	v_mad_u64_u32 v[7:8], null, s15, v30, v[8:9]
	v_add_co_u32 v5, vcc_lo, v5, v9
	v_add_co_ci_u32_e64 v6, null, v6, v10, vcc_lo
	v_cmp_gt_i32_e32 vcc_lo, s9, v30
	v_lshlrev_b64 v[15:16], 1, v[15:16]
	s_clause 0x1
	flat_load_ushort v19, v[3:4]
	flat_load_ushort v20, v[5:6]
	s_mov_b32 s0, exec_lo
	v_cndmask_b32_e32 v17, 0, v18, vcc_lo
	v_cndmask_b32_e32 v18, 0, v7, vcc_lo
	v_add_co_u32 v7, vcc_lo, s16, v15
	v_add_co_ci_u32_e64 v8, null, s17, v16, vcc_lo
	v_lshlrev_b64 v[15:16], 1, v[17:18]
	v_add_co_u32 v7, vcc_lo, v7, v9
	v_add_co_ci_u32_e64 v8, null, v8, v10, vcc_lo
	v_add_nc_u32_e32 v18, 32, v2
	v_add_co_u32 v15, vcc_lo, s16, v15
	v_add_co_ci_u32_e64 v16, null, s17, v16, vcc_lo
	flat_load_ushort v17, v[7:8]
	v_add_co_u32 v9, vcc_lo, v15, v9
	v_add_co_ci_u32_e64 v10, null, v16, v10, vcc_lo
	flat_load_ushort v15, v[9:10]
	s_waitcnt vmcnt(3) lgkmcnt(3)
	v_fma_mix_f32 v16, v14, v19, v27 op_sel_hi:[0,1,0]
	s_waitcnt vmcnt(2) lgkmcnt(2)
	v_fma_mix_f32 v16, v13, v20, v16 op_sel_hi:[0,1,0]
	;; [unrolled: 2-line block ×3, first 2 shown]
	v_cmpx_gt_i32_e64 s8, v18
	s_cbranch_execz .LBB513_45
; %bb.40:
	s_clause 0x3
	flat_load_ushort v18, v[3:4] offset:64
	flat_load_ushort v19, v[5:6] offset:64
	;; [unrolled: 1-line block ×4, first 2 shown]
	s_mov_b32 s2, exec_lo
	s_waitcnt vmcnt(3) lgkmcnt(3)
	v_fma_mix_f32 v18, v14, v18, v26 op_sel_hi:[0,1,0]
	s_waitcnt vmcnt(2) lgkmcnt(2)
	v_fma_mix_f32 v18, v13, v19, v18 op_sel_hi:[0,1,0]
	v_add_nc_u32_e32 v19, 64, v2
	s_waitcnt vmcnt(1) lgkmcnt(1)
	v_fma_mix_f32 v18, v12, v20, v18 op_sel_hi:[0,1,0]
	v_cmpx_gt_i32_e64 s8, v19
	s_cbranch_execz .LBB513_44
; %bb.41:
	s_clause 0x3
	flat_load_ushort v20, v[3:4] offset:128
	flat_load_ushort v24, v[5:6] offset:128
	flat_load_ushort v26, v[7:8] offset:128
	flat_load_ushort v19, v[9:10] offset:128
	s_mov_b32 s3, exec_lo
	s_waitcnt vmcnt(3) lgkmcnt(3)
	v_fma_mix_f32 v20, v14, v20, v25 op_sel_hi:[0,1,0]
	s_waitcnt vmcnt(2) lgkmcnt(2)
	v_fma_mix_f32 v20, v13, v24, v20 op_sel_hi:[0,1,0]
	v_add_nc_u32_e32 v24, 0x60, v2
	s_waitcnt vmcnt(1) lgkmcnt(1)
	v_fma_mix_f32 v2, v12, v26, v20 op_sel_hi:[0,1,0]
	v_cmpx_gt_i32_e64 s8, v24
	s_cbranch_execz .LBB513_43
; %bb.42:
	s_clause 0x3
	flat_load_ushort v3, v[3:4] offset:192
	flat_load_ushort v4, v[5:6] offset:192
	;; [unrolled: 1-line block ×4, first 2 shown]
	s_waitcnt vmcnt(3) lgkmcnt(3)
	v_fma_mix_f32 v3, v14, v3, v23 op_sel_hi:[0,1,0]
	s_waitcnt vmcnt(2) lgkmcnt(2)
	v_fma_mix_f32 v3, v13, v4, v3 op_sel_hi:[0,1,0]
	;; [unrolled: 2-line block ×4, first 2 shown]
.LBB513_43:
	s_or_b32 exec_lo, exec_lo, s3
	s_waitcnt vmcnt(0) lgkmcnt(0)
	v_fma_mix_f32 v25, v11, v19, v2 op_sel_hi:[0,1,0]
.LBB513_44:
	s_or_b32 exec_lo, exec_lo, s2
	s_waitcnt vmcnt(0) lgkmcnt(0)
	v_fma_mix_f32 v26, v11, v17, v18 op_sel_hi:[0,1,0]
.LBB513_45:
	s_or_b32 exec_lo, exec_lo, s0
	s_waitcnt vmcnt(0) lgkmcnt(0)
	v_fma_mix_f32 v27, v11, v15, v16 op_sel_hi:[0,1,0]
.LBB513_46:
	s_or_b32 exec_lo, exec_lo, s1
.LBB513_47:
	v_lshlrev_b32_e32 v0, 2, v0
	s_mov_b32 s0, exec_lo
                                        ; implicit-def: $vgpr3
                                        ; implicit-def: $vgpr4_vgpr5
	v_lshl_add_u32 v1, v1, 9, v0
	ds_write2_b32 v1, v27, v26 offset1:32
	ds_write2_b32 v1, v25, v23 offset0:64 offset1:96
	s_waitcnt lgkmcnt(0)
	s_barrier
	buffer_gl0_inv
	v_cmpx_gt_u32_e32 0x80, v21
	s_cbranch_execz .LBB513_53
; %bb.48:
	v_lshl_add_u32 v6, v22, 2, v0
	s_mov_b32 s2, s27
	s_mov_b32 s1, exec_lo
	ds_read2st64_b32 v[0:1], v6 offset1:2
	ds_read2st64_b32 v[2:3], v6 offset0:4 offset1:6
	ds_read2st64_b32 v[4:5], v6 offset0:8 offset1:10
	s_waitcnt lgkmcnt(2)
	v_add_f32_e32 v7, v0, v1
	ds_read2st64_b32 v[0:1], v6 offset0:12 offset1:14
	s_waitcnt lgkmcnt(2)
	v_add_f32_e32 v2, v2, v7
	v_add_f32_e32 v7, v3, v2
	ds_read2st64_b32 v[2:3], v6 offset0:16 offset1:18
	s_waitcnt lgkmcnt(2)
	v_add_f32_e32 v4, v4, v7
	;; [unrolled: 4-line block ×3, first 2 shown]
	v_add_f32_e32 v0, v1, v0
	s_waitcnt lgkmcnt(1)
	v_add_f32_e32 v2, v2, v0
	ds_read2st64_b32 v[0:1], v6 offset0:24 offset1:26
	v_add_f32_e32 v2, v3, v2
	s_waitcnt lgkmcnt(1)
	v_add_f32_e32 v4, v4, v2
	ds_read2st64_b32 v[2:3], v6 offset0:28 offset1:30
	v_add_f32_e32 v4, v5, v4
	s_waitcnt lgkmcnt(1)
	v_add_f32_e32 v0, v0, v4
                                        ; implicit-def: $vgpr4_vgpr5
	v_add_f32_e32 v0, v1, v0
	v_or_b32_e32 v1, s28, v21
	s_waitcnt lgkmcnt(0)
	v_add_f32_e32 v0, v2, v0
	v_add_f32_e32 v0, v3, v0
                                        ; implicit-def: $vgpr3
	ds_write_b32 v6, v0
	v_cmpx_gt_i32_e64 s8, v1
	s_cbranch_execz .LBB513_52
; %bb.49:
	v_ashrrev_i32_e32 v2, 31, v1
	v_mul_lo_u32 v6, s13, v1
	v_mad_u64_u32 v[4:5], null, s12, v1, 0
	v_cmp_eq_f32_e64 s2, s11, 0
	v_mul_lo_u32 v1, s12, v2
	v_mul_f32_e32 v3, s10, v0
	s_and_b32 vcc_lo, exec_lo, s2
	v_add3_u32 v5, v5, v1, v6
	s_cbranch_vccnz .LBB513_51
; %bb.50:
	v_lshlrev_b64 v[0:1], 2, v[4:5]
	v_add_co_u32 v0, vcc_lo, s5, v0
	v_add_co_ci_u32_e64 v1, null, s26, v1, vcc_lo
	flat_load_dword v0, v[0:1]
	s_waitcnt vmcnt(0) lgkmcnt(0)
	v_fmac_f32_e32 v3, s11, v0
.LBB513_51:
	s_or_b32 s2, s27, exec_lo
.LBB513_52:
	s_or_b32 exec_lo, exec_lo, s1
	s_andn2_b32 s1, s27, exec_lo
	s_and_b32 s2, s2, exec_lo
	s_or_b32 s27, s1, s2
.LBB513_53:
	s_or_b32 exec_lo, exec_lo, s0
.LBB513_54:
	s_and_saveexec_b32 s0, s27
	s_cbranch_execz .LBB513_56
; %bb.55:
	v_lshlrev_b64 v[0:1], 2, v[4:5]
	v_add_co_u32 v0, vcc_lo, s5, v0
	v_add_co_ci_u32_e64 v1, null, s26, v1, vcc_lo
	flat_store_dword v[0:1], v3
.LBB513_56:
	s_endpgm
	.section	.rodata,"a",@progbits
	.p2align	6, 0x0
	.amdhsa_kernel _ZL20rocblas_gemvn_kernelILi32ELi16ElPKDF16_fKPfEviiT3_lPKT2_lT1_lS7_lS8_lS4_lPT4_lS8_li
		.amdhsa_group_segment_fixed_size 8192
		.amdhsa_private_segment_fixed_size 0
		.amdhsa_kernarg_size 400
		.amdhsa_user_sgpr_count 6
		.amdhsa_user_sgpr_private_segment_buffer 1
		.amdhsa_user_sgpr_dispatch_ptr 0
		.amdhsa_user_sgpr_queue_ptr 0
		.amdhsa_user_sgpr_kernarg_segment_ptr 1
		.amdhsa_user_sgpr_dispatch_id 0
		.amdhsa_user_sgpr_flat_scratch_init 0
		.amdhsa_user_sgpr_private_segment_size 0
		.amdhsa_wavefront_size32 1
		.amdhsa_uses_dynamic_stack 0
		.amdhsa_system_sgpr_private_segment_wavefront_offset 0
		.amdhsa_system_sgpr_workgroup_id_x 1
		.amdhsa_system_sgpr_workgroup_id_y 0
		.amdhsa_system_sgpr_workgroup_id_z 1
		.amdhsa_system_sgpr_workgroup_info 0
		.amdhsa_system_vgpr_workitem_id 1
		.amdhsa_next_free_vgpr 56
		.amdhsa_next_free_sgpr 35
		.amdhsa_reserve_vcc 1
		.amdhsa_reserve_flat_scratch 1
		.amdhsa_float_round_mode_32 0
		.amdhsa_float_round_mode_16_64 0
		.amdhsa_float_denorm_mode_32 3
		.amdhsa_float_denorm_mode_16_64 3
		.amdhsa_dx10_clamp 1
		.amdhsa_ieee_mode 1
		.amdhsa_fp16_overflow 0
		.amdhsa_workgroup_processor_mode 1
		.amdhsa_memory_ordered 1
		.amdhsa_forward_progress 1
		.amdhsa_shared_vgpr_count 0
		.amdhsa_exception_fp_ieee_invalid_op 0
		.amdhsa_exception_fp_denorm_src 0
		.amdhsa_exception_fp_ieee_div_zero 0
		.amdhsa_exception_fp_ieee_overflow 0
		.amdhsa_exception_fp_ieee_underflow 0
		.amdhsa_exception_fp_ieee_inexact 0
		.amdhsa_exception_int_div_zero 0
	.end_amdhsa_kernel
	.section	.text._ZL20rocblas_gemvn_kernelILi32ELi16ElPKDF16_fKPfEviiT3_lPKT2_lT1_lS7_lS8_lS4_lPT4_lS8_li,"axG",@progbits,_ZL20rocblas_gemvn_kernelILi32ELi16ElPKDF16_fKPfEviiT3_lPKT2_lT1_lS7_lS8_lS4_lPT4_lS8_li,comdat
.Lfunc_end513:
	.size	_ZL20rocblas_gemvn_kernelILi32ELi16ElPKDF16_fKPfEviiT3_lPKT2_lT1_lS7_lS8_lS4_lPT4_lS8_li, .Lfunc_end513-_ZL20rocblas_gemvn_kernelILi32ELi16ElPKDF16_fKPfEviiT3_lPKT2_lT1_lS7_lS8_lS4_lPT4_lS8_li
                                        ; -- End function
	.set _ZL20rocblas_gemvn_kernelILi32ELi16ElPKDF16_fKPfEviiT3_lPKT2_lT1_lS7_lS8_lS4_lPT4_lS8_li.num_vgpr, 56
	.set _ZL20rocblas_gemvn_kernelILi32ELi16ElPKDF16_fKPfEviiT3_lPKT2_lT1_lS7_lS8_lS4_lPT4_lS8_li.num_agpr, 0
	.set _ZL20rocblas_gemvn_kernelILi32ELi16ElPKDF16_fKPfEviiT3_lPKT2_lT1_lS7_lS8_lS4_lPT4_lS8_li.numbered_sgpr, 35
	.set _ZL20rocblas_gemvn_kernelILi32ELi16ElPKDF16_fKPfEviiT3_lPKT2_lT1_lS7_lS8_lS4_lPT4_lS8_li.num_named_barrier, 0
	.set _ZL20rocblas_gemvn_kernelILi32ELi16ElPKDF16_fKPfEviiT3_lPKT2_lT1_lS7_lS8_lS4_lPT4_lS8_li.private_seg_size, 0
	.set _ZL20rocblas_gemvn_kernelILi32ELi16ElPKDF16_fKPfEviiT3_lPKT2_lT1_lS7_lS8_lS4_lPT4_lS8_li.uses_vcc, 1
	.set _ZL20rocblas_gemvn_kernelILi32ELi16ElPKDF16_fKPfEviiT3_lPKT2_lT1_lS7_lS8_lS4_lPT4_lS8_li.uses_flat_scratch, 1
	.set _ZL20rocblas_gemvn_kernelILi32ELi16ElPKDF16_fKPfEviiT3_lPKT2_lT1_lS7_lS8_lS4_lPT4_lS8_li.has_dyn_sized_stack, 0
	.set _ZL20rocblas_gemvn_kernelILi32ELi16ElPKDF16_fKPfEviiT3_lPKT2_lT1_lS7_lS8_lS4_lPT4_lS8_li.has_recursion, 0
	.set _ZL20rocblas_gemvn_kernelILi32ELi16ElPKDF16_fKPfEviiT3_lPKT2_lT1_lS7_lS8_lS4_lPT4_lS8_li.has_indirect_call, 0
	.section	.AMDGPU.csdata,"",@progbits
; Kernel info:
; codeLenInByte = 3248
; TotalNumSgprs: 37
; NumVgprs: 56
; ScratchSize: 0
; MemoryBound: 0
; FloatMode: 240
; IeeeMode: 1
; LDSByteSize: 8192 bytes/workgroup (compile time only)
; SGPRBlocks: 0
; VGPRBlocks: 6
; NumSGPRsForWavesPerEU: 37
; NumVGPRsForWavesPerEU: 56
; Occupancy: 16
; WaveLimiterHint : 1
; COMPUTE_PGM_RSRC2:SCRATCH_EN: 0
; COMPUTE_PGM_RSRC2:USER_SGPR: 6
; COMPUTE_PGM_RSRC2:TRAP_HANDLER: 0
; COMPUTE_PGM_RSRC2:TGID_X_EN: 1
; COMPUTE_PGM_RSRC2:TGID_Y_EN: 0
; COMPUTE_PGM_RSRC2:TGID_Z_EN: 1
; COMPUTE_PGM_RSRC2:TIDIG_COMP_CNT: 1
	.section	.text._ZL20rocblas_gemvn_kernelILi64ELi16EiPKDF16_PKfKPfEviiT3_lPKT2_lT1_lS9_lSA_lS6_lPT4_lSA_li,"axG",@progbits,_ZL20rocblas_gemvn_kernelILi64ELi16EiPKDF16_PKfKPfEviiT3_lPKT2_lT1_lS9_lSA_lS6_lPT4_lSA_li,comdat
	.globl	_ZL20rocblas_gemvn_kernelILi64ELi16EiPKDF16_PKfKPfEviiT3_lPKT2_lT1_lS9_lSA_lS6_lPT4_lSA_li ; -- Begin function _ZL20rocblas_gemvn_kernelILi64ELi16EiPKDF16_PKfKPfEviiT3_lPKT2_lT1_lS9_lSA_lS6_lPT4_lSA_li
	.p2align	8
	.type	_ZL20rocblas_gemvn_kernelILi64ELi16EiPKDF16_PKfKPfEviiT3_lPKT2_lT1_lS9_lSA_lS6_lPT4_lSA_li,@function
_ZL20rocblas_gemvn_kernelILi64ELi16EiPKDF16_PKfKPfEviiT3_lPKT2_lT1_lS9_lSA_lS6_lPT4_lSA_li: ; @_ZL20rocblas_gemvn_kernelILi64ELi16EiPKDF16_PKfKPfEviiT3_lPKT2_lT1_lS9_lSA_lS6_lPT4_lSA_li
; %bb.0:
	s_load_dwordx2 s[2:3], s[4:5], 0x9c
	s_waitcnt lgkmcnt(0)
	s_lshr_b32 s1, s2, 16
	s_and_b32 s2, s2, 0xffff
	s_and_b32 s3, s3, 0xffff
	s_mul_i32 s1, s1, s2
	s_mul_i32 s1, s1, s3
	s_cmpk_lg_i32 s1, 0x400
	s_cbranch_scc1 .LBB514_54
; %bb.1:
	s_clause 0x1
	s_load_dwordx8 s[16:23], s[4:5], 0x8
	s_load_dwordx8 s[8:15], s[4:5], 0x58
	s_mov_b32 s0, s7
	s_waitcnt lgkmcnt(0)
	s_mul_i32 s1, s19, s7
	s_mul_hi_u32 s3, s18, s7
	s_mul_i32 s2, s18, s7
	s_add_i32 s3, s3, s1
	s_mul_i32 s1, s11, s7
	s_lshl_b64 s[2:3], s[2:3], 2
	s_mul_hi_u32 s7, s10, s7
	s_add_u32 s2, s16, s2
	s_addc_u32 s3, s17, s3
	s_add_i32 s11, s7, s1
	s_mul_i32 s10, s10, s0
	s_lshl_b64 s[10:11], s[10:11], 2
	s_add_u32 s8, s8, s10
	s_addc_u32 s9, s9, s11
	s_load_dword s18, s[2:3], 0x0
	s_load_dword s7, s[8:9], 0x0
	s_waitcnt lgkmcnt(0)
	v_cmp_eq_f32_e64 s2, s18, 0
	v_cmp_eq_f32_e64 s1, s7, 1.0
	s_and_b32 s1, s2, s1
	s_and_b32 vcc_lo, exec_lo, s1
	s_mov_b32 s1, 0
	s_cbranch_vccnz .LBB514_54
; %bb.2:
	v_cmp_neq_f32_e64 s3, s18, 0
	s_mov_b64 s[16:17], 0
	s_and_b32 vcc_lo, exec_lo, s2
	s_mov_b64 s[10:11], 0
	s_cbranch_vccnz .LBB514_4
; %bb.3:
	s_lshl_b64 s[8:9], s[0:1], 3
	s_add_u32 s8, s20, s8
	s_addc_u32 s9, s21, s9
	s_lshl_b64 s[10:11], s[22:23], 1
	s_load_dwordx2 s[8:9], s[8:9], 0x0
	s_waitcnt lgkmcnt(0)
	s_add_u32 s10, s8, s10
	s_addc_u32 s11, s9, s11
.LBB514_4:
	s_andn2_b32 vcc_lo, exec_lo, s3
	s_cbranch_vccnz .LBB514_6
; %bb.5:
	s_load_dwordx4 s[20:23], s[4:5], 0x38
	s_lshl_b64 s[8:9], s[0:1], 3
	s_waitcnt lgkmcnt(0)
	s_add_u32 s8, s20, s8
	s_addc_u32 s9, s21, s9
	s_lshl_b64 s[16:17], s[22:23], 1
	s_load_dwordx2 s[8:9], s[8:9], 0x0
	s_waitcnt lgkmcnt(0)
	s_add_u32 s16, s8, s16
	s_addc_u32 s17, s9, s17
.LBB514_6:
	s_lshl_b64 s[0:1], s[0:1], 3
	v_lshlrev_b32_e32 v14, 6, v1
	s_add_u32 s0, s12, s0
	s_addc_u32 s1, s13, s1
	s_lshl_b64 s[14:15], s[14:15], 2
	s_load_dwordx2 s[12:13], s[0:1], 0x0
	s_clause 0x1
	s_load_dwordx2 s[8:9], s[4:5], 0x0
	s_load_dword s19, s[4:5], 0x78
	v_add_nc_u32_e32 v13, v14, v0
	v_cmp_gt_u32_e64 s0, 0x100, v13
	s_waitcnt lgkmcnt(0)
	s_add_u32 s12, s12, s14
	s_addc_u32 s13, s13, s15
	s_andn2_b32 vcc_lo, exec_lo, s2
	s_cbranch_vccnz .LBB514_13
; %bb.7:
	s_mov_b32 s1, 0
	s_mov_b32 s14, 0
                                        ; implicit-def: $vgpr3
                                        ; implicit-def: $vgpr4_vgpr5
	s_and_saveexec_b32 s2, s0
	s_cbranch_execz .LBB514_14
; %bb.8:
	v_lshl_or_b32 v2, s6, 8, v13
	v_mov_b32_e32 v3, 0
	s_ashr_i32 s15, s8, 31
	s_mov_b32 s14, s8
	s_mov_b32 s3, 0
	s_mov_b32 s0, exec_lo
                                        ; implicit-def: $vgpr4_vgpr5
	v_cmpx_gt_i64_e64 s[14:15], v[2:3]
	s_cbranch_execz .LBB514_12
; %bb.9:
	v_mad_u64_u32 v[4:5], null, s19, v2, 0
	s_ashr_i32 s3, s19, 31
	v_mad_u64_u32 v[5:6], null, s3, v2, v[5:6]
	v_cmp_eq_f32_e64 s3, s7, 0
	s_and_b32 vcc_lo, exec_lo, s3
	s_cbranch_vccnz .LBB514_11
; %bb.10:
	v_lshlrev_b64 v[2:3], 2, v[4:5]
	v_add_co_u32 v2, vcc_lo, s12, v2
	v_add_co_ci_u32_e64 v3, null, s13, v3, vcc_lo
	flat_load_dword v2, v[2:3]
	s_waitcnt vmcnt(0) lgkmcnt(0)
	v_mul_f32_e32 v3, s7, v2
.LBB514_11:
	s_mov_b32 s3, exec_lo
.LBB514_12:
	s_or_b32 exec_lo, exec_lo, s0
	s_and_b32 s14, s3, exec_lo
	s_or_b32 exec_lo, exec_lo, s2
	s_and_b32 vcc_lo, exec_lo, s1
	s_cbranch_vccnz .LBB514_15
	s_branch .LBB514_52
.LBB514_13:
	s_mov_b32 s14, 0
                                        ; implicit-def: $vgpr3
                                        ; implicit-def: $vgpr4_vgpr5
	s_cbranch_execnz .LBB514_15
	s_branch .LBB514_52
.LBB514_14:
	s_or_b32 exec_lo, exec_lo, s2
	s_and_b32 vcc_lo, exec_lo, s1
	s_cbranch_vccz .LBB514_52
.LBB514_15:
	s_clause 0x1
	s_load_dword s15, s[4:5], 0x28
	s_load_dword s4, s[4:5], 0x48
	s_ashr_i32 s0, s9, 31
	s_lshl_b32 s5, s6, 8
	s_lshr_b32 s0, s0, 26
	v_lshlrev_b32_e32 v20, 2, v1
	v_add_nc_u32_e32 v16, s5, v0
	v_mov_b32_e32 v19, 0
	v_mov_b32_e32 v18, 0
	;; [unrolled: 1-line block ×4, first 2 shown]
	s_add_i32 s0, s9, s0
	s_mov_b32 s20, exec_lo
	s_and_b32 s6, s0, 0xffffffc0
	v_cmpx_gt_i32_e64 s6, v20
	s_cbranch_execz .LBB514_27
; %bb.16:
	v_add_nc_u32_e32 v5, 0xc0, v16
	s_waitcnt lgkmcnt(0)
	v_mul_lo_u32 v3, s15, v20
	v_add_nc_u32_e32 v2, 64, v16
	v_add_nc_u32_e32 v6, 2, v20
	;; [unrolled: 1-line block ×3, first 2 shown]
	v_cmp_gt_i32_e64 s2, s8, v5
	v_mul_lo_u32 v5, v1, s15
	v_add_nc_u32_e32 v7, 3, v20
	v_mul_lo_u32 v8, v1, s4
	v_cmp_gt_i32_e64 s0, s8, v2
	v_add3_u32 v21, v3, s15, v0
	v_mad_u64_u32 v[2:3], null, s15, v6, v[0:1]
	v_cmp_gt_i32_e64 s1, s8, v4
	v_mad_u64_u32 v[3:4], null, s15, v7, v[0:1]
	v_lshl_add_u32 v22, v5, 2, v0
	v_mad_u64_u32 v[4:5], null, s4, v20, s[4:5]
	v_mul_lo_u32 v23, s4, v6
	v_mul_lo_u32 v24, s4, v7
	v_lshlrev_b32_e32 v25, 2, v8
	v_mov_b32_e32 v19, 0
	v_mov_b32_e32 v18, 0
	;; [unrolled: 1-line block ×4, first 2 shown]
	s_lshl_b32 s21, s15, 6
	s_lshl_b32 s23, s4, 6
	s_mov_b32 s22, 0
	s_mov_b32 s24, 0
	v_cmp_gt_i32_e32 vcc_lo, s8, v16
	s_branch .LBB514_21
.LBB514_17:                             ;   in Loop: Header=BB514_21 Depth=1
	s_or_b32 exec_lo, exec_lo, s27
	s_waitcnt vmcnt(3) lgkmcnt(3)
	v_fma_mix_f32 v5, v38, v42, v17 op_sel_hi:[0,1,0]
	s_waitcnt vmcnt(2) lgkmcnt(2)
	v_fma_mix_f32 v5, v39, v43, v5 op_sel_hi:[0,1,0]
	s_waitcnt vmcnt(1) lgkmcnt(1)
	v_fma_mix_f32 v5, v40, v44, v5 op_sel_hi:[0,1,0]
	s_waitcnt vmcnt(0) lgkmcnt(0)
	v_fma_mix_f32 v17, v41, v45, v5 op_sel_hi:[0,1,0]
.LBB514_18:                             ;   in Loop: Header=BB514_21 Depth=1
	s_or_b32 exec_lo, exec_lo, s26
	s_waitcnt vmcnt(3) lgkmcnt(3)
	v_fma_mix_f32 v5, v38, v34, v18 op_sel_hi:[0,1,0]
	s_waitcnt vmcnt(2) lgkmcnt(2)
	v_fma_mix_f32 v5, v39, v35, v5 op_sel_hi:[0,1,0]
	s_waitcnt vmcnt(1) lgkmcnt(1)
	v_fma_mix_f32 v5, v40, v36, v5 op_sel_hi:[0,1,0]
	s_waitcnt vmcnt(0) lgkmcnt(0)
	v_fma_mix_f32 v18, v41, v37, v5 op_sel_hi:[0,1,0]
.LBB514_19:                             ;   in Loop: Header=BB514_21 Depth=1
	s_or_b32 exec_lo, exec_lo, s3
	s_waitcnt vmcnt(3) lgkmcnt(3)
	v_fma_mix_f32 v5, v26, v30, v19 op_sel_hi:[1,1,0]
	s_waitcnt vmcnt(2) lgkmcnt(2)
	v_fma_mix_f32 v5, v27, v31, v5 op_sel_hi:[1,1,0]
	;; [unrolled: 2-line block ×4, first 2 shown]
.LBB514_20:                             ;   in Loop: Header=BB514_21 Depth=1
	s_or_b32 exec_lo, exec_lo, s25
	v_add_nc_u32_e32 v20, 64, v20
	v_add_nc_u32_e32 v21, s21, v21
	;; [unrolled: 1-line block ×5, first 2 shown]
	v_cmp_le_i32_e64 s3, s6, v20
	s_add_i32 s24, s24, s23
	s_or_b32 s22, s3, s22
	s_andn2_b32 exec_lo, exec_lo, s22
	s_cbranch_execz .LBB514_26
.LBB514_21:                             ; =>This Inner Loop Header: Depth=1
	s_and_saveexec_b32 s25, vcc_lo
	s_cbranch_execz .LBB514_20
; %bb.22:                               ;   in Loop: Header=BB514_21 Depth=1
	v_add_nc_u32_e32 v5, s24, v25
	v_add_nc_u32_e32 v7, s24, v4
	;; [unrolled: 1-line block ×5, first 2 shown]
	v_ashrrev_i32_e32 v6, 31, v5
	v_ashrrev_i32_e32 v8, 31, v7
	;; [unrolled: 1-line block ×5, first 2 shown]
	v_lshlrev_b64 v[5:6], 1, v[5:6]
	v_lshlrev_b64 v[7:8], 1, v[7:8]
	;; [unrolled: 1-line block ×3, first 2 shown]
	v_add_co_u32 v28, s3, s16, v5
	v_add_co_ci_u32_e64 v29, null, s17, v6, s3
	v_add_co_u32 v30, s3, s16, v7
	v_add_nc_u32_e32 v7, s5, v21
	v_add_co_ci_u32_e64 v31, null, s17, v8, s3
	v_lshlrev_b64 v[5:6], 1, v[11:12]
	v_add_co_u32 v32, s3, s16, v9
	v_add_nc_u32_e32 v11, s5, v2
	v_add_co_ci_u32_e64 v33, null, s17, v10, s3
	v_lshlrev_b64 v[9:10], 1, v[26:27]
	v_add_nc_u32_e32 v26, s5, v3
	v_ashrrev_i32_e32 v8, 31, v7
	v_ashrrev_i32_e32 v12, 31, v11
	v_add_co_u32 v34, s3, s16, v5
	v_ashrrev_i32_e32 v27, 31, v26
	v_add_co_ci_u32_e64 v35, null, s17, v6, s3
	v_lshlrev_b64 v[7:8], 1, v[7:8]
	v_add_co_u32 v5, s3, s10, v9
	v_add_co_ci_u32_e64 v6, null, s11, v10, s3
	v_lshlrev_b64 v[9:10], 1, v[11:12]
	v_lshlrev_b64 v[11:12], 1, v[26:27]
	v_add_co_u32 v7, s3, s10, v7
	v_add_co_ci_u32_e64 v8, null, s11, v8, s3
	v_add_co_u32 v9, s3, s10, v9
	v_add_co_ci_u32_e64 v10, null, s11, v10, s3
	;; [unrolled: 2-line block ×3, first 2 shown]
	s_clause 0x3
	flat_load_ushort v26, v[28:29]
	flat_load_ushort v27, v[30:31]
	;; [unrolled: 1-line block ×4, first 2 shown]
	s_clause 0x3
	flat_load_ushort v30, v[5:6]
	flat_load_ushort v31, v[7:8]
	;; [unrolled: 1-line block ×4, first 2 shown]
	s_and_saveexec_b32 s3, s0
	s_cbranch_execz .LBB514_19
; %bb.23:                               ;   in Loop: Header=BB514_21 Depth=1
	s_clause 0x3
	flat_load_ushort v34, v[5:6] offset:128
	flat_load_ushort v35, v[7:8] offset:128
	;; [unrolled: 1-line block ×4, first 2 shown]
	s_waitcnt vmcnt(11) lgkmcnt(11)
	v_cvt_f32_f16_e32 v38, v26
	s_waitcnt vmcnt(10) lgkmcnt(10)
	v_cvt_f32_f16_e32 v39, v27
	;; [unrolled: 2-line block ×4, first 2 shown]
	s_and_saveexec_b32 s26, s1
	s_cbranch_execz .LBB514_18
; %bb.24:                               ;   in Loop: Header=BB514_21 Depth=1
	s_clause 0x3
	flat_load_ushort v42, v[5:6] offset:256
	flat_load_ushort v43, v[7:8] offset:256
	;; [unrolled: 1-line block ×4, first 2 shown]
	s_and_saveexec_b32 s27, s2
	s_cbranch_execz .LBB514_17
; %bb.25:                               ;   in Loop: Header=BB514_21 Depth=1
	s_clause 0x3
	flat_load_ushort v5, v[5:6] offset:384
	flat_load_ushort v6, v[7:8] offset:384
	;; [unrolled: 1-line block ×4, first 2 shown]
	s_waitcnt vmcnt(3) lgkmcnt(3)
	v_fma_mix_f32 v5, v38, v5, v15 op_sel_hi:[0,1,0]
	s_waitcnt vmcnt(2) lgkmcnt(2)
	v_fma_mix_f32 v5, v39, v6, v5 op_sel_hi:[0,1,0]
	;; [unrolled: 2-line block ×4, first 2 shown]
	s_branch .LBB514_17
.LBB514_26:
	s_or_b32 exec_lo, exec_lo, s22
.LBB514_27:
	s_or_b32 exec_lo, exec_lo, s20
	s_sub_i32 s0, s9, s6
	s_cmp_lt_i32 s0, 1
	s_cbranch_scc1 .LBB514_45
; %bb.28:
	v_cmp_gt_i32_e32 vcc_lo, s9, v20
	v_mov_b32_e32 v10, 0
	v_or_b32_e32 v2, 1, v20
	v_mov_b32_e32 v11, 0
	v_mov_b32_e32 v12, 0
	;; [unrolled: 1-line block ×3, first 2 shown]
	s_and_saveexec_b32 s1, vcc_lo
	s_cbranch_execz .LBB514_36
; %bb.29:
	s_waitcnt lgkmcnt(0)
	v_mul_lo_u32 v3, v20, s4
	v_mov_b32_e32 v12, 0
	v_mov_b32_e32 v11, 0
	;; [unrolled: 1-line block ×3, first 2 shown]
	s_mov_b32 s2, exec_lo
	v_ashrrev_i32_e32 v4, 31, v3
	v_lshlrev_b64 v[3:4], 1, v[3:4]
	v_add_co_u32 v3, s0, s16, v3
	v_add_co_ci_u32_e64 v4, null, s17, v4, s0
	flat_load_ushort v3, v[3:4]
	v_cmpx_gt_i32_e64 s9, v2
	s_cbranch_execz .LBB514_35
; %bb.30:
	v_mul_lo_u32 v4, v2, s4
	v_mov_b32_e32 v11, 0
	v_mov_b32_e32 v10, 0
	s_mov_b32 s3, exec_lo
	v_ashrrev_i32_e32 v5, 31, v4
	v_lshlrev_b64 v[4:5], 1, v[4:5]
	v_add_co_u32 v4, s0, s16, v4
	v_add_co_ci_u32_e64 v5, null, s17, v5, s0
	flat_load_ushort v4, v[4:5]
	v_or_b32_e32 v5, 2, v20
	v_cmpx_gt_i32_e64 s9, v5
	s_cbranch_execz .LBB514_34
; %bb.31:
	v_mul_lo_u32 v5, v5, s4
	v_mov_b32_e32 v10, 0
	s_mov_b32 s6, exec_lo
	v_ashrrev_i32_e32 v6, 31, v5
	v_lshlrev_b64 v[5:6], 1, v[5:6]
	v_add_co_u32 v5, s0, s16, v5
	v_add_co_ci_u32_e64 v6, null, s17, v6, s0
	flat_load_ushort v5, v[5:6]
	v_or_b32_e32 v6, 3, v20
	v_cmpx_gt_i32_e64 s9, v6
	s_cbranch_execz .LBB514_33
; %bb.32:
	v_mul_lo_u32 v6, v6, s4
	v_ashrrev_i32_e32 v7, 31, v6
	v_lshlrev_b64 v[6:7], 1, v[6:7]
	v_add_co_u32 v6, s0, s16, v6
	v_add_co_ci_u32_e64 v7, null, s17, v7, s0
	flat_load_ushort v6, v[6:7]
	s_waitcnt vmcnt(0) lgkmcnt(0)
	v_cvt_f32_f16_e32 v10, v6
.LBB514_33:
	s_or_b32 exec_lo, exec_lo, s6
	s_waitcnt vmcnt(0) lgkmcnt(0)
	v_cvt_f32_f16_e32 v11, v5
.LBB514_34:
	s_or_b32 exec_lo, exec_lo, s3
	s_waitcnt vmcnt(0) lgkmcnt(0)
	v_cvt_f32_f16_e32 v12, v4
.LBB514_35:
	s_or_b32 exec_lo, exec_lo, s2
	s_waitcnt vmcnt(0) lgkmcnt(0)
	v_cvt_f32_f16_e32 v21, v3
.LBB514_36:
	s_or_b32 exec_lo, exec_lo, s1
	s_mov_b32 s1, exec_lo
	v_cmpx_gt_i32_e64 s8, v16
	s_cbranch_execz .LBB514_44
; %bb.37:
	s_waitcnt lgkmcnt(0)
	v_mul_lo_u32 v3, v20, s15
	v_or_b32_e32 v4, 2, v20
	v_mul_lo_u32 v5, v2, s15
	v_or_b32_e32 v6, 3, v20
	s_mov_b32 s0, exec_lo
	v_mul_lo_u32 v7, v4, s15
	v_mul_lo_u32 v8, v6, s15
	v_cndmask_b32_e32 v3, 0, v3, vcc_lo
	v_cmp_gt_i32_e32 vcc_lo, s9, v2
	v_add_nc_u32_e32 v2, v3, v16
	v_cndmask_b32_e32 v5, 0, v5, vcc_lo
	v_cmp_gt_i32_e32 vcc_lo, s9, v4
	v_ashrrev_i32_e32 v3, 31, v2
	v_add_nc_u32_e32 v4, v5, v16
	v_cndmask_b32_e32 v7, 0, v7, vcc_lo
	v_cmp_gt_i32_e32 vcc_lo, s9, v6
	v_lshlrev_b64 v[2:3], 1, v[2:3]
	v_ashrrev_i32_e32 v5, 31, v4
	v_add_nc_u32_e32 v6, v7, v16
	v_cndmask_b32_e32 v8, 0, v8, vcc_lo
	v_lshlrev_b64 v[4:5], 1, v[4:5]
	v_ashrrev_i32_e32 v7, 31, v6
	v_add_nc_u32_e32 v8, v8, v16
	v_add_co_u32 v2, vcc_lo, s10, v2
	v_add_co_ci_u32_e64 v3, null, s11, v3, vcc_lo
	v_lshlrev_b64 v[6:7], 1, v[6:7]
	v_ashrrev_i32_e32 v9, 31, v8
	v_add_co_u32 v4, vcc_lo, s10, v4
	v_add_co_ci_u32_e64 v5, null, s11, v5, vcc_lo
	flat_load_ushort v22, v[2:3]
	v_add_co_u32 v6, vcc_lo, s10, v6
	v_add_co_ci_u32_e64 v7, null, s11, v7, vcc_lo
	v_lshlrev_b64 v[8:9], 1, v[8:9]
	s_clause 0x1
	flat_load_ushort v23, v[4:5]
	flat_load_ushort v24, v[6:7]
	v_add_co_u32 v8, vcc_lo, s10, v8
	v_add_co_ci_u32_e64 v9, null, s11, v9, vcc_lo
	flat_load_ushort v20, v[8:9]
	s_waitcnt vmcnt(3) lgkmcnt(3)
	v_fma_mix_f32 v19, v21, v22, v19 op_sel_hi:[0,1,0]
	v_add_nc_u32_e32 v22, 64, v16
	s_waitcnt vmcnt(2) lgkmcnt(2)
	v_fma_mix_f32 v19, v12, v23, v19 op_sel_hi:[0,1,0]
	s_waitcnt vmcnt(1) lgkmcnt(1)
	v_fma_mix_f32 v19, v11, v24, v19 op_sel_hi:[0,1,0]
	v_cmpx_gt_i32_e64 s8, v22
	s_cbranch_execz .LBB514_43
; %bb.38:
	s_clause 0x3
	flat_load_ushort v23, v[2:3] offset:128
	flat_load_ushort v24, v[4:5] offset:128
	;; [unrolled: 1-line block ×4, first 2 shown]
	s_mov_b32 s2, exec_lo
	s_waitcnt vmcnt(3) lgkmcnt(3)
	v_fma_mix_f32 v18, v21, v23, v18 op_sel_hi:[0,1,0]
	v_add_nc_u32_e32 v23, 0x80, v16
	s_waitcnt vmcnt(2) lgkmcnt(2)
	v_fma_mix_f32 v18, v12, v24, v18 op_sel_hi:[0,1,0]
	s_waitcnt vmcnt(1) lgkmcnt(1)
	v_fma_mix_f32 v18, v11, v25, v18 op_sel_hi:[0,1,0]
	v_cmpx_gt_i32_e64 s8, v23
	s_cbranch_execz .LBB514_42
; %bb.39:
	s_clause 0x3
	flat_load_ushort v24, v[2:3] offset:256
	flat_load_ushort v25, v[4:5] offset:256
	;; [unrolled: 1-line block ×4, first 2 shown]
	s_mov_b32 s3, exec_lo
	s_waitcnt vmcnt(3) lgkmcnt(3)
	v_fma_mix_f32 v17, v21, v24, v17 op_sel_hi:[0,1,0]
	v_add_nc_u32_e32 v24, 0xc0, v16
	s_waitcnt vmcnt(2) lgkmcnt(2)
	v_fma_mix_f32 v17, v12, v25, v17 op_sel_hi:[0,1,0]
	s_waitcnt vmcnt(1) lgkmcnt(1)
	v_fma_mix_f32 v16, v11, v26, v17 op_sel_hi:[0,1,0]
	v_cmpx_gt_i32_e64 s8, v24
	s_cbranch_execz .LBB514_41
; %bb.40:
	s_clause 0x3
	flat_load_ushort v2, v[2:3] offset:384
	flat_load_ushort v3, v[4:5] offset:384
	;; [unrolled: 1-line block ×4, first 2 shown]
	s_waitcnt vmcnt(3) lgkmcnt(3)
	v_fma_mix_f32 v2, v21, v2, v15 op_sel_hi:[0,1,0]
	s_waitcnt vmcnt(2) lgkmcnt(2)
	v_fma_mix_f32 v2, v12, v3, v2 op_sel_hi:[0,1,0]
	;; [unrolled: 2-line block ×4, first 2 shown]
.LBB514_41:
	s_or_b32 exec_lo, exec_lo, s3
	s_waitcnt vmcnt(0) lgkmcnt(0)
	v_fma_mix_f32 v17, v10, v23, v16 op_sel_hi:[0,1,0]
.LBB514_42:
	s_or_b32 exec_lo, exec_lo, s2
	s_waitcnt vmcnt(0) lgkmcnt(0)
	v_fma_mix_f32 v18, v10, v22, v18 op_sel_hi:[0,1,0]
.LBB514_43:
	s_or_b32 exec_lo, exec_lo, s0
	s_waitcnt vmcnt(0) lgkmcnt(0)
	v_fma_mix_f32 v19, v10, v20, v19 op_sel_hi:[0,1,0]
.LBB514_44:
	s_or_b32 exec_lo, exec_lo, s1
.LBB514_45:
	v_lshlrev_b32_e32 v0, 2, v0
	s_mov_b32 s0, exec_lo
                                        ; implicit-def: $vgpr3
                                        ; implicit-def: $vgpr4_vgpr5
	v_lshl_add_u32 v1, v1, 10, v0
	ds_write2st64_b32 v1, v19, v18 offset1:1
	ds_write2st64_b32 v1, v17, v15 offset0:2 offset1:3
	s_waitcnt lgkmcnt(0)
	s_barrier
	buffer_gl0_inv
	v_cmpx_gt_u32_e32 0x100, v13
	s_cbranch_execz .LBB514_51
; %bb.46:
	v_lshl_add_u32 v6, v14, 2, v0
	s_mov_b32 s2, s14
	s_mov_b32 s1, exec_lo
	ds_read2st64_b32 v[0:1], v6 offset1:4
	ds_read2st64_b32 v[2:3], v6 offset0:8 offset1:12
	ds_read2st64_b32 v[4:5], v6 offset0:16 offset1:20
	s_waitcnt lgkmcnt(2)
	v_add_f32_e32 v7, v0, v1
	ds_read2st64_b32 v[0:1], v6 offset0:24 offset1:28
	s_waitcnt lgkmcnt(2)
	v_add_f32_e32 v2, v2, v7
	v_add_f32_e32 v7, v3, v2
	ds_read2st64_b32 v[2:3], v6 offset0:32 offset1:36
	s_waitcnt lgkmcnt(2)
	v_add_f32_e32 v4, v4, v7
	;; [unrolled: 4-line block ×3, first 2 shown]
	v_add_f32_e32 v0, v1, v0
	s_waitcnt lgkmcnt(1)
	v_add_f32_e32 v2, v2, v0
	ds_read2st64_b32 v[0:1], v6 offset0:48 offset1:52
	v_add_f32_e32 v2, v3, v2
	s_waitcnt lgkmcnt(1)
	v_add_f32_e32 v4, v4, v2
	ds_read2st64_b32 v[2:3], v6 offset0:56 offset1:60
	v_add_f32_e32 v4, v5, v4
	s_waitcnt lgkmcnt(1)
	v_add_f32_e32 v0, v0, v4
                                        ; implicit-def: $vgpr4_vgpr5
	v_add_f32_e32 v0, v1, v0
	v_or_b32_e32 v1, s5, v13
	s_waitcnt lgkmcnt(0)
	v_add_f32_e32 v0, v2, v0
	v_add_f32_e32 v0, v3, v0
                                        ; implicit-def: $vgpr3
	ds_write_b32 v6, v0
	v_cmpx_gt_i32_e64 s8, v1
	s_cbranch_execz .LBB514_50
; %bb.47:
	v_mul_lo_u32 v4, s19, v1
	v_cmp_eq_f32_e64 s2, s7, 0
	v_mul_f32_e32 v3, s18, v0
	s_and_b32 vcc_lo, exec_lo, s2
	v_ashrrev_i32_e32 v5, 31, v4
	s_cbranch_vccnz .LBB514_49
; %bb.48:
	v_lshlrev_b64 v[0:1], 2, v[4:5]
	v_add_co_u32 v0, vcc_lo, s12, v0
	v_add_co_ci_u32_e64 v1, null, s13, v1, vcc_lo
	flat_load_dword v0, v[0:1]
	s_waitcnt vmcnt(0) lgkmcnt(0)
	v_fmac_f32_e32 v3, s7, v0
.LBB514_49:
	s_or_b32 s2, s14, exec_lo
.LBB514_50:
	s_or_b32 exec_lo, exec_lo, s1
	s_andn2_b32 s1, s14, exec_lo
	s_and_b32 s2, s2, exec_lo
	s_or_b32 s14, s1, s2
.LBB514_51:
	s_or_b32 exec_lo, exec_lo, s0
.LBB514_52:
	s_and_saveexec_b32 s0, s14
	s_cbranch_execz .LBB514_54
; %bb.53:
	v_lshlrev_b64 v[0:1], 2, v[4:5]
	v_add_co_u32 v0, vcc_lo, s12, v0
	v_add_co_ci_u32_e64 v1, null, s13, v1, vcc_lo
	flat_store_dword v[0:1], v3
.LBB514_54:
	s_endpgm
	.section	.rodata,"a",@progbits
	.p2align	6, 0x0
	.amdhsa_kernel _ZL20rocblas_gemvn_kernelILi64ELi16EiPKDF16_PKfKPfEviiT3_lPKT2_lT1_lS9_lSA_lS6_lPT4_lSA_li
		.amdhsa_group_segment_fixed_size 16384
		.amdhsa_private_segment_fixed_size 0
		.amdhsa_kernarg_size 400
		.amdhsa_user_sgpr_count 6
		.amdhsa_user_sgpr_private_segment_buffer 1
		.amdhsa_user_sgpr_dispatch_ptr 0
		.amdhsa_user_sgpr_queue_ptr 0
		.amdhsa_user_sgpr_kernarg_segment_ptr 1
		.amdhsa_user_sgpr_dispatch_id 0
		.amdhsa_user_sgpr_flat_scratch_init 0
		.amdhsa_user_sgpr_private_segment_size 0
		.amdhsa_wavefront_size32 1
		.amdhsa_uses_dynamic_stack 0
		.amdhsa_system_sgpr_private_segment_wavefront_offset 0
		.amdhsa_system_sgpr_workgroup_id_x 1
		.amdhsa_system_sgpr_workgroup_id_y 0
		.amdhsa_system_sgpr_workgroup_id_z 1
		.amdhsa_system_sgpr_workgroup_info 0
		.amdhsa_system_vgpr_workitem_id 1
		.amdhsa_next_free_vgpr 46
		.amdhsa_next_free_sgpr 28
		.amdhsa_reserve_vcc 1
		.amdhsa_reserve_flat_scratch 1
		.amdhsa_float_round_mode_32 0
		.amdhsa_float_round_mode_16_64 0
		.amdhsa_float_denorm_mode_32 3
		.amdhsa_float_denorm_mode_16_64 3
		.amdhsa_dx10_clamp 1
		.amdhsa_ieee_mode 1
		.amdhsa_fp16_overflow 0
		.amdhsa_workgroup_processor_mode 1
		.amdhsa_memory_ordered 1
		.amdhsa_forward_progress 1
		.amdhsa_shared_vgpr_count 0
		.amdhsa_exception_fp_ieee_invalid_op 0
		.amdhsa_exception_fp_denorm_src 0
		.amdhsa_exception_fp_ieee_div_zero 0
		.amdhsa_exception_fp_ieee_overflow 0
		.amdhsa_exception_fp_ieee_underflow 0
		.amdhsa_exception_fp_ieee_inexact 0
		.amdhsa_exception_int_div_zero 0
	.end_amdhsa_kernel
	.section	.text._ZL20rocblas_gemvn_kernelILi64ELi16EiPKDF16_PKfKPfEviiT3_lPKT2_lT1_lS9_lSA_lS6_lPT4_lSA_li,"axG",@progbits,_ZL20rocblas_gemvn_kernelILi64ELi16EiPKDF16_PKfKPfEviiT3_lPKT2_lT1_lS9_lSA_lS6_lPT4_lSA_li,comdat
.Lfunc_end514:
	.size	_ZL20rocblas_gemvn_kernelILi64ELi16EiPKDF16_PKfKPfEviiT3_lPKT2_lT1_lS9_lSA_lS6_lPT4_lSA_li, .Lfunc_end514-_ZL20rocblas_gemvn_kernelILi64ELi16EiPKDF16_PKfKPfEviiT3_lPKT2_lT1_lS9_lSA_lS6_lPT4_lSA_li
                                        ; -- End function
	.set _ZL20rocblas_gemvn_kernelILi64ELi16EiPKDF16_PKfKPfEviiT3_lPKT2_lT1_lS9_lSA_lS6_lPT4_lSA_li.num_vgpr, 46
	.set _ZL20rocblas_gemvn_kernelILi64ELi16EiPKDF16_PKfKPfEviiT3_lPKT2_lT1_lS9_lSA_lS6_lPT4_lSA_li.num_agpr, 0
	.set _ZL20rocblas_gemvn_kernelILi64ELi16EiPKDF16_PKfKPfEviiT3_lPKT2_lT1_lS9_lSA_lS6_lPT4_lSA_li.numbered_sgpr, 28
	.set _ZL20rocblas_gemvn_kernelILi64ELi16EiPKDF16_PKfKPfEviiT3_lPKT2_lT1_lS9_lSA_lS6_lPT4_lSA_li.num_named_barrier, 0
	.set _ZL20rocblas_gemvn_kernelILi64ELi16EiPKDF16_PKfKPfEviiT3_lPKT2_lT1_lS9_lSA_lS6_lPT4_lSA_li.private_seg_size, 0
	.set _ZL20rocblas_gemvn_kernelILi64ELi16EiPKDF16_PKfKPfEviiT3_lPKT2_lT1_lS9_lSA_lS6_lPT4_lSA_li.uses_vcc, 1
	.set _ZL20rocblas_gemvn_kernelILi64ELi16EiPKDF16_PKfKPfEviiT3_lPKT2_lT1_lS9_lSA_lS6_lPT4_lSA_li.uses_flat_scratch, 1
	.set _ZL20rocblas_gemvn_kernelILi64ELi16EiPKDF16_PKfKPfEviiT3_lPKT2_lT1_lS9_lSA_lS6_lPT4_lSA_li.has_dyn_sized_stack, 0
	.set _ZL20rocblas_gemvn_kernelILi64ELi16EiPKDF16_PKfKPfEviiT3_lPKT2_lT1_lS9_lSA_lS6_lPT4_lSA_li.has_recursion, 0
	.set _ZL20rocblas_gemvn_kernelILi64ELi16EiPKDF16_PKfKPfEviiT3_lPKT2_lT1_lS9_lSA_lS6_lPT4_lSA_li.has_indirect_call, 0
	.section	.AMDGPU.csdata,"",@progbits
; Kernel info:
; codeLenInByte = 2980
; TotalNumSgprs: 30
; NumVgprs: 46
; ScratchSize: 0
; MemoryBound: 0
; FloatMode: 240
; IeeeMode: 1
; LDSByteSize: 16384 bytes/workgroup (compile time only)
; SGPRBlocks: 0
; VGPRBlocks: 5
; NumSGPRsForWavesPerEU: 30
; NumVGPRsForWavesPerEU: 46
; Occupancy: 16
; WaveLimiterHint : 1
; COMPUTE_PGM_RSRC2:SCRATCH_EN: 0
; COMPUTE_PGM_RSRC2:USER_SGPR: 6
; COMPUTE_PGM_RSRC2:TRAP_HANDLER: 0
; COMPUTE_PGM_RSRC2:TGID_X_EN: 1
; COMPUTE_PGM_RSRC2:TGID_Y_EN: 0
; COMPUTE_PGM_RSRC2:TGID_Z_EN: 1
; COMPUTE_PGM_RSRC2:TIDIG_COMP_CNT: 1
	.section	.text._ZL20rocblas_gemvn_kernelILi64ELi16ElPKDF16_PKfKPfEviiT3_lPKT2_lT1_lS9_lSA_lS6_lPT4_lSA_li,"axG",@progbits,_ZL20rocblas_gemvn_kernelILi64ELi16ElPKDF16_PKfKPfEviiT3_lPKT2_lT1_lS9_lSA_lS6_lPT4_lSA_li,comdat
	.globl	_ZL20rocblas_gemvn_kernelILi64ELi16ElPKDF16_PKfKPfEviiT3_lPKT2_lT1_lS9_lSA_lS6_lPT4_lSA_li ; -- Begin function _ZL20rocblas_gemvn_kernelILi64ELi16ElPKDF16_PKfKPfEviiT3_lPKT2_lT1_lS9_lSA_lS6_lPT4_lSA_li
	.p2align	8
	.type	_ZL20rocblas_gemvn_kernelILi64ELi16ElPKDF16_PKfKPfEviiT3_lPKT2_lT1_lS9_lSA_lS6_lPT4_lSA_li,@function
_ZL20rocblas_gemvn_kernelILi64ELi16ElPKDF16_PKfKPfEviiT3_lPKT2_lT1_lS9_lSA_lS6_lPT4_lSA_li: ; @_ZL20rocblas_gemvn_kernelILi64ELi16ElPKDF16_PKfKPfEviiT3_lPKT2_lT1_lS9_lSA_lS6_lPT4_lSA_li
; %bb.0:
	s_load_dwordx2 s[0:1], s[4:5], 0x9c
	s_waitcnt lgkmcnt(0)
	s_lshr_b32 s2, s0, 16
	s_and_b32 s0, s0, 0xffff
	s_and_b32 s1, s1, 0xffff
	s_mul_i32 s0, s2, s0
	s_mul_i32 s0, s0, s1
	s_cmpk_lg_i32 s0, 0x400
	s_cbranch_scc1 .LBB515_54
; %bb.1:
	s_clause 0x1
	s_load_dwordx8 s[16:23], s[4:5], 0x8
	s_load_dwordx8 s[8:15], s[4:5], 0x58
	s_mov_b32 s26, s7
	s_mov_b32 s27, 0
	s_waitcnt lgkmcnt(0)
	s_mul_i32 s1, s19, s7
	s_mul_hi_u32 s2, s18, s7
	s_mul_i32 s0, s18, s7
	s_add_i32 s1, s2, s1
	s_mul_i32 s2, s11, s7
	s_lshl_b64 s[0:1], s[0:1], 2
	s_mul_hi_u32 s3, s10, s7
	s_add_u32 s0, s16, s0
	s_addc_u32 s1, s17, s1
	s_add_i32 s3, s3, s2
	s_mul_i32 s2, s10, s7
	s_lshl_b64 s[2:3], s[2:3], 2
	s_add_u32 s2, s8, s2
	s_addc_u32 s3, s9, s3
	s_load_dword s29, s[0:1], 0x0
	s_load_dword s28, s[2:3], 0x0
	s_waitcnt lgkmcnt(0)
	v_cmp_eq_f32_e64 s7, s29, 0
	v_cmp_eq_f32_e64 s0, s28, 1.0
	s_and_b32 s0, s7, s0
	s_and_b32 vcc_lo, exec_lo, s0
	s_cbranch_vccnz .LBB515_54
; %bb.2:
	s_clause 0x1
	s_load_dwordx2 s[16:17], s[4:5], 0x28
	s_load_dwordx2 s[8:9], s[4:5], 0x78
	v_cmp_neq_f32_e64 s10, s29, 0
	s_mov_b64 s[24:25], 0
	s_and_b32 vcc_lo, exec_lo, s7
	s_mov_b64 s[18:19], 0
	s_cbranch_vccnz .LBB515_4
; %bb.3:
	s_lshl_b64 s[0:1], s[26:27], 3
	s_add_u32 s0, s20, s0
	s_addc_u32 s1, s21, s1
	s_lshl_b64 s[2:3], s[22:23], 1
	s_load_dwordx2 s[0:1], s[0:1], 0x0
	s_waitcnt lgkmcnt(0)
	s_add_u32 s18, s0, s2
	s_addc_u32 s19, s1, s3
.LBB515_4:
	s_clause 0x1
	s_load_dwordx4 s[0:3], s[4:5], 0x38
	s_load_dwordx2 s[20:21], s[4:5], 0x48
	s_andn2_b32 vcc_lo, exec_lo, s10
	s_cbranch_vccnz .LBB515_6
; %bb.5:
	s_lshl_b64 s[10:11], s[26:27], 3
	s_waitcnt lgkmcnt(0)
	s_add_u32 s0, s0, s10
	s_addc_u32 s1, s1, s11
	s_lshl_b64 s[2:3], s[2:3], 1
	s_load_dwordx2 s[0:1], s[0:1], 0x0
	s_waitcnt lgkmcnt(0)
	s_add_u32 s24, s0, s2
	s_addc_u32 s25, s1, s3
.LBB515_6:
	s_waitcnt lgkmcnt(0)
	s_lshl_b64 s[0:1], s[26:27], 3
	v_lshlrev_b32_e32 v22, 6, v1
	s_add_u32 s0, s12, s0
	s_addc_u32 s1, s13, s1
	s_lshl_b64 s[12:13], s[14:15], 2
	s_load_dwordx2 s[2:3], s[0:1], 0x0
	s_load_dwordx2 s[10:11], s[4:5], 0x0
	v_add_nc_u32_e32 v21, v22, v0
	v_cmp_gt_u32_e64 s0, 0x100, v21
	s_waitcnt lgkmcnt(0)
	s_add_u32 s5, s2, s12
	s_addc_u32 s22, s3, s13
	s_andn2_b32 vcc_lo, exec_lo, s7
	s_cbranch_vccnz .LBB515_13
; %bb.7:
	s_mov_b32 s1, 0
	s_mov_b32 s23, 0
                                        ; implicit-def: $vgpr3
                                        ; implicit-def: $vgpr4_vgpr5
	s_and_saveexec_b32 s2, s0
	s_cbranch_execz .LBB515_14
; %bb.8:
	v_lshl_or_b32 v2, s6, 8, v21
	v_mov_b32_e32 v3, 0
	s_ashr_i32 s13, s10, 31
	s_mov_b32 s12, s10
	s_mov_b32 s3, 0
	s_mov_b32 s0, exec_lo
                                        ; implicit-def: $vgpr4_vgpr5
	v_cmpx_gt_i64_e64 s[12:13], v[2:3]
	s_cbranch_execz .LBB515_12
; %bb.9:
	v_mad_u64_u32 v[4:5], null, s8, v2, 0
	v_cmp_eq_f32_e64 s3, s28, 0
	s_and_b32 vcc_lo, exec_lo, s3
	v_mad_u64_u32 v[5:6], null, s9, v2, v[5:6]
	s_cbranch_vccnz .LBB515_11
; %bb.10:
	v_lshlrev_b64 v[2:3], 2, v[4:5]
	v_add_co_u32 v2, vcc_lo, s5, v2
	v_add_co_ci_u32_e64 v3, null, s22, v3, vcc_lo
	flat_load_dword v2, v[2:3]
	s_waitcnt vmcnt(0) lgkmcnt(0)
	v_mul_f32_e32 v3, s28, v2
.LBB515_11:
	s_mov_b32 s3, exec_lo
.LBB515_12:
	s_or_b32 exec_lo, exec_lo, s0
	s_and_b32 s23, s3, exec_lo
	s_or_b32 exec_lo, exec_lo, s2
	s_and_b32 vcc_lo, exec_lo, s1
	s_cbranch_vccnz .LBB515_15
	s_branch .LBB515_52
.LBB515_13:
	s_mov_b32 s23, 0
                                        ; implicit-def: $vgpr3
                                        ; implicit-def: $vgpr4_vgpr5
	s_cbranch_execnz .LBB515_15
	s_branch .LBB515_52
.LBB515_14:
	s_or_b32 exec_lo, exec_lo, s2
	s_and_b32 vcc_lo, exec_lo, s1
	s_cbranch_vccz .LBB515_52
.LBB515_15:
	s_ashr_i32 s0, s11, 31
	s_lshl_b32 s26, s6, 8
	s_lshr_b32 s0, s0, 26
	v_lshlrev_b32_e32 v24, 2, v1
	v_mov_b32_e32 v27, 0
	v_add_nc_u32_e32 v2, s26, v0
	v_mov_b32_e32 v26, 0
	v_mov_b32_e32 v25, 0
	;; [unrolled: 1-line block ×3, first 2 shown]
	s_add_i32 s27, s11, s0
	s_mov_b32 s30, exec_lo
	s_andn2_b32 s27, s27, 63
	v_cmpx_gt_i32_e64 s27, v24
	s_cbranch_execz .LBB515_27
; %bb.16:
	v_lshlrev_b32_e32 v23, 2, v1
	v_add_nc_u32_e32 v4, 64, v2
	v_mad_u64_u32 v[7:8], null, s20, v1, 0
	v_mad_u64_u32 v[9:10], null, s16, v1, 0
	v_or_b32_e32 v27, 3, v23
	v_add_nc_u32_e32 v11, 0x80, v2
	v_add_nc_u32_e32 v12, 0xc0, v2
	v_cmp_gt_i32_e64 s0, s10, v4
	v_or_b32_e32 v32, 2, v23
	v_mad_u64_u32 v[5:6], null, s16, v27, 0
	v_cmp_gt_i32_e64 s1, s10, v11
	v_cmp_gt_i32_e64 s2, s10, v12
	v_mad_u64_u32 v[16:17], null, s16, v32, 0
	v_mad_u64_u32 v[18:19], null, s20, v27, 0
	v_mov_b32_e32 v4, v6
	v_mov_b32_e32 v6, v8
	v_mov_b32_e32 v8, v10
	v_ashrrev_i32_e32 v3, 31, v2
	s_lshl_b64 s[6:7], s[16:17], 7
	v_mad_u64_u32 v[11:12], null, s17, v27, v[4:5]
	v_mad_u64_u32 v[12:13], null, s21, v1, v[6:7]
	v_mad_u64_u32 v[13:14], null, s17, v1, v[8:9]
	v_mad_u64_u32 v[14:15], null, s20, v23, s[20:21]
	v_mov_b32_e32 v6, v11
	v_lshlrev_b64 v[3:4], 1, v[2:3]
	v_mov_b32_e32 v8, v12
	s_lshl_b64 s[12:13], s[20:21], 7
	v_mov_b32_e32 v10, v13
	v_lshlrev_b64 v[11:12], 1, v[5:6]
	s_mov_b32 s31, 0
	v_lshlrev_b64 v[5:6], 3, v[7:8]
	v_mov_b32_e32 v7, v17
	v_mov_b32_e32 v8, v15
	v_lshlrev_b64 v[9:10], 3, v[9:10]
	v_add_co_u32 v28, s3, s18, v11
	v_add_co_ci_u32_e64 v29, null, s19, v12, s3
	v_mad_u64_u32 v[11:12], null, s16, v23, s[16:17]
	v_mad_u64_u32 v[25:26], null, s17, v32, v[7:8]
	v_mov_b32_e32 v7, v19
	v_mad_u64_u32 v[19:20], null, s21, v23, v[8:9]
	v_add_co_u32 v30, s3, s18, v9
	v_mad_u64_u32 v[7:8], null, s21, v27, v[7:8]
	v_mov_b32_e32 v8, v12
	v_mov_b32_e32 v17, v25
	v_mad_u64_u32 v[25:26], null, s20, v32, 0
	v_mov_b32_e32 v15, v19
	v_mad_u64_u32 v[12:13], null, s17, v23, v[8:9]
	v_lshlrev_b64 v[16:17], 1, v[16:17]
	v_mov_b32_e32 v19, v7
	v_add_co_ci_u32_e64 v31, null, s19, v10, s3
	v_mov_b32_e32 v8, v26
	v_mov_b32_e32 v23, 0
	v_lshlrev_b64 v[11:12], 1, v[11:12]
	s_mov_b64 s[14:15], s[24:25]
	v_cmp_gt_i32_e32 vcc_lo, s10, v2
	v_mad_u64_u32 v[26:27], null, s21, v32, v[8:9]
	v_add_co_u32 v32, s3, s18, v16
	v_add_co_ci_u32_e64 v33, null, s19, v17, s3
	v_add_co_u32 v34, s3, s18, v11
	v_lshlrev_b64 v[7:8], 1, v[14:15]
	v_lshlrev_b64 v[9:10], 1, v[18:19]
	v_add_co_ci_u32_e64 v35, null, s19, v12, s3
	v_lshlrev_b64 v[11:12], 1, v[25:26]
	v_mov_b32_e32 v27, 0
	v_mov_b32_e32 v26, 0
	;; [unrolled: 1-line block ×3, first 2 shown]
	s_branch .LBB515_21
.LBB515_17:                             ;   in Loop: Header=BB515_21 Depth=1
	s_or_b32 exec_lo, exec_lo, s34
	s_waitcnt vmcnt(3) lgkmcnt(3)
	v_fma_mix_f32 v13, v48, v52, v25 op_sel_hi:[0,1,0]
	s_waitcnt vmcnt(2) lgkmcnt(2)
	v_fma_mix_f32 v13, v49, v53, v13 op_sel_hi:[0,1,0]
	;; [unrolled: 2-line block ×4, first 2 shown]
.LBB515_18:                             ;   in Loop: Header=BB515_21 Depth=1
	s_or_b32 exec_lo, exec_lo, s33
	s_waitcnt vmcnt(3) lgkmcnt(3)
	v_fma_mix_f32 v13, v48, v44, v26 op_sel_hi:[0,1,0]
	s_waitcnt vmcnt(2) lgkmcnt(2)
	v_fma_mix_f32 v13, v49, v45, v13 op_sel_hi:[0,1,0]
	;; [unrolled: 2-line block ×4, first 2 shown]
.LBB515_19:                             ;   in Loop: Header=BB515_21 Depth=1
	s_or_b32 exec_lo, exec_lo, s3
	s_waitcnt vmcnt(3) lgkmcnt(3)
	v_fma_mix_f32 v13, v36, v40, v27 op_sel_hi:[1,1,0]
	s_waitcnt vmcnt(2) lgkmcnt(2)
	v_fma_mix_f32 v13, v37, v41, v13 op_sel_hi:[1,1,0]
	;; [unrolled: 2-line block ×4, first 2 shown]
.LBB515_20:                             ;   in Loop: Header=BB515_21 Depth=1
	s_or_b32 exec_lo, exec_lo, s4
	v_add_co_u32 v28, s3, v28, s6
	v_add_nc_u32_e32 v24, 64, v24
	v_add_co_ci_u32_e64 v29, null, s7, v29, s3
	v_add_co_u32 v30, s3, v30, s6
	v_add_co_ci_u32_e64 v31, null, s7, v31, s3
	v_add_co_u32 v32, s3, v32, s6
	v_add_co_ci_u32_e64 v33, null, s7, v33, s3
	v_cmp_le_i32_e64 s3, s27, v24
	v_add_co_u32 v34, s4, v34, s6
	v_add_co_ci_u32_e64 v35, null, s7, v35, s4
	s_add_u32 s14, s14, s12
	s_addc_u32 s15, s15, s13
	s_or_b32 s31, s3, s31
	s_andn2_b32 exec_lo, exec_lo, s31
	s_cbranch_execz .LBB515_26
.LBB515_21:                             ; =>This Inner Loop Header: Depth=1
	s_and_saveexec_b32 s4, vcc_lo
	s_cbranch_execz .LBB515_20
; %bb.22:                               ;   in Loop: Header=BB515_21 Depth=1
	v_add_co_u32 v36, s3, s14, v5
	v_add_co_ci_u32_e64 v37, null, s15, v6, s3
	v_add_co_u32 v38, s3, s14, v7
	v_add_co_ci_u32_e64 v39, null, s15, v8, s3
	;; [unrolled: 2-line block ×8, first 2 shown]
	s_clause 0x3
	flat_load_ushort v36, v[36:37]
	flat_load_ushort v37, v[38:39]
	;; [unrolled: 1-line block ×8, first 2 shown]
	s_and_saveexec_b32 s3, s0
	s_cbranch_execz .LBB515_19
; %bb.23:                               ;   in Loop: Header=BB515_21 Depth=1
	flat_load_ushort v44, v[13:14] offset:128
	flat_load_ushort v45, v[15:16] offset:128
	;; [unrolled: 1-line block ×4, first 2 shown]
	s_waitcnt vmcnt(11) lgkmcnt(11)
	v_cvt_f32_f16_e32 v48, v36
	s_waitcnt vmcnt(10) lgkmcnt(10)
	v_cvt_f32_f16_e32 v49, v37
	;; [unrolled: 2-line block ×4, first 2 shown]
	s_and_saveexec_b32 s33, s1
	s_cbranch_execz .LBB515_18
; %bb.24:                               ;   in Loop: Header=BB515_21 Depth=1
	flat_load_ushort v52, v[13:14] offset:256
	flat_load_ushort v53, v[15:16] offset:256
	;; [unrolled: 1-line block ×4, first 2 shown]
	s_and_saveexec_b32 s34, s2
	s_cbranch_execz .LBB515_17
; %bb.25:                               ;   in Loop: Header=BB515_21 Depth=1
	flat_load_ushort v13, v[13:14] offset:384
	flat_load_ushort v14, v[15:16] offset:384
	;; [unrolled: 1-line block ×4, first 2 shown]
	s_waitcnt vmcnt(3) lgkmcnt(3)
	v_fma_mix_f32 v13, v48, v13, v23 op_sel_hi:[0,1,0]
	s_waitcnt vmcnt(2) lgkmcnt(2)
	v_fma_mix_f32 v13, v49, v14, v13 op_sel_hi:[0,1,0]
	;; [unrolled: 2-line block ×4, first 2 shown]
	s_branch .LBB515_17
.LBB515_26:
	s_or_b32 exec_lo, exec_lo, s31
.LBB515_27:
	s_or_b32 exec_lo, exec_lo, s30
	s_sub_i32 s0, s11, s27
	s_cmp_lt_i32 s0, 1
	s_cbranch_scc1 .LBB515_45
; %bb.28:
	v_cmp_gt_i32_e32 vcc_lo, s11, v24
	v_mov_b32_e32 v11, 0
	v_or_b32_e32 v4, 1, v24
	v_mov_b32_e32 v12, 0
	v_mov_b32_e32 v13, 0
	;; [unrolled: 1-line block ×3, first 2 shown]
	s_and_saveexec_b32 s1, vcc_lo
	s_cbranch_execz .LBB515_36
; %bb.29:
	v_mad_u64_u32 v[5:6], null, s20, v24, 0
	v_mov_b32_e32 v13, 0
	v_mov_b32_e32 v12, 0
	;; [unrolled: 1-line block ×3, first 2 shown]
	s_mov_b32 s2, exec_lo
	v_mov_b32_e32 v3, v6
	v_mad_u64_u32 v[6:7], null, s21, v24, v[3:4]
	v_lshlrev_b64 v[5:6], 1, v[5:6]
	v_add_co_u32 v5, s0, s24, v5
	v_add_co_ci_u32_e64 v6, null, s25, v6, s0
	flat_load_ushort v3, v[5:6]
	v_cmpx_gt_i32_e64 s11, v4
	s_cbranch_execz .LBB515_35
; %bb.30:
	v_mad_u64_u32 v[5:6], null, s20, v4, 0
	v_mov_b32_e32 v12, 0
	v_mov_b32_e32 v11, 0
	s_mov_b32 s3, exec_lo
	v_mad_u64_u32 v[6:7], null, s21, v4, v[6:7]
	v_lshlrev_b64 v[5:6], 1, v[5:6]
	v_add_co_u32 v5, s0, s24, v5
	v_add_co_ci_u32_e64 v6, null, s25, v6, s0
	flat_load_ushort v5, v[5:6]
	v_or_b32_e32 v6, 2, v24
	v_cmpx_gt_i32_e64 s11, v6
	s_cbranch_execz .LBB515_34
; %bb.31:
	v_mad_u64_u32 v[7:8], null, s20, v6, 0
	v_mov_b32_e32 v11, 0
	s_mov_b32 s4, exec_lo
	v_mad_u64_u32 v[8:9], null, s21, v6, v[8:9]
	v_lshlrev_b64 v[6:7], 1, v[7:8]
	v_add_co_u32 v6, s0, s24, v6
	v_add_co_ci_u32_e64 v7, null, s25, v7, s0
	flat_load_ushort v6, v[6:7]
	v_or_b32_e32 v7, 3, v24
	v_cmpx_gt_i32_e64 s11, v7
	s_cbranch_execz .LBB515_33
; %bb.32:
	v_mad_u64_u32 v[8:9], null, s20, v7, 0
	v_mad_u64_u32 v[9:10], null, s21, v7, v[9:10]
	v_lshlrev_b64 v[7:8], 1, v[8:9]
	v_add_co_u32 v7, s0, s24, v7
	v_add_co_ci_u32_e64 v8, null, s25, v8, s0
	flat_load_ushort v7, v[7:8]
	s_waitcnt vmcnt(0) lgkmcnt(0)
	v_cvt_f32_f16_e32 v11, v7
.LBB515_33:
	s_or_b32 exec_lo, exec_lo, s4
	s_waitcnt vmcnt(0) lgkmcnt(0)
	v_cvt_f32_f16_e32 v12, v6
.LBB515_34:
	s_or_b32 exec_lo, exec_lo, s3
	s_waitcnt vmcnt(0) lgkmcnt(0)
	v_cvt_f32_f16_e32 v13, v5
.LBB515_35:
	s_or_b32 exec_lo, exec_lo, s2
	s_waitcnt vmcnt(0) lgkmcnt(0)
	v_cvt_f32_f16_e32 v14, v3
.LBB515_36:
	s_or_b32 exec_lo, exec_lo, s1
	s_mov_b32 s1, exec_lo
	v_cmpx_gt_i32_e64 s10, v2
	s_cbranch_execz .LBB515_44
; %bb.37:
	v_mad_u64_u32 v[5:6], null, s16, v24, 0
	v_mad_u64_u32 v[7:8], null, s16, v4, 0
	v_ashrrev_i32_e32 v3, 31, v2
	v_or_b32_e32 v20, 2, v24
	v_or_b32_e32 v30, 3, v24
	v_cndmask_b32_e32 v5, 0, v5, vcc_lo
	v_lshlrev_b64 v[9:10], 1, v[2:3]
	v_mad_u64_u32 v[15:16], null, s17, v24, v[6:7]
	v_mov_b32_e32 v3, v8
	v_mad_u64_u32 v[16:17], null, s16, v20, 0
	v_mad_u64_u32 v[18:19], null, s16, v30, 0
	;; [unrolled: 1-line block ×3, first 2 shown]
	v_cndmask_b32_e32 v6, 0, v15, vcc_lo
	v_cmp_gt_i32_e32 vcc_lo, s11, v4
	v_mov_b32_e32 v3, v17
	v_cmp_gt_i32_e64 s0, s11, v20
	v_mov_b32_e32 v8, v19
	v_cndmask_b32_e32 v4, 0, v7, vcc_lo
	v_lshlrev_b64 v[6:7], 1, v[5:6]
	v_cndmask_b32_e32 v5, 0, v28, vcc_lo
	v_cndmask_b32_e64 v15, 0, v16, s0
	v_mad_u64_u32 v[19:20], null, s17, v20, v[3:4]
	v_add_co_u32 v3, vcc_lo, s18, v6
	v_lshlrev_b64 v[5:6], 1, v[4:5]
	v_add_co_ci_u32_e64 v7, null, s19, v7, vcc_lo
	v_add_co_u32 v3, vcc_lo, v3, v9
	v_cndmask_b32_e64 v16, 0, v19, s0
	v_add_co_ci_u32_e64 v4, null, v7, v10, vcc_lo
	v_add_co_u32 v5, vcc_lo, s18, v5
	v_add_co_ci_u32_e64 v6, null, s19, v6, vcc_lo
	v_mad_u64_u32 v[7:8], null, s17, v30, v[8:9]
	v_add_co_u32 v5, vcc_lo, v5, v9
	v_add_co_ci_u32_e64 v6, null, v6, v10, vcc_lo
	v_cmp_gt_i32_e32 vcc_lo, s11, v30
	v_lshlrev_b64 v[15:16], 1, v[15:16]
	s_clause 0x1
	flat_load_ushort v19, v[3:4]
	flat_load_ushort v20, v[5:6]
	s_mov_b32 s0, exec_lo
	v_cndmask_b32_e32 v17, 0, v18, vcc_lo
	v_cndmask_b32_e32 v18, 0, v7, vcc_lo
	v_add_co_u32 v7, vcc_lo, s18, v15
	v_add_co_ci_u32_e64 v8, null, s19, v16, vcc_lo
	v_lshlrev_b64 v[15:16], 1, v[17:18]
	v_add_co_u32 v7, vcc_lo, v7, v9
	v_add_co_ci_u32_e64 v8, null, v8, v10, vcc_lo
	v_add_nc_u32_e32 v18, 64, v2
	v_add_co_u32 v15, vcc_lo, s18, v15
	v_add_co_ci_u32_e64 v16, null, s19, v16, vcc_lo
	flat_load_ushort v17, v[7:8]
	v_add_co_u32 v9, vcc_lo, v15, v9
	v_add_co_ci_u32_e64 v10, null, v16, v10, vcc_lo
	flat_load_ushort v15, v[9:10]
	s_waitcnt vmcnt(3) lgkmcnt(3)
	v_fma_mix_f32 v16, v14, v19, v27 op_sel_hi:[0,1,0]
	s_waitcnt vmcnt(2) lgkmcnt(2)
	v_fma_mix_f32 v16, v13, v20, v16 op_sel_hi:[0,1,0]
	s_waitcnt vmcnt(1) lgkmcnt(1)
	v_fma_mix_f32 v16, v12, v17, v16 op_sel_hi:[0,1,0]
	v_cmpx_gt_i32_e64 s10, v18
	s_cbranch_execz .LBB515_43
; %bb.38:
	s_clause 0x3
	flat_load_ushort v18, v[3:4] offset:128
	flat_load_ushort v19, v[5:6] offset:128
	;; [unrolled: 1-line block ×4, first 2 shown]
	s_mov_b32 s2, exec_lo
	s_waitcnt vmcnt(3) lgkmcnt(3)
	v_fma_mix_f32 v18, v14, v18, v26 op_sel_hi:[0,1,0]
	s_waitcnt vmcnt(2) lgkmcnt(2)
	v_fma_mix_f32 v18, v13, v19, v18 op_sel_hi:[0,1,0]
	v_add_nc_u32_e32 v19, 0x80, v2
	s_waitcnt vmcnt(1) lgkmcnt(1)
	v_fma_mix_f32 v18, v12, v20, v18 op_sel_hi:[0,1,0]
	v_cmpx_gt_i32_e64 s10, v19
	s_cbranch_execz .LBB515_42
; %bb.39:
	s_clause 0x3
	flat_load_ushort v20, v[3:4] offset:256
	flat_load_ushort v24, v[5:6] offset:256
	;; [unrolled: 1-line block ×4, first 2 shown]
	s_mov_b32 s3, exec_lo
	s_waitcnt vmcnt(3) lgkmcnt(3)
	v_fma_mix_f32 v20, v14, v20, v25 op_sel_hi:[0,1,0]
	s_waitcnt vmcnt(2) lgkmcnt(2)
	v_fma_mix_f32 v20, v13, v24, v20 op_sel_hi:[0,1,0]
	v_add_nc_u32_e32 v24, 0xc0, v2
	s_waitcnt vmcnt(1) lgkmcnt(1)
	v_fma_mix_f32 v2, v12, v26, v20 op_sel_hi:[0,1,0]
	v_cmpx_gt_i32_e64 s10, v24
	s_cbranch_execz .LBB515_41
; %bb.40:
	s_clause 0x3
	flat_load_ushort v3, v[3:4] offset:384
	flat_load_ushort v4, v[5:6] offset:384
	;; [unrolled: 1-line block ×4, first 2 shown]
	s_waitcnt vmcnt(3) lgkmcnt(3)
	v_fma_mix_f32 v3, v14, v3, v23 op_sel_hi:[0,1,0]
	s_waitcnt vmcnt(2) lgkmcnt(2)
	v_fma_mix_f32 v3, v13, v4, v3 op_sel_hi:[0,1,0]
	;; [unrolled: 2-line block ×4, first 2 shown]
.LBB515_41:
	s_or_b32 exec_lo, exec_lo, s3
	s_waitcnt vmcnt(0) lgkmcnt(0)
	v_fma_mix_f32 v25, v11, v19, v2 op_sel_hi:[0,1,0]
.LBB515_42:
	s_or_b32 exec_lo, exec_lo, s2
	s_waitcnt vmcnt(0) lgkmcnt(0)
	v_fma_mix_f32 v26, v11, v17, v18 op_sel_hi:[0,1,0]
.LBB515_43:
	s_or_b32 exec_lo, exec_lo, s0
	s_waitcnt vmcnt(0) lgkmcnt(0)
	v_fma_mix_f32 v27, v11, v15, v16 op_sel_hi:[0,1,0]
.LBB515_44:
	s_or_b32 exec_lo, exec_lo, s1
.LBB515_45:
	v_lshlrev_b32_e32 v0, 2, v0
	s_mov_b32 s0, exec_lo
                                        ; implicit-def: $vgpr3
                                        ; implicit-def: $vgpr4_vgpr5
	v_lshl_add_u32 v1, v1, 10, v0
	ds_write2st64_b32 v1, v27, v26 offset1:1
	ds_write2st64_b32 v1, v25, v23 offset0:2 offset1:3
	s_waitcnt lgkmcnt(0)
	s_barrier
	buffer_gl0_inv
	v_cmpx_gt_u32_e32 0x100, v21
	s_cbranch_execz .LBB515_51
; %bb.46:
	v_lshl_add_u32 v6, v22, 2, v0
	s_mov_b32 s2, s23
	s_mov_b32 s1, exec_lo
	ds_read2st64_b32 v[0:1], v6 offset1:4
	ds_read2st64_b32 v[2:3], v6 offset0:8 offset1:12
	ds_read2st64_b32 v[4:5], v6 offset0:16 offset1:20
	s_waitcnt lgkmcnt(2)
	v_add_f32_e32 v7, v0, v1
	ds_read2st64_b32 v[0:1], v6 offset0:24 offset1:28
	s_waitcnt lgkmcnt(2)
	v_add_f32_e32 v2, v2, v7
	v_add_f32_e32 v7, v3, v2
	ds_read2st64_b32 v[2:3], v6 offset0:32 offset1:36
	s_waitcnt lgkmcnt(2)
	v_add_f32_e32 v4, v4, v7
	;; [unrolled: 4-line block ×3, first 2 shown]
	v_add_f32_e32 v0, v1, v0
	s_waitcnt lgkmcnt(1)
	v_add_f32_e32 v2, v2, v0
	ds_read2st64_b32 v[0:1], v6 offset0:48 offset1:52
	v_add_f32_e32 v2, v3, v2
	s_waitcnt lgkmcnt(1)
	v_add_f32_e32 v4, v4, v2
	ds_read2st64_b32 v[2:3], v6 offset0:56 offset1:60
	v_add_f32_e32 v4, v5, v4
	s_waitcnt lgkmcnt(1)
	v_add_f32_e32 v0, v0, v4
                                        ; implicit-def: $vgpr4_vgpr5
	v_add_f32_e32 v0, v1, v0
	v_or_b32_e32 v1, s26, v21
	s_waitcnt lgkmcnt(0)
	v_add_f32_e32 v0, v2, v0
	v_add_f32_e32 v0, v3, v0
                                        ; implicit-def: $vgpr3
	ds_write_b32 v6, v0
	v_cmpx_gt_i32_e64 s10, v1
	s_cbranch_execz .LBB515_50
; %bb.47:
	v_ashrrev_i32_e32 v2, 31, v1
	v_mul_lo_u32 v6, s9, v1
	v_mad_u64_u32 v[4:5], null, s8, v1, 0
	v_cmp_eq_f32_e64 s2, s28, 0
	v_mul_lo_u32 v1, s8, v2
	v_mul_f32_e32 v3, s29, v0
	s_and_b32 vcc_lo, exec_lo, s2
	v_add3_u32 v5, v5, v1, v6
	s_cbranch_vccnz .LBB515_49
; %bb.48:
	v_lshlrev_b64 v[0:1], 2, v[4:5]
	v_add_co_u32 v0, vcc_lo, s5, v0
	v_add_co_ci_u32_e64 v1, null, s22, v1, vcc_lo
	flat_load_dword v0, v[0:1]
	s_waitcnt vmcnt(0) lgkmcnt(0)
	v_fmac_f32_e32 v3, s28, v0
.LBB515_49:
	s_or_b32 s2, s23, exec_lo
.LBB515_50:
	s_or_b32 exec_lo, exec_lo, s1
	s_andn2_b32 s1, s23, exec_lo
	s_and_b32 s2, s2, exec_lo
	s_or_b32 s23, s1, s2
.LBB515_51:
	s_or_b32 exec_lo, exec_lo, s0
.LBB515_52:
	s_and_saveexec_b32 s0, s23
	s_cbranch_execz .LBB515_54
; %bb.53:
	v_lshlrev_b64 v[0:1], 2, v[4:5]
	v_add_co_u32 v0, vcc_lo, s5, v0
	v_add_co_ci_u32_e64 v1, null, s22, v1, vcc_lo
	flat_store_dword v[0:1], v3
.LBB515_54:
	s_endpgm
	.section	.rodata,"a",@progbits
	.p2align	6, 0x0
	.amdhsa_kernel _ZL20rocblas_gemvn_kernelILi64ELi16ElPKDF16_PKfKPfEviiT3_lPKT2_lT1_lS9_lSA_lS6_lPT4_lSA_li
		.amdhsa_group_segment_fixed_size 16384
		.amdhsa_private_segment_fixed_size 0
		.amdhsa_kernarg_size 400
		.amdhsa_user_sgpr_count 6
		.amdhsa_user_sgpr_private_segment_buffer 1
		.amdhsa_user_sgpr_dispatch_ptr 0
		.amdhsa_user_sgpr_queue_ptr 0
		.amdhsa_user_sgpr_kernarg_segment_ptr 1
		.amdhsa_user_sgpr_dispatch_id 0
		.amdhsa_user_sgpr_flat_scratch_init 0
		.amdhsa_user_sgpr_private_segment_size 0
		.amdhsa_wavefront_size32 1
		.amdhsa_uses_dynamic_stack 0
		.amdhsa_system_sgpr_private_segment_wavefront_offset 0
		.amdhsa_system_sgpr_workgroup_id_x 1
		.amdhsa_system_sgpr_workgroup_id_y 0
		.amdhsa_system_sgpr_workgroup_id_z 1
		.amdhsa_system_sgpr_workgroup_info 0
		.amdhsa_system_vgpr_workitem_id 1
		.amdhsa_next_free_vgpr 56
		.amdhsa_next_free_sgpr 35
		.amdhsa_reserve_vcc 1
		.amdhsa_reserve_flat_scratch 1
		.amdhsa_float_round_mode_32 0
		.amdhsa_float_round_mode_16_64 0
		.amdhsa_float_denorm_mode_32 3
		.amdhsa_float_denorm_mode_16_64 3
		.amdhsa_dx10_clamp 1
		.amdhsa_ieee_mode 1
		.amdhsa_fp16_overflow 0
		.amdhsa_workgroup_processor_mode 1
		.amdhsa_memory_ordered 1
		.amdhsa_forward_progress 1
		.amdhsa_shared_vgpr_count 0
		.amdhsa_exception_fp_ieee_invalid_op 0
		.amdhsa_exception_fp_denorm_src 0
		.amdhsa_exception_fp_ieee_div_zero 0
		.amdhsa_exception_fp_ieee_overflow 0
		.amdhsa_exception_fp_ieee_underflow 0
		.amdhsa_exception_fp_ieee_inexact 0
		.amdhsa_exception_int_div_zero 0
	.end_amdhsa_kernel
	.section	.text._ZL20rocblas_gemvn_kernelILi64ELi16ElPKDF16_PKfKPfEviiT3_lPKT2_lT1_lS9_lSA_lS6_lPT4_lSA_li,"axG",@progbits,_ZL20rocblas_gemvn_kernelILi64ELi16ElPKDF16_PKfKPfEviiT3_lPKT2_lT1_lS9_lSA_lS6_lPT4_lSA_li,comdat
.Lfunc_end515:
	.size	_ZL20rocblas_gemvn_kernelILi64ELi16ElPKDF16_PKfKPfEviiT3_lPKT2_lT1_lS9_lSA_lS6_lPT4_lSA_li, .Lfunc_end515-_ZL20rocblas_gemvn_kernelILi64ELi16ElPKDF16_PKfKPfEviiT3_lPKT2_lT1_lS9_lSA_lS6_lPT4_lSA_li
                                        ; -- End function
	.set _ZL20rocblas_gemvn_kernelILi64ELi16ElPKDF16_PKfKPfEviiT3_lPKT2_lT1_lS9_lSA_lS6_lPT4_lSA_li.num_vgpr, 56
	.set _ZL20rocblas_gemvn_kernelILi64ELi16ElPKDF16_PKfKPfEviiT3_lPKT2_lT1_lS9_lSA_lS6_lPT4_lSA_li.num_agpr, 0
	.set _ZL20rocblas_gemvn_kernelILi64ELi16ElPKDF16_PKfKPfEviiT3_lPKT2_lT1_lS9_lSA_lS6_lPT4_lSA_li.numbered_sgpr, 35
	.set _ZL20rocblas_gemvn_kernelILi64ELi16ElPKDF16_PKfKPfEviiT3_lPKT2_lT1_lS9_lSA_lS6_lPT4_lSA_li.num_named_barrier, 0
	.set _ZL20rocblas_gemvn_kernelILi64ELi16ElPKDF16_PKfKPfEviiT3_lPKT2_lT1_lS9_lSA_lS6_lPT4_lSA_li.private_seg_size, 0
	.set _ZL20rocblas_gemvn_kernelILi64ELi16ElPKDF16_PKfKPfEviiT3_lPKT2_lT1_lS9_lSA_lS6_lPT4_lSA_li.uses_vcc, 1
	.set _ZL20rocblas_gemvn_kernelILi64ELi16ElPKDF16_PKfKPfEviiT3_lPKT2_lT1_lS9_lSA_lS6_lPT4_lSA_li.uses_flat_scratch, 1
	.set _ZL20rocblas_gemvn_kernelILi64ELi16ElPKDF16_PKfKPfEviiT3_lPKT2_lT1_lS9_lSA_lS6_lPT4_lSA_li.has_dyn_sized_stack, 0
	.set _ZL20rocblas_gemvn_kernelILi64ELi16ElPKDF16_PKfKPfEviiT3_lPKT2_lT1_lS9_lSA_lS6_lPT4_lSA_li.has_recursion, 0
	.set _ZL20rocblas_gemvn_kernelILi64ELi16ElPKDF16_PKfKPfEviiT3_lPKT2_lT1_lS9_lSA_lS6_lPT4_lSA_li.has_indirect_call, 0
	.section	.AMDGPU.csdata,"",@progbits
; Kernel info:
; codeLenInByte = 3276
; TotalNumSgprs: 37
; NumVgprs: 56
; ScratchSize: 0
; MemoryBound: 0
; FloatMode: 240
; IeeeMode: 1
; LDSByteSize: 16384 bytes/workgroup (compile time only)
; SGPRBlocks: 0
; VGPRBlocks: 6
; NumSGPRsForWavesPerEU: 37
; NumVGPRsForWavesPerEU: 56
; Occupancy: 16
; WaveLimiterHint : 1
; COMPUTE_PGM_RSRC2:SCRATCH_EN: 0
; COMPUTE_PGM_RSRC2:USER_SGPR: 6
; COMPUTE_PGM_RSRC2:TRAP_HANDLER: 0
; COMPUTE_PGM_RSRC2:TGID_X_EN: 1
; COMPUTE_PGM_RSRC2:TGID_Y_EN: 0
; COMPUTE_PGM_RSRC2:TGID_Z_EN: 1
; COMPUTE_PGM_RSRC2:TIDIG_COMP_CNT: 1
	.section	.text._ZL20rocblas_gemvn_kernelILi64ELi16EiPKDF16_fKPfEviiT3_lPKT2_lT1_lS7_lS8_lS4_lPT4_lS8_li,"axG",@progbits,_ZL20rocblas_gemvn_kernelILi64ELi16EiPKDF16_fKPfEviiT3_lPKT2_lT1_lS7_lS8_lS4_lPT4_lS8_li,comdat
	.globl	_ZL20rocblas_gemvn_kernelILi64ELi16EiPKDF16_fKPfEviiT3_lPKT2_lT1_lS7_lS8_lS4_lPT4_lS8_li ; -- Begin function _ZL20rocblas_gemvn_kernelILi64ELi16EiPKDF16_fKPfEviiT3_lPKT2_lT1_lS7_lS8_lS4_lPT4_lS8_li
	.p2align	8
	.type	_ZL20rocblas_gemvn_kernelILi64ELi16EiPKDF16_fKPfEviiT3_lPKT2_lT1_lS7_lS8_lS4_lPT4_lS8_li,@function
_ZL20rocblas_gemvn_kernelILi64ELi16EiPKDF16_fKPfEviiT3_lPKT2_lT1_lS7_lS8_lS4_lPT4_lS8_li: ; @_ZL20rocblas_gemvn_kernelILi64ELi16EiPKDF16_fKPfEviiT3_lPKT2_lT1_lS7_lS8_lS4_lPT4_lS8_li
; %bb.0:
	s_load_dwordx2 s[0:1], s[4:5], 0x9c
	s_waitcnt lgkmcnt(0)
	s_lshr_b32 s3, s0, 16
	s_and_b32 s0, s0, 0xffff
	s_and_b32 s1, s1, 0xffff
	s_mul_i32 s0, s3, s0
	s_mul_i32 s0, s0, s1
	s_cmpk_lg_i32 s0, 0x400
	s_cbranch_scc1 .LBB516_56
; %bb.1:
	s_mov_b32 s2, s7
	s_clause 0x1
	s_load_dwordx4 s[8:11], s[4:5], 0x0
	s_load_dword s7, s[4:5], 0x58
	s_mov_b32 s3, 0
	s_waitcnt lgkmcnt(0)
	v_cmp_eq_f32_e64 s18, s10, 0
	v_cmp_eq_f32_e64 s0, s7, 1.0
	s_and_b32 s0, s18, s0
	s_and_b32 vcc_lo, exec_lo, s0
	s_cbranch_vccnz .LBB516_56
; %bb.2:
	v_cmp_neq_f32_e64 s11, s10, 0
	s_and_b32 vcc_lo, exec_lo, s11
	s_cbranch_vccnz .LBB516_4
; %bb.3:
	s_mov_b32 s1, 0
	s_mov_b32 s0, s2
	;; [unrolled: 1-line block ×3, first 2 shown]
	s_mov_b64 s[14:15], 0
	s_andn2_b32 vcc_lo, exec_lo, s12
	s_mov_b64 s[12:13], 0
	s_cbranch_vccz .LBB516_5
	s_branch .LBB516_6
.LBB516_4:
	s_mov_b64 s[0:1], s[2:3]
	s_mov_b64 s[14:15], 0
	;; [unrolled: 1-line block ×3, first 2 shown]
.LBB516_5:
	s_load_dwordx4 s[20:23], s[4:5], 0x18
	s_lshl_b64 s[2:3], s[2:3], 3
	s_waitcnt lgkmcnt(0)
	s_add_u32 s2, s20, s2
	s_addc_u32 s3, s21, s3
	s_lshl_b64 s[12:13], s[22:23], 1
	s_load_dwordx2 s[2:3], s[2:3], 0x0
	s_waitcnt lgkmcnt(0)
	s_add_u32 s12, s2, s12
	s_addc_u32 s13, s3, s13
.LBB516_6:
	s_andn2_b32 vcc_lo, exec_lo, s11
	s_cbranch_vccnz .LBB516_8
; %bb.7:
	s_load_dwordx4 s[20:23], s[4:5], 0x38
	s_lshl_b64 s[2:3], s[0:1], 3
	s_waitcnt lgkmcnt(0)
	s_add_u32 s2, s20, s2
	s_addc_u32 s3, s21, s3
	s_lshl_b64 s[14:15], s[22:23], 1
	s_load_dwordx2 s[2:3], s[2:3], 0x0
	s_waitcnt lgkmcnt(0)
	s_add_u32 s14, s2, s14
	s_addc_u32 s15, s3, s15
.LBB516_8:
	s_clause 0x1
	s_load_dwordx4 s[20:23], s[4:5], 0x68
	s_load_dword s17, s[4:5], 0x78
	s_lshl_b64 s[0:1], s[0:1], 3
	v_lshlrev_b32_e32 v14, 6, v1
	v_add_nc_u32_e32 v13, v14, v0
	s_waitcnt lgkmcnt(0)
	s_add_u32 s0, s20, s0
	s_addc_u32 s1, s21, s1
	s_lshl_b64 s[20:21], s[22:23], 2
	s_load_dwordx2 s[2:3], s[0:1], 0x0
	v_cmp_gt_u32_e64 s0, 0x100, v13
	s_waitcnt lgkmcnt(0)
	s_add_u32 s11, s2, s20
	s_addc_u32 s16, s3, s21
	s_andn2_b32 vcc_lo, exec_lo, s18
	s_cbranch_vccnz .LBB516_15
; %bb.9:
	s_mov_b32 s1, 0
	s_mov_b32 s18, 0
                                        ; implicit-def: $vgpr3
                                        ; implicit-def: $vgpr4_vgpr5
	s_and_saveexec_b32 s2, s0
	s_cbranch_execz .LBB516_16
; %bb.10:
	v_lshl_or_b32 v2, s6, 8, v13
	v_mov_b32_e32 v3, 0
	s_ashr_i32 s19, s8, 31
	s_mov_b32 s18, s8
	s_mov_b32 s3, 0
	s_mov_b32 s0, exec_lo
                                        ; implicit-def: $vgpr4_vgpr5
	v_cmpx_gt_i64_e64 s[18:19], v[2:3]
	s_cbranch_execz .LBB516_14
; %bb.11:
	v_mad_u64_u32 v[4:5], null, s17, v2, 0
	s_ashr_i32 s3, s17, 31
	v_mad_u64_u32 v[5:6], null, s3, v2, v[5:6]
	v_cmp_eq_f32_e64 s3, s7, 0
	s_and_b32 vcc_lo, exec_lo, s3
	s_cbranch_vccnz .LBB516_13
; %bb.12:
	v_lshlrev_b64 v[2:3], 2, v[4:5]
	v_add_co_u32 v2, vcc_lo, s11, v2
	v_add_co_ci_u32_e64 v3, null, s16, v3, vcc_lo
	flat_load_dword v2, v[2:3]
	s_waitcnt vmcnt(0) lgkmcnt(0)
	v_mul_f32_e32 v3, s7, v2
.LBB516_13:
	s_mov_b32 s3, exec_lo
.LBB516_14:
	s_or_b32 exec_lo, exec_lo, s0
	s_and_b32 s18, s3, exec_lo
	s_or_b32 exec_lo, exec_lo, s2
	s_and_b32 vcc_lo, exec_lo, s1
	s_cbranch_vccnz .LBB516_17
	s_branch .LBB516_54
.LBB516_15:
	s_mov_b32 s18, 0
                                        ; implicit-def: $vgpr3
                                        ; implicit-def: $vgpr4_vgpr5
	s_cbranch_execnz .LBB516_17
	s_branch .LBB516_54
.LBB516_16:
	s_or_b32 exec_lo, exec_lo, s2
	s_and_b32 vcc_lo, exec_lo, s1
	s_cbranch_vccz .LBB516_54
.LBB516_17:
	s_clause 0x1
	s_load_dword s19, s[4:5], 0x28
	s_load_dword s4, s[4:5], 0x48
	s_ashr_i32 s0, s9, 31
	s_lshl_b32 s5, s6, 8
	s_lshr_b32 s0, s0, 26
	v_lshlrev_b32_e32 v20, 2, v1
	v_add_nc_u32_e32 v16, s5, v0
	v_mov_b32_e32 v19, 0
	v_mov_b32_e32 v18, 0
	;; [unrolled: 1-line block ×4, first 2 shown]
	s_add_i32 s0, s9, s0
	s_mov_b32 s20, exec_lo
	s_and_b32 s6, s0, 0xffffffc0
	v_cmpx_gt_i32_e64 s6, v20
	s_cbranch_execz .LBB516_29
; %bb.18:
	v_add_nc_u32_e32 v5, 0xc0, v16
	s_waitcnt lgkmcnt(0)
	v_mul_lo_u32 v3, s19, v20
	v_add_nc_u32_e32 v2, 64, v16
	v_add_nc_u32_e32 v6, 2, v20
	;; [unrolled: 1-line block ×3, first 2 shown]
	v_cmp_gt_i32_e64 s2, s8, v5
	v_mul_lo_u32 v5, v1, s19
	v_add_nc_u32_e32 v7, 3, v20
	v_mul_lo_u32 v8, v1, s4
	v_cmp_gt_i32_e64 s0, s8, v2
	v_add3_u32 v21, v3, s19, v0
	v_mad_u64_u32 v[2:3], null, s19, v6, v[0:1]
	v_cmp_gt_i32_e64 s1, s8, v4
	v_mad_u64_u32 v[3:4], null, s19, v7, v[0:1]
	v_lshl_add_u32 v22, v5, 2, v0
	v_mad_u64_u32 v[4:5], null, s4, v20, s[4:5]
	v_mul_lo_u32 v23, s4, v6
	v_mul_lo_u32 v24, s4, v7
	v_lshlrev_b32_e32 v25, 2, v8
	v_mov_b32_e32 v19, 0
	v_mov_b32_e32 v18, 0
	;; [unrolled: 1-line block ×4, first 2 shown]
	s_lshl_b32 s21, s19, 6
	s_lshl_b32 s23, s4, 6
	s_mov_b32 s22, 0
	s_mov_b32 s24, 0
	v_cmp_gt_i32_e32 vcc_lo, s8, v16
	s_branch .LBB516_23
.LBB516_19:                             ;   in Loop: Header=BB516_23 Depth=1
	s_or_b32 exec_lo, exec_lo, s27
	s_waitcnt vmcnt(3) lgkmcnt(3)
	v_fma_mix_f32 v5, v38, v42, v17 op_sel_hi:[0,1,0]
	s_waitcnt vmcnt(2) lgkmcnt(2)
	v_fma_mix_f32 v5, v39, v43, v5 op_sel_hi:[0,1,0]
	;; [unrolled: 2-line block ×4, first 2 shown]
.LBB516_20:                             ;   in Loop: Header=BB516_23 Depth=1
	s_or_b32 exec_lo, exec_lo, s26
	s_waitcnt vmcnt(3) lgkmcnt(3)
	v_fma_mix_f32 v5, v38, v34, v18 op_sel_hi:[0,1,0]
	s_waitcnt vmcnt(2) lgkmcnt(2)
	v_fma_mix_f32 v5, v39, v35, v5 op_sel_hi:[0,1,0]
	;; [unrolled: 2-line block ×4, first 2 shown]
.LBB516_21:                             ;   in Loop: Header=BB516_23 Depth=1
	s_or_b32 exec_lo, exec_lo, s3
	s_waitcnt vmcnt(3) lgkmcnt(3)
	v_fma_mix_f32 v5, v26, v30, v19 op_sel_hi:[1,1,0]
	s_waitcnt vmcnt(2) lgkmcnt(2)
	v_fma_mix_f32 v5, v27, v31, v5 op_sel_hi:[1,1,0]
	;; [unrolled: 2-line block ×4, first 2 shown]
.LBB516_22:                             ;   in Loop: Header=BB516_23 Depth=1
	s_or_b32 exec_lo, exec_lo, s25
	v_add_nc_u32_e32 v20, 64, v20
	v_add_nc_u32_e32 v21, s21, v21
	;; [unrolled: 1-line block ×5, first 2 shown]
	v_cmp_le_i32_e64 s3, s6, v20
	s_add_i32 s24, s24, s23
	s_or_b32 s22, s3, s22
	s_andn2_b32 exec_lo, exec_lo, s22
	s_cbranch_execz .LBB516_28
.LBB516_23:                             ; =>This Inner Loop Header: Depth=1
	s_and_saveexec_b32 s25, vcc_lo
	s_cbranch_execz .LBB516_22
; %bb.24:                               ;   in Loop: Header=BB516_23 Depth=1
	v_add_nc_u32_e32 v5, s24, v25
	v_add_nc_u32_e32 v7, s24, v4
	;; [unrolled: 1-line block ×5, first 2 shown]
	v_ashrrev_i32_e32 v6, 31, v5
	v_ashrrev_i32_e32 v8, 31, v7
	;; [unrolled: 1-line block ×5, first 2 shown]
	v_lshlrev_b64 v[5:6], 1, v[5:6]
	v_lshlrev_b64 v[7:8], 1, v[7:8]
	;; [unrolled: 1-line block ×3, first 2 shown]
	v_add_co_u32 v28, s3, s14, v5
	v_add_co_ci_u32_e64 v29, null, s15, v6, s3
	v_add_co_u32 v30, s3, s14, v7
	v_add_nc_u32_e32 v7, s5, v21
	v_add_co_ci_u32_e64 v31, null, s15, v8, s3
	v_lshlrev_b64 v[5:6], 1, v[11:12]
	v_add_co_u32 v32, s3, s14, v9
	v_add_nc_u32_e32 v11, s5, v2
	v_add_co_ci_u32_e64 v33, null, s15, v10, s3
	v_lshlrev_b64 v[9:10], 1, v[26:27]
	v_add_nc_u32_e32 v26, s5, v3
	v_ashrrev_i32_e32 v8, 31, v7
	v_ashrrev_i32_e32 v12, 31, v11
	v_add_co_u32 v34, s3, s14, v5
	v_ashrrev_i32_e32 v27, 31, v26
	v_add_co_ci_u32_e64 v35, null, s15, v6, s3
	v_lshlrev_b64 v[7:8], 1, v[7:8]
	v_add_co_u32 v5, s3, s12, v9
	v_add_co_ci_u32_e64 v6, null, s13, v10, s3
	v_lshlrev_b64 v[9:10], 1, v[11:12]
	v_lshlrev_b64 v[11:12], 1, v[26:27]
	v_add_co_u32 v7, s3, s12, v7
	v_add_co_ci_u32_e64 v8, null, s13, v8, s3
	v_add_co_u32 v9, s3, s12, v9
	v_add_co_ci_u32_e64 v10, null, s13, v10, s3
	;; [unrolled: 2-line block ×3, first 2 shown]
	s_clause 0x3
	flat_load_ushort v26, v[28:29]
	flat_load_ushort v27, v[30:31]
	;; [unrolled: 1-line block ×4, first 2 shown]
	s_clause 0x3
	flat_load_ushort v30, v[5:6]
	flat_load_ushort v31, v[7:8]
	;; [unrolled: 1-line block ×4, first 2 shown]
	s_and_saveexec_b32 s3, s0
	s_cbranch_execz .LBB516_21
; %bb.25:                               ;   in Loop: Header=BB516_23 Depth=1
	s_clause 0x3
	flat_load_ushort v34, v[5:6] offset:128
	flat_load_ushort v35, v[7:8] offset:128
	;; [unrolled: 1-line block ×4, first 2 shown]
	s_waitcnt vmcnt(11) lgkmcnt(11)
	v_cvt_f32_f16_e32 v38, v26
	s_waitcnt vmcnt(10) lgkmcnt(10)
	v_cvt_f32_f16_e32 v39, v27
	;; [unrolled: 2-line block ×4, first 2 shown]
	s_and_saveexec_b32 s26, s1
	s_cbranch_execz .LBB516_20
; %bb.26:                               ;   in Loop: Header=BB516_23 Depth=1
	s_clause 0x3
	flat_load_ushort v42, v[5:6] offset:256
	flat_load_ushort v43, v[7:8] offset:256
	;; [unrolled: 1-line block ×4, first 2 shown]
	s_and_saveexec_b32 s27, s2
	s_cbranch_execz .LBB516_19
; %bb.27:                               ;   in Loop: Header=BB516_23 Depth=1
	s_clause 0x3
	flat_load_ushort v5, v[5:6] offset:384
	flat_load_ushort v6, v[7:8] offset:384
	;; [unrolled: 1-line block ×4, first 2 shown]
	s_waitcnt vmcnt(3) lgkmcnt(3)
	v_fma_mix_f32 v5, v38, v5, v15 op_sel_hi:[0,1,0]
	s_waitcnt vmcnt(2) lgkmcnt(2)
	v_fma_mix_f32 v5, v39, v6, v5 op_sel_hi:[0,1,0]
	s_waitcnt vmcnt(1) lgkmcnt(1)
	v_fma_mix_f32 v5, v40, v7, v5 op_sel_hi:[0,1,0]
	s_waitcnt vmcnt(0) lgkmcnt(0)
	v_fma_mix_f32 v15, v41, v8, v5 op_sel_hi:[0,1,0]
	s_branch .LBB516_19
.LBB516_28:
	s_or_b32 exec_lo, exec_lo, s22
.LBB516_29:
	s_or_b32 exec_lo, exec_lo, s20
	s_sub_i32 s0, s9, s6
	s_cmp_lt_i32 s0, 1
	s_cbranch_scc1 .LBB516_47
; %bb.30:
	v_cmp_gt_i32_e32 vcc_lo, s9, v20
	v_mov_b32_e32 v10, 0
	v_or_b32_e32 v2, 1, v20
	v_mov_b32_e32 v11, 0
	v_mov_b32_e32 v12, 0
	;; [unrolled: 1-line block ×3, first 2 shown]
	s_and_saveexec_b32 s1, vcc_lo
	s_cbranch_execz .LBB516_38
; %bb.31:
	s_waitcnt lgkmcnt(0)
	v_mul_lo_u32 v3, v20, s4
	v_mov_b32_e32 v12, 0
	v_mov_b32_e32 v11, 0
	;; [unrolled: 1-line block ×3, first 2 shown]
	s_mov_b32 s2, exec_lo
	v_ashrrev_i32_e32 v4, 31, v3
	v_lshlrev_b64 v[3:4], 1, v[3:4]
	v_add_co_u32 v3, s0, s14, v3
	v_add_co_ci_u32_e64 v4, null, s15, v4, s0
	flat_load_ushort v3, v[3:4]
	v_cmpx_gt_i32_e64 s9, v2
	s_cbranch_execz .LBB516_37
; %bb.32:
	v_mul_lo_u32 v4, v2, s4
	v_mov_b32_e32 v11, 0
	v_mov_b32_e32 v10, 0
	s_mov_b32 s3, exec_lo
	v_ashrrev_i32_e32 v5, 31, v4
	v_lshlrev_b64 v[4:5], 1, v[4:5]
	v_add_co_u32 v4, s0, s14, v4
	v_add_co_ci_u32_e64 v5, null, s15, v5, s0
	flat_load_ushort v4, v[4:5]
	v_or_b32_e32 v5, 2, v20
	v_cmpx_gt_i32_e64 s9, v5
	s_cbranch_execz .LBB516_36
; %bb.33:
	v_mul_lo_u32 v5, v5, s4
	v_mov_b32_e32 v10, 0
	s_mov_b32 s6, exec_lo
	v_ashrrev_i32_e32 v6, 31, v5
	v_lshlrev_b64 v[5:6], 1, v[5:6]
	v_add_co_u32 v5, s0, s14, v5
	v_add_co_ci_u32_e64 v6, null, s15, v6, s0
	flat_load_ushort v5, v[5:6]
	v_or_b32_e32 v6, 3, v20
	v_cmpx_gt_i32_e64 s9, v6
	s_cbranch_execz .LBB516_35
; %bb.34:
	v_mul_lo_u32 v6, v6, s4
	v_ashrrev_i32_e32 v7, 31, v6
	v_lshlrev_b64 v[6:7], 1, v[6:7]
	v_add_co_u32 v6, s0, s14, v6
	v_add_co_ci_u32_e64 v7, null, s15, v7, s0
	flat_load_ushort v6, v[6:7]
	s_waitcnt vmcnt(0) lgkmcnt(0)
	v_cvt_f32_f16_e32 v10, v6
.LBB516_35:
	s_or_b32 exec_lo, exec_lo, s6
	s_waitcnt vmcnt(0) lgkmcnt(0)
	v_cvt_f32_f16_e32 v11, v5
.LBB516_36:
	s_or_b32 exec_lo, exec_lo, s3
	s_waitcnt vmcnt(0) lgkmcnt(0)
	v_cvt_f32_f16_e32 v12, v4
.LBB516_37:
	s_or_b32 exec_lo, exec_lo, s2
	s_waitcnt vmcnt(0) lgkmcnt(0)
	v_cvt_f32_f16_e32 v21, v3
.LBB516_38:
	s_or_b32 exec_lo, exec_lo, s1
	s_mov_b32 s1, exec_lo
	v_cmpx_gt_i32_e64 s8, v16
	s_cbranch_execz .LBB516_46
; %bb.39:
	s_waitcnt lgkmcnt(0)
	v_mul_lo_u32 v3, v20, s19
	v_or_b32_e32 v4, 2, v20
	v_mul_lo_u32 v5, v2, s19
	v_or_b32_e32 v6, 3, v20
	s_mov_b32 s0, exec_lo
	v_mul_lo_u32 v7, v4, s19
	v_mul_lo_u32 v8, v6, s19
	v_cndmask_b32_e32 v3, 0, v3, vcc_lo
	v_cmp_gt_i32_e32 vcc_lo, s9, v2
	v_add_nc_u32_e32 v2, v3, v16
	v_cndmask_b32_e32 v5, 0, v5, vcc_lo
	v_cmp_gt_i32_e32 vcc_lo, s9, v4
	v_ashrrev_i32_e32 v3, 31, v2
	v_add_nc_u32_e32 v4, v5, v16
	v_cndmask_b32_e32 v7, 0, v7, vcc_lo
	v_cmp_gt_i32_e32 vcc_lo, s9, v6
	v_lshlrev_b64 v[2:3], 1, v[2:3]
	v_ashrrev_i32_e32 v5, 31, v4
	v_add_nc_u32_e32 v6, v7, v16
	v_cndmask_b32_e32 v8, 0, v8, vcc_lo
	v_lshlrev_b64 v[4:5], 1, v[4:5]
	v_ashrrev_i32_e32 v7, 31, v6
	v_add_nc_u32_e32 v8, v8, v16
	v_add_co_u32 v2, vcc_lo, s12, v2
	v_add_co_ci_u32_e64 v3, null, s13, v3, vcc_lo
	v_lshlrev_b64 v[6:7], 1, v[6:7]
	v_ashrrev_i32_e32 v9, 31, v8
	v_add_co_u32 v4, vcc_lo, s12, v4
	v_add_co_ci_u32_e64 v5, null, s13, v5, vcc_lo
	flat_load_ushort v22, v[2:3]
	v_add_co_u32 v6, vcc_lo, s12, v6
	v_add_co_ci_u32_e64 v7, null, s13, v7, vcc_lo
	v_lshlrev_b64 v[8:9], 1, v[8:9]
	s_clause 0x1
	flat_load_ushort v23, v[4:5]
	flat_load_ushort v24, v[6:7]
	v_add_co_u32 v8, vcc_lo, s12, v8
	v_add_co_ci_u32_e64 v9, null, s13, v9, vcc_lo
	flat_load_ushort v20, v[8:9]
	s_waitcnt vmcnt(3) lgkmcnt(3)
	v_fma_mix_f32 v19, v21, v22, v19 op_sel_hi:[0,1,0]
	v_add_nc_u32_e32 v22, 64, v16
	s_waitcnt vmcnt(2) lgkmcnt(2)
	v_fma_mix_f32 v19, v12, v23, v19 op_sel_hi:[0,1,0]
	s_waitcnt vmcnt(1) lgkmcnt(1)
	v_fma_mix_f32 v19, v11, v24, v19 op_sel_hi:[0,1,0]
	v_cmpx_gt_i32_e64 s8, v22
	s_cbranch_execz .LBB516_45
; %bb.40:
	s_clause 0x3
	flat_load_ushort v23, v[2:3] offset:128
	flat_load_ushort v24, v[4:5] offset:128
	;; [unrolled: 1-line block ×4, first 2 shown]
	s_mov_b32 s2, exec_lo
	s_waitcnt vmcnt(3) lgkmcnt(3)
	v_fma_mix_f32 v18, v21, v23, v18 op_sel_hi:[0,1,0]
	v_add_nc_u32_e32 v23, 0x80, v16
	s_waitcnt vmcnt(2) lgkmcnt(2)
	v_fma_mix_f32 v18, v12, v24, v18 op_sel_hi:[0,1,0]
	s_waitcnt vmcnt(1) lgkmcnt(1)
	v_fma_mix_f32 v18, v11, v25, v18 op_sel_hi:[0,1,0]
	v_cmpx_gt_i32_e64 s8, v23
	s_cbranch_execz .LBB516_44
; %bb.41:
	s_clause 0x3
	flat_load_ushort v24, v[2:3] offset:256
	flat_load_ushort v25, v[4:5] offset:256
	;; [unrolled: 1-line block ×4, first 2 shown]
	s_mov_b32 s3, exec_lo
	s_waitcnt vmcnt(3) lgkmcnt(3)
	v_fma_mix_f32 v17, v21, v24, v17 op_sel_hi:[0,1,0]
	v_add_nc_u32_e32 v24, 0xc0, v16
	s_waitcnt vmcnt(2) lgkmcnt(2)
	v_fma_mix_f32 v17, v12, v25, v17 op_sel_hi:[0,1,0]
	s_waitcnt vmcnt(1) lgkmcnt(1)
	v_fma_mix_f32 v16, v11, v26, v17 op_sel_hi:[0,1,0]
	v_cmpx_gt_i32_e64 s8, v24
	s_cbranch_execz .LBB516_43
; %bb.42:
	s_clause 0x3
	flat_load_ushort v2, v[2:3] offset:384
	flat_load_ushort v3, v[4:5] offset:384
	;; [unrolled: 1-line block ×4, first 2 shown]
	s_waitcnt vmcnt(3) lgkmcnt(3)
	v_fma_mix_f32 v2, v21, v2, v15 op_sel_hi:[0,1,0]
	s_waitcnt vmcnt(2) lgkmcnt(2)
	v_fma_mix_f32 v2, v12, v3, v2 op_sel_hi:[0,1,0]
	;; [unrolled: 2-line block ×4, first 2 shown]
.LBB516_43:
	s_or_b32 exec_lo, exec_lo, s3
	s_waitcnt vmcnt(0) lgkmcnt(0)
	v_fma_mix_f32 v17, v10, v23, v16 op_sel_hi:[0,1,0]
.LBB516_44:
	s_or_b32 exec_lo, exec_lo, s2
	s_waitcnt vmcnt(0) lgkmcnt(0)
	v_fma_mix_f32 v18, v10, v22, v18 op_sel_hi:[0,1,0]
.LBB516_45:
	s_or_b32 exec_lo, exec_lo, s0
	s_waitcnt vmcnt(0) lgkmcnt(0)
	v_fma_mix_f32 v19, v10, v20, v19 op_sel_hi:[0,1,0]
.LBB516_46:
	s_or_b32 exec_lo, exec_lo, s1
.LBB516_47:
	v_lshlrev_b32_e32 v0, 2, v0
	s_mov_b32 s0, exec_lo
                                        ; implicit-def: $vgpr3
                                        ; implicit-def: $vgpr4_vgpr5
	v_lshl_add_u32 v1, v1, 10, v0
	ds_write2st64_b32 v1, v19, v18 offset1:1
	ds_write2st64_b32 v1, v17, v15 offset0:2 offset1:3
	s_waitcnt lgkmcnt(0)
	s_barrier
	buffer_gl0_inv
	v_cmpx_gt_u32_e32 0x100, v13
	s_cbranch_execz .LBB516_53
; %bb.48:
	v_lshl_add_u32 v6, v14, 2, v0
	s_mov_b32 s2, s18
	s_mov_b32 s1, exec_lo
	ds_read2st64_b32 v[0:1], v6 offset1:4
	ds_read2st64_b32 v[2:3], v6 offset0:8 offset1:12
	ds_read2st64_b32 v[4:5], v6 offset0:16 offset1:20
	s_waitcnt lgkmcnt(2)
	v_add_f32_e32 v7, v0, v1
	ds_read2st64_b32 v[0:1], v6 offset0:24 offset1:28
	s_waitcnt lgkmcnt(2)
	v_add_f32_e32 v2, v2, v7
	v_add_f32_e32 v7, v3, v2
	ds_read2st64_b32 v[2:3], v6 offset0:32 offset1:36
	s_waitcnt lgkmcnt(2)
	v_add_f32_e32 v4, v4, v7
	;; [unrolled: 4-line block ×3, first 2 shown]
	v_add_f32_e32 v0, v1, v0
	s_waitcnt lgkmcnt(1)
	v_add_f32_e32 v2, v2, v0
	ds_read2st64_b32 v[0:1], v6 offset0:48 offset1:52
	v_add_f32_e32 v2, v3, v2
	s_waitcnt lgkmcnt(1)
	v_add_f32_e32 v4, v4, v2
	ds_read2st64_b32 v[2:3], v6 offset0:56 offset1:60
	v_add_f32_e32 v4, v5, v4
	s_waitcnt lgkmcnt(1)
	v_add_f32_e32 v0, v0, v4
                                        ; implicit-def: $vgpr4_vgpr5
	v_add_f32_e32 v0, v1, v0
	v_or_b32_e32 v1, s5, v13
	s_waitcnt lgkmcnt(0)
	v_add_f32_e32 v0, v2, v0
	v_add_f32_e32 v0, v3, v0
                                        ; implicit-def: $vgpr3
	ds_write_b32 v6, v0
	v_cmpx_gt_i32_e64 s8, v1
	s_cbranch_execz .LBB516_52
; %bb.49:
	v_mul_lo_u32 v4, s17, v1
	v_cmp_eq_f32_e64 s2, s7, 0
	v_mul_f32_e32 v3, s10, v0
	s_and_b32 vcc_lo, exec_lo, s2
	v_ashrrev_i32_e32 v5, 31, v4
	s_cbranch_vccnz .LBB516_51
; %bb.50:
	v_lshlrev_b64 v[0:1], 2, v[4:5]
	v_add_co_u32 v0, vcc_lo, s11, v0
	v_add_co_ci_u32_e64 v1, null, s16, v1, vcc_lo
	flat_load_dword v0, v[0:1]
	s_waitcnt vmcnt(0) lgkmcnt(0)
	v_fmac_f32_e32 v3, s7, v0
.LBB516_51:
	s_or_b32 s2, s18, exec_lo
.LBB516_52:
	s_or_b32 exec_lo, exec_lo, s1
	s_andn2_b32 s1, s18, exec_lo
	s_and_b32 s2, s2, exec_lo
	s_or_b32 s18, s1, s2
.LBB516_53:
	s_or_b32 exec_lo, exec_lo, s0
.LBB516_54:
	s_and_saveexec_b32 s0, s18
	s_cbranch_execz .LBB516_56
; %bb.55:
	v_lshlrev_b64 v[0:1], 2, v[4:5]
	v_add_co_u32 v0, vcc_lo, s11, v0
	v_add_co_ci_u32_e64 v1, null, s16, v1, vcc_lo
	flat_store_dword v[0:1], v3
.LBB516_56:
	s_endpgm
	.section	.rodata,"a",@progbits
	.p2align	6, 0x0
	.amdhsa_kernel _ZL20rocblas_gemvn_kernelILi64ELi16EiPKDF16_fKPfEviiT3_lPKT2_lT1_lS7_lS8_lS4_lPT4_lS8_li
		.amdhsa_group_segment_fixed_size 16384
		.amdhsa_private_segment_fixed_size 0
		.amdhsa_kernarg_size 400
		.amdhsa_user_sgpr_count 6
		.amdhsa_user_sgpr_private_segment_buffer 1
		.amdhsa_user_sgpr_dispatch_ptr 0
		.amdhsa_user_sgpr_queue_ptr 0
		.amdhsa_user_sgpr_kernarg_segment_ptr 1
		.amdhsa_user_sgpr_dispatch_id 0
		.amdhsa_user_sgpr_flat_scratch_init 0
		.amdhsa_user_sgpr_private_segment_size 0
		.amdhsa_wavefront_size32 1
		.amdhsa_uses_dynamic_stack 0
		.amdhsa_system_sgpr_private_segment_wavefront_offset 0
		.amdhsa_system_sgpr_workgroup_id_x 1
		.amdhsa_system_sgpr_workgroup_id_y 0
		.amdhsa_system_sgpr_workgroup_id_z 1
		.amdhsa_system_sgpr_workgroup_info 0
		.amdhsa_system_vgpr_workitem_id 1
		.amdhsa_next_free_vgpr 46
		.amdhsa_next_free_sgpr 28
		.amdhsa_reserve_vcc 1
		.amdhsa_reserve_flat_scratch 1
		.amdhsa_float_round_mode_32 0
		.amdhsa_float_round_mode_16_64 0
		.amdhsa_float_denorm_mode_32 3
		.amdhsa_float_denorm_mode_16_64 3
		.amdhsa_dx10_clamp 1
		.amdhsa_ieee_mode 1
		.amdhsa_fp16_overflow 0
		.amdhsa_workgroup_processor_mode 1
		.amdhsa_memory_ordered 1
		.amdhsa_forward_progress 1
		.amdhsa_shared_vgpr_count 0
		.amdhsa_exception_fp_ieee_invalid_op 0
		.amdhsa_exception_fp_denorm_src 0
		.amdhsa_exception_fp_ieee_div_zero 0
		.amdhsa_exception_fp_ieee_overflow 0
		.amdhsa_exception_fp_ieee_underflow 0
		.amdhsa_exception_fp_ieee_inexact 0
		.amdhsa_exception_int_div_zero 0
	.end_amdhsa_kernel
	.section	.text._ZL20rocblas_gemvn_kernelILi64ELi16EiPKDF16_fKPfEviiT3_lPKT2_lT1_lS7_lS8_lS4_lPT4_lS8_li,"axG",@progbits,_ZL20rocblas_gemvn_kernelILi64ELi16EiPKDF16_fKPfEviiT3_lPKT2_lT1_lS7_lS8_lS4_lPT4_lS8_li,comdat
.Lfunc_end516:
	.size	_ZL20rocblas_gemvn_kernelILi64ELi16EiPKDF16_fKPfEviiT3_lPKT2_lT1_lS7_lS8_lS4_lPT4_lS8_li, .Lfunc_end516-_ZL20rocblas_gemvn_kernelILi64ELi16EiPKDF16_fKPfEviiT3_lPKT2_lT1_lS7_lS8_lS4_lPT4_lS8_li
                                        ; -- End function
	.set _ZL20rocblas_gemvn_kernelILi64ELi16EiPKDF16_fKPfEviiT3_lPKT2_lT1_lS7_lS8_lS4_lPT4_lS8_li.num_vgpr, 46
	.set _ZL20rocblas_gemvn_kernelILi64ELi16EiPKDF16_fKPfEviiT3_lPKT2_lT1_lS7_lS8_lS4_lPT4_lS8_li.num_agpr, 0
	.set _ZL20rocblas_gemvn_kernelILi64ELi16EiPKDF16_fKPfEviiT3_lPKT2_lT1_lS7_lS8_lS4_lPT4_lS8_li.numbered_sgpr, 28
	.set _ZL20rocblas_gemvn_kernelILi64ELi16EiPKDF16_fKPfEviiT3_lPKT2_lT1_lS7_lS8_lS4_lPT4_lS8_li.num_named_barrier, 0
	.set _ZL20rocblas_gemvn_kernelILi64ELi16EiPKDF16_fKPfEviiT3_lPKT2_lT1_lS7_lS8_lS4_lPT4_lS8_li.private_seg_size, 0
	.set _ZL20rocblas_gemvn_kernelILi64ELi16EiPKDF16_fKPfEviiT3_lPKT2_lT1_lS7_lS8_lS4_lPT4_lS8_li.uses_vcc, 1
	.set _ZL20rocblas_gemvn_kernelILi64ELi16EiPKDF16_fKPfEviiT3_lPKT2_lT1_lS7_lS8_lS4_lPT4_lS8_li.uses_flat_scratch, 1
	.set _ZL20rocblas_gemvn_kernelILi64ELi16EiPKDF16_fKPfEviiT3_lPKT2_lT1_lS7_lS8_lS4_lPT4_lS8_li.has_dyn_sized_stack, 0
	.set _ZL20rocblas_gemvn_kernelILi64ELi16EiPKDF16_fKPfEviiT3_lPKT2_lT1_lS7_lS8_lS4_lPT4_lS8_li.has_recursion, 0
	.set _ZL20rocblas_gemvn_kernelILi64ELi16EiPKDF16_fKPfEviiT3_lPKT2_lT1_lS7_lS8_lS4_lPT4_lS8_li.has_indirect_call, 0
	.section	.AMDGPU.csdata,"",@progbits
; Kernel info:
; codeLenInByte = 2956
; TotalNumSgprs: 30
; NumVgprs: 46
; ScratchSize: 0
; MemoryBound: 0
; FloatMode: 240
; IeeeMode: 1
; LDSByteSize: 16384 bytes/workgroup (compile time only)
; SGPRBlocks: 0
; VGPRBlocks: 5
; NumSGPRsForWavesPerEU: 30
; NumVGPRsForWavesPerEU: 46
; Occupancy: 16
; WaveLimiterHint : 1
; COMPUTE_PGM_RSRC2:SCRATCH_EN: 0
; COMPUTE_PGM_RSRC2:USER_SGPR: 6
; COMPUTE_PGM_RSRC2:TRAP_HANDLER: 0
; COMPUTE_PGM_RSRC2:TGID_X_EN: 1
; COMPUTE_PGM_RSRC2:TGID_Y_EN: 0
; COMPUTE_PGM_RSRC2:TGID_Z_EN: 1
; COMPUTE_PGM_RSRC2:TIDIG_COMP_CNT: 1
	.section	.text._ZL20rocblas_gemvn_kernelILi64ELi16ElPKDF16_fKPfEviiT3_lPKT2_lT1_lS7_lS8_lS4_lPT4_lS8_li,"axG",@progbits,_ZL20rocblas_gemvn_kernelILi64ELi16ElPKDF16_fKPfEviiT3_lPKT2_lT1_lS7_lS8_lS4_lPT4_lS8_li,comdat
	.globl	_ZL20rocblas_gemvn_kernelILi64ELi16ElPKDF16_fKPfEviiT3_lPKT2_lT1_lS7_lS8_lS4_lPT4_lS8_li ; -- Begin function _ZL20rocblas_gemvn_kernelILi64ELi16ElPKDF16_fKPfEviiT3_lPKT2_lT1_lS7_lS8_lS4_lPT4_lS8_li
	.p2align	8
	.type	_ZL20rocblas_gemvn_kernelILi64ELi16ElPKDF16_fKPfEviiT3_lPKT2_lT1_lS7_lS8_lS4_lPT4_lS8_li,@function
_ZL20rocblas_gemvn_kernelILi64ELi16ElPKDF16_fKPfEviiT3_lPKT2_lT1_lS7_lS8_lS4_lPT4_lS8_li: ; @_ZL20rocblas_gemvn_kernelILi64ELi16ElPKDF16_fKPfEviiT3_lPKT2_lT1_lS7_lS8_lS4_lPT4_lS8_li
; %bb.0:
	s_load_dwordx2 s[0:1], s[4:5], 0x9c
	s_waitcnt lgkmcnt(0)
	s_lshr_b32 s2, s0, 16
	s_and_b32 s0, s0, 0xffff
	s_and_b32 s1, s1, 0xffff
	s_mul_i32 s0, s2, s0
	s_mul_i32 s0, s0, s1
	s_cmpk_lg_i32 s0, 0x400
	s_cbranch_scc1 .LBB517_56
; %bb.1:
	s_load_dwordx4 s[8:11], s[4:5], 0x0
	s_waitcnt lgkmcnt(0)
	s_load_dword s11, s[4:5], 0x58
	s_mov_b32 s20, s7
	s_mov_b32 s21, 0
	v_cmp_eq_f32_e64 s7, s10, 0
	s_waitcnt lgkmcnt(0)
	v_cmp_eq_f32_e64 s0, s11, 1.0
	s_and_b32 s0, s7, s0
	s_and_b32 vcc_lo, exec_lo, s0
	s_cbranch_vccnz .LBB517_56
; %bb.2:
	s_clause 0x1
	s_load_dwordx4 s[0:3], s[4:5], 0x18
	s_load_dwordx2 s[14:15], s[4:5], 0x28
	v_cmp_neq_f32_e64 s22, s10, 0
	s_and_b32 vcc_lo, exec_lo, s22
	s_cbranch_vccnz .LBB517_4
; %bb.3:
	s_mov_b32 s13, 0
	s_mov_b32 s12, s20
	;; [unrolled: 1-line block ×3, first 2 shown]
	s_mov_b64 s[18:19], 0
	s_andn2_b32 vcc_lo, exec_lo, s16
	s_mov_b64 s[16:17], 0
	s_cbranch_vccz .LBB517_5
	s_branch .LBB517_6
.LBB517_4:
	s_mov_b64 s[12:13], s[20:21]
	s_mov_b64 s[18:19], 0
	;; [unrolled: 1-line block ×3, first 2 shown]
.LBB517_5:
	s_lshl_b64 s[16:17], s[20:21], 3
	s_waitcnt lgkmcnt(0)
	s_add_u32 s0, s0, s16
	s_addc_u32 s1, s1, s17
	s_lshl_b64 s[2:3], s[2:3], 1
	s_load_dwordx2 s[0:1], s[0:1], 0x0
	s_waitcnt lgkmcnt(0)
	s_add_u32 s16, s0, s2
	s_addc_u32 s17, s1, s3
.LBB517_6:
	s_waitcnt lgkmcnt(0)
	s_clause 0x1
	s_load_dwordx4 s[0:3], s[4:5], 0x38
	s_load_dwordx2 s[20:21], s[4:5], 0x48
	s_andn2_b32 vcc_lo, exec_lo, s22
	s_cbranch_vccnz .LBB517_8
; %bb.7:
	s_lshl_b64 s[18:19], s[12:13], 3
	s_waitcnt lgkmcnt(0)
	s_add_u32 s0, s0, s18
	s_addc_u32 s1, s1, s19
	s_lshl_b64 s[2:3], s[2:3], 1
	s_load_dwordx2 s[0:1], s[0:1], 0x0
	s_waitcnt lgkmcnt(0)
	s_add_u32 s18, s0, s2
	s_addc_u32 s19, s1, s3
.LBB517_8:
	s_waitcnt lgkmcnt(0)
	s_load_dwordx4 s[0:3], s[4:5], 0x68
	s_lshl_b64 s[22:23], s[12:13], 3
	s_load_dwordx2 s[12:13], s[4:5], 0x78
	v_lshlrev_b32_e32 v22, 6, v1
	v_add_nc_u32_e32 v21, v22, v0
	s_waitcnt lgkmcnt(0)
	s_add_u32 s0, s0, s22
	s_addc_u32 s1, s1, s23
	s_lshl_b64 s[2:3], s[2:3], 2
	s_load_dwordx2 s[22:23], s[0:1], 0x0
	v_cmp_gt_u32_e64 s0, 0x100, v21
	s_waitcnt lgkmcnt(0)
	s_add_u32 s5, s22, s2
	s_addc_u32 s26, s23, s3
	s_andn2_b32 vcc_lo, exec_lo, s7
	s_cbranch_vccnz .LBB517_15
; %bb.9:
	s_mov_b32 s1, 0
	s_mov_b32 s27, 0
                                        ; implicit-def: $vgpr3
                                        ; implicit-def: $vgpr4_vgpr5
	s_and_saveexec_b32 s2, s0
	s_cbranch_execz .LBB517_16
; %bb.10:
	v_lshl_or_b32 v2, s6, 8, v21
	v_mov_b32_e32 v3, 0
	s_ashr_i32 s23, s8, 31
	s_mov_b32 s22, s8
	s_mov_b32 s3, 0
	s_mov_b32 s0, exec_lo
                                        ; implicit-def: $vgpr4_vgpr5
	v_cmpx_gt_i64_e64 s[22:23], v[2:3]
	s_cbranch_execz .LBB517_14
; %bb.11:
	v_mad_u64_u32 v[4:5], null, s12, v2, 0
	v_cmp_eq_f32_e64 s3, s11, 0
	s_and_b32 vcc_lo, exec_lo, s3
	v_mad_u64_u32 v[5:6], null, s13, v2, v[5:6]
	s_cbranch_vccnz .LBB517_13
; %bb.12:
	v_lshlrev_b64 v[2:3], 2, v[4:5]
	v_add_co_u32 v2, vcc_lo, s5, v2
	v_add_co_ci_u32_e64 v3, null, s26, v3, vcc_lo
	flat_load_dword v2, v[2:3]
	s_waitcnt vmcnt(0) lgkmcnt(0)
	v_mul_f32_e32 v3, s11, v2
.LBB517_13:
	s_mov_b32 s3, exec_lo
.LBB517_14:
	s_or_b32 exec_lo, exec_lo, s0
	s_and_b32 s27, s3, exec_lo
	s_or_b32 exec_lo, exec_lo, s2
	s_and_b32 vcc_lo, exec_lo, s1
	s_cbranch_vccnz .LBB517_17
	s_branch .LBB517_54
.LBB517_15:
	s_mov_b32 s27, 0
                                        ; implicit-def: $vgpr3
                                        ; implicit-def: $vgpr4_vgpr5
	s_cbranch_execnz .LBB517_17
	s_branch .LBB517_54
.LBB517_16:
	s_or_b32 exec_lo, exec_lo, s2
	s_and_b32 vcc_lo, exec_lo, s1
	s_cbranch_vccz .LBB517_54
.LBB517_17:
	s_ashr_i32 s0, s9, 31
	s_lshl_b32 s28, s6, 8
	s_lshr_b32 s0, s0, 26
	v_lshlrev_b32_e32 v24, 2, v1
	v_mov_b32_e32 v27, 0
	v_add_nc_u32_e32 v2, s28, v0
	v_mov_b32_e32 v26, 0
	v_mov_b32_e32 v25, 0
	;; [unrolled: 1-line block ×3, first 2 shown]
	s_add_i32 s29, s9, s0
	s_mov_b32 s30, exec_lo
	s_andn2_b32 s29, s29, 63
	v_cmpx_gt_i32_e64 s29, v24
	s_cbranch_execz .LBB517_29
; %bb.18:
	v_lshlrev_b32_e32 v23, 2, v1
	v_add_nc_u32_e32 v4, 64, v2
	v_mad_u64_u32 v[7:8], null, s20, v1, 0
	v_mad_u64_u32 v[9:10], null, s14, v1, 0
	v_or_b32_e32 v27, 3, v23
	v_add_nc_u32_e32 v11, 0x80, v2
	v_add_nc_u32_e32 v12, 0xc0, v2
	v_cmp_gt_i32_e64 s0, s8, v4
	v_or_b32_e32 v32, 2, v23
	v_mad_u64_u32 v[5:6], null, s14, v27, 0
	v_cmp_gt_i32_e64 s1, s8, v11
	v_cmp_gt_i32_e64 s2, s8, v12
	v_mad_u64_u32 v[16:17], null, s14, v32, 0
	v_mad_u64_u32 v[18:19], null, s20, v27, 0
	v_mov_b32_e32 v4, v6
	v_mov_b32_e32 v6, v8
	;; [unrolled: 1-line block ×3, first 2 shown]
	v_ashrrev_i32_e32 v3, 31, v2
	s_lshl_b64 s[6:7], s[14:15], 7
	v_mad_u64_u32 v[11:12], null, s15, v27, v[4:5]
	v_mad_u64_u32 v[12:13], null, s21, v1, v[6:7]
	;; [unrolled: 1-line block ×4, first 2 shown]
	v_mov_b32_e32 v6, v11
	v_lshlrev_b64 v[3:4], 1, v[2:3]
	v_mov_b32_e32 v8, v12
	s_lshl_b64 s[22:23], s[20:21], 7
	v_mov_b32_e32 v10, v13
	v_lshlrev_b64 v[11:12], 1, v[5:6]
	s_mov_b32 s31, 0
	v_lshlrev_b64 v[5:6], 3, v[7:8]
	v_mov_b32_e32 v7, v17
	v_mov_b32_e32 v8, v15
	v_lshlrev_b64 v[9:10], 3, v[9:10]
	v_add_co_u32 v28, s3, s16, v11
	v_add_co_ci_u32_e64 v29, null, s17, v12, s3
	v_mad_u64_u32 v[11:12], null, s14, v23, s[14:15]
	v_mad_u64_u32 v[25:26], null, s15, v32, v[7:8]
	v_mov_b32_e32 v7, v19
	v_mad_u64_u32 v[19:20], null, s21, v23, v[8:9]
	v_add_co_u32 v30, s3, s16, v9
	v_mad_u64_u32 v[7:8], null, s21, v27, v[7:8]
	v_mov_b32_e32 v8, v12
	v_mov_b32_e32 v17, v25
	v_mad_u64_u32 v[25:26], null, s20, v32, 0
	v_mov_b32_e32 v15, v19
	v_mad_u64_u32 v[12:13], null, s15, v23, v[8:9]
	v_lshlrev_b64 v[16:17], 1, v[16:17]
	v_mov_b32_e32 v19, v7
	v_add_co_ci_u32_e64 v31, null, s17, v10, s3
	v_mov_b32_e32 v8, v26
	v_mov_b32_e32 v23, 0
	v_lshlrev_b64 v[11:12], 1, v[11:12]
	s_mov_b64 s[24:25], s[18:19]
	v_cmp_gt_i32_e32 vcc_lo, s8, v2
	v_mad_u64_u32 v[26:27], null, s21, v32, v[8:9]
	v_add_co_u32 v32, s3, s16, v16
	v_add_co_ci_u32_e64 v33, null, s17, v17, s3
	v_add_co_u32 v34, s3, s16, v11
	v_lshlrev_b64 v[7:8], 1, v[14:15]
	v_lshlrev_b64 v[9:10], 1, v[18:19]
	v_add_co_ci_u32_e64 v35, null, s17, v12, s3
	v_lshlrev_b64 v[11:12], 1, v[25:26]
	v_mov_b32_e32 v27, 0
	v_mov_b32_e32 v26, 0
	;; [unrolled: 1-line block ×3, first 2 shown]
	s_branch .LBB517_23
.LBB517_19:                             ;   in Loop: Header=BB517_23 Depth=1
	s_or_b32 exec_lo, exec_lo, s34
	s_waitcnt vmcnt(3) lgkmcnt(3)
	v_fma_mix_f32 v13, v48, v52, v25 op_sel_hi:[0,1,0]
	s_waitcnt vmcnt(2) lgkmcnt(2)
	v_fma_mix_f32 v13, v49, v53, v13 op_sel_hi:[0,1,0]
	;; [unrolled: 2-line block ×4, first 2 shown]
.LBB517_20:                             ;   in Loop: Header=BB517_23 Depth=1
	s_or_b32 exec_lo, exec_lo, s33
	s_waitcnt vmcnt(3) lgkmcnt(3)
	v_fma_mix_f32 v13, v48, v44, v26 op_sel_hi:[0,1,0]
	s_waitcnt vmcnt(2) lgkmcnt(2)
	v_fma_mix_f32 v13, v49, v45, v13 op_sel_hi:[0,1,0]
	s_waitcnt vmcnt(1) lgkmcnt(1)
	v_fma_mix_f32 v13, v50, v46, v13 op_sel_hi:[0,1,0]
	s_waitcnt vmcnt(0) lgkmcnt(0)
	v_fma_mix_f32 v26, v51, v47, v13 op_sel_hi:[0,1,0]
.LBB517_21:                             ;   in Loop: Header=BB517_23 Depth=1
	s_or_b32 exec_lo, exec_lo, s3
	s_waitcnt vmcnt(3) lgkmcnt(3)
	v_fma_mix_f32 v13, v36, v40, v27 op_sel_hi:[1,1,0]
	s_waitcnt vmcnt(2) lgkmcnt(2)
	v_fma_mix_f32 v13, v37, v41, v13 op_sel_hi:[1,1,0]
	;; [unrolled: 2-line block ×4, first 2 shown]
.LBB517_22:                             ;   in Loop: Header=BB517_23 Depth=1
	s_or_b32 exec_lo, exec_lo, s4
	v_add_co_u32 v28, s3, v28, s6
	v_add_nc_u32_e32 v24, 64, v24
	v_add_co_ci_u32_e64 v29, null, s7, v29, s3
	v_add_co_u32 v30, s3, v30, s6
	v_add_co_ci_u32_e64 v31, null, s7, v31, s3
	v_add_co_u32 v32, s3, v32, s6
	v_add_co_ci_u32_e64 v33, null, s7, v33, s3
	v_cmp_le_i32_e64 s3, s29, v24
	v_add_co_u32 v34, s4, v34, s6
	v_add_co_ci_u32_e64 v35, null, s7, v35, s4
	s_add_u32 s24, s24, s22
	s_addc_u32 s25, s25, s23
	s_or_b32 s31, s3, s31
	s_andn2_b32 exec_lo, exec_lo, s31
	s_cbranch_execz .LBB517_28
.LBB517_23:                             ; =>This Inner Loop Header: Depth=1
	s_and_saveexec_b32 s4, vcc_lo
	s_cbranch_execz .LBB517_22
; %bb.24:                               ;   in Loop: Header=BB517_23 Depth=1
	v_add_co_u32 v36, s3, s24, v5
	v_add_co_ci_u32_e64 v37, null, s25, v6, s3
	v_add_co_u32 v38, s3, s24, v7
	v_add_co_ci_u32_e64 v39, null, s25, v8, s3
	;; [unrolled: 2-line block ×8, first 2 shown]
	s_clause 0x3
	flat_load_ushort v36, v[36:37]
	flat_load_ushort v37, v[38:39]
	;; [unrolled: 1-line block ×8, first 2 shown]
	s_and_saveexec_b32 s3, s0
	s_cbranch_execz .LBB517_21
; %bb.25:                               ;   in Loop: Header=BB517_23 Depth=1
	flat_load_ushort v44, v[13:14] offset:128
	flat_load_ushort v45, v[15:16] offset:128
	;; [unrolled: 1-line block ×4, first 2 shown]
	s_waitcnt vmcnt(11) lgkmcnt(11)
	v_cvt_f32_f16_e32 v48, v36
	s_waitcnt vmcnt(10) lgkmcnt(10)
	v_cvt_f32_f16_e32 v49, v37
	s_waitcnt vmcnt(9) lgkmcnt(9)
	v_cvt_f32_f16_e32 v50, v38
	s_waitcnt vmcnt(8) lgkmcnt(8)
	v_cvt_f32_f16_e32 v51, v39
	s_and_saveexec_b32 s33, s1
	s_cbranch_execz .LBB517_20
; %bb.26:                               ;   in Loop: Header=BB517_23 Depth=1
	flat_load_ushort v52, v[13:14] offset:256
	flat_load_ushort v53, v[15:16] offset:256
	flat_load_ushort v54, v[17:18] offset:256
	flat_load_ushort v55, v[19:20] offset:256
	s_and_saveexec_b32 s34, s2
	s_cbranch_execz .LBB517_19
; %bb.27:                               ;   in Loop: Header=BB517_23 Depth=1
	flat_load_ushort v13, v[13:14] offset:384
	flat_load_ushort v14, v[15:16] offset:384
	;; [unrolled: 1-line block ×4, first 2 shown]
	s_waitcnt vmcnt(3) lgkmcnt(3)
	v_fma_mix_f32 v13, v48, v13, v23 op_sel_hi:[0,1,0]
	s_waitcnt vmcnt(2) lgkmcnt(2)
	v_fma_mix_f32 v13, v49, v14, v13 op_sel_hi:[0,1,0]
	s_waitcnt vmcnt(1) lgkmcnt(1)
	v_fma_mix_f32 v13, v50, v15, v13 op_sel_hi:[0,1,0]
	s_waitcnt vmcnt(0) lgkmcnt(0)
	v_fma_mix_f32 v23, v51, v16, v13 op_sel_hi:[0,1,0]
	s_branch .LBB517_19
.LBB517_28:
	s_or_b32 exec_lo, exec_lo, s31
.LBB517_29:
	s_or_b32 exec_lo, exec_lo, s30
	s_sub_i32 s0, s9, s29
	s_cmp_lt_i32 s0, 1
	s_cbranch_scc1 .LBB517_47
; %bb.30:
	v_cmp_gt_i32_e32 vcc_lo, s9, v24
	v_mov_b32_e32 v11, 0
	v_or_b32_e32 v4, 1, v24
	v_mov_b32_e32 v12, 0
	v_mov_b32_e32 v13, 0
	;; [unrolled: 1-line block ×3, first 2 shown]
	s_and_saveexec_b32 s1, vcc_lo
	s_cbranch_execz .LBB517_38
; %bb.31:
	v_mad_u64_u32 v[5:6], null, s20, v24, 0
	v_mov_b32_e32 v13, 0
	v_mov_b32_e32 v12, 0
	;; [unrolled: 1-line block ×3, first 2 shown]
	s_mov_b32 s2, exec_lo
	v_mov_b32_e32 v3, v6
	v_mad_u64_u32 v[6:7], null, s21, v24, v[3:4]
	v_lshlrev_b64 v[5:6], 1, v[5:6]
	v_add_co_u32 v5, s0, s18, v5
	v_add_co_ci_u32_e64 v6, null, s19, v6, s0
	flat_load_ushort v3, v[5:6]
	v_cmpx_gt_i32_e64 s9, v4
	s_cbranch_execz .LBB517_37
; %bb.32:
	v_mad_u64_u32 v[5:6], null, s20, v4, 0
	v_mov_b32_e32 v12, 0
	v_mov_b32_e32 v11, 0
	s_mov_b32 s3, exec_lo
	v_mad_u64_u32 v[6:7], null, s21, v4, v[6:7]
	v_lshlrev_b64 v[5:6], 1, v[5:6]
	v_add_co_u32 v5, s0, s18, v5
	v_add_co_ci_u32_e64 v6, null, s19, v6, s0
	flat_load_ushort v5, v[5:6]
	v_or_b32_e32 v6, 2, v24
	v_cmpx_gt_i32_e64 s9, v6
	s_cbranch_execz .LBB517_36
; %bb.33:
	v_mad_u64_u32 v[7:8], null, s20, v6, 0
	v_mov_b32_e32 v11, 0
	s_mov_b32 s4, exec_lo
	v_mad_u64_u32 v[8:9], null, s21, v6, v[8:9]
	v_lshlrev_b64 v[6:7], 1, v[7:8]
	v_add_co_u32 v6, s0, s18, v6
	v_add_co_ci_u32_e64 v7, null, s19, v7, s0
	flat_load_ushort v6, v[6:7]
	v_or_b32_e32 v7, 3, v24
	v_cmpx_gt_i32_e64 s9, v7
	s_cbranch_execz .LBB517_35
; %bb.34:
	v_mad_u64_u32 v[8:9], null, s20, v7, 0
	v_mad_u64_u32 v[9:10], null, s21, v7, v[9:10]
	v_lshlrev_b64 v[7:8], 1, v[8:9]
	v_add_co_u32 v7, s0, s18, v7
	v_add_co_ci_u32_e64 v8, null, s19, v8, s0
	flat_load_ushort v7, v[7:8]
	s_waitcnt vmcnt(0) lgkmcnt(0)
	v_cvt_f32_f16_e32 v11, v7
.LBB517_35:
	s_or_b32 exec_lo, exec_lo, s4
	s_waitcnt vmcnt(0) lgkmcnt(0)
	v_cvt_f32_f16_e32 v12, v6
.LBB517_36:
	s_or_b32 exec_lo, exec_lo, s3
	s_waitcnt vmcnt(0) lgkmcnt(0)
	v_cvt_f32_f16_e32 v13, v5
.LBB517_37:
	s_or_b32 exec_lo, exec_lo, s2
	s_waitcnt vmcnt(0) lgkmcnt(0)
	v_cvt_f32_f16_e32 v14, v3
.LBB517_38:
	s_or_b32 exec_lo, exec_lo, s1
	s_mov_b32 s1, exec_lo
	v_cmpx_gt_i32_e64 s8, v2
	s_cbranch_execz .LBB517_46
; %bb.39:
	v_mad_u64_u32 v[5:6], null, s14, v24, 0
	v_mad_u64_u32 v[7:8], null, s14, v4, 0
	v_ashrrev_i32_e32 v3, 31, v2
	v_or_b32_e32 v20, 2, v24
	v_or_b32_e32 v30, 3, v24
	v_cndmask_b32_e32 v5, 0, v5, vcc_lo
	v_lshlrev_b64 v[9:10], 1, v[2:3]
	v_mad_u64_u32 v[15:16], null, s15, v24, v[6:7]
	v_mov_b32_e32 v3, v8
	v_mad_u64_u32 v[16:17], null, s14, v20, 0
	v_mad_u64_u32 v[18:19], null, s14, v30, 0
	;; [unrolled: 1-line block ×3, first 2 shown]
	v_cndmask_b32_e32 v6, 0, v15, vcc_lo
	v_cmp_gt_i32_e32 vcc_lo, s9, v4
	v_mov_b32_e32 v3, v17
	v_cmp_gt_i32_e64 s0, s9, v20
	v_mov_b32_e32 v8, v19
	v_cndmask_b32_e32 v4, 0, v7, vcc_lo
	v_lshlrev_b64 v[6:7], 1, v[5:6]
	v_cndmask_b32_e32 v5, 0, v28, vcc_lo
	v_cndmask_b32_e64 v15, 0, v16, s0
	v_mad_u64_u32 v[19:20], null, s15, v20, v[3:4]
	v_add_co_u32 v3, vcc_lo, s16, v6
	v_lshlrev_b64 v[5:6], 1, v[4:5]
	v_add_co_ci_u32_e64 v7, null, s17, v7, vcc_lo
	v_add_co_u32 v3, vcc_lo, v3, v9
	v_cndmask_b32_e64 v16, 0, v19, s0
	v_add_co_ci_u32_e64 v4, null, v7, v10, vcc_lo
	v_add_co_u32 v5, vcc_lo, s16, v5
	v_add_co_ci_u32_e64 v6, null, s17, v6, vcc_lo
	v_mad_u64_u32 v[7:8], null, s15, v30, v[8:9]
	v_add_co_u32 v5, vcc_lo, v5, v9
	v_add_co_ci_u32_e64 v6, null, v6, v10, vcc_lo
	v_cmp_gt_i32_e32 vcc_lo, s9, v30
	v_lshlrev_b64 v[15:16], 1, v[15:16]
	s_clause 0x1
	flat_load_ushort v19, v[3:4]
	flat_load_ushort v20, v[5:6]
	s_mov_b32 s0, exec_lo
	v_cndmask_b32_e32 v17, 0, v18, vcc_lo
	v_cndmask_b32_e32 v18, 0, v7, vcc_lo
	v_add_co_u32 v7, vcc_lo, s16, v15
	v_add_co_ci_u32_e64 v8, null, s17, v16, vcc_lo
	v_lshlrev_b64 v[15:16], 1, v[17:18]
	v_add_co_u32 v7, vcc_lo, v7, v9
	v_add_co_ci_u32_e64 v8, null, v8, v10, vcc_lo
	v_add_nc_u32_e32 v18, 64, v2
	v_add_co_u32 v15, vcc_lo, s16, v15
	v_add_co_ci_u32_e64 v16, null, s17, v16, vcc_lo
	flat_load_ushort v17, v[7:8]
	v_add_co_u32 v9, vcc_lo, v15, v9
	v_add_co_ci_u32_e64 v10, null, v16, v10, vcc_lo
	flat_load_ushort v15, v[9:10]
	s_waitcnt vmcnt(3) lgkmcnt(3)
	v_fma_mix_f32 v16, v14, v19, v27 op_sel_hi:[0,1,0]
	s_waitcnt vmcnt(2) lgkmcnt(2)
	v_fma_mix_f32 v16, v13, v20, v16 op_sel_hi:[0,1,0]
	;; [unrolled: 2-line block ×3, first 2 shown]
	v_cmpx_gt_i32_e64 s8, v18
	s_cbranch_execz .LBB517_45
; %bb.40:
	s_clause 0x3
	flat_load_ushort v18, v[3:4] offset:128
	flat_load_ushort v19, v[5:6] offset:128
	;; [unrolled: 1-line block ×4, first 2 shown]
	s_mov_b32 s2, exec_lo
	s_waitcnt vmcnt(3) lgkmcnt(3)
	v_fma_mix_f32 v18, v14, v18, v26 op_sel_hi:[0,1,0]
	s_waitcnt vmcnt(2) lgkmcnt(2)
	v_fma_mix_f32 v18, v13, v19, v18 op_sel_hi:[0,1,0]
	v_add_nc_u32_e32 v19, 0x80, v2
	s_waitcnt vmcnt(1) lgkmcnt(1)
	v_fma_mix_f32 v18, v12, v20, v18 op_sel_hi:[0,1,0]
	v_cmpx_gt_i32_e64 s8, v19
	s_cbranch_execz .LBB517_44
; %bb.41:
	s_clause 0x3
	flat_load_ushort v20, v[3:4] offset:256
	flat_load_ushort v24, v[5:6] offset:256
	;; [unrolled: 1-line block ×4, first 2 shown]
	s_mov_b32 s3, exec_lo
	s_waitcnt vmcnt(3) lgkmcnt(3)
	v_fma_mix_f32 v20, v14, v20, v25 op_sel_hi:[0,1,0]
	s_waitcnt vmcnt(2) lgkmcnt(2)
	v_fma_mix_f32 v20, v13, v24, v20 op_sel_hi:[0,1,0]
	v_add_nc_u32_e32 v24, 0xc0, v2
	s_waitcnt vmcnt(1) lgkmcnt(1)
	v_fma_mix_f32 v2, v12, v26, v20 op_sel_hi:[0,1,0]
	v_cmpx_gt_i32_e64 s8, v24
	s_cbranch_execz .LBB517_43
; %bb.42:
	s_clause 0x3
	flat_load_ushort v3, v[3:4] offset:384
	flat_load_ushort v4, v[5:6] offset:384
	;; [unrolled: 1-line block ×4, first 2 shown]
	s_waitcnt vmcnt(3) lgkmcnt(3)
	v_fma_mix_f32 v3, v14, v3, v23 op_sel_hi:[0,1,0]
	s_waitcnt vmcnt(2) lgkmcnt(2)
	v_fma_mix_f32 v3, v13, v4, v3 op_sel_hi:[0,1,0]
	;; [unrolled: 2-line block ×4, first 2 shown]
.LBB517_43:
	s_or_b32 exec_lo, exec_lo, s3
	s_waitcnt vmcnt(0) lgkmcnt(0)
	v_fma_mix_f32 v25, v11, v19, v2 op_sel_hi:[0,1,0]
.LBB517_44:
	s_or_b32 exec_lo, exec_lo, s2
	s_waitcnt vmcnt(0) lgkmcnt(0)
	v_fma_mix_f32 v26, v11, v17, v18 op_sel_hi:[0,1,0]
.LBB517_45:
	s_or_b32 exec_lo, exec_lo, s0
	s_waitcnt vmcnt(0) lgkmcnt(0)
	v_fma_mix_f32 v27, v11, v15, v16 op_sel_hi:[0,1,0]
.LBB517_46:
	s_or_b32 exec_lo, exec_lo, s1
.LBB517_47:
	v_lshlrev_b32_e32 v0, 2, v0
	s_mov_b32 s0, exec_lo
                                        ; implicit-def: $vgpr3
                                        ; implicit-def: $vgpr4_vgpr5
	v_lshl_add_u32 v1, v1, 10, v0
	ds_write2st64_b32 v1, v27, v26 offset1:1
	ds_write2st64_b32 v1, v25, v23 offset0:2 offset1:3
	s_waitcnt lgkmcnt(0)
	s_barrier
	buffer_gl0_inv
	v_cmpx_gt_u32_e32 0x100, v21
	s_cbranch_execz .LBB517_53
; %bb.48:
	v_lshl_add_u32 v6, v22, 2, v0
	s_mov_b32 s2, s27
	s_mov_b32 s1, exec_lo
	ds_read2st64_b32 v[0:1], v6 offset1:4
	ds_read2st64_b32 v[2:3], v6 offset0:8 offset1:12
	ds_read2st64_b32 v[4:5], v6 offset0:16 offset1:20
	s_waitcnt lgkmcnt(2)
	v_add_f32_e32 v7, v0, v1
	ds_read2st64_b32 v[0:1], v6 offset0:24 offset1:28
	s_waitcnt lgkmcnt(2)
	v_add_f32_e32 v2, v2, v7
	v_add_f32_e32 v7, v3, v2
	ds_read2st64_b32 v[2:3], v6 offset0:32 offset1:36
	s_waitcnt lgkmcnt(2)
	v_add_f32_e32 v4, v4, v7
	;; [unrolled: 4-line block ×3, first 2 shown]
	v_add_f32_e32 v0, v1, v0
	s_waitcnt lgkmcnt(1)
	v_add_f32_e32 v2, v2, v0
	ds_read2st64_b32 v[0:1], v6 offset0:48 offset1:52
	v_add_f32_e32 v2, v3, v2
	s_waitcnt lgkmcnt(1)
	v_add_f32_e32 v4, v4, v2
	ds_read2st64_b32 v[2:3], v6 offset0:56 offset1:60
	v_add_f32_e32 v4, v5, v4
	s_waitcnt lgkmcnt(1)
	v_add_f32_e32 v0, v0, v4
                                        ; implicit-def: $vgpr4_vgpr5
	v_add_f32_e32 v0, v1, v0
	v_or_b32_e32 v1, s28, v21
	s_waitcnt lgkmcnt(0)
	v_add_f32_e32 v0, v2, v0
	v_add_f32_e32 v0, v3, v0
                                        ; implicit-def: $vgpr3
	ds_write_b32 v6, v0
	v_cmpx_gt_i32_e64 s8, v1
	s_cbranch_execz .LBB517_52
; %bb.49:
	v_ashrrev_i32_e32 v2, 31, v1
	v_mul_lo_u32 v6, s13, v1
	v_mad_u64_u32 v[4:5], null, s12, v1, 0
	v_cmp_eq_f32_e64 s2, s11, 0
	v_mul_lo_u32 v1, s12, v2
	v_mul_f32_e32 v3, s10, v0
	s_and_b32 vcc_lo, exec_lo, s2
	v_add3_u32 v5, v5, v1, v6
	s_cbranch_vccnz .LBB517_51
; %bb.50:
	v_lshlrev_b64 v[0:1], 2, v[4:5]
	v_add_co_u32 v0, vcc_lo, s5, v0
	v_add_co_ci_u32_e64 v1, null, s26, v1, vcc_lo
	flat_load_dword v0, v[0:1]
	s_waitcnt vmcnt(0) lgkmcnt(0)
	v_fmac_f32_e32 v3, s11, v0
.LBB517_51:
	s_or_b32 s2, s27, exec_lo
.LBB517_52:
	s_or_b32 exec_lo, exec_lo, s1
	s_andn2_b32 s1, s27, exec_lo
	s_and_b32 s2, s2, exec_lo
	s_or_b32 s27, s1, s2
.LBB517_53:
	s_or_b32 exec_lo, exec_lo, s0
.LBB517_54:
	s_and_saveexec_b32 s0, s27
	s_cbranch_execz .LBB517_56
; %bb.55:
	v_lshlrev_b64 v[0:1], 2, v[4:5]
	v_add_co_u32 v0, vcc_lo, s5, v0
	v_add_co_ci_u32_e64 v1, null, s26, v1, vcc_lo
	flat_store_dword v[0:1], v3
.LBB517_56:
	s_endpgm
	.section	.rodata,"a",@progbits
	.p2align	6, 0x0
	.amdhsa_kernel _ZL20rocblas_gemvn_kernelILi64ELi16ElPKDF16_fKPfEviiT3_lPKT2_lT1_lS7_lS8_lS4_lPT4_lS8_li
		.amdhsa_group_segment_fixed_size 16384
		.amdhsa_private_segment_fixed_size 0
		.amdhsa_kernarg_size 400
		.amdhsa_user_sgpr_count 6
		.amdhsa_user_sgpr_private_segment_buffer 1
		.amdhsa_user_sgpr_dispatch_ptr 0
		.amdhsa_user_sgpr_queue_ptr 0
		.amdhsa_user_sgpr_kernarg_segment_ptr 1
		.amdhsa_user_sgpr_dispatch_id 0
		.amdhsa_user_sgpr_flat_scratch_init 0
		.amdhsa_user_sgpr_private_segment_size 0
		.amdhsa_wavefront_size32 1
		.amdhsa_uses_dynamic_stack 0
		.amdhsa_system_sgpr_private_segment_wavefront_offset 0
		.amdhsa_system_sgpr_workgroup_id_x 1
		.amdhsa_system_sgpr_workgroup_id_y 0
		.amdhsa_system_sgpr_workgroup_id_z 1
		.amdhsa_system_sgpr_workgroup_info 0
		.amdhsa_system_vgpr_workitem_id 1
		.amdhsa_next_free_vgpr 56
		.amdhsa_next_free_sgpr 35
		.amdhsa_reserve_vcc 1
		.amdhsa_reserve_flat_scratch 1
		.amdhsa_float_round_mode_32 0
		.amdhsa_float_round_mode_16_64 0
		.amdhsa_float_denorm_mode_32 3
		.amdhsa_float_denorm_mode_16_64 3
		.amdhsa_dx10_clamp 1
		.amdhsa_ieee_mode 1
		.amdhsa_fp16_overflow 0
		.amdhsa_workgroup_processor_mode 1
		.amdhsa_memory_ordered 1
		.amdhsa_forward_progress 1
		.amdhsa_shared_vgpr_count 0
		.amdhsa_exception_fp_ieee_invalid_op 0
		.amdhsa_exception_fp_denorm_src 0
		.amdhsa_exception_fp_ieee_div_zero 0
		.amdhsa_exception_fp_ieee_overflow 0
		.amdhsa_exception_fp_ieee_underflow 0
		.amdhsa_exception_fp_ieee_inexact 0
		.amdhsa_exception_int_div_zero 0
	.end_amdhsa_kernel
	.section	.text._ZL20rocblas_gemvn_kernelILi64ELi16ElPKDF16_fKPfEviiT3_lPKT2_lT1_lS7_lS8_lS4_lPT4_lS8_li,"axG",@progbits,_ZL20rocblas_gemvn_kernelILi64ELi16ElPKDF16_fKPfEviiT3_lPKT2_lT1_lS7_lS8_lS4_lPT4_lS8_li,comdat
.Lfunc_end517:
	.size	_ZL20rocblas_gemvn_kernelILi64ELi16ElPKDF16_fKPfEviiT3_lPKT2_lT1_lS7_lS8_lS4_lPT4_lS8_li, .Lfunc_end517-_ZL20rocblas_gemvn_kernelILi64ELi16ElPKDF16_fKPfEviiT3_lPKT2_lT1_lS7_lS8_lS4_lPT4_lS8_li
                                        ; -- End function
	.set _ZL20rocblas_gemvn_kernelILi64ELi16ElPKDF16_fKPfEviiT3_lPKT2_lT1_lS7_lS8_lS4_lPT4_lS8_li.num_vgpr, 56
	.set _ZL20rocblas_gemvn_kernelILi64ELi16ElPKDF16_fKPfEviiT3_lPKT2_lT1_lS7_lS8_lS4_lPT4_lS8_li.num_agpr, 0
	.set _ZL20rocblas_gemvn_kernelILi64ELi16ElPKDF16_fKPfEviiT3_lPKT2_lT1_lS7_lS8_lS4_lPT4_lS8_li.numbered_sgpr, 35
	.set _ZL20rocblas_gemvn_kernelILi64ELi16ElPKDF16_fKPfEviiT3_lPKT2_lT1_lS7_lS8_lS4_lPT4_lS8_li.num_named_barrier, 0
	.set _ZL20rocblas_gemvn_kernelILi64ELi16ElPKDF16_fKPfEviiT3_lPKT2_lT1_lS7_lS8_lS4_lPT4_lS8_li.private_seg_size, 0
	.set _ZL20rocblas_gemvn_kernelILi64ELi16ElPKDF16_fKPfEviiT3_lPKT2_lT1_lS7_lS8_lS4_lPT4_lS8_li.uses_vcc, 1
	.set _ZL20rocblas_gemvn_kernelILi64ELi16ElPKDF16_fKPfEviiT3_lPKT2_lT1_lS7_lS8_lS4_lPT4_lS8_li.uses_flat_scratch, 1
	.set _ZL20rocblas_gemvn_kernelILi64ELi16ElPKDF16_fKPfEviiT3_lPKT2_lT1_lS7_lS8_lS4_lPT4_lS8_li.has_dyn_sized_stack, 0
	.set _ZL20rocblas_gemvn_kernelILi64ELi16ElPKDF16_fKPfEviiT3_lPKT2_lT1_lS7_lS8_lS4_lPT4_lS8_li.has_recursion, 0
	.set _ZL20rocblas_gemvn_kernelILi64ELi16ElPKDF16_fKPfEviiT3_lPKT2_lT1_lS7_lS8_lS4_lPT4_lS8_li.has_indirect_call, 0
	.section	.AMDGPU.csdata,"",@progbits
; Kernel info:
; codeLenInByte = 3256
; TotalNumSgprs: 37
; NumVgprs: 56
; ScratchSize: 0
; MemoryBound: 0
; FloatMode: 240
; IeeeMode: 1
; LDSByteSize: 16384 bytes/workgroup (compile time only)
; SGPRBlocks: 0
; VGPRBlocks: 6
; NumSGPRsForWavesPerEU: 37
; NumVGPRsForWavesPerEU: 56
; Occupancy: 16
; WaveLimiterHint : 1
; COMPUTE_PGM_RSRC2:SCRATCH_EN: 0
; COMPUTE_PGM_RSRC2:USER_SGPR: 6
; COMPUTE_PGM_RSRC2:TRAP_HANDLER: 0
; COMPUTE_PGM_RSRC2:TGID_X_EN: 1
; COMPUTE_PGM_RSRC2:TGID_Y_EN: 0
; COMPUTE_PGM_RSRC2:TGID_Z_EN: 1
; COMPUTE_PGM_RSRC2:TIDIG_COMP_CNT: 1
	.section	.text._ZL22rocblas_gemvtsm_kernelILb0ELi256EPKDF16_PKfKPfEviiT2_lPKT1_lilS9_lilS6_lPT3_lil,"axG",@progbits,_ZL22rocblas_gemvtsm_kernelILb0ELi256EPKDF16_PKfKPfEviiT2_lPKT1_lilS9_lilS6_lPT3_lil,comdat
	.globl	_ZL22rocblas_gemvtsm_kernelILb0ELi256EPKDF16_PKfKPfEviiT2_lPKT1_lilS9_lilS6_lPT3_lil ; -- Begin function _ZL22rocblas_gemvtsm_kernelILb0ELi256EPKDF16_PKfKPfEviiT2_lPKT1_lilS9_lilS6_lPT3_lil
	.p2align	8
	.type	_ZL22rocblas_gemvtsm_kernelILb0ELi256EPKDF16_PKfKPfEviiT2_lPKT1_lilS9_lilS6_lPT3_lil,@function
_ZL22rocblas_gemvtsm_kernelILb0ELi256EPKDF16_PKfKPfEviiT2_lPKT1_lilS9_lilS6_lPT3_lil: ; @_ZL22rocblas_gemvtsm_kernelILb0ELi256EPKDF16_PKfKPfEviiT2_lPKT1_lilS9_lilS6_lPT3_lil
; %bb.0:
	s_clause 0x1
	s_load_dwordx8 s[16:23], s[4:5], 0x8
	s_load_dwordx8 s[8:15], s[4:5], 0x58
	s_mov_b32 s7, 0
	s_waitcnt lgkmcnt(0)
	s_mul_i32 s1, s19, s6
	s_mul_hi_u32 s2, s18, s6
	s_mul_i32 s0, s18, s6
	s_add_i32 s1, s2, s1
	s_mul_i32 s2, s11, s6
	s_lshl_b64 s[0:1], s[0:1], 2
	s_mul_hi_u32 s3, s10, s6
	s_add_u32 s0, s16, s0
	s_addc_u32 s1, s17, s1
	s_add_i32 s3, s3, s2
	s_mul_i32 s2, s10, s6
	s_lshl_b64 s[2:3], s[2:3], 2
	s_add_u32 s2, s8, s2
	s_addc_u32 s3, s9, s3
	s_load_dword s17, s[0:1], 0x0
	s_load_dword s16, s[2:3], 0x0
	s_waitcnt lgkmcnt(0)
	v_cmp_eq_f32_e64 s0, s17, 0
	v_cmp_eq_f32_e64 s1, s16, 1.0
	s_and_b32 s1, s0, s1
	s_and_b32 vcc_lo, exec_lo, s1
	s_cbranch_vccnz .LBB518_38
; %bb.1:
	v_cmp_neq_f32_e64 s1, s17, 0
	s_mov_b64 s[10:11], 0
	s_and_b32 vcc_lo, exec_lo, s0
	s_mov_b64 s[8:9], 0
	s_cbranch_vccnz .LBB518_3
; %bb.2:
	s_lshl_b64 s[2:3], s[6:7], 3
	s_add_u32 s2, s20, s2
	s_addc_u32 s3, s21, s3
	s_lshl_b64 s[8:9], s[22:23], 1
	s_load_dwordx2 s[2:3], s[2:3], 0x0
	s_waitcnt lgkmcnt(0)
	s_add_u32 s8, s2, s8
	s_addc_u32 s9, s3, s9
.LBB518_3:
	s_andn2_b32 vcc_lo, exec_lo, s1
	s_cbranch_vccnz .LBB518_5
; %bb.4:
	s_load_dwordx4 s[20:23], s[4:5], 0x38
	s_lshl_b64 s[2:3], s[6:7], 3
	s_waitcnt lgkmcnt(0)
	s_add_u32 s2, s20, s2
	s_addc_u32 s3, s21, s3
	s_lshl_b64 s[10:11], s[22:23], 1
	s_load_dwordx2 s[2:3], s[2:3], 0x0
	s_waitcnt lgkmcnt(0)
	s_add_u32 s10, s2, s10
	s_addc_u32 s11, s3, s11
.LBB518_5:
	s_lshl_b64 s[2:3], s[6:7], 3
	s_add_u32 s12, s12, s2
	s_addc_u32 s13, s13, s3
	s_clause 0x1
	s_load_dwordx2 s[2:3], s[4:5], 0x0
	s_load_dword s6, s[4:5], 0x78
	s_load_dwordx2 s[12:13], s[12:13], 0x0
	s_andn2_b32 vcc_lo, exec_lo, s0
	s_mov_b32 s0, -1
	s_cbranch_vccnz .LBB518_20
; %bb.6:
	s_waitcnt lgkmcnt(0)
	s_cmp_gt_i32 s3, 0
	v_cmp_neq_f32_e64 s0, s16, 0
	s_cselect_b32 s18, -1, 0
	v_cndmask_b32_e64 v1, 0, 1, s18
	s_and_b32 vcc_lo, exec_lo, s0
	v_cmp_ne_u32_e64 s0, 1, v1
	s_cbranch_vccnz .LBB518_13
; %bb.7:
	s_and_b32 vcc_lo, exec_lo, s0
	s_cbranch_vccnz .LBB518_12
; %bb.8:
	v_mad_i64_i32 v[1:2], null, s6, v0, 0
	s_lshl_b64 s[0:1], s[14:15], 2
	s_ashr_i32 s7, s6, 31
	s_add_u32 s0, s12, s0
	s_addc_u32 s1, s13, s1
	v_mov_b32_e32 v3, 0
	v_lshlrev_b64 v[1:2], 2, v[1:2]
	v_add_co_u32 v1, vcc_lo, s0, v1
	v_add_co_ci_u32_e64 v2, null, s1, v2, vcc_lo
	s_lshl_b64 s[0:1], s[6:7], 10
	s_mov_b32 s7, 0
	s_branch .LBB518_10
.LBB518_9:                              ;   in Loop: Header=BB518_10 Depth=1
	s_or_b32 exec_lo, exec_lo, s19
	v_add_co_u32 v1, vcc_lo, v1, s0
	v_add_co_ci_u32_e64 v2, null, s1, v2, vcc_lo
	s_addk_i32 s7, 0x100
	s_cmp_ge_i32 s7, s3
	s_cbranch_scc1 .LBB518_12
.LBB518_10:                             ; =>This Inner Loop Header: Depth=1
	v_add_nc_u32_e32 v4, s7, v0
	s_mov_b32 s19, exec_lo
	v_cmpx_gt_i32_e64 s3, v4
	s_cbranch_execz .LBB518_9
; %bb.11:                               ;   in Loop: Header=BB518_10 Depth=1
	flat_store_dword v[1:2], v3
	s_branch .LBB518_9
.LBB518_12:
	s_cbranch_execz .LBB518_14
	s_branch .LBB518_19
.LBB518_13:
.LBB518_14:
	s_andn2_b32 vcc_lo, exec_lo, s18
	s_cbranch_vccnz .LBB518_19
; %bb.15:
	v_mad_i64_i32 v[1:2], null, s6, v0, 0
	s_lshl_b64 s[0:1], s[14:15], 2
	s_ashr_i32 s7, s6, 31
	s_add_u32 s0, s12, s0
	s_addc_u32 s1, s13, s1
	v_lshlrev_b64 v[1:2], 2, v[1:2]
	v_add_co_u32 v1, vcc_lo, s0, v1
	v_add_co_ci_u32_e64 v2, null, s1, v2, vcc_lo
	s_lshl_b64 s[0:1], s[6:7], 10
	s_mov_b32 s7, 0
	s_branch .LBB518_17
	.p2align	6
.LBB518_16:                             ;   in Loop: Header=BB518_17 Depth=1
	s_or_b32 exec_lo, exec_lo, s18
	v_add_co_u32 v1, vcc_lo, v1, s0
	v_add_co_ci_u32_e64 v2, null, s1, v2, vcc_lo
	s_addk_i32 s7, 0x100
	s_cmp_ge_i32 s7, s3
	s_cbranch_scc1 .LBB518_19
.LBB518_17:                             ; =>This Inner Loop Header: Depth=1
	v_add_nc_u32_e32 v3, s7, v0
	s_mov_b32 s18, exec_lo
	v_cmpx_gt_i32_e64 s3, v3
	s_cbranch_execz .LBB518_16
; %bb.18:                               ;   in Loop: Header=BB518_17 Depth=1
	flat_load_dword v3, v[1:2]
	s_waitcnt vmcnt(0) lgkmcnt(0)
	v_mul_f32_e32 v3, s16, v3
	flat_store_dword v[1:2], v3
	s_branch .LBB518_16
.LBB518_19:
	s_mov_b32 s0, 0
.LBB518_20:
	s_andn2_b32 vcc_lo, exec_lo, s0
	s_cbranch_vccnz .LBB518_38
; %bb.21:
	s_mov_b32 s0, exec_lo
	s_waitcnt lgkmcnt(0)
	v_cmpx_gt_i32_e64 s2, v0
	s_cbranch_execz .LBB518_23
; %bb.22:
	s_load_dword s1, s[4:5], 0x48
	s_waitcnt lgkmcnt(0)
	v_mad_i64_i32 v[1:2], null, s1, v0, 0
	v_lshlrev_b64 v[1:2], 1, v[1:2]
	v_add_co_u32 v1, vcc_lo, s10, v1
	v_add_co_ci_u32_e64 v2, null, s11, v2, vcc_lo
	flat_load_ushort v1, v[1:2]
	v_lshlrev_b32_e32 v2, 2, v0
	s_waitcnt vmcnt(0) lgkmcnt(0)
	v_cvt_f32_f16_e32 v1, v1
	v_mul_f32_e32 v1, s17, v1
	ds_write_b32 v2, v1
.LBB518_23:
	s_or_b32 exec_lo, exec_lo, s0
	s_cmp_lt_i32 s3, 1
	s_waitcnt lgkmcnt(0)
	s_waitcnt_vscnt null, 0x0
	s_barrier
	buffer_gl0_inv
	s_cbranch_scc1 .LBB518_38
; %bb.24:
	s_load_dword s0, s[4:5], 0x28
	s_lshl_b64 s[4:5], s[14:15], 2
	v_cmp_neq_f32_e64 s10, s16, 0
	s_add_u32 s4, s12, s4
	s_addc_u32 s5, s13, s5
	s_ashr_i32 s7, s6, 31
	s_waitcnt lgkmcnt(0)
	v_mad_i64_i32 v[1:2], null, s0, v0, 0
	s_ashr_i32 s1, s0, 31
	s_cmp_gt_i32 s2, 0
	s_cselect_b32 s11, -1, 0
	s_and_b32 s12, s2, 7
	s_cmp_gt_u32 s2, 7
	v_lshlrev_b64 v[1:2], 1, v[1:2]
	s_cselect_b32 s13, -1, 0
	s_and_b32 s2, s2, 0x7ffffff8
	s_cmp_lg_u32 s12, 0
	v_add_co_u32 v1, vcc_lo, s8, v1
	v_add_co_ci_u32_e64 v2, null, s9, v2, vcc_lo
	s_cselect_b32 s8, -1, 0
	s_mov_b32 s9, 0
	s_lshl_b64 s[0:1], s[0:1], 9
	s_branch .LBB518_27
.LBB518_25:                             ;   in Loop: Header=BB518_27 Depth=1
	v_add_co_u32 v3, vcc_lo, s4, v3
	v_add_co_ci_u32_e64 v4, null, s5, v4, vcc_lo
	flat_store_dword v[3:4], v7
.LBB518_26:                             ;   in Loop: Header=BB518_27 Depth=1
	s_or_b32 exec_lo, exec_lo, s14
	v_add_co_u32 v1, vcc_lo, v1, s0
	v_add_co_ci_u32_e64 v2, null, s1, v2, vcc_lo
	s_addk_i32 s9, 0x100
	s_cmp_ge_i32 s9, s3
	s_cbranch_scc1 .LBB518_38
.LBB518_27:                             ; =>This Loop Header: Depth=1
                                        ;     Child Loop BB518_33 Depth 2
                                        ;     Child Loop BB518_37 Depth 2
	v_add_nc_u32_e32 v3, s9, v0
	s_mov_b32 s14, exec_lo
	v_cmpx_gt_i32_e64 s3, v3
	s_cbranch_execz .LBB518_26
; %bb.28:                               ;   in Loop: Header=BB518_27 Depth=1
	v_mad_u64_u32 v[4:5], null, v3, s6, 0
	s_andn2_b32 vcc_lo, exec_lo, s10
	v_mad_u64_u32 v[5:6], null, v3, s7, v[5:6]
	v_lshlrev_b64 v[3:4], 2, v[4:5]
	s_cbranch_vccnz .LBB518_30
; %bb.29:                               ;   in Loop: Header=BB518_27 Depth=1
	v_add_co_u32 v5, vcc_lo, s4, v3
	v_add_co_ci_u32_e64 v6, null, s5, v4, vcc_lo
	flat_load_dword v5, v[5:6]
	s_waitcnt vmcnt(0) lgkmcnt(0)
	v_mul_f32_e32 v7, s16, v5
	s_andn2_b32 vcc_lo, exec_lo, s11
	s_cbranch_vccz .LBB518_31
	s_branch .LBB518_25
.LBB518_30:                             ;   in Loop: Header=BB518_27 Depth=1
	v_mov_b32_e32 v7, 0
	s_andn2_b32 vcc_lo, exec_lo, s11
	s_cbranch_vccnz .LBB518_25
.LBB518_31:                             ;   in Loop: Header=BB518_27 Depth=1
	s_andn2_b32 vcc_lo, exec_lo, s13
	s_mov_b32 s15, 0
	s_cbranch_vccnz .LBB518_35
; %bb.32:                               ;   in Loop: Header=BB518_27 Depth=1
	v_mov_b32_e32 v6, v2
	v_mov_b32_e32 v5, v1
	s_mov_b32 s17, 0
	.p2align	6
.LBB518_33:                             ;   Parent Loop BB518_27 Depth=1
                                        ; =>  This Inner Loop Header: Depth=2
	flat_load_dwordx4 v[8:11], v[5:6]
	v_mov_b32_e32 v16, s15
	v_add_co_u32 v5, vcc_lo, v5, 16
	v_add_co_ci_u32_e64 v6, null, 0, v6, vcc_lo
	ds_read_b128 v[12:15], v16
	ds_read_b128 v[16:19], v16 offset:16
	s_add_i32 s17, s17, 8
	s_add_i32 s15, s15, 32
	s_cmp_eq_u32 s2, s17
	s_waitcnt vmcnt(0) lgkmcnt(1)
	v_fma_mix_f32 v7, v12, v8, v7 op_sel_hi:[0,1,0]
	v_fma_mix_f32 v7, v13, v8, v7 op_sel:[0,1,0] op_sel_hi:[0,1,0]
	v_fma_mix_f32 v7, v14, v9, v7 op_sel_hi:[0,1,0]
	v_fma_mix_f32 v7, v15, v9, v7 op_sel:[0,1,0] op_sel_hi:[0,1,0]
	s_waitcnt lgkmcnt(0)
	v_fma_mix_f32 v7, v16, v10, v7 op_sel_hi:[0,1,0]
	v_fma_mix_f32 v7, v17, v10, v7 op_sel:[0,1,0] op_sel_hi:[0,1,0]
	v_fma_mix_f32 v7, v18, v11, v7 op_sel_hi:[0,1,0]
	v_fma_mix_f32 v7, v19, v11, v7 op_sel:[0,1,0] op_sel_hi:[0,1,0]
	s_cbranch_scc0 .LBB518_33
; %bb.34:                               ;   in Loop: Header=BB518_27 Depth=1
	s_mov_b32 s15, s2
.LBB518_35:                             ;   in Loop: Header=BB518_27 Depth=1
	s_andn2_b32 vcc_lo, exec_lo, s8
	s_cbranch_vccnz .LBB518_25
; %bb.36:                               ;   in Loop: Header=BB518_27 Depth=1
	s_lshl_b32 s17, s15, 1
	s_lshl_b32 s15, s15, 2
	v_add_co_u32 v5, vcc_lo, v1, s17
	v_add_co_ci_u32_e64 v6, null, 0, v2, vcc_lo
	s_mov_b32 s17, s12
.LBB518_37:                             ;   Parent Loop BB518_27 Depth=1
                                        ; =>  This Inner Loop Header: Depth=2
	flat_load_ushort v8, v[5:6]
	v_mov_b32_e32 v9, s15
	v_add_co_u32 v5, vcc_lo, v5, 2
	v_add_co_ci_u32_e64 v6, null, 0, v6, vcc_lo
	ds_read_b32 v9, v9
	s_add_i32 s17, s17, -1
	s_add_i32 s15, s15, 4
	s_cmp_lg_u32 s17, 0
	s_waitcnt vmcnt(0) lgkmcnt(0)
	v_fma_mix_f32 v7, v9, v8, v7 op_sel_hi:[0,1,0]
	s_cbranch_scc1 .LBB518_37
	s_branch .LBB518_25
.LBB518_38:
	s_endpgm
	.section	.rodata,"a",@progbits
	.p2align	6, 0x0
	.amdhsa_kernel _ZL22rocblas_gemvtsm_kernelILb0ELi256EPKDF16_PKfKPfEviiT2_lPKT1_lilS9_lilS6_lPT3_lil
		.amdhsa_group_segment_fixed_size 256
		.amdhsa_private_segment_fixed_size 0
		.amdhsa_kernarg_size 136
		.amdhsa_user_sgpr_count 6
		.amdhsa_user_sgpr_private_segment_buffer 1
		.amdhsa_user_sgpr_dispatch_ptr 0
		.amdhsa_user_sgpr_queue_ptr 0
		.amdhsa_user_sgpr_kernarg_segment_ptr 1
		.amdhsa_user_sgpr_dispatch_id 0
		.amdhsa_user_sgpr_flat_scratch_init 0
		.amdhsa_user_sgpr_private_segment_size 0
		.amdhsa_wavefront_size32 1
		.amdhsa_uses_dynamic_stack 0
		.amdhsa_system_sgpr_private_segment_wavefront_offset 0
		.amdhsa_system_sgpr_workgroup_id_x 1
		.amdhsa_system_sgpr_workgroup_id_y 0
		.amdhsa_system_sgpr_workgroup_id_z 0
		.amdhsa_system_sgpr_workgroup_info 0
		.amdhsa_system_vgpr_workitem_id 0
		.amdhsa_next_free_vgpr 20
		.amdhsa_next_free_sgpr 24
		.amdhsa_reserve_vcc 1
		.amdhsa_reserve_flat_scratch 0
		.amdhsa_float_round_mode_32 0
		.amdhsa_float_round_mode_16_64 0
		.amdhsa_float_denorm_mode_32 3
		.amdhsa_float_denorm_mode_16_64 3
		.amdhsa_dx10_clamp 1
		.amdhsa_ieee_mode 1
		.amdhsa_fp16_overflow 0
		.amdhsa_workgroup_processor_mode 1
		.amdhsa_memory_ordered 1
		.amdhsa_forward_progress 1
		.amdhsa_shared_vgpr_count 0
		.amdhsa_exception_fp_ieee_invalid_op 0
		.amdhsa_exception_fp_denorm_src 0
		.amdhsa_exception_fp_ieee_div_zero 0
		.amdhsa_exception_fp_ieee_overflow 0
		.amdhsa_exception_fp_ieee_underflow 0
		.amdhsa_exception_fp_ieee_inexact 0
		.amdhsa_exception_int_div_zero 0
	.end_amdhsa_kernel
	.section	.text._ZL22rocblas_gemvtsm_kernelILb0ELi256EPKDF16_PKfKPfEviiT2_lPKT1_lilS9_lilS6_lPT3_lil,"axG",@progbits,_ZL22rocblas_gemvtsm_kernelILb0ELi256EPKDF16_PKfKPfEviiT2_lPKT1_lilS9_lilS6_lPT3_lil,comdat
.Lfunc_end518:
	.size	_ZL22rocblas_gemvtsm_kernelILb0ELi256EPKDF16_PKfKPfEviiT2_lPKT1_lilS9_lilS6_lPT3_lil, .Lfunc_end518-_ZL22rocblas_gemvtsm_kernelILb0ELi256EPKDF16_PKfKPfEviiT2_lPKT1_lilS9_lilS6_lPT3_lil
                                        ; -- End function
	.set _ZL22rocblas_gemvtsm_kernelILb0ELi256EPKDF16_PKfKPfEviiT2_lPKT1_lilS9_lilS6_lPT3_lil.num_vgpr, 20
	.set _ZL22rocblas_gemvtsm_kernelILb0ELi256EPKDF16_PKfKPfEviiT2_lPKT1_lilS9_lilS6_lPT3_lil.num_agpr, 0
	.set _ZL22rocblas_gemvtsm_kernelILb0ELi256EPKDF16_PKfKPfEviiT2_lPKT1_lilS9_lilS6_lPT3_lil.numbered_sgpr, 24
	.set _ZL22rocblas_gemvtsm_kernelILb0ELi256EPKDF16_PKfKPfEviiT2_lPKT1_lilS9_lilS6_lPT3_lil.num_named_barrier, 0
	.set _ZL22rocblas_gemvtsm_kernelILb0ELi256EPKDF16_PKfKPfEviiT2_lPKT1_lilS9_lilS6_lPT3_lil.private_seg_size, 0
	.set _ZL22rocblas_gemvtsm_kernelILb0ELi256EPKDF16_PKfKPfEviiT2_lPKT1_lilS9_lilS6_lPT3_lil.uses_vcc, 1
	.set _ZL22rocblas_gemvtsm_kernelILb0ELi256EPKDF16_PKfKPfEviiT2_lPKT1_lilS9_lilS6_lPT3_lil.uses_flat_scratch, 0
	.set _ZL22rocblas_gemvtsm_kernelILb0ELi256EPKDF16_PKfKPfEviiT2_lPKT1_lilS9_lilS6_lPT3_lil.has_dyn_sized_stack, 0
	.set _ZL22rocblas_gemvtsm_kernelILb0ELi256EPKDF16_PKfKPfEviiT2_lPKT1_lilS9_lilS6_lPT3_lil.has_recursion, 0
	.set _ZL22rocblas_gemvtsm_kernelILb0ELi256EPKDF16_PKfKPfEviiT2_lPKT1_lilS9_lilS6_lPT3_lil.has_indirect_call, 0
	.section	.AMDGPU.csdata,"",@progbits
; Kernel info:
; codeLenInByte = 1396
; TotalNumSgprs: 26
; NumVgprs: 20
; ScratchSize: 0
; MemoryBound: 0
; FloatMode: 240
; IeeeMode: 1
; LDSByteSize: 256 bytes/workgroup (compile time only)
; SGPRBlocks: 0
; VGPRBlocks: 2
; NumSGPRsForWavesPerEU: 26
; NumVGPRsForWavesPerEU: 20
; Occupancy: 16
; WaveLimiterHint : 1
; COMPUTE_PGM_RSRC2:SCRATCH_EN: 0
; COMPUTE_PGM_RSRC2:USER_SGPR: 6
; COMPUTE_PGM_RSRC2:TRAP_HANDLER: 0
; COMPUTE_PGM_RSRC2:TGID_X_EN: 1
; COMPUTE_PGM_RSRC2:TGID_Y_EN: 0
; COMPUTE_PGM_RSRC2:TGID_Z_EN: 0
; COMPUTE_PGM_RSRC2:TIDIG_COMP_CNT: 0
	.section	.text._ZL22rocblas_gemvtsm_kernelILb0ELi256EPKDF16_fKPfEviiT2_lPKT1_lilS7_lilS4_lPT3_lil,"axG",@progbits,_ZL22rocblas_gemvtsm_kernelILb0ELi256EPKDF16_fKPfEviiT2_lPKT1_lilS7_lilS4_lPT3_lil,comdat
	.globl	_ZL22rocblas_gemvtsm_kernelILb0ELi256EPKDF16_fKPfEviiT2_lPKT1_lilS7_lilS4_lPT3_lil ; -- Begin function _ZL22rocblas_gemvtsm_kernelILb0ELi256EPKDF16_fKPfEviiT2_lPKT1_lilS7_lilS4_lPT3_lil
	.p2align	8
	.type	_ZL22rocblas_gemvtsm_kernelILb0ELi256EPKDF16_fKPfEviiT2_lPKT1_lilS7_lilS4_lPT3_lil,@function
_ZL22rocblas_gemvtsm_kernelILb0ELi256EPKDF16_fKPfEviiT2_lPKT1_lilS7_lilS4_lPT3_lil: ; @_ZL22rocblas_gemvtsm_kernelILb0ELi256EPKDF16_fKPfEviiT2_lPKT1_lilS7_lilS4_lPT3_lil
; %bb.0:
	s_load_dwordx4 s[8:11], s[4:5], 0x0
	s_waitcnt lgkmcnt(0)
	s_load_dword s11, s[4:5], 0x58
	s_mov_b32 s7, 0
	v_cmp_eq_f32_e64 s18, s10, 0
	s_waitcnt lgkmcnt(0)
	v_cmp_eq_f32_e64 s0, s11, 1.0
	s_and_b32 s0, s18, s0
	s_and_b32 vcc_lo, exec_lo, s0
	s_cbranch_vccnz .LBB519_40
; %bb.1:
	v_cmp_neq_f32_e64 s0, s10, 0
	s_and_b32 vcc_lo, exec_lo, s0
	s_cbranch_vccnz .LBB519_3
; %bb.2:
	s_mov_b32 s17, 0
	s_mov_b32 s16, s6
	;; [unrolled: 1-line block ×3, first 2 shown]
	s_mov_b64 s[14:15], 0
	s_andn2_b32 vcc_lo, exec_lo, s1
	s_mov_b64 s[12:13], 0
	s_cbranch_vccz .LBB519_4
	s_branch .LBB519_5
.LBB519_3:
	s_mov_b64 s[16:17], s[6:7]
	s_mov_b64 s[14:15], 0
	;; [unrolled: 1-line block ×3, first 2 shown]
.LBB519_4:
	s_load_dwordx4 s[20:23], s[4:5], 0x18
	s_lshl_b64 s[2:3], s[6:7], 3
	s_waitcnt lgkmcnt(0)
	s_add_u32 s2, s20, s2
	s_addc_u32 s3, s21, s3
	s_lshl_b64 s[6:7], s[22:23], 1
	s_load_dwordx2 s[2:3], s[2:3], 0x0
	s_waitcnt lgkmcnt(0)
	s_add_u32 s12, s2, s6
	s_addc_u32 s13, s3, s7
.LBB519_5:
	s_andn2_b32 vcc_lo, exec_lo, s0
	s_cbranch_vccnz .LBB519_7
; %bb.6:
	s_load_dwordx4 s[0:3], s[4:5], 0x38
	s_lshl_b64 s[6:7], s[16:17], 3
	s_waitcnt lgkmcnt(0)
	s_add_u32 s0, s0, s6
	s_addc_u32 s1, s1, s7
	s_lshl_b64 s[2:3], s[2:3], 1
	s_load_dwordx2 s[0:1], s[0:1], 0x0
	s_waitcnt lgkmcnt(0)
	s_add_u32 s14, s0, s2
	s_addc_u32 s15, s1, s3
.LBB519_7:
	s_clause 0x1
	s_load_dwordx4 s[0:3], s[4:5], 0x68
	s_load_dword s6, s[4:5], 0x78
	s_lshl_b64 s[16:17], s[16:17], 3
	s_waitcnt lgkmcnt(0)
	s_add_u32 s0, s0, s16
	s_addc_u32 s1, s1, s17
	s_andn2_b32 vcc_lo, exec_lo, s18
	s_load_dwordx2 s[16:17], s[0:1], 0x0
	s_mov_b32 s0, -1
	s_cbranch_vccnz .LBB519_22
; %bb.8:
	s_cmp_gt_i32 s9, 0
	v_cmp_neq_f32_e64 s0, s11, 0
	s_cselect_b32 s18, -1, 0
	v_cndmask_b32_e64 v1, 0, 1, s18
	s_and_b32 vcc_lo, exec_lo, s0
	v_cmp_ne_u32_e64 s0, 1, v1
	s_cbranch_vccnz .LBB519_15
; %bb.9:
	s_and_b32 vcc_lo, exec_lo, s0
	s_cbranch_vccnz .LBB519_14
; %bb.10:
	v_mad_i64_i32 v[1:2], null, s6, v0, 0
	s_lshl_b64 s[0:1], s[2:3], 2
	s_ashr_i32 s7, s6, 31
	s_waitcnt lgkmcnt(0)
	s_add_u32 s0, s16, s0
	s_addc_u32 s1, s17, s1
	v_mov_b32_e32 v3, 0
	v_lshlrev_b64 v[1:2], 2, v[1:2]
	v_add_co_u32 v1, vcc_lo, s0, v1
	v_add_co_ci_u32_e64 v2, null, s1, v2, vcc_lo
	s_lshl_b64 s[0:1], s[6:7], 10
	s_mov_b32 s7, 0
	s_branch .LBB519_12
.LBB519_11:                             ;   in Loop: Header=BB519_12 Depth=1
	s_or_b32 exec_lo, exec_lo, s19
	v_add_co_u32 v1, vcc_lo, v1, s0
	v_add_co_ci_u32_e64 v2, null, s1, v2, vcc_lo
	s_addk_i32 s7, 0x100
	s_cmp_ge_i32 s7, s9
	s_cbranch_scc1 .LBB519_14
.LBB519_12:                             ; =>This Inner Loop Header: Depth=1
	v_add_nc_u32_e32 v4, s7, v0
	s_mov_b32 s19, exec_lo
	v_cmpx_gt_i32_e64 s9, v4
	s_cbranch_execz .LBB519_11
; %bb.13:                               ;   in Loop: Header=BB519_12 Depth=1
	flat_store_dword v[1:2], v3
	s_branch .LBB519_11
.LBB519_14:
	s_cbranch_execz .LBB519_16
	s_branch .LBB519_21
.LBB519_15:
.LBB519_16:
	s_andn2_b32 vcc_lo, exec_lo, s18
	s_cbranch_vccnz .LBB519_21
; %bb.17:
	v_mad_i64_i32 v[1:2], null, s6, v0, 0
	s_lshl_b64 s[0:1], s[2:3], 2
	s_ashr_i32 s7, s6, 31
	s_waitcnt lgkmcnt(0)
	s_add_u32 s0, s16, s0
	s_addc_u32 s1, s17, s1
	v_lshlrev_b64 v[1:2], 2, v[1:2]
	v_add_co_u32 v1, vcc_lo, s0, v1
	v_add_co_ci_u32_e64 v2, null, s1, v2, vcc_lo
	s_lshl_b64 s[0:1], s[6:7], 10
	s_mov_b32 s7, 0
	s_branch .LBB519_19
	.p2align	6
.LBB519_18:                             ;   in Loop: Header=BB519_19 Depth=1
	s_or_b32 exec_lo, exec_lo, s18
	v_add_co_u32 v1, vcc_lo, v1, s0
	v_add_co_ci_u32_e64 v2, null, s1, v2, vcc_lo
	s_addk_i32 s7, 0x100
	s_cmp_ge_i32 s7, s9
	s_cbranch_scc1 .LBB519_21
.LBB519_19:                             ; =>This Inner Loop Header: Depth=1
	v_add_nc_u32_e32 v3, s7, v0
	s_mov_b32 s18, exec_lo
	v_cmpx_gt_i32_e64 s9, v3
	s_cbranch_execz .LBB519_18
; %bb.20:                               ;   in Loop: Header=BB519_19 Depth=1
	flat_load_dword v3, v[1:2]
	s_waitcnt vmcnt(0) lgkmcnt(0)
	v_mul_f32_e32 v3, s11, v3
	flat_store_dword v[1:2], v3
	s_branch .LBB519_18
.LBB519_21:
	s_mov_b32 s0, 0
.LBB519_22:
	s_andn2_b32 vcc_lo, exec_lo, s0
	s_cbranch_vccnz .LBB519_40
; %bb.23:
	s_mov_b32 s0, exec_lo
	v_cmpx_gt_i32_e64 s8, v0
	s_cbranch_execz .LBB519_25
; %bb.24:
	s_load_dword s1, s[4:5], 0x48
	s_waitcnt lgkmcnt(0)
	v_mad_i64_i32 v[1:2], null, s1, v0, 0
	v_lshlrev_b64 v[1:2], 1, v[1:2]
	v_add_co_u32 v1, vcc_lo, s14, v1
	v_add_co_ci_u32_e64 v2, null, s15, v2, vcc_lo
	flat_load_ushort v1, v[1:2]
	v_lshlrev_b32_e32 v2, 2, v0
	s_waitcnt vmcnt(0) lgkmcnt(0)
	v_cvt_f32_f16_e32 v1, v1
	v_mul_f32_e32 v1, s10, v1
	ds_write_b32 v2, v1
.LBB519_25:
	s_or_b32 exec_lo, exec_lo, s0
	s_cmp_lt_i32 s9, 1
	s_waitcnt lgkmcnt(0)
	s_waitcnt_vscnt null, 0x0
	s_barrier
	buffer_gl0_inv
	s_cbranch_scc1 .LBB519_40
; %bb.26:
	s_load_dword s0, s[4:5], 0x28
	s_lshl_b64 s[2:3], s[2:3], 2
	v_cmp_neq_f32_e64 s5, s11, 0
	s_add_u32 s2, s16, s2
	s_addc_u32 s3, s17, s3
	s_ashr_i32 s4, s6, 31
	s_waitcnt lgkmcnt(0)
	v_mad_i64_i32 v[1:2], null, s0, v0, 0
	s_ashr_i32 s1, s0, 31
	s_cmp_gt_i32 s8, 0
	s_cselect_b32 s7, -1, 0
	s_and_b32 s10, s8, 7
	s_cmp_gt_u32 s8, 7
	v_lshlrev_b64 v[1:2], 1, v[1:2]
	s_cselect_b32 s14, -1, 0
	s_and_b32 s8, s8, 0x7ffffff8
	s_cmp_lg_u32 s10, 0
	v_add_co_u32 v1, vcc_lo, s12, v1
	v_add_co_ci_u32_e64 v2, null, s13, v2, vcc_lo
	s_cselect_b32 s12, -1, 0
	s_mov_b32 s13, 0
	s_lshl_b64 s[0:1], s[0:1], 9
	s_branch .LBB519_29
.LBB519_27:                             ;   in Loop: Header=BB519_29 Depth=1
	v_add_co_u32 v3, vcc_lo, s2, v3
	v_add_co_ci_u32_e64 v4, null, s3, v4, vcc_lo
	flat_store_dword v[3:4], v7
.LBB519_28:                             ;   in Loop: Header=BB519_29 Depth=1
	s_or_b32 exec_lo, exec_lo, s15
	v_add_co_u32 v1, vcc_lo, v1, s0
	v_add_co_ci_u32_e64 v2, null, s1, v2, vcc_lo
	s_addk_i32 s13, 0x100
	s_cmp_ge_i32 s13, s9
	s_cbranch_scc1 .LBB519_40
.LBB519_29:                             ; =>This Loop Header: Depth=1
                                        ;     Child Loop BB519_35 Depth 2
                                        ;     Child Loop BB519_39 Depth 2
	v_add_nc_u32_e32 v3, s13, v0
	s_mov_b32 s15, exec_lo
	v_cmpx_gt_i32_e64 s9, v3
	s_cbranch_execz .LBB519_28
; %bb.30:                               ;   in Loop: Header=BB519_29 Depth=1
	v_mad_u64_u32 v[4:5], null, v3, s6, 0
	s_andn2_b32 vcc_lo, exec_lo, s5
	v_mad_u64_u32 v[5:6], null, v3, s4, v[5:6]
	v_lshlrev_b64 v[3:4], 2, v[4:5]
	s_cbranch_vccnz .LBB519_32
; %bb.31:                               ;   in Loop: Header=BB519_29 Depth=1
	v_add_co_u32 v5, vcc_lo, s2, v3
	v_add_co_ci_u32_e64 v6, null, s3, v4, vcc_lo
	flat_load_dword v5, v[5:6]
	s_waitcnt vmcnt(0) lgkmcnt(0)
	v_mul_f32_e32 v7, s11, v5
	s_andn2_b32 vcc_lo, exec_lo, s7
	s_cbranch_vccz .LBB519_33
	s_branch .LBB519_27
.LBB519_32:                             ;   in Loop: Header=BB519_29 Depth=1
	v_mov_b32_e32 v7, 0
	s_andn2_b32 vcc_lo, exec_lo, s7
	s_cbranch_vccnz .LBB519_27
.LBB519_33:                             ;   in Loop: Header=BB519_29 Depth=1
	s_andn2_b32 vcc_lo, exec_lo, s14
	s_mov_b32 s16, 0
	s_cbranch_vccnz .LBB519_37
; %bb.34:                               ;   in Loop: Header=BB519_29 Depth=1
	v_mov_b32_e32 v6, v2
	v_mov_b32_e32 v5, v1
	s_mov_b32 s17, 0
	.p2align	6
.LBB519_35:                             ;   Parent Loop BB519_29 Depth=1
                                        ; =>  This Inner Loop Header: Depth=2
	flat_load_dwordx4 v[8:11], v[5:6]
	v_mov_b32_e32 v16, s16
	v_add_co_u32 v5, vcc_lo, v5, 16
	v_add_co_ci_u32_e64 v6, null, 0, v6, vcc_lo
	ds_read_b128 v[12:15], v16
	ds_read_b128 v[16:19], v16 offset:16
	s_add_i32 s17, s17, 8
	s_add_i32 s16, s16, 32
	s_cmp_eq_u32 s8, s17
	s_waitcnt vmcnt(0) lgkmcnt(1)
	v_fma_mix_f32 v7, v12, v8, v7 op_sel_hi:[0,1,0]
	v_fma_mix_f32 v7, v13, v8, v7 op_sel:[0,1,0] op_sel_hi:[0,1,0]
	v_fma_mix_f32 v7, v14, v9, v7 op_sel_hi:[0,1,0]
	v_fma_mix_f32 v7, v15, v9, v7 op_sel:[0,1,0] op_sel_hi:[0,1,0]
	s_waitcnt lgkmcnt(0)
	v_fma_mix_f32 v7, v16, v10, v7 op_sel_hi:[0,1,0]
	v_fma_mix_f32 v7, v17, v10, v7 op_sel:[0,1,0] op_sel_hi:[0,1,0]
	v_fma_mix_f32 v7, v18, v11, v7 op_sel_hi:[0,1,0]
	v_fma_mix_f32 v7, v19, v11, v7 op_sel:[0,1,0] op_sel_hi:[0,1,0]
	s_cbranch_scc0 .LBB519_35
; %bb.36:                               ;   in Loop: Header=BB519_29 Depth=1
	s_mov_b32 s16, s8
.LBB519_37:                             ;   in Loop: Header=BB519_29 Depth=1
	s_andn2_b32 vcc_lo, exec_lo, s12
	s_cbranch_vccnz .LBB519_27
; %bb.38:                               ;   in Loop: Header=BB519_29 Depth=1
	s_lshl_b32 s17, s16, 1
	s_lshl_b32 s16, s16, 2
	v_add_co_u32 v5, vcc_lo, v1, s17
	v_add_co_ci_u32_e64 v6, null, 0, v2, vcc_lo
	s_mov_b32 s17, s10
.LBB519_39:                             ;   Parent Loop BB519_29 Depth=1
                                        ; =>  This Inner Loop Header: Depth=2
	flat_load_ushort v8, v[5:6]
	v_mov_b32_e32 v9, s16
	v_add_co_u32 v5, vcc_lo, v5, 2
	v_add_co_ci_u32_e64 v6, null, 0, v6, vcc_lo
	ds_read_b32 v9, v9
	s_add_i32 s17, s17, -1
	s_add_i32 s16, s16, 4
	s_cmp_lg_u32 s17, 0
	s_waitcnt vmcnt(0) lgkmcnt(0)
	v_fma_mix_f32 v7, v9, v8, v7 op_sel_hi:[0,1,0]
	s_cbranch_scc1 .LBB519_39
	s_branch .LBB519_27
.LBB519_40:
	s_endpgm
	.section	.rodata,"a",@progbits
	.p2align	6, 0x0
	.amdhsa_kernel _ZL22rocblas_gemvtsm_kernelILb0ELi256EPKDF16_fKPfEviiT2_lPKT1_lilS7_lilS4_lPT3_lil
		.amdhsa_group_segment_fixed_size 256
		.amdhsa_private_segment_fixed_size 0
		.amdhsa_kernarg_size 136
		.amdhsa_user_sgpr_count 6
		.amdhsa_user_sgpr_private_segment_buffer 1
		.amdhsa_user_sgpr_dispatch_ptr 0
		.amdhsa_user_sgpr_queue_ptr 0
		.amdhsa_user_sgpr_kernarg_segment_ptr 1
		.amdhsa_user_sgpr_dispatch_id 0
		.amdhsa_user_sgpr_flat_scratch_init 0
		.amdhsa_user_sgpr_private_segment_size 0
		.amdhsa_wavefront_size32 1
		.amdhsa_uses_dynamic_stack 0
		.amdhsa_system_sgpr_private_segment_wavefront_offset 0
		.amdhsa_system_sgpr_workgroup_id_x 1
		.amdhsa_system_sgpr_workgroup_id_y 0
		.amdhsa_system_sgpr_workgroup_id_z 0
		.amdhsa_system_sgpr_workgroup_info 0
		.amdhsa_system_vgpr_workitem_id 0
		.amdhsa_next_free_vgpr 20
		.amdhsa_next_free_sgpr 24
		.amdhsa_reserve_vcc 1
		.amdhsa_reserve_flat_scratch 0
		.amdhsa_float_round_mode_32 0
		.amdhsa_float_round_mode_16_64 0
		.amdhsa_float_denorm_mode_32 3
		.amdhsa_float_denorm_mode_16_64 3
		.amdhsa_dx10_clamp 1
		.amdhsa_ieee_mode 1
		.amdhsa_fp16_overflow 0
		.amdhsa_workgroup_processor_mode 1
		.amdhsa_memory_ordered 1
		.amdhsa_forward_progress 1
		.amdhsa_shared_vgpr_count 0
		.amdhsa_exception_fp_ieee_invalid_op 0
		.amdhsa_exception_fp_denorm_src 0
		.amdhsa_exception_fp_ieee_div_zero 0
		.amdhsa_exception_fp_ieee_overflow 0
		.amdhsa_exception_fp_ieee_underflow 0
		.amdhsa_exception_fp_ieee_inexact 0
		.amdhsa_exception_int_div_zero 0
	.end_amdhsa_kernel
	.section	.text._ZL22rocblas_gemvtsm_kernelILb0ELi256EPKDF16_fKPfEviiT2_lPKT1_lilS7_lilS4_lPT3_lil,"axG",@progbits,_ZL22rocblas_gemvtsm_kernelILb0ELi256EPKDF16_fKPfEviiT2_lPKT1_lilS7_lilS4_lPT3_lil,comdat
.Lfunc_end519:
	.size	_ZL22rocblas_gemvtsm_kernelILb0ELi256EPKDF16_fKPfEviiT2_lPKT1_lilS7_lilS4_lPT3_lil, .Lfunc_end519-_ZL22rocblas_gemvtsm_kernelILb0ELi256EPKDF16_fKPfEviiT2_lPKT1_lilS7_lilS4_lPT3_lil
                                        ; -- End function
	.set _ZL22rocblas_gemvtsm_kernelILb0ELi256EPKDF16_fKPfEviiT2_lPKT1_lilS7_lilS4_lPT3_lil.num_vgpr, 20
	.set _ZL22rocblas_gemvtsm_kernelILb0ELi256EPKDF16_fKPfEviiT2_lPKT1_lilS7_lilS4_lPT3_lil.num_agpr, 0
	.set _ZL22rocblas_gemvtsm_kernelILb0ELi256EPKDF16_fKPfEviiT2_lPKT1_lilS7_lilS4_lPT3_lil.numbered_sgpr, 24
	.set _ZL22rocblas_gemvtsm_kernelILb0ELi256EPKDF16_fKPfEviiT2_lPKT1_lilS7_lilS4_lPT3_lil.num_named_barrier, 0
	.set _ZL22rocblas_gemvtsm_kernelILb0ELi256EPKDF16_fKPfEviiT2_lPKT1_lilS7_lilS4_lPT3_lil.private_seg_size, 0
	.set _ZL22rocblas_gemvtsm_kernelILb0ELi256EPKDF16_fKPfEviiT2_lPKT1_lilS7_lilS4_lPT3_lil.uses_vcc, 1
	.set _ZL22rocblas_gemvtsm_kernelILb0ELi256EPKDF16_fKPfEviiT2_lPKT1_lilS7_lilS4_lPT3_lil.uses_flat_scratch, 0
	.set _ZL22rocblas_gemvtsm_kernelILb0ELi256EPKDF16_fKPfEviiT2_lPKT1_lilS7_lilS4_lPT3_lil.has_dyn_sized_stack, 0
	.set _ZL22rocblas_gemvtsm_kernelILb0ELi256EPKDF16_fKPfEviiT2_lPKT1_lilS7_lilS4_lPT3_lil.has_recursion, 0
	.set _ZL22rocblas_gemvtsm_kernelILb0ELi256EPKDF16_fKPfEviiT2_lPKT1_lilS7_lilS4_lPT3_lil.has_indirect_call, 0
	.section	.AMDGPU.csdata,"",@progbits
; Kernel info:
; codeLenInByte = 1396
; TotalNumSgprs: 26
; NumVgprs: 20
; ScratchSize: 0
; MemoryBound: 0
; FloatMode: 240
; IeeeMode: 1
; LDSByteSize: 256 bytes/workgroup (compile time only)
; SGPRBlocks: 0
; VGPRBlocks: 2
; NumSGPRsForWavesPerEU: 26
; NumVGPRsForWavesPerEU: 20
; Occupancy: 16
; WaveLimiterHint : 1
; COMPUTE_PGM_RSRC2:SCRATCH_EN: 0
; COMPUTE_PGM_RSRC2:USER_SGPR: 6
; COMPUTE_PGM_RSRC2:TRAP_HANDLER: 0
; COMPUTE_PGM_RSRC2:TGID_X_EN: 1
; COMPUTE_PGM_RSRC2:TGID_Y_EN: 0
; COMPUTE_PGM_RSRC2:TGID_Z_EN: 0
; COMPUTE_PGM_RSRC2:TIDIG_COMP_CNT: 0
	.section	.text._ZL23rocblas_gemvt_sn_reduceILi256ELi8EfPKfKPfEviT2_lPT3_lilPT1_i,"axG",@progbits,_ZL23rocblas_gemvt_sn_reduceILi256ELi8EfPKfKPfEviT2_lPT3_lilPT1_i,comdat
	.globl	_ZL23rocblas_gemvt_sn_reduceILi256ELi8EfPKfKPfEviT2_lPT3_lilPT1_i ; -- Begin function _ZL23rocblas_gemvt_sn_reduceILi256ELi8EfPKfKPfEviT2_lPT3_lilPT1_i
	.p2align	8
	.type	_ZL23rocblas_gemvt_sn_reduceILi256ELi8EfPKfKPfEviT2_lPT3_lilPT1_i,@function
_ZL23rocblas_gemvt_sn_reduceILi256ELi8EfPKfKPfEviT2_lPT3_lilPT1_i: ; @_ZL23rocblas_gemvt_sn_reduceILi256ELi8EfPKfKPfEviT2_lPT3_lilPT1_i
; %bb.0:
	s_clause 0x1
	s_load_dword s20, s[4:5], 0x0
	s_load_dwordx8 s[12:19], s[4:5], 0x8
	s_mov_b32 s9, 0
	s_clause 0x1
	s_load_dword s21, s[4:5], 0x4c
	s_load_dwordx2 s[10:11], s[4:5], 0x38
	s_lshl_b64 s[0:1], s[8:9], 3
	v_lshlrev_b32_e32 v4, 3, v0
	v_mov_b32_e32 v3, 0
	s_waitcnt lgkmcnt(0)
	s_ashr_i32 s22, s20, 31
	s_mul_i32 s2, s15, s8
	s_mul_hi_u32 s3, s14, s8
	s_add_u32 s0, s16, s0
	s_addc_u32 s1, s17, s1
	s_add_i32 s3, s3, s2
	s_mul_i32 s2, s14, s8
	s_mul_i32 s8, s21, s8
	s_lshl_b64 s[2:3], s[2:3], 2
	s_add_u32 s12, s12, s2
	s_addc_u32 s13, s13, s3
	s_load_dwordx2 s[2:3], s[0:1], 0x0
	s_load_dword s6, s[12:13], 0x0
	s_add_u32 s0, s4, 0x48
	s_addc_u32 s1, s5, 0
	s_add_i32 s12, s8, s7
	s_lshr_b32 s8, s22, 29
	s_mul_i32 s13, s12, s22
	s_add_i32 s8, s20, s8
	s_mul_hi_u32 s14, s12, s20
	s_and_b32 s8, s8, -8
	s_add_i32 s13, s14, s13
	s_mul_i32 s12, s12, s20
	s_mov_b32 s14, exec_lo
	v_cmpx_gt_i32_e64 s8, v4
	s_cbranch_execz .LBB520_4
; %bb.1:
	s_load_dword s0, s[0:1], 0xc
	v_lshlrev_b32_e32 v1, 5, v0
	s_lshl_b64 s[16:17], s[12:13], 2
	v_mov_b32_e32 v3, 0
	s_waitcnt lgkmcnt(0)
	s_and_b32 s0, s0, 0xffff
	s_lshl_b32 s1, s0, 3
	s_add_u32 s15, s10, s16
	s_addc_u32 s16, s11, s17
	v_add_co_u32 v1, s15, s15, v1
	v_add_co_ci_u32_e64 v2, null, s16, 0, s15
	s_lshl_b32 s15, s0, 5
	v_add_co_u32 v1, vcc_lo, v1, 28
	v_add_co_ci_u32_e64 v2, null, 0, v2, vcc_lo
	.p2align	6
.LBB520_2:                              ; =>This Inner Loop Header: Depth=1
	s_clause 0x1
	global_load_dwordx4 v[5:8], v[1:2], off offset:-28
	global_load_dwordx4 v[9:12], v[1:2], off offset:-12
	v_add_nc_u32_e32 v4, s1, v4
	v_add_co_u32 v1, vcc_lo, v1, s15
	v_add_co_ci_u32_e64 v2, null, 0, v2, vcc_lo
	v_cmp_le_i32_e64 s0, s8, v4
	s_or_b32 s9, s0, s9
	s_waitcnt vmcnt(1)
	v_add_f32_e32 v3, v3, v5
	v_add_f32_e32 v3, v3, v6
	;; [unrolled: 1-line block ×4, first 2 shown]
	s_waitcnt vmcnt(0)
	v_add_f32_e32 v3, v3, v9
	v_add_f32_e32 v3, v3, v10
	;; [unrolled: 1-line block ×4, first 2 shown]
	s_andn2_b32 exec_lo, exec_lo, s9
	s_cbranch_execnz .LBB520_2
; %bb.3:
	s_or_b32 exec_lo, exec_lo, s9
.LBB520_4:
	s_or_b32 exec_lo, exec_lo, s14
	s_sub_i32 s0, s20, s8
	v_cmp_gt_u32_e32 vcc_lo, s0, v0
	s_and_saveexec_b32 s0, vcc_lo
	s_cbranch_execz .LBB520_6
; %bb.5:
	v_xad_u32 v1, v0, -1, s20
	v_mov_b32_e32 v2, 0
	s_lshl_b64 s[8:9], s[12:13], 2
	s_add_u32 s1, s10, s8
	s_addc_u32 s8, s11, s9
	v_lshlrev_b64 v[1:2], 2, v[1:2]
	v_add_co_u32 v1, vcc_lo, s1, v1
	v_add_co_ci_u32_e64 v2, null, s8, v2, vcc_lo
	global_load_dword v1, v[1:2], off
	s_waitcnt vmcnt(0)
	v_add_f32_e32 v3, v3, v1
.LBB520_6:
	s_or_b32 exec_lo, exec_lo, s0
	v_and_b32_e32 v1, 31, v0
	v_cmp_gt_u32_e32 vcc_lo, 32, v0
	v_lshlrev_b32_e32 v2, 2, v1
	s_and_saveexec_b32 s0, vcc_lo
; %bb.7:
	v_mov_b32_e32 v4, 0
	ds_write_b32 v2, v4
; %bb.8:
	s_or_b32 exec_lo, exec_lo, s0
	v_mbcnt_lo_u32_b32 v5, -1, 0
	s_mov_b32 s1, exec_lo
	s_waitcnt lgkmcnt(0)
	s_barrier
	buffer_gl0_inv
	v_lshl_or_b32 v4, v5, 2, 64
	v_cmp_gt_u32_e64 s0, 24, v5
	ds_bpermute_b32 v4, v4, v3
	v_cndmask_b32_e64 v6, 0, 8, s0
	v_cmp_gt_u32_e64 s0, 28, v5
	v_add_lshl_u32 v6, v6, v5, 2
	s_waitcnt lgkmcnt(0)
	v_add_f32_e32 v4, v3, v4
	v_cndmask_b32_e64 v3, 0, 4, s0
	v_cmp_gt_u32_e64 s0, 30, v5
	ds_bpermute_b32 v6, v6, v4
	v_add_lshl_u32 v3, v3, v5, 2
	s_waitcnt lgkmcnt(0)
	v_add_f32_e32 v6, v4, v6
	v_cndmask_b32_e64 v4, 0, 2, s0
	v_cmp_ne_u32_e64 s0, 31, v5
	ds_bpermute_b32 v7, v3, v6
	v_add_lshl_u32 v4, v4, v5, 2
	v_add_co_ci_u32_e64 v5, null, 0, v5, s0
	v_lshlrev_b32_e32 v5, 2, v5
	s_waitcnt lgkmcnt(0)
	v_add_f32_e32 v6, v6, v7
	ds_bpermute_b32 v7, v4, v6
	s_waitcnt lgkmcnt(0)
	v_add_f32_e32 v6, v6, v7
	ds_bpermute_b32 v7, v5, v6
	v_cmpx_eq_u32_e32 0, v1
	s_cbranch_execz .LBB520_10
; %bb.9:
	v_lshrrev_b32_e32 v1, 3, v0
	s_waitcnt lgkmcnt(0)
	v_add_f32_e32 v6, v6, v7
	v_and_b32_e32 v1, 28, v1
	ds_write_b32 v1, v6
.LBB520_10:
	s_or_b32 exec_lo, exec_lo, s1
	v_mov_b32_e32 v1, 0
	s_mov_b32 s1, exec_lo
	s_waitcnt lgkmcnt(0)
	s_barrier
	buffer_gl0_inv
	v_cmpx_gt_u32_e32 8, v0
; %bb.11:
	ds_read_b32 v1, v2
; %bb.12:
	s_or_b32 exec_lo, exec_lo, s1
	s_and_saveexec_b32 s0, vcc_lo
	s_cbranch_execz .LBB520_14
; %bb.13:
	s_waitcnt lgkmcnt(0)
	ds_bpermute_b32 v2, v3, v1
	s_waitcnt lgkmcnt(0)
	v_add_f32_e32 v1, v1, v2
	ds_bpermute_b32 v2, v4, v1
	s_waitcnt lgkmcnt(0)
	v_add_f32_e32 v1, v1, v2
	;; [unrolled: 3-line block ×3, first 2 shown]
.LBB520_14:
	s_or_b32 exec_lo, exec_lo, s0
	s_mov_b32 s0, exec_lo
	v_cmpx_eq_u32_e32 0, v0
	s_cbranch_execz .LBB520_18
; %bb.15:
	s_load_dword s0, s[4:5], 0x28
	v_cmp_eq_f32_e64 s1, s6, 0
	s_lshl_b64 s[4:5], s[18:19], 2
	s_waitcnt lgkmcnt(0)
	s_ashr_i32 s8, s0, 31
	s_mul_hi_u32 s9, s0, s7
	s_mul_i32 s8, s8, s7
	s_add_u32 s2, s2, s4
	s_mul_i32 s0, s0, s7
	s_addc_u32 s3, s3, s5
	s_and_b32 vcc_lo, exec_lo, s1
	s_add_i32 s1, s9, s8
	s_cbranch_vccnz .LBB520_17
; %bb.16:
	s_lshl_b64 s[4:5], s[0:1], 2
	s_add_u32 s4, s2, s4
	s_addc_u32 s5, s3, s5
	v_mov_b32_e32 v2, s4
	v_mov_b32_e32 v3, s5
	flat_load_dword v0, v[2:3]
	s_waitcnt vmcnt(0) lgkmcnt(0)
	v_fmac_f32_e32 v1, s6, v0
.LBB520_17:
	s_lshl_b64 s[0:1], s[0:1], 2
	s_add_u32 s0, s2, s0
	s_addc_u32 s1, s3, s1
	v_mov_b32_e32 v3, s1
	v_mov_b32_e32 v2, s0
	flat_store_dword v[2:3], v1
.LBB520_18:
	s_endpgm
	.section	.rodata,"a",@progbits
	.p2align	6, 0x0
	.amdhsa_kernel _ZL23rocblas_gemvt_sn_reduceILi256ELi8EfPKfKPfEviT2_lPT3_lilPT1_i
		.amdhsa_group_segment_fixed_size 128
		.amdhsa_private_segment_fixed_size 0
		.amdhsa_kernarg_size 328
		.amdhsa_user_sgpr_count 6
		.amdhsa_user_sgpr_private_segment_buffer 1
		.amdhsa_user_sgpr_dispatch_ptr 0
		.amdhsa_user_sgpr_queue_ptr 0
		.amdhsa_user_sgpr_kernarg_segment_ptr 1
		.amdhsa_user_sgpr_dispatch_id 0
		.amdhsa_user_sgpr_flat_scratch_init 0
		.amdhsa_user_sgpr_private_segment_size 0
		.amdhsa_wavefront_size32 1
		.amdhsa_uses_dynamic_stack 0
		.amdhsa_system_sgpr_private_segment_wavefront_offset 0
		.amdhsa_system_sgpr_workgroup_id_x 1
		.amdhsa_system_sgpr_workgroup_id_y 1
		.amdhsa_system_sgpr_workgroup_id_z 1
		.amdhsa_system_sgpr_workgroup_info 0
		.amdhsa_system_vgpr_workitem_id 0
		.amdhsa_next_free_vgpr 13
		.amdhsa_next_free_sgpr 23
		.amdhsa_reserve_vcc 1
		.amdhsa_reserve_flat_scratch 0
		.amdhsa_float_round_mode_32 0
		.amdhsa_float_round_mode_16_64 0
		.amdhsa_float_denorm_mode_32 3
		.amdhsa_float_denorm_mode_16_64 3
		.amdhsa_dx10_clamp 1
		.amdhsa_ieee_mode 1
		.amdhsa_fp16_overflow 0
		.amdhsa_workgroup_processor_mode 1
		.amdhsa_memory_ordered 1
		.amdhsa_forward_progress 1
		.amdhsa_shared_vgpr_count 0
		.amdhsa_exception_fp_ieee_invalid_op 0
		.amdhsa_exception_fp_denorm_src 0
		.amdhsa_exception_fp_ieee_div_zero 0
		.amdhsa_exception_fp_ieee_overflow 0
		.amdhsa_exception_fp_ieee_underflow 0
		.amdhsa_exception_fp_ieee_inexact 0
		.amdhsa_exception_int_div_zero 0
	.end_amdhsa_kernel
	.section	.text._ZL23rocblas_gemvt_sn_reduceILi256ELi8EfPKfKPfEviT2_lPT3_lilPT1_i,"axG",@progbits,_ZL23rocblas_gemvt_sn_reduceILi256ELi8EfPKfKPfEviT2_lPT3_lilPT1_i,comdat
.Lfunc_end520:
	.size	_ZL23rocblas_gemvt_sn_reduceILi256ELi8EfPKfKPfEviT2_lPT3_lilPT1_i, .Lfunc_end520-_ZL23rocblas_gemvt_sn_reduceILi256ELi8EfPKfKPfEviT2_lPT3_lilPT1_i
                                        ; -- End function
	.set _ZL23rocblas_gemvt_sn_reduceILi256ELi8EfPKfKPfEviT2_lPT3_lilPT1_i.num_vgpr, 13
	.set _ZL23rocblas_gemvt_sn_reduceILi256ELi8EfPKfKPfEviT2_lPT3_lilPT1_i.num_agpr, 0
	.set _ZL23rocblas_gemvt_sn_reduceILi256ELi8EfPKfKPfEviT2_lPT3_lilPT1_i.numbered_sgpr, 23
	.set _ZL23rocblas_gemvt_sn_reduceILi256ELi8EfPKfKPfEviT2_lPT3_lilPT1_i.num_named_barrier, 0
	.set _ZL23rocblas_gemvt_sn_reduceILi256ELi8EfPKfKPfEviT2_lPT3_lilPT1_i.private_seg_size, 0
	.set _ZL23rocblas_gemvt_sn_reduceILi256ELi8EfPKfKPfEviT2_lPT3_lilPT1_i.uses_vcc, 1
	.set _ZL23rocblas_gemvt_sn_reduceILi256ELi8EfPKfKPfEviT2_lPT3_lilPT1_i.uses_flat_scratch, 0
	.set _ZL23rocblas_gemvt_sn_reduceILi256ELi8EfPKfKPfEviT2_lPT3_lilPT1_i.has_dyn_sized_stack, 0
	.set _ZL23rocblas_gemvt_sn_reduceILi256ELi8EfPKfKPfEviT2_lPT3_lilPT1_i.has_recursion, 0
	.set _ZL23rocblas_gemvt_sn_reduceILi256ELi8EfPKfKPfEviT2_lPT3_lilPT1_i.has_indirect_call, 0
	.section	.AMDGPU.csdata,"",@progbits
; Kernel info:
; codeLenInByte = 1024
; TotalNumSgprs: 25
; NumVgprs: 13
; ScratchSize: 0
; MemoryBound: 0
; FloatMode: 240
; IeeeMode: 1
; LDSByteSize: 128 bytes/workgroup (compile time only)
; SGPRBlocks: 0
; VGPRBlocks: 1
; NumSGPRsForWavesPerEU: 25
; NumVGPRsForWavesPerEU: 13
; Occupancy: 16
; WaveLimiterHint : 1
; COMPUTE_PGM_RSRC2:SCRATCH_EN: 0
; COMPUTE_PGM_RSRC2:USER_SGPR: 6
; COMPUTE_PGM_RSRC2:TRAP_HANDLER: 0
; COMPUTE_PGM_RSRC2:TGID_X_EN: 1
; COMPUTE_PGM_RSRC2:TGID_Y_EN: 1
; COMPUTE_PGM_RSRC2:TGID_Z_EN: 1
; COMPUTE_PGM_RSRC2:TIDIG_COMP_CNT: 0
	.section	.text._ZL23rocblas_gemvt_sn_reduceILi256ELi8EffKPfEviT2_lPT3_lilPT1_i,"axG",@progbits,_ZL23rocblas_gemvt_sn_reduceILi256ELi8EffKPfEviT2_lPT3_lilPT1_i,comdat
	.globl	_ZL23rocblas_gemvt_sn_reduceILi256ELi8EffKPfEviT2_lPT3_lilPT1_i ; -- Begin function _ZL23rocblas_gemvt_sn_reduceILi256ELi8EffKPfEviT2_lPT3_lilPT1_i
	.p2align	8
	.type	_ZL23rocblas_gemvt_sn_reduceILi256ELi8EffKPfEviT2_lPT3_lilPT1_i,@function
_ZL23rocblas_gemvt_sn_reduceILi256ELi8EffKPfEviT2_lPT3_lilPT1_i: ; @_ZL23rocblas_gemvt_sn_reduceILi256ELi8EffKPfEviT2_lPT3_lilPT1_i
; %bb.0:
	s_clause 0x2
	s_load_dwordx4 s[0:3], s[4:5], 0x10
	s_load_dwordx2 s[10:11], s[4:5], 0x0
	s_load_dword s6, s[4:5], 0x44
	s_mov_b32 s9, 0
	v_lshlrev_b32_e32 v4, 3, v0
	s_lshl_b64 s[12:13], s[8:9], 3
	v_mov_b32_e32 v3, 0
	s_waitcnt lgkmcnt(0)
	s_add_u32 s0, s0, s12
	s_addc_u32 s1, s1, s13
	s_load_dwordx2 s[14:15], s[4:5], 0x30
	s_load_dwordx2 s[12:13], s[0:1], 0x0
	s_ashr_i32 s16, s10, 31
	s_mul_i32 s6, s6, s8
	s_add_u32 s0, s4, 64
	s_addc_u32 s1, s5, 0
	s_add_i32 s8, s6, s7
	s_lshr_b32 s6, s16, 29
	s_mul_i32 s16, s8, s16
	s_add_i32 s6, s10, s6
	s_mul_hi_u32 s17, s8, s10
	s_and_b32 s6, s6, -8
	s_add_i32 s17, s17, s16
	s_mul_i32 s16, s8, s10
	s_mov_b32 s8, exec_lo
	v_cmpx_gt_i32_e64 s6, v4
	s_cbranch_execz .LBB521_4
; %bb.1:
	s_load_dword s0, s[0:1], 0xc
	v_lshlrev_b32_e32 v1, 5, v0
	s_lshl_b64 s[18:19], s[16:17], 2
	v_mov_b32_e32 v3, 0
	s_waitcnt lgkmcnt(0)
	s_and_b32 s0, s0, 0xffff
	s_lshl_b32 s1, s0, 3
	s_add_u32 s18, s14, s18
	s_addc_u32 s19, s15, s19
	v_add_co_u32 v1, s18, s18, v1
	v_add_co_ci_u32_e64 v2, null, s19, 0, s18
	s_lshl_b32 s18, s0, 5
	v_add_co_u32 v1, vcc_lo, v1, 28
	v_add_co_ci_u32_e64 v2, null, 0, v2, vcc_lo
	.p2align	6
.LBB521_2:                              ; =>This Inner Loop Header: Depth=1
	s_clause 0x1
	global_load_dwordx4 v[5:8], v[1:2], off offset:-28
	global_load_dwordx4 v[9:12], v[1:2], off offset:-12
	v_add_nc_u32_e32 v4, s1, v4
	v_add_co_u32 v1, vcc_lo, v1, s18
	v_add_co_ci_u32_e64 v2, null, 0, v2, vcc_lo
	v_cmp_le_i32_e64 s0, s6, v4
	s_or_b32 s9, s0, s9
	s_waitcnt vmcnt(1)
	v_add_f32_e32 v3, v3, v5
	v_add_f32_e32 v3, v3, v6
	;; [unrolled: 1-line block ×4, first 2 shown]
	s_waitcnt vmcnt(0)
	v_add_f32_e32 v3, v3, v9
	v_add_f32_e32 v3, v3, v10
	;; [unrolled: 1-line block ×4, first 2 shown]
	s_andn2_b32 exec_lo, exec_lo, s9
	s_cbranch_execnz .LBB521_2
; %bb.3:
	s_or_b32 exec_lo, exec_lo, s9
.LBB521_4:
	s_or_b32 exec_lo, exec_lo, s8
	s_sub_i32 s0, s10, s6
	v_cmp_gt_u32_e32 vcc_lo, s0, v0
	s_and_saveexec_b32 s0, vcc_lo
	s_cbranch_execz .LBB521_6
; %bb.5:
	v_xad_u32 v1, v0, -1, s10
	v_mov_b32_e32 v2, 0
	s_lshl_b64 s[8:9], s[16:17], 2
	s_waitcnt lgkmcnt(0)
	s_add_u32 s1, s14, s8
	s_addc_u32 s6, s15, s9
	v_lshlrev_b64 v[1:2], 2, v[1:2]
	v_add_co_u32 v1, vcc_lo, s1, v1
	v_add_co_ci_u32_e64 v2, null, s6, v2, vcc_lo
	global_load_dword v1, v[1:2], off
	s_waitcnt vmcnt(0)
	v_add_f32_e32 v3, v3, v1
.LBB521_6:
	s_or_b32 exec_lo, exec_lo, s0
	v_and_b32_e32 v1, 31, v0
	v_cmp_gt_u32_e32 vcc_lo, 32, v0
	v_lshlrev_b32_e32 v2, 2, v1
	s_and_saveexec_b32 s0, vcc_lo
; %bb.7:
	v_mov_b32_e32 v4, 0
	ds_write_b32 v2, v4
; %bb.8:
	s_or_b32 exec_lo, exec_lo, s0
	v_mbcnt_lo_u32_b32 v5, -1, 0
	s_mov_b32 s1, exec_lo
	s_waitcnt lgkmcnt(0)
	s_barrier
	buffer_gl0_inv
	v_lshl_or_b32 v4, v5, 2, 64
	v_cmp_gt_u32_e64 s0, 24, v5
	ds_bpermute_b32 v4, v4, v3
	v_cndmask_b32_e64 v6, 0, 8, s0
	v_cmp_gt_u32_e64 s0, 28, v5
	v_add_lshl_u32 v6, v6, v5, 2
	s_waitcnt lgkmcnt(0)
	v_add_f32_e32 v4, v3, v4
	v_cndmask_b32_e64 v3, 0, 4, s0
	v_cmp_gt_u32_e64 s0, 30, v5
	ds_bpermute_b32 v6, v6, v4
	v_add_lshl_u32 v3, v3, v5, 2
	s_waitcnt lgkmcnt(0)
	v_add_f32_e32 v6, v4, v6
	v_cndmask_b32_e64 v4, 0, 2, s0
	v_cmp_ne_u32_e64 s0, 31, v5
	ds_bpermute_b32 v7, v3, v6
	v_add_lshl_u32 v4, v4, v5, 2
	v_add_co_ci_u32_e64 v5, null, 0, v5, s0
	v_lshlrev_b32_e32 v5, 2, v5
	s_waitcnt lgkmcnt(0)
	v_add_f32_e32 v6, v6, v7
	ds_bpermute_b32 v7, v4, v6
	s_waitcnt lgkmcnt(0)
	v_add_f32_e32 v6, v6, v7
	ds_bpermute_b32 v7, v5, v6
	v_cmpx_eq_u32_e32 0, v1
	s_cbranch_execz .LBB521_10
; %bb.9:
	v_lshrrev_b32_e32 v1, 3, v0
	s_waitcnt lgkmcnt(0)
	v_add_f32_e32 v6, v6, v7
	v_and_b32_e32 v1, 28, v1
	ds_write_b32 v1, v6
.LBB521_10:
	s_or_b32 exec_lo, exec_lo, s1
	v_mov_b32_e32 v1, 0
	s_mov_b32 s1, exec_lo
	s_waitcnt lgkmcnt(0)
	s_barrier
	buffer_gl0_inv
	v_cmpx_gt_u32_e32 8, v0
; %bb.11:
	ds_read_b32 v1, v2
; %bb.12:
	s_or_b32 exec_lo, exec_lo, s1
	s_and_saveexec_b32 s0, vcc_lo
	s_cbranch_execz .LBB521_14
; %bb.13:
	s_waitcnt lgkmcnt(0)
	ds_bpermute_b32 v2, v3, v1
	s_waitcnt lgkmcnt(0)
	v_add_f32_e32 v1, v1, v2
	ds_bpermute_b32 v2, v4, v1
	s_waitcnt lgkmcnt(0)
	v_add_f32_e32 v1, v1, v2
	;; [unrolled: 3-line block ×3, first 2 shown]
.LBB521_14:
	s_or_b32 exec_lo, exec_lo, s0
	s_mov_b32 s0, exec_lo
	v_cmpx_eq_u32_e32 0, v0
	s_cbranch_execz .LBB521_18
; %bb.15:
	s_load_dword s0, s[4:5], 0x20
	v_cmp_eq_f32_e64 s1, s11, 0
	s_lshl_b64 s[2:3], s[2:3], 2
	s_waitcnt lgkmcnt(0)
	s_ashr_i32 s4, s0, 31
	s_mul_hi_u32 s5, s0, s7
	s_mul_i32 s4, s4, s7
	s_add_u32 s2, s12, s2
	s_mul_i32 s0, s0, s7
	s_addc_u32 s3, s13, s3
	s_and_b32 vcc_lo, exec_lo, s1
	s_add_i32 s1, s5, s4
	s_cbranch_vccnz .LBB521_17
; %bb.16:
	s_lshl_b64 s[4:5], s[0:1], 2
	s_add_u32 s4, s2, s4
	s_addc_u32 s5, s3, s5
	v_mov_b32_e32 v2, s4
	v_mov_b32_e32 v3, s5
	flat_load_dword v0, v[2:3]
	s_waitcnt vmcnt(0) lgkmcnt(0)
	v_fmac_f32_e32 v1, s11, v0
.LBB521_17:
	s_lshl_b64 s[0:1], s[0:1], 2
	s_add_u32 s0, s2, s0
	s_addc_u32 s1, s3, s1
	v_mov_b32_e32 v3, s1
	v_mov_b32_e32 v2, s0
	flat_store_dword v[2:3], v1
.LBB521_18:
	s_endpgm
	.section	.rodata,"a",@progbits
	.p2align	6, 0x0
	.amdhsa_kernel _ZL23rocblas_gemvt_sn_reduceILi256ELi8EffKPfEviT2_lPT3_lilPT1_i
		.amdhsa_group_segment_fixed_size 128
		.amdhsa_private_segment_fixed_size 0
		.amdhsa_kernarg_size 320
		.amdhsa_user_sgpr_count 6
		.amdhsa_user_sgpr_private_segment_buffer 1
		.amdhsa_user_sgpr_dispatch_ptr 0
		.amdhsa_user_sgpr_queue_ptr 0
		.amdhsa_user_sgpr_kernarg_segment_ptr 1
		.amdhsa_user_sgpr_dispatch_id 0
		.amdhsa_user_sgpr_flat_scratch_init 0
		.amdhsa_user_sgpr_private_segment_size 0
		.amdhsa_wavefront_size32 1
		.amdhsa_uses_dynamic_stack 0
		.amdhsa_system_sgpr_private_segment_wavefront_offset 0
		.amdhsa_system_sgpr_workgroup_id_x 1
		.amdhsa_system_sgpr_workgroup_id_y 1
		.amdhsa_system_sgpr_workgroup_id_z 1
		.amdhsa_system_sgpr_workgroup_info 0
		.amdhsa_system_vgpr_workitem_id 0
		.amdhsa_next_free_vgpr 13
		.amdhsa_next_free_sgpr 20
		.amdhsa_reserve_vcc 1
		.amdhsa_reserve_flat_scratch 0
		.amdhsa_float_round_mode_32 0
		.amdhsa_float_round_mode_16_64 0
		.amdhsa_float_denorm_mode_32 3
		.amdhsa_float_denorm_mode_16_64 3
		.amdhsa_dx10_clamp 1
		.amdhsa_ieee_mode 1
		.amdhsa_fp16_overflow 0
		.amdhsa_workgroup_processor_mode 1
		.amdhsa_memory_ordered 1
		.amdhsa_forward_progress 1
		.amdhsa_shared_vgpr_count 0
		.amdhsa_exception_fp_ieee_invalid_op 0
		.amdhsa_exception_fp_denorm_src 0
		.amdhsa_exception_fp_ieee_div_zero 0
		.amdhsa_exception_fp_ieee_overflow 0
		.amdhsa_exception_fp_ieee_underflow 0
		.amdhsa_exception_fp_ieee_inexact 0
		.amdhsa_exception_int_div_zero 0
	.end_amdhsa_kernel
	.section	.text._ZL23rocblas_gemvt_sn_reduceILi256ELi8EffKPfEviT2_lPT3_lilPT1_i,"axG",@progbits,_ZL23rocblas_gemvt_sn_reduceILi256ELi8EffKPfEviT2_lPT3_lilPT1_i,comdat
.Lfunc_end521:
	.size	_ZL23rocblas_gemvt_sn_reduceILi256ELi8EffKPfEviT2_lPT3_lilPT1_i, .Lfunc_end521-_ZL23rocblas_gemvt_sn_reduceILi256ELi8EffKPfEviT2_lPT3_lilPT1_i
                                        ; -- End function
	.set _ZL23rocblas_gemvt_sn_reduceILi256ELi8EffKPfEviT2_lPT3_lilPT1_i.num_vgpr, 13
	.set _ZL23rocblas_gemvt_sn_reduceILi256ELi8EffKPfEviT2_lPT3_lilPT1_i.num_agpr, 0
	.set _ZL23rocblas_gemvt_sn_reduceILi256ELi8EffKPfEviT2_lPT3_lilPT1_i.numbered_sgpr, 20
	.set _ZL23rocblas_gemvt_sn_reduceILi256ELi8EffKPfEviT2_lPT3_lilPT1_i.num_named_barrier, 0
	.set _ZL23rocblas_gemvt_sn_reduceILi256ELi8EffKPfEviT2_lPT3_lilPT1_i.private_seg_size, 0
	.set _ZL23rocblas_gemvt_sn_reduceILi256ELi8EffKPfEviT2_lPT3_lilPT1_i.uses_vcc, 1
	.set _ZL23rocblas_gemvt_sn_reduceILi256ELi8EffKPfEviT2_lPT3_lilPT1_i.uses_flat_scratch, 0
	.set _ZL23rocblas_gemvt_sn_reduceILi256ELi8EffKPfEviT2_lPT3_lilPT1_i.has_dyn_sized_stack, 0
	.set _ZL23rocblas_gemvt_sn_reduceILi256ELi8EffKPfEviT2_lPT3_lilPT1_i.has_recursion, 0
	.set _ZL23rocblas_gemvt_sn_reduceILi256ELi8EffKPfEviT2_lPT3_lilPT1_i.has_indirect_call, 0
	.section	.AMDGPU.csdata,"",@progbits
; Kernel info:
; codeLenInByte = 964
; TotalNumSgprs: 22
; NumVgprs: 13
; ScratchSize: 0
; MemoryBound: 0
; FloatMode: 240
; IeeeMode: 1
; LDSByteSize: 128 bytes/workgroup (compile time only)
; SGPRBlocks: 0
; VGPRBlocks: 1
; NumSGPRsForWavesPerEU: 22
; NumVGPRsForWavesPerEU: 13
; Occupancy: 16
; WaveLimiterHint : 1
; COMPUTE_PGM_RSRC2:SCRATCH_EN: 0
; COMPUTE_PGM_RSRC2:USER_SGPR: 6
; COMPUTE_PGM_RSRC2:TRAP_HANDLER: 0
; COMPUTE_PGM_RSRC2:TGID_X_EN: 1
; COMPUTE_PGM_RSRC2:TGID_Y_EN: 1
; COMPUTE_PGM_RSRC2:TGID_Z_EN: 1
; COMPUTE_PGM_RSRC2:TIDIG_COMP_CNT: 0
	.section	.text._ZL32rocblas_gemvt_warp_reduce_kernelILb0ELi256EiPKDF16_PKfKPfEviiT3_lPKT2_lT1_lS9_lSA_lS6_lPT4_lSA_li,"axG",@progbits,_ZL32rocblas_gemvt_warp_reduce_kernelILb0ELi256EiPKDF16_PKfKPfEviiT3_lPKT2_lT1_lS9_lSA_lS6_lPT4_lSA_li,comdat
	.globl	_ZL32rocblas_gemvt_warp_reduce_kernelILb0ELi256EiPKDF16_PKfKPfEviiT3_lPKT2_lT1_lS9_lSA_lS6_lPT4_lSA_li ; -- Begin function _ZL32rocblas_gemvt_warp_reduce_kernelILb0ELi256EiPKDF16_PKfKPfEviiT3_lPKT2_lT1_lS9_lSA_lS6_lPT4_lSA_li
	.p2align	8
	.type	_ZL32rocblas_gemvt_warp_reduce_kernelILb0ELi256EiPKDF16_PKfKPfEviiT3_lPKT2_lT1_lS9_lSA_lS6_lPT4_lSA_li,@function
_ZL32rocblas_gemvt_warp_reduce_kernelILb0ELi256EiPKDF16_PKfKPfEviiT3_lPKT2_lT1_lS9_lSA_lS6_lPT4_lSA_li: ; @_ZL32rocblas_gemvt_warp_reduce_kernelILb0ELi256EiPKDF16_PKfKPfEviiT3_lPKT2_lT1_lS9_lSA_lS6_lPT4_lSA_li
; %bb.0:
	s_clause 0x1
	s_load_dwordx8 s[16:23], s[4:5], 0x8
	s_load_dwordx8 s[8:15], s[4:5], 0x58
	s_mov_b32 s0, s7
	s_waitcnt lgkmcnt(0)
	s_mul_i32 s1, s19, s7
	s_mul_hi_u32 s3, s18, s7
	s_mul_i32 s2, s18, s7
	s_add_i32 s3, s3, s1
	s_mul_i32 s1, s11, s7
	s_lshl_b64 s[2:3], s[2:3], 2
	s_mul_hi_u32 s7, s10, s7
	s_add_u32 s2, s16, s2
	s_addc_u32 s3, s17, s3
	s_add_i32 s11, s7, s1
	s_mul_i32 s10, s10, s0
	s_lshl_b64 s[10:11], s[10:11], 2
	s_add_u32 s8, s8, s10
	s_addc_u32 s9, s9, s11
	s_load_dword s16, s[2:3], 0x0
	s_load_dword s7, s[8:9], 0x0
	s_waitcnt lgkmcnt(0)
	v_cmp_eq_f32_e64 s10, s16, 0
	v_cmp_eq_f32_e64 s1, s7, 1.0
	s_and_b32 s1, s10, s1
	s_and_b32 vcc_lo, exec_lo, s1
	s_mov_b32 s1, 0
	s_cbranch_vccnz .LBB522_33
; %bb.1:
	v_cmp_neq_f32_e64 s11, s16, 0
	s_mov_b64 s[2:3], 0
	s_and_b32 vcc_lo, exec_lo, s10
	s_mov_b64 s[8:9], 0
	s_cbranch_vccnz .LBB522_3
; %bb.2:
	s_lshl_b64 s[8:9], s[0:1], 3
	s_add_u32 s8, s20, s8
	s_addc_u32 s9, s21, s9
	s_lshl_b64 s[18:19], s[22:23], 1
	s_load_dwordx2 s[8:9], s[8:9], 0x0
	s_waitcnt lgkmcnt(0)
	s_add_u32 s8, s8, s18
	s_addc_u32 s9, s9, s19
.LBB522_3:
	s_andn2_b32 vcc_lo, exec_lo, s11
	s_cbranch_vccnz .LBB522_5
; %bb.4:
	s_load_dwordx4 s[20:23], s[4:5], 0x38
	s_lshl_b64 s[2:3], s[0:1], 3
	s_waitcnt lgkmcnt(0)
	s_add_u32 s2, s20, s2
	s_addc_u32 s3, s21, s3
	s_lshl_b64 s[18:19], s[22:23], 1
	s_load_dwordx2 s[2:3], s[2:3], 0x0
	s_waitcnt lgkmcnt(0)
	s_add_u32 s2, s2, s18
	s_addc_u32 s3, s3, s19
.LBB522_5:
	s_lshl_b64 s[0:1], s[0:1], 3
	s_add_u32 s0, s12, s0
	s_addc_u32 s1, s13, s1
	s_lshl_b64 s[14:15], s[14:15], 2
	s_load_dwordx2 s[12:13], s[0:1], 0x0
	s_load_dword s17, s[4:5], 0x78
	v_cmp_eq_u32_e64 s0, 0, v0
	s_waitcnt lgkmcnt(0)
	s_add_u32 s1, s12, s14
	s_addc_u32 s12, s13, s15
	s_andn2_b32 vcc_lo, exec_lo, s10
	s_cbranch_vccnz .LBB522_10
; %bb.6:
	s_mov_b32 s14, 0
	s_mov_b32 s13, 0
                                        ; implicit-def: $vgpr1
                                        ; implicit-def: $sgpr10_sgpr11
	s_and_saveexec_b32 s15, s0
	s_cbranch_execz .LBB522_11
; %bb.7:
	v_cmp_eq_f32_e64 s0, s7, 0
	v_mov_b32_e32 v1, 0
	s_mul_i32 s10, s17, s6
	s_ashr_i32 s11, s10, 31
	s_and_b32 vcc_lo, exec_lo, s0
	s_cbranch_vccnz .LBB522_9
; %bb.8:
	s_lshl_b64 s[18:19], s[10:11], 2
	s_add_u32 s18, s1, s18
	s_addc_u32 s19, s12, s19
	v_mov_b32_e32 v1, s18
	v_mov_b32_e32 v2, s19
	flat_load_dword v1, v[1:2]
	s_waitcnt vmcnt(0) lgkmcnt(0)
	v_mul_f32_e32 v1, s7, v1
.LBB522_9:
	s_mov_b32 s13, exec_lo
	s_or_b32 exec_lo, exec_lo, s15
	s_and_b32 vcc_lo, exec_lo, s14
	s_cbranch_vccnz .LBB522_12
	s_branch .LBB522_31
.LBB522_10:
	s_mov_b32 s13, 0
                                        ; implicit-def: $vgpr1
                                        ; implicit-def: $sgpr10_sgpr11
	s_cbranch_execnz .LBB522_12
	s_branch .LBB522_31
.LBB522_11:
	s_or_b32 exec_lo, exec_lo, s15
	s_and_b32 vcc_lo, exec_lo, s14
	s_cbranch_vccz .LBB522_31
.LBB522_12:
	s_clause 0x2
	s_load_dword s10, s[4:5], 0x0
	s_load_dword s0, s[4:5], 0x28
	;; [unrolled: 1-line block ×3, first 2 shown]
	v_mov_b32_e32 v7, 0
	s_waitcnt lgkmcnt(0)
	v_cmp_gt_i32_e32 vcc_lo, s10, v0
	s_mul_i32 s14, s0, s6
	s_ashr_i32 s0, s10, 31
	s_ashr_i32 s15, s14, 31
	s_lshr_b32 s0, s0, 24
	v_cndmask_b32_e32 v1, 0, v0, vcc_lo
	s_lshl_b64 s[14:15], s[14:15], 1
	s_add_i32 s0, s10, s0
	v_lshlrev_b32_e32 v1, 1, v1
	v_add_co_u32 v1, s4, s8, v1
	v_add_co_ci_u32_e64 v2, null, s9, 0, s4
	s_and_b32 s4, s0, 0xffffff00
	v_add_co_u32 v1, vcc_lo, v1, s14
	v_add_co_ci_u32_e64 v2, null, s15, v2, vcc_lo
	s_mov_b32 s9, 0
	s_mov_b32 s8, exec_lo
	v_cmpx_gt_i32_e64 s4, v0
	s_cbranch_execz .LBB522_16
; %bb.13:
	v_mul_lo_u32 v3, v0, s5
	v_mov_b32_e32 v6, v2
	v_mov_b32_e32 v7, 0
	;; [unrolled: 1-line block ×4, first 2 shown]
	s_lshl_b32 s11, s5, 8
	.p2align	6
.LBB522_14:                             ; =>This Inner Loop Header: Depth=1
	v_ashrrev_i32_e32 v4, 31, v3
	v_add_nc_u32_e32 v8, 0x100, v8
	v_lshlrev_b64 v[9:10], 1, v[3:4]
	v_cmp_le_i32_e64 s0, s4, v8
	v_add_nc_u32_e32 v3, s11, v3
	s_or_b32 s9, s0, s9
	v_add_co_u32 v9, vcc_lo, s2, v9
	v_add_co_ci_u32_e64 v10, null, s3, v10, vcc_lo
	flat_load_ushort v4, v[5:6]
	flat_load_ushort v9, v[9:10]
	v_add_co_u32 v5, vcc_lo, 0x200, v5
	v_add_co_ci_u32_e64 v6, null, 0, v6, vcc_lo
	s_waitcnt vmcnt(0) lgkmcnt(0)
	v_mul_f16_e32 v4, v4, v9
	v_cvt_f32_f16_e32 v4, v4
	v_add_f32_e32 v7, v7, v4
	s_andn2_b32 exec_lo, exec_lo, s9
	s_cbranch_execnz .LBB522_14
; %bb.15:
	s_or_b32 exec_lo, exec_lo, s9
.LBB522_16:
	s_or_b32 exec_lo, exec_lo, s8
	v_add_nc_u32_e32 v3, s4, v0
	s_mov_b32 s0, exec_lo
	v_cmpx_gt_i32_e64 s10, v3
	s_cbranch_execz .LBB522_18
; %bb.17:
	v_mul_lo_u32 v3, s5, v3
	s_ashr_i32 s5, s4, 31
	s_lshl_b64 s[4:5], s[4:5], 1
	v_add_co_u32 v1, vcc_lo, v1, s4
	v_add_co_ci_u32_e64 v2, null, s5, v2, vcc_lo
	v_ashrrev_i32_e32 v4, 31, v3
	v_lshlrev_b64 v[3:4], 1, v[3:4]
	v_add_co_u32 v3, vcc_lo, s2, v3
	v_add_co_ci_u32_e64 v4, null, s3, v4, vcc_lo
	flat_load_ushort v1, v[1:2]
	flat_load_ushort v2, v[3:4]
	s_waitcnt vmcnt(0) lgkmcnt(0)
	v_mul_f16_e32 v1, v1, v2
	v_cvt_f32_f16_e32 v1, v1
	v_add_f32_e32 v7, v7, v1
.LBB522_18:
	s_or_b32 exec_lo, exec_lo, s0
	v_and_b32_e32 v5, 31, v0
	v_cmp_gt_u32_e32 vcc_lo, 32, v0
	v_lshlrev_b32_e32 v1, 2, v5
	s_and_saveexec_b32 s0, vcc_lo
; %bb.19:
	v_mov_b32_e32 v2, 0
	ds_write_b32 v1, v2
; %bb.20:
	s_or_b32 exec_lo, exec_lo, s0
	v_mbcnt_lo_u32_b32 v4, -1, 0
	s_mov_b32 s2, exec_lo
	s_waitcnt lgkmcnt(0)
	s_barrier
	buffer_gl0_inv
	v_lshl_or_b32 v2, v4, 2, 64
	v_cmp_gt_u32_e64 s0, 24, v4
	ds_bpermute_b32 v2, v2, v7
	v_cndmask_b32_e64 v3, 0, 8, s0
	v_cmp_gt_u32_e64 s0, 28, v4
	v_add_lshl_u32 v3, v3, v4, 2
	s_waitcnt lgkmcnt(0)
	v_add_f32_e32 v6, v7, v2
	v_cndmask_b32_e64 v2, 0, 4, s0
	v_cmp_gt_u32_e64 s0, 30, v4
	ds_bpermute_b32 v3, v3, v6
	v_add_lshl_u32 v2, v2, v4, 2
	s_waitcnt lgkmcnt(0)
	v_add_f32_e32 v6, v6, v3
	v_cndmask_b32_e64 v3, 0, 2, s0
	v_cmp_ne_u32_e64 s0, 31, v4
	ds_bpermute_b32 v7, v2, v6
	v_add_lshl_u32 v3, v3, v4, 2
	v_add_co_ci_u32_e64 v4, null, 0, v4, s0
	v_lshlrev_b32_e32 v4, 2, v4
	s_waitcnt lgkmcnt(0)
	v_add_f32_e32 v6, v6, v7
	ds_bpermute_b32 v7, v3, v6
	s_waitcnt lgkmcnt(0)
	v_add_f32_e32 v6, v6, v7
	ds_bpermute_b32 v7, v4, v6
	v_cmpx_eq_u32_e32 0, v5
	s_cbranch_execz .LBB522_22
; %bb.21:
	v_lshrrev_b32_e32 v5, 3, v0
	s_waitcnt lgkmcnt(0)
	v_add_f32_e32 v6, v6, v7
	v_and_b32_e32 v5, 28, v5
	ds_write_b32 v5, v6
.LBB522_22:
	s_or_b32 exec_lo, exec_lo, s2
	v_mov_b32_e32 v5, 0
	s_mov_b32 s2, exec_lo
	s_waitcnt lgkmcnt(0)
	s_barrier
	buffer_gl0_inv
	v_cmpx_gt_u32_e32 8, v0
; %bb.23:
	ds_read_b32 v5, v1
; %bb.24:
	s_or_b32 exec_lo, exec_lo, s2
	s_and_saveexec_b32 s0, vcc_lo
	s_cbranch_execz .LBB522_26
; %bb.25:
	s_waitcnt lgkmcnt(0)
	ds_bpermute_b32 v1, v2, v5
	s_waitcnt lgkmcnt(0)
	v_add_f32_e32 v1, v5, v1
	ds_bpermute_b32 v2, v3, v1
	s_waitcnt lgkmcnt(0)
	v_add_f32_e32 v1, v1, v2
	;; [unrolled: 3-line block ×3, first 2 shown]
.LBB522_26:
	s_or_b32 exec_lo, exec_lo, s0
	s_mov_b32 s0, exec_lo
                                        ; implicit-def: $vgpr1
                                        ; implicit-def: $sgpr10_sgpr11
	v_cmpx_eq_u32_e32 0, v0
	s_cbranch_execz .LBB522_30
; %bb.27:
	v_cmp_eq_f32_e64 s2, s7, 0
	s_waitcnt lgkmcnt(0)
	v_mul_f32_e32 v1, s16, v5
	s_mul_i32 s10, s17, s6
	s_ashr_i32 s11, s10, 31
	s_and_b32 vcc_lo, exec_lo, s2
	s_cbranch_vccnz .LBB522_29
; %bb.28:
	s_lshl_b64 s[2:3], s[10:11], 2
	s_add_u32 s2, s1, s2
	s_addc_u32 s3, s12, s3
	v_mov_b32_e32 v2, s2
	v_mov_b32_e32 v3, s3
	flat_load_dword v0, v[2:3]
	s_waitcnt vmcnt(0) lgkmcnt(0)
	v_fmac_f32_e32 v1, s7, v0
.LBB522_29:
	s_or_b32 s13, s13, exec_lo
.LBB522_30:
	s_or_b32 exec_lo, exec_lo, s0
.LBB522_31:
	s_and_saveexec_b32 s0, s13
	s_cbranch_execz .LBB522_33
; %bb.32:
	s_lshl_b64 s[2:3], s[10:11], 2
	s_add_u32 s0, s1, s2
	s_addc_u32 s1, s12, s3
	v_mov_b32_e32 v3, s1
	v_mov_b32_e32 v2, s0
	flat_store_dword v[2:3], v1
.LBB522_33:
	s_endpgm
	.section	.rodata,"a",@progbits
	.p2align	6, 0x0
	.amdhsa_kernel _ZL32rocblas_gemvt_warp_reduce_kernelILb0ELi256EiPKDF16_PKfKPfEviiT3_lPKT2_lT1_lS9_lSA_lS6_lPT4_lSA_li
		.amdhsa_group_segment_fixed_size 128
		.amdhsa_private_segment_fixed_size 0
		.amdhsa_kernarg_size 140
		.amdhsa_user_sgpr_count 6
		.amdhsa_user_sgpr_private_segment_buffer 1
		.amdhsa_user_sgpr_dispatch_ptr 0
		.amdhsa_user_sgpr_queue_ptr 0
		.amdhsa_user_sgpr_kernarg_segment_ptr 1
		.amdhsa_user_sgpr_dispatch_id 0
		.amdhsa_user_sgpr_flat_scratch_init 0
		.amdhsa_user_sgpr_private_segment_size 0
		.amdhsa_wavefront_size32 1
		.amdhsa_uses_dynamic_stack 0
		.amdhsa_system_sgpr_private_segment_wavefront_offset 0
		.amdhsa_system_sgpr_workgroup_id_x 1
		.amdhsa_system_sgpr_workgroup_id_y 0
		.amdhsa_system_sgpr_workgroup_id_z 1
		.amdhsa_system_sgpr_workgroup_info 0
		.amdhsa_system_vgpr_workitem_id 0
		.amdhsa_next_free_vgpr 11
		.amdhsa_next_free_sgpr 24
		.amdhsa_reserve_vcc 1
		.amdhsa_reserve_flat_scratch 0
		.amdhsa_float_round_mode_32 0
		.amdhsa_float_round_mode_16_64 0
		.amdhsa_float_denorm_mode_32 3
		.amdhsa_float_denorm_mode_16_64 3
		.amdhsa_dx10_clamp 1
		.amdhsa_ieee_mode 1
		.amdhsa_fp16_overflow 0
		.amdhsa_workgroup_processor_mode 1
		.amdhsa_memory_ordered 1
		.amdhsa_forward_progress 1
		.amdhsa_shared_vgpr_count 0
		.amdhsa_exception_fp_ieee_invalid_op 0
		.amdhsa_exception_fp_denorm_src 0
		.amdhsa_exception_fp_ieee_div_zero 0
		.amdhsa_exception_fp_ieee_overflow 0
		.amdhsa_exception_fp_ieee_underflow 0
		.amdhsa_exception_fp_ieee_inexact 0
		.amdhsa_exception_int_div_zero 0
	.end_amdhsa_kernel
	.section	.text._ZL32rocblas_gemvt_warp_reduce_kernelILb0ELi256EiPKDF16_PKfKPfEviiT3_lPKT2_lT1_lS9_lSA_lS6_lPT4_lSA_li,"axG",@progbits,_ZL32rocblas_gemvt_warp_reduce_kernelILb0ELi256EiPKDF16_PKfKPfEviiT3_lPKT2_lT1_lS9_lSA_lS6_lPT4_lSA_li,comdat
.Lfunc_end522:
	.size	_ZL32rocblas_gemvt_warp_reduce_kernelILb0ELi256EiPKDF16_PKfKPfEviiT3_lPKT2_lT1_lS9_lSA_lS6_lPT4_lSA_li, .Lfunc_end522-_ZL32rocblas_gemvt_warp_reduce_kernelILb0ELi256EiPKDF16_PKfKPfEviiT3_lPKT2_lT1_lS9_lSA_lS6_lPT4_lSA_li
                                        ; -- End function
	.set _ZL32rocblas_gemvt_warp_reduce_kernelILb0ELi256EiPKDF16_PKfKPfEviiT3_lPKT2_lT1_lS9_lSA_lS6_lPT4_lSA_li.num_vgpr, 11
	.set _ZL32rocblas_gemvt_warp_reduce_kernelILb0ELi256EiPKDF16_PKfKPfEviiT3_lPKT2_lT1_lS9_lSA_lS6_lPT4_lSA_li.num_agpr, 0
	.set _ZL32rocblas_gemvt_warp_reduce_kernelILb0ELi256EiPKDF16_PKfKPfEviiT3_lPKT2_lT1_lS9_lSA_lS6_lPT4_lSA_li.numbered_sgpr, 24
	.set _ZL32rocblas_gemvt_warp_reduce_kernelILb0ELi256EiPKDF16_PKfKPfEviiT3_lPKT2_lT1_lS9_lSA_lS6_lPT4_lSA_li.num_named_barrier, 0
	.set _ZL32rocblas_gemvt_warp_reduce_kernelILb0ELi256EiPKDF16_PKfKPfEviiT3_lPKT2_lT1_lS9_lSA_lS6_lPT4_lSA_li.private_seg_size, 0
	.set _ZL32rocblas_gemvt_warp_reduce_kernelILb0ELi256EiPKDF16_PKfKPfEviiT3_lPKT2_lT1_lS9_lSA_lS6_lPT4_lSA_li.uses_vcc, 1
	.set _ZL32rocblas_gemvt_warp_reduce_kernelILb0ELi256EiPKDF16_PKfKPfEviiT3_lPKT2_lT1_lS9_lSA_lS6_lPT4_lSA_li.uses_flat_scratch, 0
	.set _ZL32rocblas_gemvt_warp_reduce_kernelILb0ELi256EiPKDF16_PKfKPfEviiT3_lPKT2_lT1_lS9_lSA_lS6_lPT4_lSA_li.has_dyn_sized_stack, 0
	.set _ZL32rocblas_gemvt_warp_reduce_kernelILb0ELi256EiPKDF16_PKfKPfEviiT3_lPKT2_lT1_lS9_lSA_lS6_lPT4_lSA_li.has_recursion, 0
	.set _ZL32rocblas_gemvt_warp_reduce_kernelILb0ELi256EiPKDF16_PKfKPfEviiT3_lPKT2_lT1_lS9_lSA_lS6_lPT4_lSA_li.has_indirect_call, 0
	.section	.AMDGPU.csdata,"",@progbits
; Kernel info:
; codeLenInByte = 1376
; TotalNumSgprs: 26
; NumVgprs: 11
; ScratchSize: 0
; MemoryBound: 0
; FloatMode: 240
; IeeeMode: 1
; LDSByteSize: 128 bytes/workgroup (compile time only)
; SGPRBlocks: 0
; VGPRBlocks: 1
; NumSGPRsForWavesPerEU: 26
; NumVGPRsForWavesPerEU: 11
; Occupancy: 16
; WaveLimiterHint : 1
; COMPUTE_PGM_RSRC2:SCRATCH_EN: 0
; COMPUTE_PGM_RSRC2:USER_SGPR: 6
; COMPUTE_PGM_RSRC2:TRAP_HANDLER: 0
; COMPUTE_PGM_RSRC2:TGID_X_EN: 1
; COMPUTE_PGM_RSRC2:TGID_Y_EN: 0
; COMPUTE_PGM_RSRC2:TGID_Z_EN: 1
; COMPUTE_PGM_RSRC2:TIDIG_COMP_CNT: 0
	.section	.text._ZL32rocblas_gemvt_warp_reduce_kernelILb0ELi256ElPKDF16_PKfKPfEviiT3_lPKT2_lT1_lS9_lSA_lS6_lPT4_lSA_li,"axG",@progbits,_ZL32rocblas_gemvt_warp_reduce_kernelILb0ELi256ElPKDF16_PKfKPfEviiT3_lPKT2_lT1_lS9_lSA_lS6_lPT4_lSA_li,comdat
	.globl	_ZL32rocblas_gemvt_warp_reduce_kernelILb0ELi256ElPKDF16_PKfKPfEviiT3_lPKT2_lT1_lS9_lSA_lS6_lPT4_lSA_li ; -- Begin function _ZL32rocblas_gemvt_warp_reduce_kernelILb0ELi256ElPKDF16_PKfKPfEviiT3_lPKT2_lT1_lS9_lSA_lS6_lPT4_lSA_li
	.p2align	8
	.type	_ZL32rocblas_gemvt_warp_reduce_kernelILb0ELi256ElPKDF16_PKfKPfEviiT3_lPKT2_lT1_lS9_lSA_lS6_lPT4_lSA_li,@function
_ZL32rocblas_gemvt_warp_reduce_kernelILb0ELi256ElPKDF16_PKfKPfEviiT3_lPKT2_lT1_lS9_lSA_lS6_lPT4_lSA_li: ; @_ZL32rocblas_gemvt_warp_reduce_kernelILb0ELi256ElPKDF16_PKfKPfEviiT3_lPKT2_lT1_lS9_lSA_lS6_lPT4_lSA_li
; %bb.0:
	s_clause 0x1
	s_load_dwordx8 s[16:23], s[4:5], 0x8
	s_load_dwordx8 s[8:15], s[4:5], 0x58
	s_mov_b32 s26, s7
	s_mov_b32 s27, 0
	s_waitcnt lgkmcnt(0)
	s_mul_i32 s1, s19, s7
	s_mul_hi_u32 s2, s18, s7
	s_mul_i32 s0, s18, s7
	s_add_i32 s1, s2, s1
	s_mul_i32 s2, s11, s7
	s_lshl_b64 s[0:1], s[0:1], 2
	s_mul_hi_u32 s3, s10, s7
	s_add_u32 s0, s16, s0
	s_addc_u32 s1, s17, s1
	s_add_i32 s3, s3, s2
	s_mul_i32 s2, s10, s7
	s_lshl_b64 s[2:3], s[2:3], 2
	s_add_u32 s2, s8, s2
	s_addc_u32 s3, s9, s3
	s_load_dword s28, s[0:1], 0x0
	s_load_dword s7, s[2:3], 0x0
	s_waitcnt lgkmcnt(0)
	v_cmp_eq_f32_e64 s29, s28, 0
	v_cmp_eq_f32_e64 s0, s7, 1.0
	s_and_b32 s0, s29, s0
	s_and_b32 vcc_lo, exec_lo, s0
	s_cbranch_vccnz .LBB523_33
; %bb.1:
	s_clause 0x1
	s_load_dwordx2 s[18:19], s[4:5], 0x28
	s_load_dwordx2 s[8:9], s[4:5], 0x78
	v_cmp_neq_f32_e64 s30, s28, 0
	s_mov_b64 s[10:11], 0
	s_and_b32 vcc_lo, exec_lo, s29
	s_mov_b64 s[24:25], 0
	s_cbranch_vccnz .LBB523_3
; %bb.2:
	s_lshl_b64 s[0:1], s[26:27], 3
	s_add_u32 s0, s20, s0
	s_addc_u32 s1, s21, s1
	s_lshl_b64 s[2:3], s[22:23], 1
	s_load_dwordx2 s[0:1], s[0:1], 0x0
	s_waitcnt lgkmcnt(0)
	s_add_u32 s24, s0, s2
	s_addc_u32 s25, s1, s3
.LBB523_3:
	s_clause 0x1
	s_load_dwordx4 s[0:3], s[4:5], 0x38
	s_load_dwordx2 s[16:17], s[4:5], 0x48
	s_andn2_b32 vcc_lo, exec_lo, s30
	s_cbranch_vccnz .LBB523_5
; %bb.4:
	s_lshl_b64 s[10:11], s[26:27], 3
	s_waitcnt lgkmcnt(0)
	s_add_u32 s0, s0, s10
	s_addc_u32 s1, s1, s11
	s_lshl_b64 s[2:3], s[2:3], 1
	s_load_dwordx2 s[0:1], s[0:1], 0x0
	s_waitcnt lgkmcnt(0)
	s_add_u32 s10, s0, s2
	s_addc_u32 s11, s1, s3
.LBB523_5:
	s_waitcnt lgkmcnt(0)
	s_lshl_b64 s[0:1], s[26:27], 3
	s_add_u32 s0, s12, s0
	s_addc_u32 s1, s13, s1
	s_lshl_b64 s[12:13], s[14:15], 2
	s_load_dwordx2 s[2:3], s[0:1], 0x0
	v_cmp_eq_u32_e64 s0, 0, v0
	s_waitcnt lgkmcnt(0)
	s_add_u32 s1, s2, s12
	s_addc_u32 s12, s3, s13
	s_andn2_b32 vcc_lo, exec_lo, s29
	s_cbranch_vccnz .LBB523_10
; %bb.6:
	s_mov_b32 s14, 0
	s_mov_b32 s13, 0
                                        ; implicit-def: $vgpr1
                                        ; implicit-def: $sgpr2_sgpr3
	s_and_saveexec_b32 s15, s0
	s_cbranch_execz .LBB523_11
; %bb.7:
	s_ashr_i32 s0, s6, 31
	v_cmp_eq_f32_e64 s13, s7, 0
	s_mul_hi_u32 s2, s8, s6
	s_mul_i32 s0, s8, s0
	v_mov_b32_e32 v1, 0
	s_add_i32 s0, s2, s0
	s_mul_i32 s2, s9, s6
	s_and_b32 vcc_lo, exec_lo, s13
	s_add_i32 s3, s0, s2
	s_mul_i32 s2, s8, s6
	s_cbranch_vccnz .LBB523_9
; %bb.8:
	s_lshl_b64 s[20:21], s[2:3], 2
	s_add_u32 s20, s1, s20
	s_addc_u32 s21, s12, s21
	v_mov_b32_e32 v1, s20
	v_mov_b32_e32 v2, s21
	flat_load_dword v1, v[1:2]
	s_waitcnt vmcnt(0) lgkmcnt(0)
	v_mul_f32_e32 v1, s7, v1
.LBB523_9:
	s_mov_b32 s13, exec_lo
	s_or_b32 exec_lo, exec_lo, s15
	s_and_b32 vcc_lo, exec_lo, s14
	s_cbranch_vccnz .LBB523_12
	s_branch .LBB523_31
.LBB523_10:
	s_mov_b32 s13, 0
                                        ; implicit-def: $vgpr1
                                        ; implicit-def: $sgpr2_sgpr3
	s_cbranch_execnz .LBB523_12
	s_branch .LBB523_31
.LBB523_11:
	s_or_b32 exec_lo, exec_lo, s15
	s_and_b32 vcc_lo, exec_lo, s14
	s_cbranch_vccz .LBB523_31
.LBB523_12:
	s_load_dword s3, s[4:5], 0x0
	s_ashr_i32 s14, s6, 31
	s_mul_hi_u32 s0, s18, s6
	s_mul_i32 s4, s18, s14
	s_mul_i32 s2, s19, s6
	s_add_i32 s0, s0, s4
	s_mul_i32 s4, s18, s6
	s_add_i32 s5, s0, s2
	v_mov_b32_e32 v7, 0
	s_lshl_b64 s[4:5], s[4:5], 1
	s_mov_b32 s18, 0
	s_mov_b32 s15, exec_lo
	s_waitcnt lgkmcnt(0)
	v_cmp_gt_i32_e32 vcc_lo, s3, v0
	s_ashr_i32 s0, s3, 31
	s_lshr_b32 s0, s0, 24
	s_add_i32 s0, s3, s0
	v_cndmask_b32_e32 v1, 0, v0, vcc_lo
	v_lshlrev_b32_e32 v1, 1, v1
	v_add_co_u32 v1, s2, s24, v1
	v_add_co_ci_u32_e64 v2, null, s25, 0, s2
	s_and_b32 s2, s0, 0xffffff00
	v_add_co_u32 v1, vcc_lo, v1, s4
	v_add_co_ci_u32_e64 v2, null, s5, v2, vcc_lo
	v_cmpx_gt_i32_e64 s2, v0
	s_cbranch_execz .LBB523_16
; %bb.13:
	v_mad_u64_u32 v[3:4], null, s16, v0, 0
	v_mov_b32_e32 v7, 0
	v_mov_b32_e32 v8, v0
	s_lshl_b64 s[4:5], s[16:17], 9
	v_mad_u64_u32 v[4:5], null, s17, v0, v[4:5]
	v_lshlrev_b64 v[5:6], 1, v[3:4]
	v_mov_b32_e32 v4, v2
	v_mov_b32_e32 v3, v1
	v_add_co_u32 v5, vcc_lo, s10, v5
	v_add_co_ci_u32_e64 v6, null, s11, v6, vcc_lo
	.p2align	6
.LBB523_14:                             ; =>This Inner Loop Header: Depth=1
	flat_load_ushort v9, v[3:4]
	flat_load_ushort v10, v[5:6]
	v_add_nc_u32_e32 v8, 0x100, v8
	v_add_co_u32 v3, vcc_lo, 0x200, v3
	v_add_co_ci_u32_e64 v4, null, 0, v4, vcc_lo
	v_add_co_u32 v5, vcc_lo, v5, s4
	v_cmp_le_i32_e64 s0, s2, v8
	v_add_co_ci_u32_e64 v6, null, s5, v6, vcc_lo
	s_or_b32 s18, s0, s18
	s_waitcnt vmcnt(0) lgkmcnt(0)
	v_mul_f16_e32 v9, v9, v10
	v_cvt_f32_f16_e32 v9, v9
	v_add_f32_e32 v7, v7, v9
	s_andn2_b32 exec_lo, exec_lo, s18
	s_cbranch_execnz .LBB523_14
; %bb.15:
	s_or_b32 exec_lo, exec_lo, s18
.LBB523_16:
	s_or_b32 exec_lo, exec_lo, s15
	v_add_nc_u32_e32 v3, s2, v0
	s_mov_b32 s0, exec_lo
	v_cmpx_gt_i32_e64 s3, v3
	s_cbranch_execz .LBB523_18
; %bb.17:
	v_ashrrev_i32_e32 v5, 31, v3
	v_mul_lo_u32 v6, s17, v3
	v_mad_u64_u32 v[3:4], null, s16, v3, 0
	s_ashr_i32 s3, s2, 31
	v_mul_lo_u32 v5, s16, v5
	s_lshl_b64 s[2:3], s[2:3], 1
	v_add_co_u32 v1, vcc_lo, v1, s2
	v_add_co_ci_u32_e64 v2, null, s3, v2, vcc_lo
	v_add3_u32 v4, v4, v5, v6
	v_lshlrev_b64 v[3:4], 1, v[3:4]
	v_add_co_u32 v3, vcc_lo, s10, v3
	v_add_co_ci_u32_e64 v4, null, s11, v4, vcc_lo
	flat_load_ushort v1, v[1:2]
	flat_load_ushort v2, v[3:4]
	s_waitcnt vmcnt(0) lgkmcnt(0)
	v_mul_f16_e32 v1, v1, v2
	v_cvt_f32_f16_e32 v1, v1
	v_add_f32_e32 v7, v7, v1
.LBB523_18:
	s_or_b32 exec_lo, exec_lo, s0
	v_and_b32_e32 v5, 31, v0
	v_cmp_gt_u32_e32 vcc_lo, 32, v0
	v_lshlrev_b32_e32 v1, 2, v5
	s_and_saveexec_b32 s0, vcc_lo
; %bb.19:
	v_mov_b32_e32 v2, 0
	ds_write_b32 v1, v2
; %bb.20:
	s_or_b32 exec_lo, exec_lo, s0
	v_mbcnt_lo_u32_b32 v4, -1, 0
	s_mov_b32 s2, exec_lo
	s_waitcnt lgkmcnt(0)
	s_barrier
	buffer_gl0_inv
	v_lshl_or_b32 v2, v4, 2, 64
	v_cmp_gt_u32_e64 s0, 24, v4
	ds_bpermute_b32 v2, v2, v7
	v_cndmask_b32_e64 v3, 0, 8, s0
	v_cmp_gt_u32_e64 s0, 28, v4
	v_add_lshl_u32 v3, v3, v4, 2
	s_waitcnt lgkmcnt(0)
	v_add_f32_e32 v6, v7, v2
	v_cndmask_b32_e64 v2, 0, 4, s0
	v_cmp_gt_u32_e64 s0, 30, v4
	ds_bpermute_b32 v3, v3, v6
	v_add_lshl_u32 v2, v2, v4, 2
	s_waitcnt lgkmcnt(0)
	v_add_f32_e32 v6, v6, v3
	v_cndmask_b32_e64 v3, 0, 2, s0
	v_cmp_ne_u32_e64 s0, 31, v4
	ds_bpermute_b32 v7, v2, v6
	v_add_lshl_u32 v3, v3, v4, 2
	v_add_co_ci_u32_e64 v4, null, 0, v4, s0
	v_lshlrev_b32_e32 v4, 2, v4
	s_waitcnt lgkmcnt(0)
	v_add_f32_e32 v6, v6, v7
	ds_bpermute_b32 v7, v3, v6
	s_waitcnt lgkmcnt(0)
	v_add_f32_e32 v6, v6, v7
	ds_bpermute_b32 v7, v4, v6
	v_cmpx_eq_u32_e32 0, v5
	s_cbranch_execz .LBB523_22
; %bb.21:
	v_lshrrev_b32_e32 v5, 3, v0
	s_waitcnt lgkmcnt(0)
	v_add_f32_e32 v6, v6, v7
	v_and_b32_e32 v5, 28, v5
	ds_write_b32 v5, v6
.LBB523_22:
	s_or_b32 exec_lo, exec_lo, s2
	v_mov_b32_e32 v5, 0
	s_mov_b32 s2, exec_lo
	s_waitcnt lgkmcnt(0)
	s_barrier
	buffer_gl0_inv
	v_cmpx_gt_u32_e32 8, v0
; %bb.23:
	ds_read_b32 v5, v1
; %bb.24:
	s_or_b32 exec_lo, exec_lo, s2
	s_and_saveexec_b32 s0, vcc_lo
	s_cbranch_execz .LBB523_26
; %bb.25:
	s_waitcnt lgkmcnt(0)
	ds_bpermute_b32 v1, v2, v5
	s_waitcnt lgkmcnt(0)
	v_add_f32_e32 v1, v5, v1
	ds_bpermute_b32 v2, v3, v1
	s_waitcnt lgkmcnt(0)
	v_add_f32_e32 v1, v1, v2
	;; [unrolled: 3-line block ×3, first 2 shown]
.LBB523_26:
	s_or_b32 exec_lo, exec_lo, s0
	s_mov_b32 s0, exec_lo
                                        ; implicit-def: $vgpr1
                                        ; implicit-def: $sgpr2_sgpr3
	v_cmpx_eq_u32_e32 0, v0
	s_cbranch_execz .LBB523_30
; %bb.27:
	v_cmp_eq_f32_e64 s4, s7, 0
	s_mul_i32 s2, s8, s14
	s_mul_hi_u32 s3, s8, s6
	s_waitcnt lgkmcnt(0)
	v_mul_f32_e32 v1, s28, v5
	s_add_i32 s2, s3, s2
	s_mul_i32 s3, s9, s6
	s_and_b32 vcc_lo, exec_lo, s4
	s_add_i32 s3, s2, s3
	s_mul_i32 s2, s8, s6
	s_cbranch_vccnz .LBB523_29
; %bb.28:
	s_lshl_b64 s[4:5], s[2:3], 2
	s_add_u32 s4, s1, s4
	s_addc_u32 s5, s12, s5
	v_mov_b32_e32 v2, s4
	v_mov_b32_e32 v3, s5
	flat_load_dword v0, v[2:3]
	s_waitcnt vmcnt(0) lgkmcnt(0)
	v_fmac_f32_e32 v1, s7, v0
.LBB523_29:
	s_or_b32 s13, s13, exec_lo
.LBB523_30:
	s_or_b32 exec_lo, exec_lo, s0
.LBB523_31:
	s_and_saveexec_b32 s0, s13
	s_cbranch_execz .LBB523_33
; %bb.32:
	s_lshl_b64 s[2:3], s[2:3], 2
	s_add_u32 s0, s1, s2
	s_addc_u32 s1, s12, s3
	v_mov_b32_e32 v3, s1
	v_mov_b32_e32 v2, s0
	flat_store_dword v[2:3], v1
.LBB523_33:
	s_endpgm
	.section	.rodata,"a",@progbits
	.p2align	6, 0x0
	.amdhsa_kernel _ZL32rocblas_gemvt_warp_reduce_kernelILb0ELi256ElPKDF16_PKfKPfEviiT3_lPKT2_lT1_lS9_lSA_lS6_lPT4_lSA_li
		.amdhsa_group_segment_fixed_size 128
		.amdhsa_private_segment_fixed_size 0
		.amdhsa_kernarg_size 140
		.amdhsa_user_sgpr_count 6
		.amdhsa_user_sgpr_private_segment_buffer 1
		.amdhsa_user_sgpr_dispatch_ptr 0
		.amdhsa_user_sgpr_queue_ptr 0
		.amdhsa_user_sgpr_kernarg_segment_ptr 1
		.amdhsa_user_sgpr_dispatch_id 0
		.amdhsa_user_sgpr_flat_scratch_init 0
		.amdhsa_user_sgpr_private_segment_size 0
		.amdhsa_wavefront_size32 1
		.amdhsa_uses_dynamic_stack 0
		.amdhsa_system_sgpr_private_segment_wavefront_offset 0
		.amdhsa_system_sgpr_workgroup_id_x 1
		.amdhsa_system_sgpr_workgroup_id_y 0
		.amdhsa_system_sgpr_workgroup_id_z 1
		.amdhsa_system_sgpr_workgroup_info 0
		.amdhsa_system_vgpr_workitem_id 0
		.amdhsa_next_free_vgpr 11
		.amdhsa_next_free_sgpr 31
		.amdhsa_reserve_vcc 1
		.amdhsa_reserve_flat_scratch 0
		.amdhsa_float_round_mode_32 0
		.amdhsa_float_round_mode_16_64 0
		.amdhsa_float_denorm_mode_32 3
		.amdhsa_float_denorm_mode_16_64 3
		.amdhsa_dx10_clamp 1
		.amdhsa_ieee_mode 1
		.amdhsa_fp16_overflow 0
		.amdhsa_workgroup_processor_mode 1
		.amdhsa_memory_ordered 1
		.amdhsa_forward_progress 1
		.amdhsa_shared_vgpr_count 0
		.amdhsa_exception_fp_ieee_invalid_op 0
		.amdhsa_exception_fp_denorm_src 0
		.amdhsa_exception_fp_ieee_div_zero 0
		.amdhsa_exception_fp_ieee_overflow 0
		.amdhsa_exception_fp_ieee_underflow 0
		.amdhsa_exception_fp_ieee_inexact 0
		.amdhsa_exception_int_div_zero 0
	.end_amdhsa_kernel
	.section	.text._ZL32rocblas_gemvt_warp_reduce_kernelILb0ELi256ElPKDF16_PKfKPfEviiT3_lPKT2_lT1_lS9_lSA_lS6_lPT4_lSA_li,"axG",@progbits,_ZL32rocblas_gemvt_warp_reduce_kernelILb0ELi256ElPKDF16_PKfKPfEviiT3_lPKT2_lT1_lS9_lSA_lS6_lPT4_lSA_li,comdat
.Lfunc_end523:
	.size	_ZL32rocblas_gemvt_warp_reduce_kernelILb0ELi256ElPKDF16_PKfKPfEviiT3_lPKT2_lT1_lS9_lSA_lS6_lPT4_lSA_li, .Lfunc_end523-_ZL32rocblas_gemvt_warp_reduce_kernelILb0ELi256ElPKDF16_PKfKPfEviiT3_lPKT2_lT1_lS9_lSA_lS6_lPT4_lSA_li
                                        ; -- End function
	.set _ZL32rocblas_gemvt_warp_reduce_kernelILb0ELi256ElPKDF16_PKfKPfEviiT3_lPKT2_lT1_lS9_lSA_lS6_lPT4_lSA_li.num_vgpr, 11
	.set _ZL32rocblas_gemvt_warp_reduce_kernelILb0ELi256ElPKDF16_PKfKPfEviiT3_lPKT2_lT1_lS9_lSA_lS6_lPT4_lSA_li.num_agpr, 0
	.set _ZL32rocblas_gemvt_warp_reduce_kernelILb0ELi256ElPKDF16_PKfKPfEviiT3_lPKT2_lT1_lS9_lSA_lS6_lPT4_lSA_li.numbered_sgpr, 31
	.set _ZL32rocblas_gemvt_warp_reduce_kernelILb0ELi256ElPKDF16_PKfKPfEviiT3_lPKT2_lT1_lS9_lSA_lS6_lPT4_lSA_li.num_named_barrier, 0
	.set _ZL32rocblas_gemvt_warp_reduce_kernelILb0ELi256ElPKDF16_PKfKPfEviiT3_lPKT2_lT1_lS9_lSA_lS6_lPT4_lSA_li.private_seg_size, 0
	.set _ZL32rocblas_gemvt_warp_reduce_kernelILb0ELi256ElPKDF16_PKfKPfEviiT3_lPKT2_lT1_lS9_lSA_lS6_lPT4_lSA_li.uses_vcc, 1
	.set _ZL32rocblas_gemvt_warp_reduce_kernelILb0ELi256ElPKDF16_PKfKPfEviiT3_lPKT2_lT1_lS9_lSA_lS6_lPT4_lSA_li.uses_flat_scratch, 0
	.set _ZL32rocblas_gemvt_warp_reduce_kernelILb0ELi256ElPKDF16_PKfKPfEviiT3_lPKT2_lT1_lS9_lSA_lS6_lPT4_lSA_li.has_dyn_sized_stack, 0
	.set _ZL32rocblas_gemvt_warp_reduce_kernelILb0ELi256ElPKDF16_PKfKPfEviiT3_lPKT2_lT1_lS9_lSA_lS6_lPT4_lSA_li.has_recursion, 0
	.set _ZL32rocblas_gemvt_warp_reduce_kernelILb0ELi256ElPKDF16_PKfKPfEviiT3_lPKT2_lT1_lS9_lSA_lS6_lPT4_lSA_li.has_indirect_call, 0
	.section	.AMDGPU.csdata,"",@progbits
; Kernel info:
; codeLenInByte = 1464
; TotalNumSgprs: 33
; NumVgprs: 11
; ScratchSize: 0
; MemoryBound: 0
; FloatMode: 240
; IeeeMode: 1
; LDSByteSize: 128 bytes/workgroup (compile time only)
; SGPRBlocks: 0
; VGPRBlocks: 1
; NumSGPRsForWavesPerEU: 33
; NumVGPRsForWavesPerEU: 11
; Occupancy: 16
; WaveLimiterHint : 1
; COMPUTE_PGM_RSRC2:SCRATCH_EN: 0
; COMPUTE_PGM_RSRC2:USER_SGPR: 6
; COMPUTE_PGM_RSRC2:TRAP_HANDLER: 0
; COMPUTE_PGM_RSRC2:TGID_X_EN: 1
; COMPUTE_PGM_RSRC2:TGID_Y_EN: 0
; COMPUTE_PGM_RSRC2:TGID_Z_EN: 1
; COMPUTE_PGM_RSRC2:TIDIG_COMP_CNT: 0
	.section	.text._ZL32rocblas_gemvt_warp_reduce_kernelILb0ELi256EiPKDF16_fKPfEviiT3_lPKT2_lT1_lS7_lS8_lS4_lPT4_lS8_li,"axG",@progbits,_ZL32rocblas_gemvt_warp_reduce_kernelILb0ELi256EiPKDF16_fKPfEviiT3_lPKT2_lT1_lS7_lS8_lS4_lPT4_lS8_li,comdat
	.globl	_ZL32rocblas_gemvt_warp_reduce_kernelILb0ELi256EiPKDF16_fKPfEviiT3_lPKT2_lT1_lS7_lS8_lS4_lPT4_lS8_li ; -- Begin function _ZL32rocblas_gemvt_warp_reduce_kernelILb0ELi256EiPKDF16_fKPfEviiT3_lPKT2_lT1_lS7_lS8_lS4_lPT4_lS8_li
	.p2align	8
	.type	_ZL32rocblas_gemvt_warp_reduce_kernelILb0ELi256EiPKDF16_fKPfEviiT3_lPKT2_lT1_lS7_lS8_lS4_lPT4_lS8_li,@function
_ZL32rocblas_gemvt_warp_reduce_kernelILb0ELi256EiPKDF16_fKPfEviiT3_lPKT2_lT1_lS7_lS8_lS4_lPT4_lS8_li: ; @_ZL32rocblas_gemvt_warp_reduce_kernelILb0ELi256EiPKDF16_fKPfEviiT3_lPKT2_lT1_lS7_lS8_lS4_lPT4_lS8_li
; %bb.0:
	s_mov_b32 s10, s7
	s_clause 0x1
	s_load_dword s12, s[4:5], 0x8
	s_load_dword s7, s[4:5], 0x58
	s_mov_b32 s11, 0
	s_waitcnt lgkmcnt(0)
	v_cmp_eq_f32_e64 s15, s12, 0
	v_cmp_eq_f32_e64 s0, s7, 1.0
	s_and_b32 s0, s15, s0
	s_and_b32 vcc_lo, exec_lo, s0
	s_cbranch_vccnz .LBB524_35
; %bb.1:
	v_cmp_neq_f32_e64 s13, s12, 0
	s_and_b32 vcc_lo, exec_lo, s13
	s_cbranch_vccnz .LBB524_3
; %bb.2:
	s_mov_b32 s1, 0
	s_mov_b32 s0, s10
	;; [unrolled: 1-line block ×3, first 2 shown]
	s_mov_b64 s[2:3], 0
	s_andn2_b32 vcc_lo, exec_lo, s8
	s_mov_b64 s[8:9], 0
	s_cbranch_vccz .LBB524_4
	s_branch .LBB524_5
.LBB524_3:
	s_mov_b64 s[0:1], s[10:11]
	s_mov_b64 s[2:3], 0
	;; [unrolled: 1-line block ×3, first 2 shown]
.LBB524_4:
	s_load_dwordx4 s[16:19], s[4:5], 0x18
	s_lshl_b64 s[8:9], s[10:11], 3
	s_waitcnt lgkmcnt(0)
	s_add_u32 s8, s16, s8
	s_addc_u32 s9, s17, s9
	s_lshl_b64 s[10:11], s[18:19], 1
	s_load_dwordx2 s[8:9], s[8:9], 0x0
	s_waitcnt lgkmcnt(0)
	s_add_u32 s8, s8, s10
	s_addc_u32 s9, s9, s11
.LBB524_5:
	s_andn2_b32 vcc_lo, exec_lo, s13
	s_cbranch_vccnz .LBB524_7
; %bb.6:
	s_load_dwordx4 s[16:19], s[4:5], 0x38
	s_lshl_b64 s[2:3], s[0:1], 3
	s_waitcnt lgkmcnt(0)
	s_add_u32 s2, s16, s2
	s_addc_u32 s3, s17, s3
	s_lshl_b64 s[10:11], s[18:19], 1
	s_load_dwordx2 s[2:3], s[2:3], 0x0
	s_waitcnt lgkmcnt(0)
	s_add_u32 s2, s2, s10
	s_addc_u32 s3, s3, s11
.LBB524_7:
	s_clause 0x1
	s_load_dwordx4 s[16:19], s[4:5], 0x68
	s_load_dword s14, s[4:5], 0x78
	s_lshl_b64 s[0:1], s[0:1], 3
	s_waitcnt lgkmcnt(0)
	s_add_u32 s0, s16, s0
	s_addc_u32 s1, s17, s1
	s_lshl_b64 s[16:17], s[18:19], 2
	s_load_dwordx2 s[10:11], s[0:1], 0x0
	v_cmp_eq_u32_e64 s0, 0, v0
	s_waitcnt lgkmcnt(0)
	s_add_u32 s1, s10, s16
	s_addc_u32 s13, s11, s17
	s_andn2_b32 vcc_lo, exec_lo, s15
	s_cbranch_vccnz .LBB524_12
; %bb.8:
	s_mov_b32 s16, 0
	s_mov_b32 s15, 0
                                        ; implicit-def: $vgpr1
                                        ; implicit-def: $sgpr10_sgpr11
	s_and_saveexec_b32 s17, s0
	s_cbranch_execz .LBB524_13
; %bb.9:
	v_cmp_eq_f32_e64 s0, s7, 0
	v_mov_b32_e32 v1, 0
	s_mul_i32 s10, s14, s6
	s_ashr_i32 s11, s10, 31
	s_and_b32 vcc_lo, exec_lo, s0
	s_cbranch_vccnz .LBB524_11
; %bb.10:
	s_lshl_b64 s[18:19], s[10:11], 2
	s_add_u32 s18, s1, s18
	s_addc_u32 s19, s13, s19
	v_mov_b32_e32 v1, s18
	v_mov_b32_e32 v2, s19
	flat_load_dword v1, v[1:2]
	s_waitcnt vmcnt(0) lgkmcnt(0)
	v_mul_f32_e32 v1, s7, v1
.LBB524_11:
	s_mov_b32 s15, exec_lo
	s_or_b32 exec_lo, exec_lo, s17
	s_and_b32 vcc_lo, exec_lo, s16
	s_cbranch_vccnz .LBB524_14
	s_branch .LBB524_33
.LBB524_12:
	s_mov_b32 s15, 0
                                        ; implicit-def: $vgpr1
                                        ; implicit-def: $sgpr10_sgpr11
	s_cbranch_execnz .LBB524_14
	s_branch .LBB524_33
.LBB524_13:
	s_or_b32 exec_lo, exec_lo, s17
	s_and_b32 vcc_lo, exec_lo, s16
	s_cbranch_vccz .LBB524_33
.LBB524_14:
	s_clause 0x2
	s_load_dword s10, s[4:5], 0x0
	s_load_dword s0, s[4:5], 0x28
	;; [unrolled: 1-line block ×3, first 2 shown]
	v_mov_b32_e32 v7, 0
	s_waitcnt lgkmcnt(0)
	v_cmp_gt_i32_e32 vcc_lo, s10, v0
	s_mul_i32 s16, s0, s6
	s_ashr_i32 s0, s10, 31
	s_ashr_i32 s17, s16, 31
	s_lshr_b32 s0, s0, 24
	v_cndmask_b32_e32 v1, 0, v0, vcc_lo
	s_lshl_b64 s[16:17], s[16:17], 1
	s_add_i32 s0, s10, s0
	v_lshlrev_b32_e32 v1, 1, v1
	v_add_co_u32 v1, s4, s8, v1
	v_add_co_ci_u32_e64 v2, null, s9, 0, s4
	s_and_b32 s4, s0, 0xffffff00
	v_add_co_u32 v1, vcc_lo, v1, s16
	v_add_co_ci_u32_e64 v2, null, s17, v2, vcc_lo
	s_mov_b32 s9, 0
	s_mov_b32 s8, exec_lo
	v_cmpx_gt_i32_e64 s4, v0
	s_cbranch_execz .LBB524_18
; %bb.15:
	v_mul_lo_u32 v3, v0, s5
	v_mov_b32_e32 v6, v2
	v_mov_b32_e32 v7, 0
	;; [unrolled: 1-line block ×4, first 2 shown]
	s_lshl_b32 s11, s5, 8
	.p2align	6
.LBB524_16:                             ; =>This Inner Loop Header: Depth=1
	v_ashrrev_i32_e32 v4, 31, v3
	v_add_nc_u32_e32 v8, 0x100, v8
	v_lshlrev_b64 v[9:10], 1, v[3:4]
	v_cmp_le_i32_e64 s0, s4, v8
	v_add_nc_u32_e32 v3, s11, v3
	s_or_b32 s9, s0, s9
	v_add_co_u32 v9, vcc_lo, s2, v9
	v_add_co_ci_u32_e64 v10, null, s3, v10, vcc_lo
	flat_load_ushort v4, v[5:6]
	flat_load_ushort v9, v[9:10]
	v_add_co_u32 v5, vcc_lo, 0x200, v5
	v_add_co_ci_u32_e64 v6, null, 0, v6, vcc_lo
	s_waitcnt vmcnt(0) lgkmcnt(0)
	v_mul_f16_e32 v4, v4, v9
	v_cvt_f32_f16_e32 v4, v4
	v_add_f32_e32 v7, v7, v4
	s_andn2_b32 exec_lo, exec_lo, s9
	s_cbranch_execnz .LBB524_16
; %bb.17:
	s_or_b32 exec_lo, exec_lo, s9
.LBB524_18:
	s_or_b32 exec_lo, exec_lo, s8
	v_add_nc_u32_e32 v3, s4, v0
	s_mov_b32 s0, exec_lo
	v_cmpx_gt_i32_e64 s10, v3
	s_cbranch_execz .LBB524_20
; %bb.19:
	v_mul_lo_u32 v3, s5, v3
	s_ashr_i32 s5, s4, 31
	s_lshl_b64 s[4:5], s[4:5], 1
	v_add_co_u32 v1, vcc_lo, v1, s4
	v_add_co_ci_u32_e64 v2, null, s5, v2, vcc_lo
	v_ashrrev_i32_e32 v4, 31, v3
	v_lshlrev_b64 v[3:4], 1, v[3:4]
	v_add_co_u32 v3, vcc_lo, s2, v3
	v_add_co_ci_u32_e64 v4, null, s3, v4, vcc_lo
	flat_load_ushort v1, v[1:2]
	flat_load_ushort v2, v[3:4]
	s_waitcnt vmcnt(0) lgkmcnt(0)
	v_mul_f16_e32 v1, v1, v2
	v_cvt_f32_f16_e32 v1, v1
	v_add_f32_e32 v7, v7, v1
.LBB524_20:
	s_or_b32 exec_lo, exec_lo, s0
	v_and_b32_e32 v5, 31, v0
	v_cmp_gt_u32_e32 vcc_lo, 32, v0
	v_lshlrev_b32_e32 v1, 2, v5
	s_and_saveexec_b32 s0, vcc_lo
; %bb.21:
	v_mov_b32_e32 v2, 0
	ds_write_b32 v1, v2
; %bb.22:
	s_or_b32 exec_lo, exec_lo, s0
	v_mbcnt_lo_u32_b32 v4, -1, 0
	s_mov_b32 s2, exec_lo
	s_waitcnt lgkmcnt(0)
	s_barrier
	buffer_gl0_inv
	v_lshl_or_b32 v2, v4, 2, 64
	v_cmp_gt_u32_e64 s0, 24, v4
	ds_bpermute_b32 v2, v2, v7
	v_cndmask_b32_e64 v3, 0, 8, s0
	v_cmp_gt_u32_e64 s0, 28, v4
	v_add_lshl_u32 v3, v3, v4, 2
	s_waitcnt lgkmcnt(0)
	v_add_f32_e32 v6, v7, v2
	v_cndmask_b32_e64 v2, 0, 4, s0
	v_cmp_gt_u32_e64 s0, 30, v4
	ds_bpermute_b32 v3, v3, v6
	v_add_lshl_u32 v2, v2, v4, 2
	s_waitcnt lgkmcnt(0)
	v_add_f32_e32 v6, v6, v3
	v_cndmask_b32_e64 v3, 0, 2, s0
	v_cmp_ne_u32_e64 s0, 31, v4
	ds_bpermute_b32 v7, v2, v6
	v_add_lshl_u32 v3, v3, v4, 2
	v_add_co_ci_u32_e64 v4, null, 0, v4, s0
	v_lshlrev_b32_e32 v4, 2, v4
	s_waitcnt lgkmcnt(0)
	v_add_f32_e32 v6, v6, v7
	ds_bpermute_b32 v7, v3, v6
	s_waitcnt lgkmcnt(0)
	v_add_f32_e32 v6, v6, v7
	ds_bpermute_b32 v7, v4, v6
	v_cmpx_eq_u32_e32 0, v5
	s_cbranch_execz .LBB524_24
; %bb.23:
	v_lshrrev_b32_e32 v5, 3, v0
	s_waitcnt lgkmcnt(0)
	v_add_f32_e32 v6, v6, v7
	v_and_b32_e32 v5, 28, v5
	ds_write_b32 v5, v6
.LBB524_24:
	s_or_b32 exec_lo, exec_lo, s2
	v_mov_b32_e32 v5, 0
	s_mov_b32 s2, exec_lo
	s_waitcnt lgkmcnt(0)
	s_barrier
	buffer_gl0_inv
	v_cmpx_gt_u32_e32 8, v0
; %bb.25:
	ds_read_b32 v5, v1
; %bb.26:
	s_or_b32 exec_lo, exec_lo, s2
	s_and_saveexec_b32 s0, vcc_lo
	s_cbranch_execz .LBB524_28
; %bb.27:
	s_waitcnt lgkmcnt(0)
	ds_bpermute_b32 v1, v2, v5
	s_waitcnt lgkmcnt(0)
	v_add_f32_e32 v1, v5, v1
	ds_bpermute_b32 v2, v3, v1
	s_waitcnt lgkmcnt(0)
	v_add_f32_e32 v1, v1, v2
	;; [unrolled: 3-line block ×3, first 2 shown]
.LBB524_28:
	s_or_b32 exec_lo, exec_lo, s0
	s_mov_b32 s0, exec_lo
                                        ; implicit-def: $vgpr1
                                        ; implicit-def: $sgpr10_sgpr11
	v_cmpx_eq_u32_e32 0, v0
	s_cbranch_execz .LBB524_32
; %bb.29:
	v_cmp_eq_f32_e64 s2, s7, 0
	s_waitcnt lgkmcnt(0)
	v_mul_f32_e32 v1, s12, v5
	s_mul_i32 s10, s14, s6
	s_ashr_i32 s11, s10, 31
	s_and_b32 vcc_lo, exec_lo, s2
	s_cbranch_vccnz .LBB524_31
; %bb.30:
	s_lshl_b64 s[2:3], s[10:11], 2
	s_add_u32 s2, s1, s2
	s_addc_u32 s3, s13, s3
	v_mov_b32_e32 v2, s2
	v_mov_b32_e32 v3, s3
	flat_load_dword v0, v[2:3]
	s_waitcnt vmcnt(0) lgkmcnt(0)
	v_fmac_f32_e32 v1, s7, v0
.LBB524_31:
	s_or_b32 s15, s15, exec_lo
.LBB524_32:
	s_or_b32 exec_lo, exec_lo, s0
.LBB524_33:
	s_and_saveexec_b32 s0, s15
	s_cbranch_execz .LBB524_35
; %bb.34:
	s_lshl_b64 s[2:3], s[10:11], 2
	s_add_u32 s0, s1, s2
	s_addc_u32 s1, s13, s3
	v_mov_b32_e32 v3, s1
	v_mov_b32_e32 v2, s0
	flat_store_dword v[2:3], v1
.LBB524_35:
	s_endpgm
	.section	.rodata,"a",@progbits
	.p2align	6, 0x0
	.amdhsa_kernel _ZL32rocblas_gemvt_warp_reduce_kernelILb0ELi256EiPKDF16_fKPfEviiT3_lPKT2_lT1_lS7_lS8_lS4_lPT4_lS8_li
		.amdhsa_group_segment_fixed_size 128
		.amdhsa_private_segment_fixed_size 0
		.amdhsa_kernarg_size 140
		.amdhsa_user_sgpr_count 6
		.amdhsa_user_sgpr_private_segment_buffer 1
		.amdhsa_user_sgpr_dispatch_ptr 0
		.amdhsa_user_sgpr_queue_ptr 0
		.amdhsa_user_sgpr_kernarg_segment_ptr 1
		.amdhsa_user_sgpr_dispatch_id 0
		.amdhsa_user_sgpr_flat_scratch_init 0
		.amdhsa_user_sgpr_private_segment_size 0
		.amdhsa_wavefront_size32 1
		.amdhsa_uses_dynamic_stack 0
		.amdhsa_system_sgpr_private_segment_wavefront_offset 0
		.amdhsa_system_sgpr_workgroup_id_x 1
		.amdhsa_system_sgpr_workgroup_id_y 0
		.amdhsa_system_sgpr_workgroup_id_z 1
		.amdhsa_system_sgpr_workgroup_info 0
		.amdhsa_system_vgpr_workitem_id 0
		.amdhsa_next_free_vgpr 11
		.amdhsa_next_free_sgpr 20
		.amdhsa_reserve_vcc 1
		.amdhsa_reserve_flat_scratch 0
		.amdhsa_float_round_mode_32 0
		.amdhsa_float_round_mode_16_64 0
		.amdhsa_float_denorm_mode_32 3
		.amdhsa_float_denorm_mode_16_64 3
		.amdhsa_dx10_clamp 1
		.amdhsa_ieee_mode 1
		.amdhsa_fp16_overflow 0
		.amdhsa_workgroup_processor_mode 1
		.amdhsa_memory_ordered 1
		.amdhsa_forward_progress 1
		.amdhsa_shared_vgpr_count 0
		.amdhsa_exception_fp_ieee_invalid_op 0
		.amdhsa_exception_fp_denorm_src 0
		.amdhsa_exception_fp_ieee_div_zero 0
		.amdhsa_exception_fp_ieee_overflow 0
		.amdhsa_exception_fp_ieee_underflow 0
		.amdhsa_exception_fp_ieee_inexact 0
		.amdhsa_exception_int_div_zero 0
	.end_amdhsa_kernel
	.section	.text._ZL32rocblas_gemvt_warp_reduce_kernelILb0ELi256EiPKDF16_fKPfEviiT3_lPKT2_lT1_lS7_lS8_lS4_lPT4_lS8_li,"axG",@progbits,_ZL32rocblas_gemvt_warp_reduce_kernelILb0ELi256EiPKDF16_fKPfEviiT3_lPKT2_lT1_lS7_lS8_lS4_lPT4_lS8_li,comdat
.Lfunc_end524:
	.size	_ZL32rocblas_gemvt_warp_reduce_kernelILb0ELi256EiPKDF16_fKPfEviiT3_lPKT2_lT1_lS7_lS8_lS4_lPT4_lS8_li, .Lfunc_end524-_ZL32rocblas_gemvt_warp_reduce_kernelILb0ELi256EiPKDF16_fKPfEviiT3_lPKT2_lT1_lS7_lS8_lS4_lPT4_lS8_li
                                        ; -- End function
	.set _ZL32rocblas_gemvt_warp_reduce_kernelILb0ELi256EiPKDF16_fKPfEviiT3_lPKT2_lT1_lS7_lS8_lS4_lPT4_lS8_li.num_vgpr, 11
	.set _ZL32rocblas_gemvt_warp_reduce_kernelILb0ELi256EiPKDF16_fKPfEviiT3_lPKT2_lT1_lS7_lS8_lS4_lPT4_lS8_li.num_agpr, 0
	.set _ZL32rocblas_gemvt_warp_reduce_kernelILb0ELi256EiPKDF16_fKPfEviiT3_lPKT2_lT1_lS7_lS8_lS4_lPT4_lS8_li.numbered_sgpr, 20
	.set _ZL32rocblas_gemvt_warp_reduce_kernelILb0ELi256EiPKDF16_fKPfEviiT3_lPKT2_lT1_lS7_lS8_lS4_lPT4_lS8_li.num_named_barrier, 0
	.set _ZL32rocblas_gemvt_warp_reduce_kernelILb0ELi256EiPKDF16_fKPfEviiT3_lPKT2_lT1_lS7_lS8_lS4_lPT4_lS8_li.private_seg_size, 0
	.set _ZL32rocblas_gemvt_warp_reduce_kernelILb0ELi256EiPKDF16_fKPfEviiT3_lPKT2_lT1_lS7_lS8_lS4_lPT4_lS8_li.uses_vcc, 1
	.set _ZL32rocblas_gemvt_warp_reduce_kernelILb0ELi256EiPKDF16_fKPfEviiT3_lPKT2_lT1_lS7_lS8_lS4_lPT4_lS8_li.uses_flat_scratch, 0
	.set _ZL32rocblas_gemvt_warp_reduce_kernelILb0ELi256EiPKDF16_fKPfEviiT3_lPKT2_lT1_lS7_lS8_lS4_lPT4_lS8_li.has_dyn_sized_stack, 0
	.set _ZL32rocblas_gemvt_warp_reduce_kernelILb0ELi256EiPKDF16_fKPfEviiT3_lPKT2_lT1_lS7_lS8_lS4_lPT4_lS8_li.has_recursion, 0
	.set _ZL32rocblas_gemvt_warp_reduce_kernelILb0ELi256EiPKDF16_fKPfEviiT3_lPKT2_lT1_lS7_lS8_lS4_lPT4_lS8_li.has_indirect_call, 0
	.section	.AMDGPU.csdata,"",@progbits
; Kernel info:
; codeLenInByte = 1376
; TotalNumSgprs: 22
; NumVgprs: 11
; ScratchSize: 0
; MemoryBound: 0
; FloatMode: 240
; IeeeMode: 1
; LDSByteSize: 128 bytes/workgroup (compile time only)
; SGPRBlocks: 0
; VGPRBlocks: 1
; NumSGPRsForWavesPerEU: 22
; NumVGPRsForWavesPerEU: 11
; Occupancy: 16
; WaveLimiterHint : 1
; COMPUTE_PGM_RSRC2:SCRATCH_EN: 0
; COMPUTE_PGM_RSRC2:USER_SGPR: 6
; COMPUTE_PGM_RSRC2:TRAP_HANDLER: 0
; COMPUTE_PGM_RSRC2:TGID_X_EN: 1
; COMPUTE_PGM_RSRC2:TGID_Y_EN: 0
; COMPUTE_PGM_RSRC2:TGID_Z_EN: 1
; COMPUTE_PGM_RSRC2:TIDIG_COMP_CNT: 0
	.section	.text._ZL32rocblas_gemvt_warp_reduce_kernelILb0ELi256ElPKDF16_fKPfEviiT3_lPKT2_lT1_lS7_lS8_lS4_lPT4_lS8_li,"axG",@progbits,_ZL32rocblas_gemvt_warp_reduce_kernelILb0ELi256ElPKDF16_fKPfEviiT3_lPKT2_lT1_lS7_lS8_lS4_lPT4_lS8_li,comdat
	.globl	_ZL32rocblas_gemvt_warp_reduce_kernelILb0ELi256ElPKDF16_fKPfEviiT3_lPKT2_lT1_lS7_lS8_lS4_lPT4_lS8_li ; -- Begin function _ZL32rocblas_gemvt_warp_reduce_kernelILb0ELi256ElPKDF16_fKPfEviiT3_lPKT2_lT1_lS7_lS8_lS4_lPT4_lS8_li
	.p2align	8
	.type	_ZL32rocblas_gemvt_warp_reduce_kernelILb0ELi256ElPKDF16_fKPfEviiT3_lPKT2_lT1_lS7_lS8_lS4_lPT4_lS8_li,@function
_ZL32rocblas_gemvt_warp_reduce_kernelILb0ELi256ElPKDF16_fKPfEviiT3_lPKT2_lT1_lS7_lS8_lS4_lPT4_lS8_li: ; @_ZL32rocblas_gemvt_warp_reduce_kernelILb0ELi256ElPKDF16_fKPfEviiT3_lPKT2_lT1_lS7_lS8_lS4_lPT4_lS8_li
; %bb.0:
	s_mov_b32 s10, s7
	s_clause 0x1
	s_load_dword s18, s[4:5], 0x8
	s_load_dword s7, s[4:5], 0x58
	s_mov_b32 s11, 0
	s_waitcnt lgkmcnt(0)
	v_cmp_eq_f32_e64 s20, s18, 0
	v_cmp_eq_f32_e64 s0, s7, 1.0
	s_and_b32 s0, s20, s0
	s_and_b32 vcc_lo, exec_lo, s0
	s_cbranch_vccnz .LBB525_35
; %bb.1:
	s_clause 0x1
	s_load_dwordx4 s[0:3], s[4:5], 0x18
	s_load_dwordx2 s[12:13], s[4:5], 0x28
	v_cmp_neq_f32_e64 s19, s18, 0
	s_and_b32 vcc_lo, exec_lo, s19
	s_cbranch_vccnz .LBB525_3
; %bb.2:
	s_mov_b32 s17, 0
	s_mov_b32 s16, s10
	;; [unrolled: 1-line block ×3, first 2 shown]
	s_mov_b64 s[8:9], 0
	s_andn2_b32 vcc_lo, exec_lo, s14
	s_mov_b64 s[14:15], 0
	s_cbranch_vccz .LBB525_4
	s_branch .LBB525_5
.LBB525_3:
	s_mov_b64 s[16:17], s[10:11]
	s_mov_b64 s[8:9], 0
	;; [unrolled: 1-line block ×3, first 2 shown]
.LBB525_4:
	s_lshl_b64 s[10:11], s[10:11], 3
	s_waitcnt lgkmcnt(0)
	s_add_u32 s0, s0, s10
	s_addc_u32 s1, s1, s11
	s_lshl_b64 s[2:3], s[2:3], 1
	s_load_dwordx2 s[0:1], s[0:1], 0x0
	s_waitcnt lgkmcnt(0)
	s_add_u32 s14, s0, s2
	s_addc_u32 s15, s1, s3
.LBB525_5:
	s_waitcnt lgkmcnt(0)
	s_clause 0x1
	s_load_dwordx4 s[0:3], s[4:5], 0x38
	s_load_dwordx2 s[10:11], s[4:5], 0x48
	s_andn2_b32 vcc_lo, exec_lo, s19
	s_cbranch_vccnz .LBB525_7
; %bb.6:
	s_lshl_b64 s[8:9], s[16:17], 3
	s_waitcnt lgkmcnt(0)
	s_add_u32 s0, s0, s8
	s_addc_u32 s1, s1, s9
	s_lshl_b64 s[2:3], s[2:3], 1
	s_load_dwordx2 s[0:1], s[0:1], 0x0
	s_waitcnt lgkmcnt(0)
	s_add_u32 s8, s0, s2
	s_addc_u32 s9, s1, s3
.LBB525_7:
	s_load_dwordx4 s[24:27], s[4:5], 0x68
	s_waitcnt lgkmcnt(0)
	s_load_dwordx2 s[2:3], s[4:5], 0x78
	s_lshl_b64 s[0:1], s[16:17], 3
	s_add_u32 s0, s24, s0
	s_addc_u32 s1, s25, s1
	s_lshl_b64 s[22:23], s[26:27], 2
	s_load_dwordx2 s[16:17], s[0:1], 0x0
	v_cmp_eq_u32_e64 s0, 0, v0
	s_waitcnt lgkmcnt(0)
	s_add_u32 s1, s16, s22
	s_addc_u32 s19, s17, s23
	s_andn2_b32 vcc_lo, exec_lo, s20
	s_cbranch_vccnz .LBB525_12
; %bb.8:
	s_mov_b32 s21, 0
	s_mov_b32 s20, 0
                                        ; implicit-def: $vgpr1
                                        ; implicit-def: $sgpr16_sgpr17
	s_and_saveexec_b32 s22, s0
	s_cbranch_execz .LBB525_13
; %bb.9:
	s_ashr_i32 s0, s6, 31
	v_cmp_eq_f32_e64 s20, s7, 0
	s_mul_hi_u32 s16, s2, s6
	s_mul_i32 s0, s2, s0
	v_mov_b32_e32 v1, 0
	s_add_i32 s0, s16, s0
	s_mul_i32 s16, s3, s6
	s_and_b32 vcc_lo, exec_lo, s20
	s_add_i32 s17, s0, s16
	s_mul_i32 s16, s2, s6
	s_cbranch_vccnz .LBB525_11
; %bb.10:
	s_lshl_b64 s[24:25], s[16:17], 2
	s_add_u32 s24, s1, s24
	s_addc_u32 s25, s19, s25
	v_mov_b32_e32 v1, s24
	v_mov_b32_e32 v2, s25
	flat_load_dword v1, v[1:2]
	s_waitcnt vmcnt(0) lgkmcnt(0)
	v_mul_f32_e32 v1, s7, v1
.LBB525_11:
	s_mov_b32 s20, exec_lo
	s_or_b32 exec_lo, exec_lo, s22
	s_and_b32 vcc_lo, exec_lo, s21
	s_cbranch_vccnz .LBB525_14
	s_branch .LBB525_33
.LBB525_12:
	s_mov_b32 s20, 0
                                        ; implicit-def: $vgpr1
                                        ; implicit-def: $sgpr16_sgpr17
	s_cbranch_execnz .LBB525_14
	s_branch .LBB525_33
.LBB525_13:
	s_or_b32 exec_lo, exec_lo, s22
	s_and_b32 vcc_lo, exec_lo, s21
	s_cbranch_vccz .LBB525_33
.LBB525_14:
	s_load_dword s5, s[4:5], 0x0
	s_ashr_i32 s21, s6, 31
	s_mul_hi_u32 s0, s12, s6
	s_mul_i32 s4, s13, s6
	s_mul_i32 s13, s12, s21
	;; [unrolled: 1-line block ×3, first 2 shown]
	s_add_i32 s0, s0, s13
	v_mov_b32_e32 v7, 0
	s_add_i32 s13, s0, s4
	s_lshl_b64 s[12:13], s[12:13], 1
	s_waitcnt lgkmcnt(0)
	v_cmp_gt_i32_e32 vcc_lo, s5, v0
	s_ashr_i32 s0, s5, 31
	s_lshr_b32 s0, s0, 24
	s_add_i32 s0, s5, s0
	v_cndmask_b32_e32 v1, 0, v0, vcc_lo
	v_lshlrev_b32_e32 v1, 1, v1
	v_add_co_u32 v1, s4, s14, v1
	v_add_co_ci_u32_e64 v2, null, s15, 0, s4
	s_and_b32 s4, s0, 0xffffff00
	v_add_co_u32 v1, vcc_lo, v1, s12
	v_add_co_ci_u32_e64 v2, null, s13, v2, vcc_lo
	s_mov_b32 s15, 0
	s_mov_b32 s14, exec_lo
	v_cmpx_gt_i32_e64 s4, v0
	s_cbranch_execz .LBB525_18
; %bb.15:
	v_mad_u64_u32 v[3:4], null, s10, v0, 0
	v_mov_b32_e32 v7, 0
	v_mov_b32_e32 v8, v0
	s_lshl_b64 s[12:13], s[10:11], 9
	v_mad_u64_u32 v[4:5], null, s11, v0, v[4:5]
	v_lshlrev_b64 v[5:6], 1, v[3:4]
	v_mov_b32_e32 v4, v2
	v_mov_b32_e32 v3, v1
	v_add_co_u32 v5, vcc_lo, s8, v5
	v_add_co_ci_u32_e64 v6, null, s9, v6, vcc_lo
	.p2align	6
.LBB525_16:                             ; =>This Inner Loop Header: Depth=1
	flat_load_ushort v9, v[3:4]
	flat_load_ushort v10, v[5:6]
	v_add_nc_u32_e32 v8, 0x100, v8
	v_add_co_u32 v3, vcc_lo, 0x200, v3
	v_add_co_ci_u32_e64 v4, null, 0, v4, vcc_lo
	v_add_co_u32 v5, vcc_lo, v5, s12
	v_cmp_le_i32_e64 s0, s4, v8
	v_add_co_ci_u32_e64 v6, null, s13, v6, vcc_lo
	s_or_b32 s15, s0, s15
	s_waitcnt vmcnt(0) lgkmcnt(0)
	v_mul_f16_e32 v9, v9, v10
	v_cvt_f32_f16_e32 v9, v9
	v_add_f32_e32 v7, v7, v9
	s_andn2_b32 exec_lo, exec_lo, s15
	s_cbranch_execnz .LBB525_16
; %bb.17:
	s_or_b32 exec_lo, exec_lo, s15
.LBB525_18:
	s_or_b32 exec_lo, exec_lo, s14
	v_add_nc_u32_e32 v3, s4, v0
	s_mov_b32 s0, exec_lo
	v_cmpx_gt_i32_e64 s5, v3
	s_cbranch_execz .LBB525_20
; %bb.19:
	v_ashrrev_i32_e32 v5, 31, v3
	v_mul_lo_u32 v6, s11, v3
	v_mad_u64_u32 v[3:4], null, s10, v3, 0
	s_ashr_i32 s5, s4, 31
	v_mul_lo_u32 v5, s10, v5
	s_lshl_b64 s[4:5], s[4:5], 1
	v_add_co_u32 v1, vcc_lo, v1, s4
	v_add_co_ci_u32_e64 v2, null, s5, v2, vcc_lo
	v_add3_u32 v4, v4, v5, v6
	v_lshlrev_b64 v[3:4], 1, v[3:4]
	v_add_co_u32 v3, vcc_lo, s8, v3
	v_add_co_ci_u32_e64 v4, null, s9, v4, vcc_lo
	flat_load_ushort v1, v[1:2]
	flat_load_ushort v2, v[3:4]
	s_waitcnt vmcnt(0) lgkmcnt(0)
	v_mul_f16_e32 v1, v1, v2
	v_cvt_f32_f16_e32 v1, v1
	v_add_f32_e32 v7, v7, v1
.LBB525_20:
	s_or_b32 exec_lo, exec_lo, s0
	v_and_b32_e32 v5, 31, v0
	v_cmp_gt_u32_e32 vcc_lo, 32, v0
	v_lshlrev_b32_e32 v1, 2, v5
	s_and_saveexec_b32 s0, vcc_lo
; %bb.21:
	v_mov_b32_e32 v2, 0
	ds_write_b32 v1, v2
; %bb.22:
	s_or_b32 exec_lo, exec_lo, s0
	v_mbcnt_lo_u32_b32 v4, -1, 0
	s_mov_b32 s4, exec_lo
	s_waitcnt lgkmcnt(0)
	s_barrier
	buffer_gl0_inv
	v_lshl_or_b32 v2, v4, 2, 64
	v_cmp_gt_u32_e64 s0, 24, v4
	ds_bpermute_b32 v2, v2, v7
	v_cndmask_b32_e64 v3, 0, 8, s0
	v_cmp_gt_u32_e64 s0, 28, v4
	v_add_lshl_u32 v3, v3, v4, 2
	s_waitcnt lgkmcnt(0)
	v_add_f32_e32 v6, v7, v2
	v_cndmask_b32_e64 v2, 0, 4, s0
	v_cmp_gt_u32_e64 s0, 30, v4
	ds_bpermute_b32 v3, v3, v6
	v_add_lshl_u32 v2, v2, v4, 2
	s_waitcnt lgkmcnt(0)
	v_add_f32_e32 v6, v6, v3
	v_cndmask_b32_e64 v3, 0, 2, s0
	v_cmp_ne_u32_e64 s0, 31, v4
	ds_bpermute_b32 v7, v2, v6
	v_add_lshl_u32 v3, v3, v4, 2
	v_add_co_ci_u32_e64 v4, null, 0, v4, s0
	v_lshlrev_b32_e32 v4, 2, v4
	s_waitcnt lgkmcnt(0)
	v_add_f32_e32 v6, v6, v7
	ds_bpermute_b32 v7, v3, v6
	s_waitcnt lgkmcnt(0)
	v_add_f32_e32 v6, v6, v7
	ds_bpermute_b32 v7, v4, v6
	v_cmpx_eq_u32_e32 0, v5
	s_cbranch_execz .LBB525_24
; %bb.23:
	v_lshrrev_b32_e32 v5, 3, v0
	s_waitcnt lgkmcnt(0)
	v_add_f32_e32 v6, v6, v7
	v_and_b32_e32 v5, 28, v5
	ds_write_b32 v5, v6
.LBB525_24:
	s_or_b32 exec_lo, exec_lo, s4
	v_mov_b32_e32 v5, 0
	s_mov_b32 s4, exec_lo
	s_waitcnt lgkmcnt(0)
	s_barrier
	buffer_gl0_inv
	v_cmpx_gt_u32_e32 8, v0
; %bb.25:
	ds_read_b32 v5, v1
; %bb.26:
	s_or_b32 exec_lo, exec_lo, s4
	s_and_saveexec_b32 s0, vcc_lo
	s_cbranch_execz .LBB525_28
; %bb.27:
	s_waitcnt lgkmcnt(0)
	ds_bpermute_b32 v1, v2, v5
	s_waitcnt lgkmcnt(0)
	v_add_f32_e32 v1, v5, v1
	ds_bpermute_b32 v2, v3, v1
	s_waitcnt lgkmcnt(0)
	v_add_f32_e32 v1, v1, v2
	;; [unrolled: 3-line block ×3, first 2 shown]
.LBB525_28:
	s_or_b32 exec_lo, exec_lo, s0
	s_mov_b32 s0, exec_lo
                                        ; implicit-def: $vgpr1
                                        ; implicit-def: $sgpr16_sgpr17
	v_cmpx_eq_u32_e32 0, v0
	s_cbranch_execz .LBB525_32
; %bb.29:
	v_cmp_eq_f32_e64 s8, s7, 0
	s_mul_i32 s4, s2, s21
	s_mul_hi_u32 s5, s2, s6
	s_waitcnt lgkmcnt(0)
	v_mul_f32_e32 v1, s18, v5
	s_add_i32 s4, s5, s4
	s_mul_i32 s3, s3, s6
	s_and_b32 vcc_lo, exec_lo, s8
	s_add_i32 s17, s4, s3
	s_mul_i32 s16, s2, s6
	s_cbranch_vccnz .LBB525_31
; %bb.30:
	s_lshl_b64 s[2:3], s[16:17], 2
	s_add_u32 s2, s1, s2
	s_addc_u32 s3, s19, s3
	v_mov_b32_e32 v2, s2
	v_mov_b32_e32 v3, s3
	flat_load_dword v0, v[2:3]
	s_waitcnt vmcnt(0) lgkmcnt(0)
	v_fmac_f32_e32 v1, s7, v0
.LBB525_31:
	s_or_b32 s20, s20, exec_lo
.LBB525_32:
	s_or_b32 exec_lo, exec_lo, s0
.LBB525_33:
	s_and_saveexec_b32 s0, s20
	s_cbranch_execz .LBB525_35
; %bb.34:
	s_lshl_b64 s[2:3], s[16:17], 2
	s_add_u32 s0, s1, s2
	s_addc_u32 s1, s19, s3
	v_mov_b32_e32 v3, s1
	v_mov_b32_e32 v2, s0
	flat_store_dword v[2:3], v1
.LBB525_35:
	s_endpgm
	.section	.rodata,"a",@progbits
	.p2align	6, 0x0
	.amdhsa_kernel _ZL32rocblas_gemvt_warp_reduce_kernelILb0ELi256ElPKDF16_fKPfEviiT3_lPKT2_lT1_lS7_lS8_lS4_lPT4_lS8_li
		.amdhsa_group_segment_fixed_size 128
		.amdhsa_private_segment_fixed_size 0
		.amdhsa_kernarg_size 140
		.amdhsa_user_sgpr_count 6
		.amdhsa_user_sgpr_private_segment_buffer 1
		.amdhsa_user_sgpr_dispatch_ptr 0
		.amdhsa_user_sgpr_queue_ptr 0
		.amdhsa_user_sgpr_kernarg_segment_ptr 1
		.amdhsa_user_sgpr_dispatch_id 0
		.amdhsa_user_sgpr_flat_scratch_init 0
		.amdhsa_user_sgpr_private_segment_size 0
		.amdhsa_wavefront_size32 1
		.amdhsa_uses_dynamic_stack 0
		.amdhsa_system_sgpr_private_segment_wavefront_offset 0
		.amdhsa_system_sgpr_workgroup_id_x 1
		.amdhsa_system_sgpr_workgroup_id_y 0
		.amdhsa_system_sgpr_workgroup_id_z 1
		.amdhsa_system_sgpr_workgroup_info 0
		.amdhsa_system_vgpr_workitem_id 0
		.amdhsa_next_free_vgpr 11
		.amdhsa_next_free_sgpr 28
		.amdhsa_reserve_vcc 1
		.amdhsa_reserve_flat_scratch 0
		.amdhsa_float_round_mode_32 0
		.amdhsa_float_round_mode_16_64 0
		.amdhsa_float_denorm_mode_32 3
		.amdhsa_float_denorm_mode_16_64 3
		.amdhsa_dx10_clamp 1
		.amdhsa_ieee_mode 1
		.amdhsa_fp16_overflow 0
		.amdhsa_workgroup_processor_mode 1
		.amdhsa_memory_ordered 1
		.amdhsa_forward_progress 1
		.amdhsa_shared_vgpr_count 0
		.amdhsa_exception_fp_ieee_invalid_op 0
		.amdhsa_exception_fp_denorm_src 0
		.amdhsa_exception_fp_ieee_div_zero 0
		.amdhsa_exception_fp_ieee_overflow 0
		.amdhsa_exception_fp_ieee_underflow 0
		.amdhsa_exception_fp_ieee_inexact 0
		.amdhsa_exception_int_div_zero 0
	.end_amdhsa_kernel
	.section	.text._ZL32rocblas_gemvt_warp_reduce_kernelILb0ELi256ElPKDF16_fKPfEviiT3_lPKT2_lT1_lS7_lS8_lS4_lPT4_lS8_li,"axG",@progbits,_ZL32rocblas_gemvt_warp_reduce_kernelILb0ELi256ElPKDF16_fKPfEviiT3_lPKT2_lT1_lS7_lS8_lS4_lPT4_lS8_li,comdat
.Lfunc_end525:
	.size	_ZL32rocblas_gemvt_warp_reduce_kernelILb0ELi256ElPKDF16_fKPfEviiT3_lPKT2_lT1_lS7_lS8_lS4_lPT4_lS8_li, .Lfunc_end525-_ZL32rocblas_gemvt_warp_reduce_kernelILb0ELi256ElPKDF16_fKPfEviiT3_lPKT2_lT1_lS7_lS8_lS4_lPT4_lS8_li
                                        ; -- End function
	.set _ZL32rocblas_gemvt_warp_reduce_kernelILb0ELi256ElPKDF16_fKPfEviiT3_lPKT2_lT1_lS7_lS8_lS4_lPT4_lS8_li.num_vgpr, 11
	.set _ZL32rocblas_gemvt_warp_reduce_kernelILb0ELi256ElPKDF16_fKPfEviiT3_lPKT2_lT1_lS7_lS8_lS4_lPT4_lS8_li.num_agpr, 0
	.set _ZL32rocblas_gemvt_warp_reduce_kernelILb0ELi256ElPKDF16_fKPfEviiT3_lPKT2_lT1_lS7_lS8_lS4_lPT4_lS8_li.numbered_sgpr, 28
	.set _ZL32rocblas_gemvt_warp_reduce_kernelILb0ELi256ElPKDF16_fKPfEviiT3_lPKT2_lT1_lS7_lS8_lS4_lPT4_lS8_li.num_named_barrier, 0
	.set _ZL32rocblas_gemvt_warp_reduce_kernelILb0ELi256ElPKDF16_fKPfEviiT3_lPKT2_lT1_lS7_lS8_lS4_lPT4_lS8_li.private_seg_size, 0
	.set _ZL32rocblas_gemvt_warp_reduce_kernelILb0ELi256ElPKDF16_fKPfEviiT3_lPKT2_lT1_lS7_lS8_lS4_lPT4_lS8_li.uses_vcc, 1
	.set _ZL32rocblas_gemvt_warp_reduce_kernelILb0ELi256ElPKDF16_fKPfEviiT3_lPKT2_lT1_lS7_lS8_lS4_lPT4_lS8_li.uses_flat_scratch, 0
	.set _ZL32rocblas_gemvt_warp_reduce_kernelILb0ELi256ElPKDF16_fKPfEviiT3_lPKT2_lT1_lS7_lS8_lS4_lPT4_lS8_li.has_dyn_sized_stack, 0
	.set _ZL32rocblas_gemvt_warp_reduce_kernelILb0ELi256ElPKDF16_fKPfEviiT3_lPKT2_lT1_lS7_lS8_lS4_lPT4_lS8_li.has_recursion, 0
	.set _ZL32rocblas_gemvt_warp_reduce_kernelILb0ELi256ElPKDF16_fKPfEviiT3_lPKT2_lT1_lS7_lS8_lS4_lPT4_lS8_li.has_indirect_call, 0
	.section	.AMDGPU.csdata,"",@progbits
; Kernel info:
; codeLenInByte = 1464
; TotalNumSgprs: 30
; NumVgprs: 11
; ScratchSize: 0
; MemoryBound: 0
; FloatMode: 240
; IeeeMode: 1
; LDSByteSize: 128 bytes/workgroup (compile time only)
; SGPRBlocks: 0
; VGPRBlocks: 1
; NumSGPRsForWavesPerEU: 30
; NumVGPRsForWavesPerEU: 11
; Occupancy: 16
; WaveLimiterHint : 1
; COMPUTE_PGM_RSRC2:SCRATCH_EN: 0
; COMPUTE_PGM_RSRC2:USER_SGPR: 6
; COMPUTE_PGM_RSRC2:TRAP_HANDLER: 0
; COMPUTE_PGM_RSRC2:TGID_X_EN: 1
; COMPUTE_PGM_RSRC2:TGID_Y_EN: 0
; COMPUTE_PGM_RSRC2:TGID_Z_EN: 1
; COMPUTE_PGM_RSRC2:TIDIG_COMP_CNT: 0
	.section	.text._ZL20rocblas_gemvt_kernelILb0ELi256EPKDF16_PKfKPfEviiT2_lPKT1_lilS9_lilS6_lPT3_lili,"axG",@progbits,_ZL20rocblas_gemvt_kernelILb0ELi256EPKDF16_PKfKPfEviiT2_lPKT1_lilS9_lilS6_lPT3_lili,comdat
	.globl	_ZL20rocblas_gemvt_kernelILb0ELi256EPKDF16_PKfKPfEviiT2_lPKT1_lilS9_lilS6_lPT3_lili ; -- Begin function _ZL20rocblas_gemvt_kernelILb0ELi256EPKDF16_PKfKPfEviiT2_lPKT1_lilS9_lilS6_lPT3_lili
	.p2align	8
	.type	_ZL20rocblas_gemvt_kernelILb0ELi256EPKDF16_PKfKPfEviiT2_lPKT1_lilS9_lilS6_lPT3_lili,@function
_ZL20rocblas_gemvt_kernelILb0ELi256EPKDF16_PKfKPfEviiT2_lPKT1_lilS9_lilS6_lPT3_lili: ; @_ZL20rocblas_gemvt_kernelILb0ELi256EPKDF16_PKfKPfEviiT2_lPKT1_lilS9_lilS6_lPT3_lili
; %bb.0:
	s_clause 0x1
	s_load_dwordx8 s[16:23], s[4:5], 0x8
	s_load_dwordx8 s[8:15], s[4:5], 0x58
	s_mov_b32 s0, s7
	s_waitcnt lgkmcnt(0)
	s_mul_i32 s1, s19, s7
	s_mul_hi_u32 s3, s18, s7
	s_mul_i32 s2, s18, s7
	s_add_i32 s3, s3, s1
	s_mul_i32 s1, s11, s7
	s_lshl_b64 s[2:3], s[2:3], 2
	s_mul_hi_u32 s7, s10, s7
	s_add_u32 s2, s16, s2
	s_addc_u32 s3, s17, s3
	s_add_i32 s11, s7, s1
	s_mul_i32 s10, s10, s0
	s_lshl_b64 s[10:11], s[10:11], 2
	s_add_u32 s8, s8, s10
	s_addc_u32 s9, s9, s11
	s_load_dword s16, s[2:3], 0x0
	s_load_dword s7, s[8:9], 0x0
	s_waitcnt lgkmcnt(0)
	v_cmp_eq_f32_e64 s10, s16, 0
	v_cmp_eq_f32_e64 s1, s7, 1.0
	s_and_b32 s1, s10, s1
	s_and_b32 vcc_lo, exec_lo, s1
	s_mov_b32 s1, 0
	s_cbranch_vccnz .LBB526_40
; %bb.1:
	v_cmp_neq_f32_e64 s11, s16, 0
	s_mov_b64 s[2:3], 0
	s_and_b32 vcc_lo, exec_lo, s10
	s_mov_b64 s[8:9], 0
	s_cbranch_vccnz .LBB526_3
; %bb.2:
	s_lshl_b64 s[8:9], s[0:1], 3
	s_add_u32 s8, s20, s8
	s_addc_u32 s9, s21, s9
	s_lshl_b64 s[18:19], s[22:23], 1
	s_load_dwordx2 s[8:9], s[8:9], 0x0
	s_waitcnt lgkmcnt(0)
	s_add_u32 s8, s8, s18
	s_addc_u32 s9, s9, s19
.LBB526_3:
	s_andn2_b32 vcc_lo, exec_lo, s11
	s_cbranch_vccnz .LBB526_5
; %bb.4:
	s_load_dwordx4 s[20:23], s[4:5], 0x38
	s_lshl_b64 s[2:3], s[0:1], 3
	s_waitcnt lgkmcnt(0)
	s_add_u32 s2, s20, s2
	s_addc_u32 s3, s21, s3
	s_lshl_b64 s[18:19], s[22:23], 1
	s_load_dwordx2 s[2:3], s[2:3], 0x0
	s_waitcnt lgkmcnt(0)
	s_add_u32 s2, s2, s18
	s_addc_u32 s3, s3, s19
.LBB526_5:
	s_lshl_b64 s[0:1], s[0:1], 3
	s_add_u32 s0, s12, s0
	s_addc_u32 s1, s13, s1
	s_lshl_b64 s[14:15], s[14:15], 2
	s_load_dwordx2 s[12:13], s[0:1], 0x0
	s_load_dword s17, s[4:5], 0x78
	v_cmp_eq_u32_e64 s0, 0, v0
	s_waitcnt lgkmcnt(0)
	s_add_u32 s12, s12, s14
	s_addc_u32 s13, s13, s15
	s_andn2_b32 vcc_lo, exec_lo, s10
	s_cbranch_vccnz .LBB526_10
; %bb.6:
	s_mov_b32 s1, 0
	s_mov_b32 s14, 0
                                        ; implicit-def: $vgpr1
                                        ; implicit-def: $sgpr10_sgpr11
	s_and_saveexec_b32 s15, s0
	s_cbranch_execz .LBB526_11
; %bb.7:
	v_cmp_eq_f32_e64 s0, s7, 0
	v_mov_b32_e32 v1, 0
	s_mul_hi_i32 s11, s17, s6
	s_mul_i32 s10, s17, s6
	s_and_b32 vcc_lo, exec_lo, s0
	s_cbranch_vccnz .LBB526_9
; %bb.8:
	s_lshl_b64 s[18:19], s[10:11], 2
	s_add_u32 s18, s12, s18
	s_addc_u32 s19, s13, s19
	v_mov_b32_e32 v1, s18
	v_mov_b32_e32 v2, s19
	flat_load_dword v1, v[1:2]
	s_waitcnt vmcnt(0) lgkmcnt(0)
	v_mul_f32_e32 v1, s7, v1
.LBB526_9:
	s_mov_b32 s14, exec_lo
	s_or_b32 exec_lo, exec_lo, s15
	s_and_b32 vcc_lo, exec_lo, s1
	s_cbranch_vccnz .LBB526_12
	s_branch .LBB526_38
.LBB526_10:
	s_mov_b32 s14, 0
                                        ; implicit-def: $vgpr1
                                        ; implicit-def: $sgpr10_sgpr11
	s_cbranch_execnz .LBB526_12
	s_branch .LBB526_38
.LBB526_11:
	s_or_b32 exec_lo, exec_lo, s15
	s_and_b32 vcc_lo, exec_lo, s1
	s_cbranch_vccz .LBB526_38
.LBB526_12:
	s_clause 0x2
	s_load_dword s10, s[4:5], 0x0
	s_load_dword s1, s[4:5], 0x28
	;; [unrolled: 1-line block ×3, first 2 shown]
	v_mov_b32_e32 v7, 0
	s_waitcnt lgkmcnt(0)
	v_cmp_gt_i32_e32 vcc_lo, s10, v0
	s_mul_hi_i32 s5, s1, s6
	s_mul_i32 s4, s1, s6
	s_ashr_i32 s1, s10, 31
	s_lshl_b64 s[4:5], s[4:5], 1
	v_cndmask_b32_e32 v1, 0, v0, vcc_lo
	s_lshr_b32 s1, s1, 24
	s_add_i32 s1, s10, s1
	v_lshlrev_b32_e32 v1, 1, v1
	v_add_co_u32 v1, s8, s8, v1
	v_add_co_ci_u32_e64 v2, null, s9, 0, s8
	v_add_co_u32 v1, vcc_lo, v1, s4
	v_add_co_ci_u32_e64 v2, null, s5, v2, vcc_lo
	s_and_b32 s4, s1, 0xffffff00
	s_cmpk_lt_i32 s10, 0x100
	s_mov_b32 s5, 0
	s_cbranch_scc1 .LBB526_15
; %bb.13:
	v_mad_i64_i32 v[3:4], null, s0, v0, 0
	v_mov_b32_e32 v6, v2
	v_mov_b32_e32 v7, 0
	;; [unrolled: 1-line block ×3, first 2 shown]
	s_ashr_i32 s1, s0, 31
	s_lshl_b64 s[8:9], s[0:1], 9
	v_lshlrev_b64 v[3:4], 1, v[3:4]
	v_add_co_u32 v3, vcc_lo, s2, v3
	v_add_co_ci_u32_e64 v4, null, s3, v4, vcc_lo
	.p2align	6
.LBB526_14:                             ; =>This Inner Loop Header: Depth=1
	flat_load_ushort v8, v[5:6]
	flat_load_ushort v9, v[3:4]
	v_add_co_u32 v3, vcc_lo, v3, s8
	v_add_co_ci_u32_e64 v4, null, s9, v4, vcc_lo
	v_add_co_u32 v5, vcc_lo, 0x200, v5
	v_add_co_ci_u32_e64 v6, null, 0, v6, vcc_lo
	s_addk_i32 s5, 0x100
	s_cmp_ge_i32 s5, s4
	s_waitcnt vmcnt(0) lgkmcnt(0)
	v_mul_f16_e32 v8, v8, v9
	v_cvt_f32_f16_e32 v8, v8
	v_add_f32_e32 v7, v7, v8
	s_cbranch_scc0 .LBB526_14
.LBB526_15:
	v_add_nc_u32_e32 v3, s4, v0
	s_mov_b32 s1, exec_lo
	v_cmpx_gt_i32_e64 s10, v3
	s_cbranch_execz .LBB526_17
; %bb.16:
	v_mad_i64_i32 v[3:4], null, s0, v3, 0
	s_ashr_i32 s5, s4, 31
	s_lshl_b64 s[4:5], s[4:5], 1
	v_add_co_u32 v1, vcc_lo, v1, s4
	v_lshlrev_b64 v[3:4], 1, v[3:4]
	v_add_co_ci_u32_e64 v2, null, s5, v2, vcc_lo
	v_add_co_u32 v3, vcc_lo, s2, v3
	v_add_co_ci_u32_e64 v4, null, s3, v4, vcc_lo
	flat_load_ushort v1, v[1:2]
	flat_load_ushort v2, v[3:4]
	s_waitcnt vmcnt(0) lgkmcnt(0)
	v_mul_f16_e32 v1, v1, v2
	v_cvt_f32_f16_e32 v1, v1
	v_add_f32_e32 v7, v7, v1
.LBB526_17:
	s_or_b32 exec_lo, exec_lo, s1
	v_lshlrev_b32_e32 v1, 2, v0
	s_mov_b32 s0, exec_lo
	ds_write_b32 v1, v7
	s_waitcnt lgkmcnt(0)
	s_barrier
	buffer_gl0_inv
	v_cmpx_gt_u32_e32 0x80, v0
	s_cbranch_execz .LBB526_19
; %bb.18:
	ds_read2st64_b32 v[2:3], v1 offset1:2
	s_waitcnt lgkmcnt(0)
	v_add_f32_e32 v2, v3, v2
	ds_write_b32 v1, v2
.LBB526_19:
	s_or_b32 exec_lo, exec_lo, s0
	s_mov_b32 s0, exec_lo
	s_waitcnt lgkmcnt(0)
	s_barrier
	buffer_gl0_inv
	v_cmpx_gt_u32_e32 64, v0
	s_cbranch_execz .LBB526_21
; %bb.20:
	ds_read2st64_b32 v[2:3], v1 offset1:1
	s_waitcnt lgkmcnt(0)
	v_add_f32_e32 v2, v3, v2
	ds_write_b32 v1, v2
.LBB526_21:
	s_or_b32 exec_lo, exec_lo, s0
	s_mov_b32 s0, exec_lo
	s_waitcnt lgkmcnt(0)
	s_barrier
	buffer_gl0_inv
	v_cmpx_gt_u32_e32 32, v0
	s_cbranch_execz .LBB526_23
; %bb.22:
	ds_read2_b32 v[2:3], v1 offset1:32
	s_waitcnt lgkmcnt(0)
	v_add_f32_e32 v2, v3, v2
	ds_write_b32 v1, v2
.LBB526_23:
	s_or_b32 exec_lo, exec_lo, s0
	s_mov_b32 s0, exec_lo
	s_waitcnt lgkmcnt(0)
	s_barrier
	buffer_gl0_inv
	v_cmpx_gt_u32_e32 16, v0
	s_cbranch_execz .LBB526_25
; %bb.24:
	ds_read2_b32 v[2:3], v1 offset1:16
	s_waitcnt lgkmcnt(0)
	v_add_f32_e32 v2, v3, v2
	ds_write_b32 v1, v2
.LBB526_25:
	;; [unrolled: 13-line block ×5, first 2 shown]
	s_or_b32 exec_lo, exec_lo, s0
	v_cmp_eq_u32_e32 vcc_lo, 0, v0
	s_waitcnt lgkmcnt(0)
	s_barrier
	buffer_gl0_inv
	s_and_saveexec_b32 s0, vcc_lo
	s_cbranch_execz .LBB526_33
; %bb.32:
	v_mov_b32_e32 v2, 0
	ds_read_b64 v[0:1], v2
	s_waitcnt lgkmcnt(0)
	v_add_f32_e32 v0, v1, v0
	ds_write_b32 v2, v0
.LBB526_33:
	s_or_b32 exec_lo, exec_lo, s0
	s_waitcnt lgkmcnt(0)
	s_barrier
	buffer_gl0_inv
                                        ; implicit-def: $vgpr1
                                        ; implicit-def: $sgpr10_sgpr11
	s_and_saveexec_b32 s0, vcc_lo
	s_cbranch_execz .LBB526_37
; %bb.34:
	v_mov_b32_e32 v0, 0
	v_cmp_eq_f32_e64 s1, s7, 0
	s_mul_hi_i32 s11, s17, s6
	s_mul_i32 s10, s17, s6
	ds_read_b32 v0, v0
	s_and_b32 vcc_lo, exec_lo, s1
	s_waitcnt lgkmcnt(0)
	v_mul_f32_e32 v1, s16, v0
	s_cbranch_vccnz .LBB526_36
; %bb.35:
	s_lshl_b64 s[2:3], s[10:11], 2
	s_add_u32 s2, s12, s2
	s_addc_u32 s3, s13, s3
	v_mov_b32_e32 v2, s2
	v_mov_b32_e32 v3, s3
	flat_load_dword v0, v[2:3]
	s_waitcnt vmcnt(0) lgkmcnt(0)
	v_fmac_f32_e32 v1, s7, v0
.LBB526_36:
	s_or_b32 s14, s14, exec_lo
.LBB526_37:
	s_or_b32 exec_lo, exec_lo, s0
.LBB526_38:
	s_and_saveexec_b32 s0, s14
	s_cbranch_execz .LBB526_40
; %bb.39:
	s_lshl_b64 s[0:1], s[10:11], 2
	s_add_u32 s0, s12, s0
	s_addc_u32 s1, s13, s1
	v_mov_b32_e32 v3, s1
	v_mov_b32_e32 v2, s0
	flat_store_dword v[2:3], v1
.LBB526_40:
	s_endpgm
	.section	.rodata,"a",@progbits
	.p2align	6, 0x0
	.amdhsa_kernel _ZL20rocblas_gemvt_kernelILb0ELi256EPKDF16_PKfKPfEviiT2_lPKT1_lilS9_lilS6_lPT3_lili
		.amdhsa_group_segment_fixed_size 1024
		.amdhsa_private_segment_fixed_size 0
		.amdhsa_kernarg_size 140
		.amdhsa_user_sgpr_count 6
		.amdhsa_user_sgpr_private_segment_buffer 1
		.amdhsa_user_sgpr_dispatch_ptr 0
		.amdhsa_user_sgpr_queue_ptr 0
		.amdhsa_user_sgpr_kernarg_segment_ptr 1
		.amdhsa_user_sgpr_dispatch_id 0
		.amdhsa_user_sgpr_flat_scratch_init 0
		.amdhsa_user_sgpr_private_segment_size 0
		.amdhsa_wavefront_size32 1
		.amdhsa_uses_dynamic_stack 0
		.amdhsa_system_sgpr_private_segment_wavefront_offset 0
		.amdhsa_system_sgpr_workgroup_id_x 1
		.amdhsa_system_sgpr_workgroup_id_y 0
		.amdhsa_system_sgpr_workgroup_id_z 1
		.amdhsa_system_sgpr_workgroup_info 0
		.amdhsa_system_vgpr_workitem_id 0
		.amdhsa_next_free_vgpr 10
		.amdhsa_next_free_sgpr 24
		.amdhsa_reserve_vcc 1
		.amdhsa_reserve_flat_scratch 0
		.amdhsa_float_round_mode_32 0
		.amdhsa_float_round_mode_16_64 0
		.amdhsa_float_denorm_mode_32 3
		.amdhsa_float_denorm_mode_16_64 3
		.amdhsa_dx10_clamp 1
		.amdhsa_ieee_mode 1
		.amdhsa_fp16_overflow 0
		.amdhsa_workgroup_processor_mode 1
		.amdhsa_memory_ordered 1
		.amdhsa_forward_progress 1
		.amdhsa_shared_vgpr_count 0
		.amdhsa_exception_fp_ieee_invalid_op 0
		.amdhsa_exception_fp_denorm_src 0
		.amdhsa_exception_fp_ieee_div_zero 0
		.amdhsa_exception_fp_ieee_overflow 0
		.amdhsa_exception_fp_ieee_underflow 0
		.amdhsa_exception_fp_ieee_inexact 0
		.amdhsa_exception_int_div_zero 0
	.end_amdhsa_kernel
	.section	.text._ZL20rocblas_gemvt_kernelILb0ELi256EPKDF16_PKfKPfEviiT2_lPKT1_lilS9_lilS6_lPT3_lili,"axG",@progbits,_ZL20rocblas_gemvt_kernelILb0ELi256EPKDF16_PKfKPfEviiT2_lPKT1_lilS9_lilS6_lPT3_lili,comdat
.Lfunc_end526:
	.size	_ZL20rocblas_gemvt_kernelILb0ELi256EPKDF16_PKfKPfEviiT2_lPKT1_lilS9_lilS6_lPT3_lili, .Lfunc_end526-_ZL20rocblas_gemvt_kernelILb0ELi256EPKDF16_PKfKPfEviiT2_lPKT1_lilS9_lilS6_lPT3_lili
                                        ; -- End function
	.set _ZL20rocblas_gemvt_kernelILb0ELi256EPKDF16_PKfKPfEviiT2_lPKT1_lilS9_lilS6_lPT3_lili.num_vgpr, 10
	.set _ZL20rocblas_gemvt_kernelILb0ELi256EPKDF16_PKfKPfEviiT2_lPKT1_lilS9_lilS6_lPT3_lili.num_agpr, 0
	.set _ZL20rocblas_gemvt_kernelILb0ELi256EPKDF16_PKfKPfEviiT2_lPKT1_lilS9_lilS6_lPT3_lili.numbered_sgpr, 24
	.set _ZL20rocblas_gemvt_kernelILb0ELi256EPKDF16_PKfKPfEviiT2_lPKT1_lilS9_lilS6_lPT3_lili.num_named_barrier, 0
	.set _ZL20rocblas_gemvt_kernelILb0ELi256EPKDF16_PKfKPfEviiT2_lPKT1_lilS9_lilS6_lPT3_lili.private_seg_size, 0
	.set _ZL20rocblas_gemvt_kernelILb0ELi256EPKDF16_PKfKPfEviiT2_lPKT1_lilS9_lilS6_lPT3_lili.uses_vcc, 1
	.set _ZL20rocblas_gemvt_kernelILb0ELi256EPKDF16_PKfKPfEviiT2_lPKT1_lilS9_lilS6_lPT3_lili.uses_flat_scratch, 0
	.set _ZL20rocblas_gemvt_kernelILb0ELi256EPKDF16_PKfKPfEviiT2_lPKT1_lilS9_lilS6_lPT3_lili.has_dyn_sized_stack, 0
	.set _ZL20rocblas_gemvt_kernelILb0ELi256EPKDF16_PKfKPfEviiT2_lPKT1_lilS9_lilS6_lPT3_lili.has_recursion, 0
	.set _ZL20rocblas_gemvt_kernelILb0ELi256EPKDF16_PKfKPfEviiT2_lPKT1_lilS9_lilS6_lPT3_lili.has_indirect_call, 0
	.section	.AMDGPU.csdata,"",@progbits
; Kernel info:
; codeLenInByte = 1452
; TotalNumSgprs: 26
; NumVgprs: 10
; ScratchSize: 0
; MemoryBound: 0
; FloatMode: 240
; IeeeMode: 1
; LDSByteSize: 1024 bytes/workgroup (compile time only)
; SGPRBlocks: 0
; VGPRBlocks: 1
; NumSGPRsForWavesPerEU: 26
; NumVGPRsForWavesPerEU: 10
; Occupancy: 16
; WaveLimiterHint : 1
; COMPUTE_PGM_RSRC2:SCRATCH_EN: 0
; COMPUTE_PGM_RSRC2:USER_SGPR: 6
; COMPUTE_PGM_RSRC2:TRAP_HANDLER: 0
; COMPUTE_PGM_RSRC2:TGID_X_EN: 1
; COMPUTE_PGM_RSRC2:TGID_Y_EN: 0
; COMPUTE_PGM_RSRC2:TGID_Z_EN: 1
; COMPUTE_PGM_RSRC2:TIDIG_COMP_CNT: 0
	.section	.text._ZL20rocblas_gemvt_kernelILb0ELi256EPKDF16_fKPfEviiT2_lPKT1_lilS7_lilS4_lPT3_lili,"axG",@progbits,_ZL20rocblas_gemvt_kernelILb0ELi256EPKDF16_fKPfEviiT2_lPKT1_lilS7_lilS4_lPT3_lili,comdat
	.globl	_ZL20rocblas_gemvt_kernelILb0ELi256EPKDF16_fKPfEviiT2_lPKT1_lilS7_lilS4_lPT3_lili ; -- Begin function _ZL20rocblas_gemvt_kernelILb0ELi256EPKDF16_fKPfEviiT2_lPKT1_lilS7_lilS4_lPT3_lili
	.p2align	8
	.type	_ZL20rocblas_gemvt_kernelILb0ELi256EPKDF16_fKPfEviiT2_lPKT1_lilS7_lilS4_lPT3_lili,@function
_ZL20rocblas_gemvt_kernelILb0ELi256EPKDF16_fKPfEviiT2_lPKT1_lilS7_lilS4_lPT3_lili: ; @_ZL20rocblas_gemvt_kernelILb0ELi256EPKDF16_fKPfEviiT2_lPKT1_lilS7_lilS4_lPT3_lili
; %bb.0:
	s_mov_b32 s10, s7
	s_clause 0x1
	s_load_dword s12, s[4:5], 0x8
	s_load_dword s7, s[4:5], 0x58
	s_mov_b32 s11, 0
	s_waitcnt lgkmcnt(0)
	v_cmp_eq_f32_e64 s16, s12, 0
	v_cmp_eq_f32_e64 s0, s7, 1.0
	s_and_b32 s0, s16, s0
	s_and_b32 vcc_lo, exec_lo, s0
	s_cbranch_vccnz .LBB527_42
; %bb.1:
	v_cmp_neq_f32_e64 s13, s12, 0
	s_and_b32 vcc_lo, exec_lo, s13
	s_cbranch_vccnz .LBB527_3
; %bb.2:
	s_mov_b32 s1, 0
	s_mov_b32 s0, s10
	;; [unrolled: 1-line block ×3, first 2 shown]
	s_mov_b64 s[2:3], 0
	s_andn2_b32 vcc_lo, exec_lo, s8
	s_mov_b64 s[8:9], 0
	s_cbranch_vccz .LBB527_4
	s_branch .LBB527_5
.LBB527_3:
	s_mov_b64 s[0:1], s[10:11]
	s_mov_b64 s[2:3], 0
	;; [unrolled: 1-line block ×3, first 2 shown]
.LBB527_4:
	s_load_dwordx4 s[20:23], s[4:5], 0x18
	s_lshl_b64 s[8:9], s[10:11], 3
	s_waitcnt lgkmcnt(0)
	s_add_u32 s8, s20, s8
	s_addc_u32 s9, s21, s9
	s_lshl_b64 s[10:11], s[22:23], 1
	s_load_dwordx2 s[8:9], s[8:9], 0x0
	s_waitcnt lgkmcnt(0)
	s_add_u32 s8, s8, s10
	s_addc_u32 s9, s9, s11
.LBB527_5:
	s_andn2_b32 vcc_lo, exec_lo, s13
	s_cbranch_vccnz .LBB527_7
; %bb.6:
	s_load_dwordx4 s[20:23], s[4:5], 0x38
	s_lshl_b64 s[2:3], s[0:1], 3
	s_waitcnt lgkmcnt(0)
	s_add_u32 s2, s20, s2
	s_addc_u32 s3, s21, s3
	s_lshl_b64 s[10:11], s[22:23], 1
	s_load_dwordx2 s[2:3], s[2:3], 0x0
	s_waitcnt lgkmcnt(0)
	s_add_u32 s2, s2, s10
	s_addc_u32 s3, s3, s11
.LBB527_7:
	s_clause 0x1
	s_load_dwordx4 s[20:23], s[4:5], 0x68
	s_load_dword s15, s[4:5], 0x78
	s_lshl_b64 s[0:1], s[0:1], 3
	s_waitcnt lgkmcnt(0)
	s_add_u32 s0, s20, s0
	s_addc_u32 s1, s21, s1
	s_lshl_b64 s[18:19], s[22:23], 2
	s_load_dwordx2 s[10:11], s[0:1], 0x0
	v_cmp_eq_u32_e64 s0, 0, v0
	s_waitcnt lgkmcnt(0)
	s_add_u32 s13, s10, s18
	s_addc_u32 s14, s11, s19
	s_andn2_b32 vcc_lo, exec_lo, s16
	s_cbranch_vccnz .LBB527_12
; %bb.8:
	s_mov_b32 s1, 0
	s_mov_b32 s16, 0
                                        ; implicit-def: $vgpr1
                                        ; implicit-def: $sgpr10_sgpr11
	s_and_saveexec_b32 s17, s0
	s_cbranch_execz .LBB527_13
; %bb.9:
	v_cmp_eq_f32_e64 s0, s7, 0
	v_mov_b32_e32 v1, 0
	s_mul_hi_i32 s11, s15, s6
	s_mul_i32 s10, s15, s6
	s_and_b32 vcc_lo, exec_lo, s0
	s_cbranch_vccnz .LBB527_11
; %bb.10:
	s_lshl_b64 s[18:19], s[10:11], 2
	s_add_u32 s18, s13, s18
	s_addc_u32 s19, s14, s19
	v_mov_b32_e32 v1, s18
	v_mov_b32_e32 v2, s19
	flat_load_dword v1, v[1:2]
	s_waitcnt vmcnt(0) lgkmcnt(0)
	v_mul_f32_e32 v1, s7, v1
.LBB527_11:
	s_mov_b32 s16, exec_lo
	s_or_b32 exec_lo, exec_lo, s17
	s_and_b32 vcc_lo, exec_lo, s1
	s_cbranch_vccnz .LBB527_14
	s_branch .LBB527_40
.LBB527_12:
	s_mov_b32 s16, 0
                                        ; implicit-def: $vgpr1
                                        ; implicit-def: $sgpr10_sgpr11
	s_cbranch_execnz .LBB527_14
	s_branch .LBB527_40
.LBB527_13:
	s_or_b32 exec_lo, exec_lo, s17
	s_and_b32 vcc_lo, exec_lo, s1
	s_cbranch_vccz .LBB527_40
.LBB527_14:
	s_clause 0x2
	s_load_dword s10, s[4:5], 0x0
	s_load_dword s1, s[4:5], 0x28
	;; [unrolled: 1-line block ×3, first 2 shown]
	v_mov_b32_e32 v7, 0
	s_waitcnt lgkmcnt(0)
	v_cmp_gt_i32_e32 vcc_lo, s10, v0
	s_mul_hi_i32 s5, s1, s6
	s_mul_i32 s4, s1, s6
	s_ashr_i32 s1, s10, 31
	s_lshl_b64 s[4:5], s[4:5], 1
	v_cndmask_b32_e32 v1, 0, v0, vcc_lo
	s_lshr_b32 s1, s1, 24
	s_add_i32 s1, s10, s1
	v_lshlrev_b32_e32 v1, 1, v1
	v_add_co_u32 v1, s8, s8, v1
	v_add_co_ci_u32_e64 v2, null, s9, 0, s8
	v_add_co_u32 v1, vcc_lo, v1, s4
	v_add_co_ci_u32_e64 v2, null, s5, v2, vcc_lo
	s_and_b32 s4, s1, 0xffffff00
	s_cmpk_lt_i32 s10, 0x100
	s_mov_b32 s5, 0
	s_cbranch_scc1 .LBB527_17
; %bb.15:
	v_mad_i64_i32 v[3:4], null, s0, v0, 0
	v_mov_b32_e32 v6, v2
	v_mov_b32_e32 v7, 0
	;; [unrolled: 1-line block ×3, first 2 shown]
	s_ashr_i32 s1, s0, 31
	s_lshl_b64 s[8:9], s[0:1], 9
	v_lshlrev_b64 v[3:4], 1, v[3:4]
	v_add_co_u32 v3, vcc_lo, s2, v3
	v_add_co_ci_u32_e64 v4, null, s3, v4, vcc_lo
	.p2align	6
.LBB527_16:                             ; =>This Inner Loop Header: Depth=1
	flat_load_ushort v8, v[5:6]
	flat_load_ushort v9, v[3:4]
	v_add_co_u32 v3, vcc_lo, v3, s8
	v_add_co_ci_u32_e64 v4, null, s9, v4, vcc_lo
	v_add_co_u32 v5, vcc_lo, 0x200, v5
	v_add_co_ci_u32_e64 v6, null, 0, v6, vcc_lo
	s_addk_i32 s5, 0x100
	s_cmp_ge_i32 s5, s4
	s_waitcnt vmcnt(0) lgkmcnt(0)
	v_mul_f16_e32 v8, v8, v9
	v_cvt_f32_f16_e32 v8, v8
	v_add_f32_e32 v7, v7, v8
	s_cbranch_scc0 .LBB527_16
.LBB527_17:
	v_add_nc_u32_e32 v3, s4, v0
	s_mov_b32 s1, exec_lo
	v_cmpx_gt_i32_e64 s10, v3
	s_cbranch_execz .LBB527_19
; %bb.18:
	v_mad_i64_i32 v[3:4], null, s0, v3, 0
	s_ashr_i32 s5, s4, 31
	s_lshl_b64 s[4:5], s[4:5], 1
	v_add_co_u32 v1, vcc_lo, v1, s4
	v_lshlrev_b64 v[3:4], 1, v[3:4]
	v_add_co_ci_u32_e64 v2, null, s5, v2, vcc_lo
	v_add_co_u32 v3, vcc_lo, s2, v3
	v_add_co_ci_u32_e64 v4, null, s3, v4, vcc_lo
	flat_load_ushort v1, v[1:2]
	flat_load_ushort v2, v[3:4]
	s_waitcnt vmcnt(0) lgkmcnt(0)
	v_mul_f16_e32 v1, v1, v2
	v_cvt_f32_f16_e32 v1, v1
	v_add_f32_e32 v7, v7, v1
.LBB527_19:
	s_or_b32 exec_lo, exec_lo, s1
	v_lshlrev_b32_e32 v1, 2, v0
	s_mov_b32 s0, exec_lo
	ds_write_b32 v1, v7
	s_waitcnt lgkmcnt(0)
	s_barrier
	buffer_gl0_inv
	v_cmpx_gt_u32_e32 0x80, v0
	s_cbranch_execz .LBB527_21
; %bb.20:
	ds_read2st64_b32 v[2:3], v1 offset1:2
	s_waitcnt lgkmcnt(0)
	v_add_f32_e32 v2, v3, v2
	ds_write_b32 v1, v2
.LBB527_21:
	s_or_b32 exec_lo, exec_lo, s0
	s_mov_b32 s0, exec_lo
	s_waitcnt lgkmcnt(0)
	s_barrier
	buffer_gl0_inv
	v_cmpx_gt_u32_e32 64, v0
	s_cbranch_execz .LBB527_23
; %bb.22:
	ds_read2st64_b32 v[2:3], v1 offset1:1
	s_waitcnt lgkmcnt(0)
	v_add_f32_e32 v2, v3, v2
	ds_write_b32 v1, v2
.LBB527_23:
	s_or_b32 exec_lo, exec_lo, s0
	s_mov_b32 s0, exec_lo
	s_waitcnt lgkmcnt(0)
	s_barrier
	buffer_gl0_inv
	v_cmpx_gt_u32_e32 32, v0
	s_cbranch_execz .LBB527_25
; %bb.24:
	ds_read2_b32 v[2:3], v1 offset1:32
	s_waitcnt lgkmcnt(0)
	v_add_f32_e32 v2, v3, v2
	ds_write_b32 v1, v2
.LBB527_25:
	s_or_b32 exec_lo, exec_lo, s0
	s_mov_b32 s0, exec_lo
	s_waitcnt lgkmcnt(0)
	s_barrier
	buffer_gl0_inv
	v_cmpx_gt_u32_e32 16, v0
	s_cbranch_execz .LBB527_27
; %bb.26:
	ds_read2_b32 v[2:3], v1 offset1:16
	s_waitcnt lgkmcnt(0)
	v_add_f32_e32 v2, v3, v2
	ds_write_b32 v1, v2
.LBB527_27:
	;; [unrolled: 13-line block ×5, first 2 shown]
	s_or_b32 exec_lo, exec_lo, s0
	v_cmp_eq_u32_e32 vcc_lo, 0, v0
	s_waitcnt lgkmcnt(0)
	s_barrier
	buffer_gl0_inv
	s_and_saveexec_b32 s0, vcc_lo
	s_cbranch_execz .LBB527_35
; %bb.34:
	v_mov_b32_e32 v2, 0
	ds_read_b64 v[0:1], v2
	s_waitcnt lgkmcnt(0)
	v_add_f32_e32 v0, v1, v0
	ds_write_b32 v2, v0
.LBB527_35:
	s_or_b32 exec_lo, exec_lo, s0
	s_waitcnt lgkmcnt(0)
	s_barrier
	buffer_gl0_inv
                                        ; implicit-def: $vgpr1
                                        ; implicit-def: $sgpr10_sgpr11
	s_and_saveexec_b32 s0, vcc_lo
	s_cbranch_execz .LBB527_39
; %bb.36:
	v_mov_b32_e32 v0, 0
	v_cmp_eq_f32_e64 s1, s7, 0
	s_mul_hi_i32 s11, s15, s6
	s_mul_i32 s10, s15, s6
	ds_read_b32 v0, v0
	s_and_b32 vcc_lo, exec_lo, s1
	s_waitcnt lgkmcnt(0)
	v_mul_f32_e32 v1, s12, v0
	s_cbranch_vccnz .LBB527_38
; %bb.37:
	s_lshl_b64 s[2:3], s[10:11], 2
	s_add_u32 s2, s13, s2
	s_addc_u32 s3, s14, s3
	v_mov_b32_e32 v2, s2
	v_mov_b32_e32 v3, s3
	flat_load_dword v0, v[2:3]
	s_waitcnt vmcnt(0) lgkmcnt(0)
	v_fmac_f32_e32 v1, s7, v0
.LBB527_38:
	s_or_b32 s16, s16, exec_lo
.LBB527_39:
	s_or_b32 exec_lo, exec_lo, s0
.LBB527_40:
	s_and_saveexec_b32 s0, s16
	s_cbranch_execz .LBB527_42
; %bb.41:
	s_lshl_b64 s[0:1], s[10:11], 2
	s_add_u32 s0, s13, s0
	s_addc_u32 s1, s14, s1
	v_mov_b32_e32 v3, s1
	v_mov_b32_e32 v2, s0
	flat_store_dword v[2:3], v1
.LBB527_42:
	s_endpgm
	.section	.rodata,"a",@progbits
	.p2align	6, 0x0
	.amdhsa_kernel _ZL20rocblas_gemvt_kernelILb0ELi256EPKDF16_fKPfEviiT2_lPKT1_lilS7_lilS4_lPT3_lili
		.amdhsa_group_segment_fixed_size 1024
		.amdhsa_private_segment_fixed_size 0
		.amdhsa_kernarg_size 140
		.amdhsa_user_sgpr_count 6
		.amdhsa_user_sgpr_private_segment_buffer 1
		.amdhsa_user_sgpr_dispatch_ptr 0
		.amdhsa_user_sgpr_queue_ptr 0
		.amdhsa_user_sgpr_kernarg_segment_ptr 1
		.amdhsa_user_sgpr_dispatch_id 0
		.amdhsa_user_sgpr_flat_scratch_init 0
		.amdhsa_user_sgpr_private_segment_size 0
		.amdhsa_wavefront_size32 1
		.amdhsa_uses_dynamic_stack 0
		.amdhsa_system_sgpr_private_segment_wavefront_offset 0
		.amdhsa_system_sgpr_workgroup_id_x 1
		.amdhsa_system_sgpr_workgroup_id_y 0
		.amdhsa_system_sgpr_workgroup_id_z 1
		.amdhsa_system_sgpr_workgroup_info 0
		.amdhsa_system_vgpr_workitem_id 0
		.amdhsa_next_free_vgpr 10
		.amdhsa_next_free_sgpr 24
		.amdhsa_reserve_vcc 1
		.amdhsa_reserve_flat_scratch 0
		.amdhsa_float_round_mode_32 0
		.amdhsa_float_round_mode_16_64 0
		.amdhsa_float_denorm_mode_32 3
		.amdhsa_float_denorm_mode_16_64 3
		.amdhsa_dx10_clamp 1
		.amdhsa_ieee_mode 1
		.amdhsa_fp16_overflow 0
		.amdhsa_workgroup_processor_mode 1
		.amdhsa_memory_ordered 1
		.amdhsa_forward_progress 1
		.amdhsa_shared_vgpr_count 0
		.amdhsa_exception_fp_ieee_invalid_op 0
		.amdhsa_exception_fp_denorm_src 0
		.amdhsa_exception_fp_ieee_div_zero 0
		.amdhsa_exception_fp_ieee_overflow 0
		.amdhsa_exception_fp_ieee_underflow 0
		.amdhsa_exception_fp_ieee_inexact 0
		.amdhsa_exception_int_div_zero 0
	.end_amdhsa_kernel
	.section	.text._ZL20rocblas_gemvt_kernelILb0ELi256EPKDF16_fKPfEviiT2_lPKT1_lilS7_lilS4_lPT3_lili,"axG",@progbits,_ZL20rocblas_gemvt_kernelILb0ELi256EPKDF16_fKPfEviiT2_lPKT1_lilS7_lilS4_lPT3_lili,comdat
.Lfunc_end527:
	.size	_ZL20rocblas_gemvt_kernelILb0ELi256EPKDF16_fKPfEviiT2_lPKT1_lilS7_lilS4_lPT3_lili, .Lfunc_end527-_ZL20rocblas_gemvt_kernelILb0ELi256EPKDF16_fKPfEviiT2_lPKT1_lilS7_lilS4_lPT3_lili
                                        ; -- End function
	.set _ZL20rocblas_gemvt_kernelILb0ELi256EPKDF16_fKPfEviiT2_lPKT1_lilS7_lilS4_lPT3_lili.num_vgpr, 10
	.set _ZL20rocblas_gemvt_kernelILb0ELi256EPKDF16_fKPfEviiT2_lPKT1_lilS7_lilS4_lPT3_lili.num_agpr, 0
	.set _ZL20rocblas_gemvt_kernelILb0ELi256EPKDF16_fKPfEviiT2_lPKT1_lilS7_lilS4_lPT3_lili.numbered_sgpr, 24
	.set _ZL20rocblas_gemvt_kernelILb0ELi256EPKDF16_fKPfEviiT2_lPKT1_lilS7_lilS4_lPT3_lili.num_named_barrier, 0
	.set _ZL20rocblas_gemvt_kernelILb0ELi256EPKDF16_fKPfEviiT2_lPKT1_lilS7_lilS4_lPT3_lili.private_seg_size, 0
	.set _ZL20rocblas_gemvt_kernelILb0ELi256EPKDF16_fKPfEviiT2_lPKT1_lilS7_lilS4_lPT3_lili.uses_vcc, 1
	.set _ZL20rocblas_gemvt_kernelILb0ELi256EPKDF16_fKPfEviiT2_lPKT1_lilS7_lilS4_lPT3_lili.uses_flat_scratch, 0
	.set _ZL20rocblas_gemvt_kernelILb0ELi256EPKDF16_fKPfEviiT2_lPKT1_lilS7_lilS4_lPT3_lili.has_dyn_sized_stack, 0
	.set _ZL20rocblas_gemvt_kernelILb0ELi256EPKDF16_fKPfEviiT2_lPKT1_lilS7_lilS4_lPT3_lili.has_recursion, 0
	.set _ZL20rocblas_gemvt_kernelILb0ELi256EPKDF16_fKPfEviiT2_lPKT1_lilS7_lilS4_lPT3_lili.has_indirect_call, 0
	.section	.AMDGPU.csdata,"",@progbits
; Kernel info:
; codeLenInByte = 1452
; TotalNumSgprs: 26
; NumVgprs: 10
; ScratchSize: 0
; MemoryBound: 0
; FloatMode: 240
; IeeeMode: 1
; LDSByteSize: 1024 bytes/workgroup (compile time only)
; SGPRBlocks: 0
; VGPRBlocks: 1
; NumSGPRsForWavesPerEU: 26
; NumVGPRsForWavesPerEU: 10
; Occupancy: 16
; WaveLimiterHint : 1
; COMPUTE_PGM_RSRC2:SCRATCH_EN: 0
; COMPUTE_PGM_RSRC2:USER_SGPR: 6
; COMPUTE_PGM_RSRC2:TRAP_HANDLER: 0
; COMPUTE_PGM_RSRC2:TGID_X_EN: 1
; COMPUTE_PGM_RSRC2:TGID_Y_EN: 0
; COMPUTE_PGM_RSRC2:TGID_Z_EN: 1
; COMPUTE_PGM_RSRC2:TIDIG_COMP_CNT: 0
	.section	.text._ZL32rocblas_gemvt_warp_reduce_kernelILb0ELi1024EiPKDF16_PKfKPfEviiT3_lPKT2_lT1_lS9_lSA_lS6_lPT4_lSA_li,"axG",@progbits,_ZL32rocblas_gemvt_warp_reduce_kernelILb0ELi1024EiPKDF16_PKfKPfEviiT3_lPKT2_lT1_lS9_lSA_lS6_lPT4_lSA_li,comdat
	.globl	_ZL32rocblas_gemvt_warp_reduce_kernelILb0ELi1024EiPKDF16_PKfKPfEviiT3_lPKT2_lT1_lS9_lSA_lS6_lPT4_lSA_li ; -- Begin function _ZL32rocblas_gemvt_warp_reduce_kernelILb0ELi1024EiPKDF16_PKfKPfEviiT3_lPKT2_lT1_lS9_lSA_lS6_lPT4_lSA_li
	.p2align	8
	.type	_ZL32rocblas_gemvt_warp_reduce_kernelILb0ELi1024EiPKDF16_PKfKPfEviiT3_lPKT2_lT1_lS9_lSA_lS6_lPT4_lSA_li,@function
_ZL32rocblas_gemvt_warp_reduce_kernelILb0ELi1024EiPKDF16_PKfKPfEviiT3_lPKT2_lT1_lS9_lSA_lS6_lPT4_lSA_li: ; @_ZL32rocblas_gemvt_warp_reduce_kernelILb0ELi1024EiPKDF16_PKfKPfEviiT3_lPKT2_lT1_lS9_lSA_lS6_lPT4_lSA_li
; %bb.0:
	s_clause 0x1
	s_load_dwordx8 s[16:23], s[4:5], 0x8
	s_load_dwordx8 s[8:15], s[4:5], 0x58
	s_mov_b32 s0, s7
	s_waitcnt lgkmcnt(0)
	s_mul_i32 s1, s19, s7
	s_mul_hi_u32 s3, s18, s7
	s_mul_i32 s2, s18, s7
	s_add_i32 s3, s3, s1
	s_mul_i32 s1, s11, s7
	s_lshl_b64 s[2:3], s[2:3], 2
	s_mul_hi_u32 s7, s10, s7
	s_add_u32 s2, s16, s2
	s_addc_u32 s3, s17, s3
	s_add_i32 s11, s7, s1
	s_mul_i32 s10, s10, s0
	s_lshl_b64 s[10:11], s[10:11], 2
	s_add_u32 s8, s8, s10
	s_addc_u32 s9, s9, s11
	s_load_dword s16, s[2:3], 0x0
	s_load_dword s7, s[8:9], 0x0
	s_waitcnt lgkmcnt(0)
	v_cmp_eq_f32_e64 s10, s16, 0
	v_cmp_eq_f32_e64 s1, s7, 1.0
	s_and_b32 s1, s10, s1
	s_and_b32 vcc_lo, exec_lo, s1
	s_mov_b32 s1, 0
	s_cbranch_vccnz .LBB528_33
; %bb.1:
	v_cmp_neq_f32_e64 s11, s16, 0
	s_mov_b64 s[2:3], 0
	s_and_b32 vcc_lo, exec_lo, s10
	s_mov_b64 s[8:9], 0
	s_cbranch_vccnz .LBB528_3
; %bb.2:
	s_lshl_b64 s[8:9], s[0:1], 3
	s_add_u32 s8, s20, s8
	s_addc_u32 s9, s21, s9
	s_lshl_b64 s[18:19], s[22:23], 1
	s_load_dwordx2 s[8:9], s[8:9], 0x0
	s_waitcnt lgkmcnt(0)
	s_add_u32 s8, s8, s18
	s_addc_u32 s9, s9, s19
.LBB528_3:
	s_andn2_b32 vcc_lo, exec_lo, s11
	s_cbranch_vccnz .LBB528_5
; %bb.4:
	s_load_dwordx4 s[20:23], s[4:5], 0x38
	s_lshl_b64 s[2:3], s[0:1], 3
	s_waitcnt lgkmcnt(0)
	s_add_u32 s2, s20, s2
	s_addc_u32 s3, s21, s3
	s_lshl_b64 s[18:19], s[22:23], 1
	s_load_dwordx2 s[2:3], s[2:3], 0x0
	s_waitcnt lgkmcnt(0)
	s_add_u32 s2, s2, s18
	s_addc_u32 s3, s3, s19
.LBB528_5:
	s_lshl_b64 s[0:1], s[0:1], 3
	s_add_u32 s0, s12, s0
	s_addc_u32 s1, s13, s1
	s_lshl_b64 s[14:15], s[14:15], 2
	s_load_dwordx2 s[12:13], s[0:1], 0x0
	s_load_dword s17, s[4:5], 0x78
	v_cmp_eq_u32_e64 s0, 0, v0
	s_waitcnt lgkmcnt(0)
	s_add_u32 s1, s12, s14
	s_addc_u32 s12, s13, s15
	s_andn2_b32 vcc_lo, exec_lo, s10
	s_cbranch_vccnz .LBB528_10
; %bb.6:
	s_mov_b32 s14, 0
	s_mov_b32 s13, 0
                                        ; implicit-def: $vgpr1
                                        ; implicit-def: $sgpr10_sgpr11
	s_and_saveexec_b32 s15, s0
	s_cbranch_execz .LBB528_11
; %bb.7:
	v_cmp_eq_f32_e64 s0, s7, 0
	v_mov_b32_e32 v1, 0
	s_mul_i32 s10, s17, s6
	s_ashr_i32 s11, s10, 31
	s_and_b32 vcc_lo, exec_lo, s0
	s_cbranch_vccnz .LBB528_9
; %bb.8:
	s_lshl_b64 s[18:19], s[10:11], 2
	s_add_u32 s18, s1, s18
	s_addc_u32 s19, s12, s19
	v_mov_b32_e32 v1, s18
	v_mov_b32_e32 v2, s19
	flat_load_dword v1, v[1:2]
	s_waitcnt vmcnt(0) lgkmcnt(0)
	v_mul_f32_e32 v1, s7, v1
.LBB528_9:
	s_mov_b32 s13, exec_lo
	s_or_b32 exec_lo, exec_lo, s15
	s_and_b32 vcc_lo, exec_lo, s14
	s_cbranch_vccnz .LBB528_12
	s_branch .LBB528_31
.LBB528_10:
	s_mov_b32 s13, 0
                                        ; implicit-def: $vgpr1
                                        ; implicit-def: $sgpr10_sgpr11
	s_cbranch_execnz .LBB528_12
	s_branch .LBB528_31
.LBB528_11:
	s_or_b32 exec_lo, exec_lo, s15
	s_and_b32 vcc_lo, exec_lo, s14
	s_cbranch_vccz .LBB528_31
.LBB528_12:
	s_clause 0x2
	s_load_dword s10, s[4:5], 0x0
	s_load_dword s0, s[4:5], 0x28
	;; [unrolled: 1-line block ×3, first 2 shown]
	v_mov_b32_e32 v7, 0
	s_waitcnt lgkmcnt(0)
	v_cmp_gt_i32_e32 vcc_lo, s10, v0
	s_mul_i32 s14, s0, s6
	s_ashr_i32 s0, s10, 31
	s_ashr_i32 s15, s14, 31
	s_lshr_b32 s0, s0, 22
	v_cndmask_b32_e32 v1, 0, v0, vcc_lo
	s_lshl_b64 s[14:15], s[14:15], 1
	s_add_i32 s0, s10, s0
	v_lshlrev_b32_e32 v1, 1, v1
	v_add_co_u32 v1, s4, s8, v1
	v_add_co_ci_u32_e64 v2, null, s9, 0, s4
	s_and_b32 s4, s0, 0xfffffc00
	v_add_co_u32 v1, vcc_lo, v1, s14
	v_add_co_ci_u32_e64 v2, null, s15, v2, vcc_lo
	s_mov_b32 s9, 0
	s_mov_b32 s8, exec_lo
	v_cmpx_gt_i32_e64 s4, v0
	s_cbranch_execz .LBB528_16
; %bb.13:
	v_mul_lo_u32 v3, v0, s5
	v_mov_b32_e32 v6, v2
	v_mov_b32_e32 v7, 0
	;; [unrolled: 1-line block ×4, first 2 shown]
	s_lshl_b32 s11, s5, 10
	.p2align	6
.LBB528_14:                             ; =>This Inner Loop Header: Depth=1
	v_ashrrev_i32_e32 v4, 31, v3
	v_add_nc_u32_e32 v8, 0x400, v8
	v_lshlrev_b64 v[9:10], 1, v[3:4]
	v_cmp_le_i32_e64 s0, s4, v8
	v_add_nc_u32_e32 v3, s11, v3
	s_or_b32 s9, s0, s9
	v_add_co_u32 v9, vcc_lo, s2, v9
	v_add_co_ci_u32_e64 v10, null, s3, v10, vcc_lo
	flat_load_ushort v4, v[5:6]
	flat_load_ushort v9, v[9:10]
	v_add_co_u32 v5, vcc_lo, 0x800, v5
	v_add_co_ci_u32_e64 v6, null, 0, v6, vcc_lo
	s_waitcnt vmcnt(0) lgkmcnt(0)
	v_mul_f16_e32 v4, v4, v9
	v_cvt_f32_f16_e32 v4, v4
	v_add_f32_e32 v7, v7, v4
	s_andn2_b32 exec_lo, exec_lo, s9
	s_cbranch_execnz .LBB528_14
; %bb.15:
	s_or_b32 exec_lo, exec_lo, s9
.LBB528_16:
	s_or_b32 exec_lo, exec_lo, s8
	v_or_b32_e32 v3, s4, v0
	s_mov_b32 s0, exec_lo
	v_cmpx_gt_i32_e64 s10, v3
	s_cbranch_execz .LBB528_18
; %bb.17:
	v_mul_lo_u32 v3, s5, v3
	s_ashr_i32 s5, s4, 31
	s_lshl_b64 s[4:5], s[4:5], 1
	v_add_co_u32 v1, vcc_lo, v1, s4
	v_add_co_ci_u32_e64 v2, null, s5, v2, vcc_lo
	v_ashrrev_i32_e32 v4, 31, v3
	v_lshlrev_b64 v[3:4], 1, v[3:4]
	v_add_co_u32 v3, vcc_lo, s2, v3
	v_add_co_ci_u32_e64 v4, null, s3, v4, vcc_lo
	flat_load_ushort v1, v[1:2]
	flat_load_ushort v2, v[3:4]
	s_waitcnt vmcnt(0) lgkmcnt(0)
	v_mul_f16_e32 v1, v1, v2
	v_cvt_f32_f16_e32 v1, v1
	v_add_f32_e32 v7, v7, v1
.LBB528_18:
	s_or_b32 exec_lo, exec_lo, s0
	v_and_b32_e32 v8, 31, v0
	v_cmp_gt_u32_e32 vcc_lo, 32, v0
	v_lshlrev_b32_e32 v1, 2, v8
	s_and_saveexec_b32 s0, vcc_lo
; %bb.19:
	v_mov_b32_e32 v2, 0
	ds_write_b32 v1, v2
; %bb.20:
	s_or_b32 exec_lo, exec_lo, s0
	v_mbcnt_lo_u32_b32 v6, -1, 0
	s_mov_b32 s2, exec_lo
	s_waitcnt lgkmcnt(0)
	s_barrier
	buffer_gl0_inv
	v_lshl_or_b32 v2, v6, 2, 64
	v_cmp_gt_u32_e64 s0, 24, v6
	ds_bpermute_b32 v4, v2, v7
	v_cndmask_b32_e64 v3, 0, 8, s0
	v_cmp_gt_u32_e64 s0, 28, v6
	v_add_lshl_u32 v3, v3, v6, 2
	s_waitcnt lgkmcnt(0)
	v_add_f32_e32 v5, v7, v4
	v_cndmask_b32_e64 v4, 0, 4, s0
	v_cmp_gt_u32_e64 s0, 30, v6
	ds_bpermute_b32 v7, v3, v5
	v_add_lshl_u32 v4, v4, v6, 2
	s_waitcnt lgkmcnt(0)
	v_add_f32_e32 v7, v5, v7
	v_cndmask_b32_e64 v5, 0, 2, s0
	v_cmp_ne_u32_e64 s0, 31, v6
	ds_bpermute_b32 v9, v4, v7
	v_add_lshl_u32 v5, v5, v6, 2
	v_add_co_ci_u32_e64 v6, null, 0, v6, s0
	v_lshlrev_b32_e32 v6, 2, v6
	s_waitcnt lgkmcnt(0)
	v_add_f32_e32 v7, v7, v9
	ds_bpermute_b32 v9, v5, v7
	s_waitcnt lgkmcnt(0)
	v_add_f32_e32 v7, v7, v9
	ds_bpermute_b32 v9, v6, v7
	v_cmpx_eq_u32_e32 0, v8
	s_cbranch_execz .LBB528_22
; %bb.21:
	v_lshrrev_b32_e32 v8, 3, v0
	s_waitcnt lgkmcnt(0)
	v_add_f32_e32 v7, v7, v9
	v_and_b32_e32 v8, 0x7c, v8
	ds_write_b32 v8, v7
.LBB528_22:
	s_or_b32 exec_lo, exec_lo, s2
	v_mov_b32_e32 v7, 0
	s_waitcnt lgkmcnt(0)
	s_barrier
	buffer_gl0_inv
	s_and_saveexec_b32 s0, vcc_lo
; %bb.23:
	ds_read_b32 v7, v1
; %bb.24:
	s_or_b32 exec_lo, exec_lo, s0
	s_and_saveexec_b32 s0, vcc_lo
	s_cbranch_execz .LBB528_26
; %bb.25:
	s_waitcnt lgkmcnt(0)
	ds_bpermute_b32 v1, v2, v7
	s_waitcnt lgkmcnt(0)
	v_add_f32_e32 v1, v7, v1
	ds_bpermute_b32 v2, v3, v1
	s_waitcnt lgkmcnt(0)
	v_add_f32_e32 v1, v1, v2
	;; [unrolled: 3-line block ×5, first 2 shown]
.LBB528_26:
	s_or_b32 exec_lo, exec_lo, s0
	s_mov_b32 s0, exec_lo
                                        ; implicit-def: $vgpr1
                                        ; implicit-def: $sgpr10_sgpr11
	v_cmpx_eq_u32_e32 0, v0
	s_cbranch_execz .LBB528_30
; %bb.27:
	v_cmp_eq_f32_e64 s2, s7, 0
	s_waitcnt lgkmcnt(0)
	v_mul_f32_e32 v1, s16, v7
	s_mul_i32 s10, s17, s6
	s_ashr_i32 s11, s10, 31
	s_and_b32 vcc_lo, exec_lo, s2
	s_cbranch_vccnz .LBB528_29
; %bb.28:
	s_lshl_b64 s[2:3], s[10:11], 2
	s_add_u32 s2, s1, s2
	s_addc_u32 s3, s12, s3
	v_mov_b32_e32 v2, s2
	v_mov_b32_e32 v3, s3
	flat_load_dword v0, v[2:3]
	s_waitcnt vmcnt(0) lgkmcnt(0)
	v_fmac_f32_e32 v1, s7, v0
.LBB528_29:
	s_or_b32 s13, s13, exec_lo
.LBB528_30:
	s_or_b32 exec_lo, exec_lo, s0
.LBB528_31:
	s_and_saveexec_b32 s0, s13
	s_cbranch_execz .LBB528_33
; %bb.32:
	s_lshl_b64 s[2:3], s[10:11], 2
	s_add_u32 s0, s1, s2
	s_addc_u32 s1, s12, s3
	v_mov_b32_e32 v3, s1
	v_mov_b32_e32 v2, s0
	flat_store_dword v[2:3], v1
.LBB528_33:
	s_endpgm
	.section	.rodata,"a",@progbits
	.p2align	6, 0x0
	.amdhsa_kernel _ZL32rocblas_gemvt_warp_reduce_kernelILb0ELi1024EiPKDF16_PKfKPfEviiT3_lPKT2_lT1_lS9_lSA_lS6_lPT4_lSA_li
		.amdhsa_group_segment_fixed_size 128
		.amdhsa_private_segment_fixed_size 0
		.amdhsa_kernarg_size 140
		.amdhsa_user_sgpr_count 6
		.amdhsa_user_sgpr_private_segment_buffer 1
		.amdhsa_user_sgpr_dispatch_ptr 0
		.amdhsa_user_sgpr_queue_ptr 0
		.amdhsa_user_sgpr_kernarg_segment_ptr 1
		.amdhsa_user_sgpr_dispatch_id 0
		.amdhsa_user_sgpr_flat_scratch_init 0
		.amdhsa_user_sgpr_private_segment_size 0
		.amdhsa_wavefront_size32 1
		.amdhsa_uses_dynamic_stack 0
		.amdhsa_system_sgpr_private_segment_wavefront_offset 0
		.amdhsa_system_sgpr_workgroup_id_x 1
		.amdhsa_system_sgpr_workgroup_id_y 0
		.amdhsa_system_sgpr_workgroup_id_z 1
		.amdhsa_system_sgpr_workgroup_info 0
		.amdhsa_system_vgpr_workitem_id 0
		.amdhsa_next_free_vgpr 11
		.amdhsa_next_free_sgpr 24
		.amdhsa_reserve_vcc 1
		.amdhsa_reserve_flat_scratch 0
		.amdhsa_float_round_mode_32 0
		.amdhsa_float_round_mode_16_64 0
		.amdhsa_float_denorm_mode_32 3
		.amdhsa_float_denorm_mode_16_64 3
		.amdhsa_dx10_clamp 1
		.amdhsa_ieee_mode 1
		.amdhsa_fp16_overflow 0
		.amdhsa_workgroup_processor_mode 1
		.amdhsa_memory_ordered 1
		.amdhsa_forward_progress 1
		.amdhsa_shared_vgpr_count 0
		.amdhsa_exception_fp_ieee_invalid_op 0
		.amdhsa_exception_fp_denorm_src 0
		.amdhsa_exception_fp_ieee_div_zero 0
		.amdhsa_exception_fp_ieee_overflow 0
		.amdhsa_exception_fp_ieee_underflow 0
		.amdhsa_exception_fp_ieee_inexact 0
		.amdhsa_exception_int_div_zero 0
	.end_amdhsa_kernel
	.section	.text._ZL32rocblas_gemvt_warp_reduce_kernelILb0ELi1024EiPKDF16_PKfKPfEviiT3_lPKT2_lT1_lS9_lSA_lS6_lPT4_lSA_li,"axG",@progbits,_ZL32rocblas_gemvt_warp_reduce_kernelILb0ELi1024EiPKDF16_PKfKPfEviiT3_lPKT2_lT1_lS9_lSA_lS6_lPT4_lSA_li,comdat
.Lfunc_end528:
	.size	_ZL32rocblas_gemvt_warp_reduce_kernelILb0ELi1024EiPKDF16_PKfKPfEviiT3_lPKT2_lT1_lS9_lSA_lS6_lPT4_lSA_li, .Lfunc_end528-_ZL32rocblas_gemvt_warp_reduce_kernelILb0ELi1024EiPKDF16_PKfKPfEviiT3_lPKT2_lT1_lS9_lSA_lS6_lPT4_lSA_li
                                        ; -- End function
	.set _ZL32rocblas_gemvt_warp_reduce_kernelILb0ELi1024EiPKDF16_PKfKPfEviiT3_lPKT2_lT1_lS9_lSA_lS6_lPT4_lSA_li.num_vgpr, 11
	.set _ZL32rocblas_gemvt_warp_reduce_kernelILb0ELi1024EiPKDF16_PKfKPfEviiT3_lPKT2_lT1_lS9_lSA_lS6_lPT4_lSA_li.num_agpr, 0
	.set _ZL32rocblas_gemvt_warp_reduce_kernelILb0ELi1024EiPKDF16_PKfKPfEviiT3_lPKT2_lT1_lS9_lSA_lS6_lPT4_lSA_li.numbered_sgpr, 24
	.set _ZL32rocblas_gemvt_warp_reduce_kernelILb0ELi1024EiPKDF16_PKfKPfEviiT3_lPKT2_lT1_lS9_lSA_lS6_lPT4_lSA_li.num_named_barrier, 0
	.set _ZL32rocblas_gemvt_warp_reduce_kernelILb0ELi1024EiPKDF16_PKfKPfEviiT3_lPKT2_lT1_lS9_lSA_lS6_lPT4_lSA_li.private_seg_size, 0
	.set _ZL32rocblas_gemvt_warp_reduce_kernelILb0ELi1024EiPKDF16_PKfKPfEviiT3_lPKT2_lT1_lS9_lSA_lS6_lPT4_lSA_li.uses_vcc, 1
	.set _ZL32rocblas_gemvt_warp_reduce_kernelILb0ELi1024EiPKDF16_PKfKPfEviiT3_lPKT2_lT1_lS9_lSA_lS6_lPT4_lSA_li.uses_flat_scratch, 0
	.set _ZL32rocblas_gemvt_warp_reduce_kernelILb0ELi1024EiPKDF16_PKfKPfEviiT3_lPKT2_lT1_lS9_lSA_lS6_lPT4_lSA_li.has_dyn_sized_stack, 0
	.set _ZL32rocblas_gemvt_warp_reduce_kernelILb0ELi1024EiPKDF16_PKfKPfEviiT3_lPKT2_lT1_lS9_lSA_lS6_lPT4_lSA_li.has_recursion, 0
	.set _ZL32rocblas_gemvt_warp_reduce_kernelILb0ELi1024EiPKDF16_PKfKPfEviiT3_lPKT2_lT1_lS9_lSA_lS6_lPT4_lSA_li.has_indirect_call, 0
	.section	.AMDGPU.csdata,"",@progbits
; Kernel info:
; codeLenInByte = 1408
; TotalNumSgprs: 26
; NumVgprs: 11
; ScratchSize: 0
; MemoryBound: 0
; FloatMode: 240
; IeeeMode: 1
; LDSByteSize: 128 bytes/workgroup (compile time only)
; SGPRBlocks: 0
; VGPRBlocks: 1
; NumSGPRsForWavesPerEU: 26
; NumVGPRsForWavesPerEU: 11
; Occupancy: 16
; WaveLimiterHint : 1
; COMPUTE_PGM_RSRC2:SCRATCH_EN: 0
; COMPUTE_PGM_RSRC2:USER_SGPR: 6
; COMPUTE_PGM_RSRC2:TRAP_HANDLER: 0
; COMPUTE_PGM_RSRC2:TGID_X_EN: 1
; COMPUTE_PGM_RSRC2:TGID_Y_EN: 0
; COMPUTE_PGM_RSRC2:TGID_Z_EN: 1
; COMPUTE_PGM_RSRC2:TIDIG_COMP_CNT: 0
	.section	.text._ZL32rocblas_gemvt_warp_reduce_kernelILb0ELi1024ElPKDF16_PKfKPfEviiT3_lPKT2_lT1_lS9_lSA_lS6_lPT4_lSA_li,"axG",@progbits,_ZL32rocblas_gemvt_warp_reduce_kernelILb0ELi1024ElPKDF16_PKfKPfEviiT3_lPKT2_lT1_lS9_lSA_lS6_lPT4_lSA_li,comdat
	.globl	_ZL32rocblas_gemvt_warp_reduce_kernelILb0ELi1024ElPKDF16_PKfKPfEviiT3_lPKT2_lT1_lS9_lSA_lS6_lPT4_lSA_li ; -- Begin function _ZL32rocblas_gemvt_warp_reduce_kernelILb0ELi1024ElPKDF16_PKfKPfEviiT3_lPKT2_lT1_lS9_lSA_lS6_lPT4_lSA_li
	.p2align	8
	.type	_ZL32rocblas_gemvt_warp_reduce_kernelILb0ELi1024ElPKDF16_PKfKPfEviiT3_lPKT2_lT1_lS9_lSA_lS6_lPT4_lSA_li,@function
_ZL32rocblas_gemvt_warp_reduce_kernelILb0ELi1024ElPKDF16_PKfKPfEviiT3_lPKT2_lT1_lS9_lSA_lS6_lPT4_lSA_li: ; @_ZL32rocblas_gemvt_warp_reduce_kernelILb0ELi1024ElPKDF16_PKfKPfEviiT3_lPKT2_lT1_lS9_lSA_lS6_lPT4_lSA_li
; %bb.0:
	s_clause 0x1
	s_load_dwordx8 s[16:23], s[4:5], 0x8
	s_load_dwordx8 s[8:15], s[4:5], 0x58
	s_mov_b32 s26, s7
	s_mov_b32 s27, 0
	s_waitcnt lgkmcnt(0)
	s_mul_i32 s1, s19, s7
	s_mul_hi_u32 s2, s18, s7
	s_mul_i32 s0, s18, s7
	s_add_i32 s1, s2, s1
	s_mul_i32 s2, s11, s7
	s_lshl_b64 s[0:1], s[0:1], 2
	s_mul_hi_u32 s3, s10, s7
	s_add_u32 s0, s16, s0
	s_addc_u32 s1, s17, s1
	s_add_i32 s3, s3, s2
	s_mul_i32 s2, s10, s7
	s_lshl_b64 s[2:3], s[2:3], 2
	s_add_u32 s2, s8, s2
	s_addc_u32 s3, s9, s3
	s_load_dword s28, s[0:1], 0x0
	s_load_dword s7, s[2:3], 0x0
	s_waitcnt lgkmcnt(0)
	v_cmp_eq_f32_e64 s29, s28, 0
	v_cmp_eq_f32_e64 s0, s7, 1.0
	s_and_b32 s0, s29, s0
	s_and_b32 vcc_lo, exec_lo, s0
	s_cbranch_vccnz .LBB529_33
; %bb.1:
	s_clause 0x1
	s_load_dwordx2 s[18:19], s[4:5], 0x28
	s_load_dwordx2 s[8:9], s[4:5], 0x78
	v_cmp_neq_f32_e64 s30, s28, 0
	s_mov_b64 s[10:11], 0
	s_and_b32 vcc_lo, exec_lo, s29
	s_mov_b64 s[24:25], 0
	s_cbranch_vccnz .LBB529_3
; %bb.2:
	s_lshl_b64 s[0:1], s[26:27], 3
	s_add_u32 s0, s20, s0
	s_addc_u32 s1, s21, s1
	s_lshl_b64 s[2:3], s[22:23], 1
	s_load_dwordx2 s[0:1], s[0:1], 0x0
	s_waitcnt lgkmcnt(0)
	s_add_u32 s24, s0, s2
	s_addc_u32 s25, s1, s3
.LBB529_3:
	s_clause 0x1
	s_load_dwordx4 s[0:3], s[4:5], 0x38
	s_load_dwordx2 s[16:17], s[4:5], 0x48
	s_andn2_b32 vcc_lo, exec_lo, s30
	s_cbranch_vccnz .LBB529_5
; %bb.4:
	s_lshl_b64 s[10:11], s[26:27], 3
	s_waitcnt lgkmcnt(0)
	s_add_u32 s0, s0, s10
	s_addc_u32 s1, s1, s11
	s_lshl_b64 s[2:3], s[2:3], 1
	s_load_dwordx2 s[0:1], s[0:1], 0x0
	s_waitcnt lgkmcnt(0)
	s_add_u32 s10, s0, s2
	s_addc_u32 s11, s1, s3
.LBB529_5:
	s_waitcnt lgkmcnt(0)
	s_lshl_b64 s[0:1], s[26:27], 3
	s_add_u32 s0, s12, s0
	s_addc_u32 s1, s13, s1
	s_lshl_b64 s[12:13], s[14:15], 2
	s_load_dwordx2 s[2:3], s[0:1], 0x0
	v_cmp_eq_u32_e64 s0, 0, v0
	s_waitcnt lgkmcnt(0)
	s_add_u32 s1, s2, s12
	s_addc_u32 s12, s3, s13
	s_andn2_b32 vcc_lo, exec_lo, s29
	s_cbranch_vccnz .LBB529_10
; %bb.6:
	s_mov_b32 s14, 0
	s_mov_b32 s13, 0
                                        ; implicit-def: $vgpr1
                                        ; implicit-def: $sgpr2_sgpr3
	s_and_saveexec_b32 s15, s0
	s_cbranch_execz .LBB529_11
; %bb.7:
	s_ashr_i32 s0, s6, 31
	v_cmp_eq_f32_e64 s13, s7, 0
	s_mul_hi_u32 s2, s8, s6
	s_mul_i32 s0, s8, s0
	v_mov_b32_e32 v1, 0
	s_add_i32 s0, s2, s0
	s_mul_i32 s2, s9, s6
	s_and_b32 vcc_lo, exec_lo, s13
	s_add_i32 s3, s0, s2
	s_mul_i32 s2, s8, s6
	s_cbranch_vccnz .LBB529_9
; %bb.8:
	s_lshl_b64 s[20:21], s[2:3], 2
	s_add_u32 s20, s1, s20
	s_addc_u32 s21, s12, s21
	v_mov_b32_e32 v1, s20
	v_mov_b32_e32 v2, s21
	flat_load_dword v1, v[1:2]
	s_waitcnt vmcnt(0) lgkmcnt(0)
	v_mul_f32_e32 v1, s7, v1
.LBB529_9:
	s_mov_b32 s13, exec_lo
	s_or_b32 exec_lo, exec_lo, s15
	s_and_b32 vcc_lo, exec_lo, s14
	s_cbranch_vccnz .LBB529_12
	s_branch .LBB529_31
.LBB529_10:
	s_mov_b32 s13, 0
                                        ; implicit-def: $vgpr1
                                        ; implicit-def: $sgpr2_sgpr3
	s_cbranch_execnz .LBB529_12
	s_branch .LBB529_31
.LBB529_11:
	s_or_b32 exec_lo, exec_lo, s15
	s_and_b32 vcc_lo, exec_lo, s14
	s_cbranch_vccz .LBB529_31
.LBB529_12:
	s_load_dword s3, s[4:5], 0x0
	s_ashr_i32 s14, s6, 31
	s_mul_hi_u32 s0, s18, s6
	s_mul_i32 s4, s18, s14
	s_mul_i32 s2, s19, s6
	s_add_i32 s0, s0, s4
	s_mul_i32 s4, s18, s6
	s_add_i32 s5, s0, s2
	v_mov_b32_e32 v7, 0
	s_lshl_b64 s[4:5], s[4:5], 1
	s_mov_b32 s18, 0
	s_mov_b32 s15, exec_lo
	s_waitcnt lgkmcnt(0)
	v_cmp_gt_i32_e32 vcc_lo, s3, v0
	s_ashr_i32 s0, s3, 31
	s_lshr_b32 s0, s0, 22
	s_add_i32 s0, s3, s0
	v_cndmask_b32_e32 v1, 0, v0, vcc_lo
	v_lshlrev_b32_e32 v1, 1, v1
	v_add_co_u32 v1, s2, s24, v1
	v_add_co_ci_u32_e64 v2, null, s25, 0, s2
	s_and_b32 s2, s0, 0xfffffc00
	v_add_co_u32 v1, vcc_lo, v1, s4
	v_add_co_ci_u32_e64 v2, null, s5, v2, vcc_lo
	v_cmpx_gt_i32_e64 s2, v0
	s_cbranch_execz .LBB529_16
; %bb.13:
	v_mad_u64_u32 v[3:4], null, s16, v0, 0
	v_mov_b32_e32 v7, 0
	v_mov_b32_e32 v8, v0
	s_lshl_b64 s[4:5], s[16:17], 11
	v_mad_u64_u32 v[4:5], null, s17, v0, v[4:5]
	v_lshlrev_b64 v[5:6], 1, v[3:4]
	v_mov_b32_e32 v4, v2
	v_mov_b32_e32 v3, v1
	v_add_co_u32 v5, vcc_lo, s10, v5
	v_add_co_ci_u32_e64 v6, null, s11, v6, vcc_lo
	.p2align	6
.LBB529_14:                             ; =>This Inner Loop Header: Depth=1
	flat_load_ushort v9, v[3:4]
	flat_load_ushort v10, v[5:6]
	v_add_nc_u32_e32 v8, 0x400, v8
	v_add_co_u32 v3, vcc_lo, 0x800, v3
	v_add_co_ci_u32_e64 v4, null, 0, v4, vcc_lo
	v_add_co_u32 v5, vcc_lo, v5, s4
	v_cmp_le_i32_e64 s0, s2, v8
	v_add_co_ci_u32_e64 v6, null, s5, v6, vcc_lo
	s_or_b32 s18, s0, s18
	s_waitcnt vmcnt(0) lgkmcnt(0)
	v_mul_f16_e32 v9, v9, v10
	v_cvt_f32_f16_e32 v9, v9
	v_add_f32_e32 v7, v7, v9
	s_andn2_b32 exec_lo, exec_lo, s18
	s_cbranch_execnz .LBB529_14
; %bb.15:
	s_or_b32 exec_lo, exec_lo, s18
.LBB529_16:
	s_or_b32 exec_lo, exec_lo, s15
	v_or_b32_e32 v3, s2, v0
	s_mov_b32 s0, exec_lo
	v_cmpx_gt_i32_e64 s3, v3
	s_cbranch_execz .LBB529_18
; %bb.17:
	v_ashrrev_i32_e32 v5, 31, v3
	v_mul_lo_u32 v6, s17, v3
	v_mad_u64_u32 v[3:4], null, s16, v3, 0
	s_ashr_i32 s3, s2, 31
	v_mul_lo_u32 v5, s16, v5
	s_lshl_b64 s[2:3], s[2:3], 1
	v_add_co_u32 v1, vcc_lo, v1, s2
	v_add_co_ci_u32_e64 v2, null, s3, v2, vcc_lo
	v_add3_u32 v4, v4, v5, v6
	v_lshlrev_b64 v[3:4], 1, v[3:4]
	v_add_co_u32 v3, vcc_lo, s10, v3
	v_add_co_ci_u32_e64 v4, null, s11, v4, vcc_lo
	flat_load_ushort v1, v[1:2]
	flat_load_ushort v2, v[3:4]
	s_waitcnt vmcnt(0) lgkmcnt(0)
	v_mul_f16_e32 v1, v1, v2
	v_cvt_f32_f16_e32 v1, v1
	v_add_f32_e32 v7, v7, v1
.LBB529_18:
	s_or_b32 exec_lo, exec_lo, s0
	v_and_b32_e32 v8, 31, v0
	v_cmp_gt_u32_e32 vcc_lo, 32, v0
	v_lshlrev_b32_e32 v1, 2, v8
	s_and_saveexec_b32 s0, vcc_lo
; %bb.19:
	v_mov_b32_e32 v2, 0
	ds_write_b32 v1, v2
; %bb.20:
	s_or_b32 exec_lo, exec_lo, s0
	v_mbcnt_lo_u32_b32 v6, -1, 0
	s_mov_b32 s2, exec_lo
	s_waitcnt lgkmcnt(0)
	s_barrier
	buffer_gl0_inv
	v_lshl_or_b32 v2, v6, 2, 64
	v_cmp_gt_u32_e64 s0, 24, v6
	ds_bpermute_b32 v4, v2, v7
	v_cndmask_b32_e64 v3, 0, 8, s0
	v_cmp_gt_u32_e64 s0, 28, v6
	v_add_lshl_u32 v3, v3, v6, 2
	s_waitcnt lgkmcnt(0)
	v_add_f32_e32 v5, v7, v4
	v_cndmask_b32_e64 v4, 0, 4, s0
	v_cmp_gt_u32_e64 s0, 30, v6
	ds_bpermute_b32 v7, v3, v5
	v_add_lshl_u32 v4, v4, v6, 2
	s_waitcnt lgkmcnt(0)
	v_add_f32_e32 v7, v5, v7
	v_cndmask_b32_e64 v5, 0, 2, s0
	v_cmp_ne_u32_e64 s0, 31, v6
	ds_bpermute_b32 v9, v4, v7
	v_add_lshl_u32 v5, v5, v6, 2
	v_add_co_ci_u32_e64 v6, null, 0, v6, s0
	v_lshlrev_b32_e32 v6, 2, v6
	s_waitcnt lgkmcnt(0)
	v_add_f32_e32 v7, v7, v9
	ds_bpermute_b32 v9, v5, v7
	s_waitcnt lgkmcnt(0)
	v_add_f32_e32 v7, v7, v9
	ds_bpermute_b32 v9, v6, v7
	v_cmpx_eq_u32_e32 0, v8
	s_cbranch_execz .LBB529_22
; %bb.21:
	v_lshrrev_b32_e32 v8, 3, v0
	s_waitcnt lgkmcnt(0)
	v_add_f32_e32 v7, v7, v9
	v_and_b32_e32 v8, 0x7c, v8
	ds_write_b32 v8, v7
.LBB529_22:
	s_or_b32 exec_lo, exec_lo, s2
	v_mov_b32_e32 v7, 0
	s_waitcnt lgkmcnt(0)
	s_barrier
	buffer_gl0_inv
	s_and_saveexec_b32 s0, vcc_lo
; %bb.23:
	ds_read_b32 v7, v1
; %bb.24:
	s_or_b32 exec_lo, exec_lo, s0
	s_and_saveexec_b32 s0, vcc_lo
	s_cbranch_execz .LBB529_26
; %bb.25:
	s_waitcnt lgkmcnt(0)
	ds_bpermute_b32 v1, v2, v7
	s_waitcnt lgkmcnt(0)
	v_add_f32_e32 v1, v7, v1
	ds_bpermute_b32 v2, v3, v1
	s_waitcnt lgkmcnt(0)
	v_add_f32_e32 v1, v1, v2
	;; [unrolled: 3-line block ×5, first 2 shown]
.LBB529_26:
	s_or_b32 exec_lo, exec_lo, s0
	s_mov_b32 s0, exec_lo
                                        ; implicit-def: $vgpr1
                                        ; implicit-def: $sgpr2_sgpr3
	v_cmpx_eq_u32_e32 0, v0
	s_cbranch_execz .LBB529_30
; %bb.27:
	v_cmp_eq_f32_e64 s4, s7, 0
	s_mul_i32 s2, s8, s14
	s_mul_hi_u32 s3, s8, s6
	s_waitcnt lgkmcnt(0)
	v_mul_f32_e32 v1, s28, v7
	s_add_i32 s2, s3, s2
	s_mul_i32 s3, s9, s6
	s_and_b32 vcc_lo, exec_lo, s4
	s_add_i32 s3, s2, s3
	s_mul_i32 s2, s8, s6
	s_cbranch_vccnz .LBB529_29
; %bb.28:
	s_lshl_b64 s[4:5], s[2:3], 2
	s_add_u32 s4, s1, s4
	s_addc_u32 s5, s12, s5
	v_mov_b32_e32 v2, s4
	v_mov_b32_e32 v3, s5
	flat_load_dword v0, v[2:3]
	s_waitcnt vmcnt(0) lgkmcnt(0)
	v_fmac_f32_e32 v1, s7, v0
.LBB529_29:
	s_or_b32 s13, s13, exec_lo
.LBB529_30:
	s_or_b32 exec_lo, exec_lo, s0
.LBB529_31:
	s_and_saveexec_b32 s0, s13
	s_cbranch_execz .LBB529_33
; %bb.32:
	s_lshl_b64 s[2:3], s[2:3], 2
	s_add_u32 s0, s1, s2
	s_addc_u32 s1, s12, s3
	v_mov_b32_e32 v3, s1
	v_mov_b32_e32 v2, s0
	flat_store_dword v[2:3], v1
.LBB529_33:
	s_endpgm
	.section	.rodata,"a",@progbits
	.p2align	6, 0x0
	.amdhsa_kernel _ZL32rocblas_gemvt_warp_reduce_kernelILb0ELi1024ElPKDF16_PKfKPfEviiT3_lPKT2_lT1_lS9_lSA_lS6_lPT4_lSA_li
		.amdhsa_group_segment_fixed_size 128
		.amdhsa_private_segment_fixed_size 0
		.amdhsa_kernarg_size 140
		.amdhsa_user_sgpr_count 6
		.amdhsa_user_sgpr_private_segment_buffer 1
		.amdhsa_user_sgpr_dispatch_ptr 0
		.amdhsa_user_sgpr_queue_ptr 0
		.amdhsa_user_sgpr_kernarg_segment_ptr 1
		.amdhsa_user_sgpr_dispatch_id 0
		.amdhsa_user_sgpr_flat_scratch_init 0
		.amdhsa_user_sgpr_private_segment_size 0
		.amdhsa_wavefront_size32 1
		.amdhsa_uses_dynamic_stack 0
		.amdhsa_system_sgpr_private_segment_wavefront_offset 0
		.amdhsa_system_sgpr_workgroup_id_x 1
		.amdhsa_system_sgpr_workgroup_id_y 0
		.amdhsa_system_sgpr_workgroup_id_z 1
		.amdhsa_system_sgpr_workgroup_info 0
		.amdhsa_system_vgpr_workitem_id 0
		.amdhsa_next_free_vgpr 11
		.amdhsa_next_free_sgpr 31
		.amdhsa_reserve_vcc 1
		.amdhsa_reserve_flat_scratch 0
		.amdhsa_float_round_mode_32 0
		.amdhsa_float_round_mode_16_64 0
		.amdhsa_float_denorm_mode_32 3
		.amdhsa_float_denorm_mode_16_64 3
		.amdhsa_dx10_clamp 1
		.amdhsa_ieee_mode 1
		.amdhsa_fp16_overflow 0
		.amdhsa_workgroup_processor_mode 1
		.amdhsa_memory_ordered 1
		.amdhsa_forward_progress 1
		.amdhsa_shared_vgpr_count 0
		.amdhsa_exception_fp_ieee_invalid_op 0
		.amdhsa_exception_fp_denorm_src 0
		.amdhsa_exception_fp_ieee_div_zero 0
		.amdhsa_exception_fp_ieee_overflow 0
		.amdhsa_exception_fp_ieee_underflow 0
		.amdhsa_exception_fp_ieee_inexact 0
		.amdhsa_exception_int_div_zero 0
	.end_amdhsa_kernel
	.section	.text._ZL32rocblas_gemvt_warp_reduce_kernelILb0ELi1024ElPKDF16_PKfKPfEviiT3_lPKT2_lT1_lS9_lSA_lS6_lPT4_lSA_li,"axG",@progbits,_ZL32rocblas_gemvt_warp_reduce_kernelILb0ELi1024ElPKDF16_PKfKPfEviiT3_lPKT2_lT1_lS9_lSA_lS6_lPT4_lSA_li,comdat
.Lfunc_end529:
	.size	_ZL32rocblas_gemvt_warp_reduce_kernelILb0ELi1024ElPKDF16_PKfKPfEviiT3_lPKT2_lT1_lS9_lSA_lS6_lPT4_lSA_li, .Lfunc_end529-_ZL32rocblas_gemvt_warp_reduce_kernelILb0ELi1024ElPKDF16_PKfKPfEviiT3_lPKT2_lT1_lS9_lSA_lS6_lPT4_lSA_li
                                        ; -- End function
	.set _ZL32rocblas_gemvt_warp_reduce_kernelILb0ELi1024ElPKDF16_PKfKPfEviiT3_lPKT2_lT1_lS9_lSA_lS6_lPT4_lSA_li.num_vgpr, 11
	.set _ZL32rocblas_gemvt_warp_reduce_kernelILb0ELi1024ElPKDF16_PKfKPfEviiT3_lPKT2_lT1_lS9_lSA_lS6_lPT4_lSA_li.num_agpr, 0
	.set _ZL32rocblas_gemvt_warp_reduce_kernelILb0ELi1024ElPKDF16_PKfKPfEviiT3_lPKT2_lT1_lS9_lSA_lS6_lPT4_lSA_li.numbered_sgpr, 31
	.set _ZL32rocblas_gemvt_warp_reduce_kernelILb0ELi1024ElPKDF16_PKfKPfEviiT3_lPKT2_lT1_lS9_lSA_lS6_lPT4_lSA_li.num_named_barrier, 0
	.set _ZL32rocblas_gemvt_warp_reduce_kernelILb0ELi1024ElPKDF16_PKfKPfEviiT3_lPKT2_lT1_lS9_lSA_lS6_lPT4_lSA_li.private_seg_size, 0
	.set _ZL32rocblas_gemvt_warp_reduce_kernelILb0ELi1024ElPKDF16_PKfKPfEviiT3_lPKT2_lT1_lS9_lSA_lS6_lPT4_lSA_li.uses_vcc, 1
	.set _ZL32rocblas_gemvt_warp_reduce_kernelILb0ELi1024ElPKDF16_PKfKPfEviiT3_lPKT2_lT1_lS9_lSA_lS6_lPT4_lSA_li.uses_flat_scratch, 0
	.set _ZL32rocblas_gemvt_warp_reduce_kernelILb0ELi1024ElPKDF16_PKfKPfEviiT3_lPKT2_lT1_lS9_lSA_lS6_lPT4_lSA_li.has_dyn_sized_stack, 0
	.set _ZL32rocblas_gemvt_warp_reduce_kernelILb0ELi1024ElPKDF16_PKfKPfEviiT3_lPKT2_lT1_lS9_lSA_lS6_lPT4_lSA_li.has_recursion, 0
	.set _ZL32rocblas_gemvt_warp_reduce_kernelILb0ELi1024ElPKDF16_PKfKPfEviiT3_lPKT2_lT1_lS9_lSA_lS6_lPT4_lSA_li.has_indirect_call, 0
	.section	.AMDGPU.csdata,"",@progbits
; Kernel info:
; codeLenInByte = 1496
; TotalNumSgprs: 33
; NumVgprs: 11
; ScratchSize: 0
; MemoryBound: 0
; FloatMode: 240
; IeeeMode: 1
; LDSByteSize: 128 bytes/workgroup (compile time only)
; SGPRBlocks: 0
; VGPRBlocks: 1
; NumSGPRsForWavesPerEU: 33
; NumVGPRsForWavesPerEU: 11
; Occupancy: 16
; WaveLimiterHint : 1
; COMPUTE_PGM_RSRC2:SCRATCH_EN: 0
; COMPUTE_PGM_RSRC2:USER_SGPR: 6
; COMPUTE_PGM_RSRC2:TRAP_HANDLER: 0
; COMPUTE_PGM_RSRC2:TGID_X_EN: 1
; COMPUTE_PGM_RSRC2:TGID_Y_EN: 0
; COMPUTE_PGM_RSRC2:TGID_Z_EN: 1
; COMPUTE_PGM_RSRC2:TIDIG_COMP_CNT: 0
	.section	.text._ZL32rocblas_gemvt_warp_reduce_kernelILb0ELi1024EiPKDF16_fKPfEviiT3_lPKT2_lT1_lS7_lS8_lS4_lPT4_lS8_li,"axG",@progbits,_ZL32rocblas_gemvt_warp_reduce_kernelILb0ELi1024EiPKDF16_fKPfEviiT3_lPKT2_lT1_lS7_lS8_lS4_lPT4_lS8_li,comdat
	.globl	_ZL32rocblas_gemvt_warp_reduce_kernelILb0ELi1024EiPKDF16_fKPfEviiT3_lPKT2_lT1_lS7_lS8_lS4_lPT4_lS8_li ; -- Begin function _ZL32rocblas_gemvt_warp_reduce_kernelILb0ELi1024EiPKDF16_fKPfEviiT3_lPKT2_lT1_lS7_lS8_lS4_lPT4_lS8_li
	.p2align	8
	.type	_ZL32rocblas_gemvt_warp_reduce_kernelILb0ELi1024EiPKDF16_fKPfEviiT3_lPKT2_lT1_lS7_lS8_lS4_lPT4_lS8_li,@function
_ZL32rocblas_gemvt_warp_reduce_kernelILb0ELi1024EiPKDF16_fKPfEviiT3_lPKT2_lT1_lS7_lS8_lS4_lPT4_lS8_li: ; @_ZL32rocblas_gemvt_warp_reduce_kernelILb0ELi1024EiPKDF16_fKPfEviiT3_lPKT2_lT1_lS7_lS8_lS4_lPT4_lS8_li
; %bb.0:
	s_mov_b32 s10, s7
	s_clause 0x1
	s_load_dword s12, s[4:5], 0x8
	s_load_dword s7, s[4:5], 0x58
	s_mov_b32 s11, 0
	s_waitcnt lgkmcnt(0)
	v_cmp_eq_f32_e64 s15, s12, 0
	v_cmp_eq_f32_e64 s0, s7, 1.0
	s_and_b32 s0, s15, s0
	s_and_b32 vcc_lo, exec_lo, s0
	s_cbranch_vccnz .LBB530_35
; %bb.1:
	v_cmp_neq_f32_e64 s13, s12, 0
	s_and_b32 vcc_lo, exec_lo, s13
	s_cbranch_vccnz .LBB530_3
; %bb.2:
	s_mov_b32 s1, 0
	s_mov_b32 s0, s10
	;; [unrolled: 1-line block ×3, first 2 shown]
	s_mov_b64 s[2:3], 0
	s_andn2_b32 vcc_lo, exec_lo, s8
	s_mov_b64 s[8:9], 0
	s_cbranch_vccz .LBB530_4
	s_branch .LBB530_5
.LBB530_3:
	s_mov_b64 s[0:1], s[10:11]
	s_mov_b64 s[2:3], 0
	;; [unrolled: 1-line block ×3, first 2 shown]
.LBB530_4:
	s_load_dwordx4 s[16:19], s[4:5], 0x18
	s_lshl_b64 s[8:9], s[10:11], 3
	s_waitcnt lgkmcnt(0)
	s_add_u32 s8, s16, s8
	s_addc_u32 s9, s17, s9
	s_lshl_b64 s[10:11], s[18:19], 1
	s_load_dwordx2 s[8:9], s[8:9], 0x0
	s_waitcnt lgkmcnt(0)
	s_add_u32 s8, s8, s10
	s_addc_u32 s9, s9, s11
.LBB530_5:
	s_andn2_b32 vcc_lo, exec_lo, s13
	s_cbranch_vccnz .LBB530_7
; %bb.6:
	s_load_dwordx4 s[16:19], s[4:5], 0x38
	s_lshl_b64 s[2:3], s[0:1], 3
	s_waitcnt lgkmcnt(0)
	s_add_u32 s2, s16, s2
	s_addc_u32 s3, s17, s3
	s_lshl_b64 s[10:11], s[18:19], 1
	s_load_dwordx2 s[2:3], s[2:3], 0x0
	s_waitcnt lgkmcnt(0)
	s_add_u32 s2, s2, s10
	s_addc_u32 s3, s3, s11
.LBB530_7:
	s_clause 0x1
	s_load_dwordx4 s[16:19], s[4:5], 0x68
	s_load_dword s14, s[4:5], 0x78
	s_lshl_b64 s[0:1], s[0:1], 3
	s_waitcnt lgkmcnt(0)
	s_add_u32 s0, s16, s0
	s_addc_u32 s1, s17, s1
	s_lshl_b64 s[16:17], s[18:19], 2
	s_load_dwordx2 s[10:11], s[0:1], 0x0
	v_cmp_eq_u32_e64 s0, 0, v0
	s_waitcnt lgkmcnt(0)
	s_add_u32 s1, s10, s16
	s_addc_u32 s13, s11, s17
	s_andn2_b32 vcc_lo, exec_lo, s15
	s_cbranch_vccnz .LBB530_12
; %bb.8:
	s_mov_b32 s16, 0
	s_mov_b32 s15, 0
                                        ; implicit-def: $vgpr1
                                        ; implicit-def: $sgpr10_sgpr11
	s_and_saveexec_b32 s17, s0
	s_cbranch_execz .LBB530_13
; %bb.9:
	v_cmp_eq_f32_e64 s0, s7, 0
	v_mov_b32_e32 v1, 0
	s_mul_i32 s10, s14, s6
	s_ashr_i32 s11, s10, 31
	s_and_b32 vcc_lo, exec_lo, s0
	s_cbranch_vccnz .LBB530_11
; %bb.10:
	s_lshl_b64 s[18:19], s[10:11], 2
	s_add_u32 s18, s1, s18
	s_addc_u32 s19, s13, s19
	v_mov_b32_e32 v1, s18
	v_mov_b32_e32 v2, s19
	flat_load_dword v1, v[1:2]
	s_waitcnt vmcnt(0) lgkmcnt(0)
	v_mul_f32_e32 v1, s7, v1
.LBB530_11:
	s_mov_b32 s15, exec_lo
	s_or_b32 exec_lo, exec_lo, s17
	s_and_b32 vcc_lo, exec_lo, s16
	s_cbranch_vccnz .LBB530_14
	s_branch .LBB530_33
.LBB530_12:
	s_mov_b32 s15, 0
                                        ; implicit-def: $vgpr1
                                        ; implicit-def: $sgpr10_sgpr11
	s_cbranch_execnz .LBB530_14
	s_branch .LBB530_33
.LBB530_13:
	s_or_b32 exec_lo, exec_lo, s17
	s_and_b32 vcc_lo, exec_lo, s16
	s_cbranch_vccz .LBB530_33
.LBB530_14:
	s_clause 0x2
	s_load_dword s10, s[4:5], 0x0
	s_load_dword s0, s[4:5], 0x28
	;; [unrolled: 1-line block ×3, first 2 shown]
	v_mov_b32_e32 v7, 0
	s_waitcnt lgkmcnt(0)
	v_cmp_gt_i32_e32 vcc_lo, s10, v0
	s_mul_i32 s16, s0, s6
	s_ashr_i32 s0, s10, 31
	s_ashr_i32 s17, s16, 31
	s_lshr_b32 s0, s0, 22
	v_cndmask_b32_e32 v1, 0, v0, vcc_lo
	s_lshl_b64 s[16:17], s[16:17], 1
	s_add_i32 s0, s10, s0
	v_lshlrev_b32_e32 v1, 1, v1
	v_add_co_u32 v1, s4, s8, v1
	v_add_co_ci_u32_e64 v2, null, s9, 0, s4
	s_and_b32 s4, s0, 0xfffffc00
	v_add_co_u32 v1, vcc_lo, v1, s16
	v_add_co_ci_u32_e64 v2, null, s17, v2, vcc_lo
	s_mov_b32 s9, 0
	s_mov_b32 s8, exec_lo
	v_cmpx_gt_i32_e64 s4, v0
	s_cbranch_execz .LBB530_18
; %bb.15:
	v_mul_lo_u32 v3, v0, s5
	v_mov_b32_e32 v6, v2
	v_mov_b32_e32 v7, 0
	;; [unrolled: 1-line block ×4, first 2 shown]
	s_lshl_b32 s11, s5, 10
	.p2align	6
.LBB530_16:                             ; =>This Inner Loop Header: Depth=1
	v_ashrrev_i32_e32 v4, 31, v3
	v_add_nc_u32_e32 v8, 0x400, v8
	v_lshlrev_b64 v[9:10], 1, v[3:4]
	v_cmp_le_i32_e64 s0, s4, v8
	v_add_nc_u32_e32 v3, s11, v3
	s_or_b32 s9, s0, s9
	v_add_co_u32 v9, vcc_lo, s2, v9
	v_add_co_ci_u32_e64 v10, null, s3, v10, vcc_lo
	flat_load_ushort v4, v[5:6]
	flat_load_ushort v9, v[9:10]
	v_add_co_u32 v5, vcc_lo, 0x800, v5
	v_add_co_ci_u32_e64 v6, null, 0, v6, vcc_lo
	s_waitcnt vmcnt(0) lgkmcnt(0)
	v_mul_f16_e32 v4, v4, v9
	v_cvt_f32_f16_e32 v4, v4
	v_add_f32_e32 v7, v7, v4
	s_andn2_b32 exec_lo, exec_lo, s9
	s_cbranch_execnz .LBB530_16
; %bb.17:
	s_or_b32 exec_lo, exec_lo, s9
.LBB530_18:
	s_or_b32 exec_lo, exec_lo, s8
	v_or_b32_e32 v3, s4, v0
	s_mov_b32 s0, exec_lo
	v_cmpx_gt_i32_e64 s10, v3
	s_cbranch_execz .LBB530_20
; %bb.19:
	v_mul_lo_u32 v3, s5, v3
	s_ashr_i32 s5, s4, 31
	s_lshl_b64 s[4:5], s[4:5], 1
	v_add_co_u32 v1, vcc_lo, v1, s4
	v_add_co_ci_u32_e64 v2, null, s5, v2, vcc_lo
	v_ashrrev_i32_e32 v4, 31, v3
	v_lshlrev_b64 v[3:4], 1, v[3:4]
	v_add_co_u32 v3, vcc_lo, s2, v3
	v_add_co_ci_u32_e64 v4, null, s3, v4, vcc_lo
	flat_load_ushort v1, v[1:2]
	flat_load_ushort v2, v[3:4]
	s_waitcnt vmcnt(0) lgkmcnt(0)
	v_mul_f16_e32 v1, v1, v2
	v_cvt_f32_f16_e32 v1, v1
	v_add_f32_e32 v7, v7, v1
.LBB530_20:
	s_or_b32 exec_lo, exec_lo, s0
	v_and_b32_e32 v8, 31, v0
	v_cmp_gt_u32_e32 vcc_lo, 32, v0
	v_lshlrev_b32_e32 v1, 2, v8
	s_and_saveexec_b32 s0, vcc_lo
; %bb.21:
	v_mov_b32_e32 v2, 0
	ds_write_b32 v1, v2
; %bb.22:
	s_or_b32 exec_lo, exec_lo, s0
	v_mbcnt_lo_u32_b32 v6, -1, 0
	s_mov_b32 s2, exec_lo
	s_waitcnt lgkmcnt(0)
	s_barrier
	buffer_gl0_inv
	v_lshl_or_b32 v2, v6, 2, 64
	v_cmp_gt_u32_e64 s0, 24, v6
	ds_bpermute_b32 v4, v2, v7
	v_cndmask_b32_e64 v3, 0, 8, s0
	v_cmp_gt_u32_e64 s0, 28, v6
	v_add_lshl_u32 v3, v3, v6, 2
	s_waitcnt lgkmcnt(0)
	v_add_f32_e32 v5, v7, v4
	v_cndmask_b32_e64 v4, 0, 4, s0
	v_cmp_gt_u32_e64 s0, 30, v6
	ds_bpermute_b32 v7, v3, v5
	v_add_lshl_u32 v4, v4, v6, 2
	s_waitcnt lgkmcnt(0)
	v_add_f32_e32 v7, v5, v7
	v_cndmask_b32_e64 v5, 0, 2, s0
	v_cmp_ne_u32_e64 s0, 31, v6
	ds_bpermute_b32 v9, v4, v7
	v_add_lshl_u32 v5, v5, v6, 2
	v_add_co_ci_u32_e64 v6, null, 0, v6, s0
	v_lshlrev_b32_e32 v6, 2, v6
	s_waitcnt lgkmcnt(0)
	v_add_f32_e32 v7, v7, v9
	ds_bpermute_b32 v9, v5, v7
	s_waitcnt lgkmcnt(0)
	v_add_f32_e32 v7, v7, v9
	ds_bpermute_b32 v9, v6, v7
	v_cmpx_eq_u32_e32 0, v8
	s_cbranch_execz .LBB530_24
; %bb.23:
	v_lshrrev_b32_e32 v8, 3, v0
	s_waitcnt lgkmcnt(0)
	v_add_f32_e32 v7, v7, v9
	v_and_b32_e32 v8, 0x7c, v8
	ds_write_b32 v8, v7
.LBB530_24:
	s_or_b32 exec_lo, exec_lo, s2
	v_mov_b32_e32 v7, 0
	s_waitcnt lgkmcnt(0)
	s_barrier
	buffer_gl0_inv
	s_and_saveexec_b32 s0, vcc_lo
; %bb.25:
	ds_read_b32 v7, v1
; %bb.26:
	s_or_b32 exec_lo, exec_lo, s0
	s_and_saveexec_b32 s0, vcc_lo
	s_cbranch_execz .LBB530_28
; %bb.27:
	s_waitcnt lgkmcnt(0)
	ds_bpermute_b32 v1, v2, v7
	s_waitcnt lgkmcnt(0)
	v_add_f32_e32 v1, v7, v1
	ds_bpermute_b32 v2, v3, v1
	s_waitcnt lgkmcnt(0)
	v_add_f32_e32 v1, v1, v2
	;; [unrolled: 3-line block ×5, first 2 shown]
.LBB530_28:
	s_or_b32 exec_lo, exec_lo, s0
	s_mov_b32 s0, exec_lo
                                        ; implicit-def: $vgpr1
                                        ; implicit-def: $sgpr10_sgpr11
	v_cmpx_eq_u32_e32 0, v0
	s_cbranch_execz .LBB530_32
; %bb.29:
	v_cmp_eq_f32_e64 s2, s7, 0
	s_waitcnt lgkmcnt(0)
	v_mul_f32_e32 v1, s12, v7
	s_mul_i32 s10, s14, s6
	s_ashr_i32 s11, s10, 31
	s_and_b32 vcc_lo, exec_lo, s2
	s_cbranch_vccnz .LBB530_31
; %bb.30:
	s_lshl_b64 s[2:3], s[10:11], 2
	s_add_u32 s2, s1, s2
	s_addc_u32 s3, s13, s3
	v_mov_b32_e32 v2, s2
	v_mov_b32_e32 v3, s3
	flat_load_dword v0, v[2:3]
	s_waitcnt vmcnt(0) lgkmcnt(0)
	v_fmac_f32_e32 v1, s7, v0
.LBB530_31:
	s_or_b32 s15, s15, exec_lo
.LBB530_32:
	s_or_b32 exec_lo, exec_lo, s0
.LBB530_33:
	s_and_saveexec_b32 s0, s15
	s_cbranch_execz .LBB530_35
; %bb.34:
	s_lshl_b64 s[2:3], s[10:11], 2
	s_add_u32 s0, s1, s2
	s_addc_u32 s1, s13, s3
	v_mov_b32_e32 v3, s1
	v_mov_b32_e32 v2, s0
	flat_store_dword v[2:3], v1
.LBB530_35:
	s_endpgm
	.section	.rodata,"a",@progbits
	.p2align	6, 0x0
	.amdhsa_kernel _ZL32rocblas_gemvt_warp_reduce_kernelILb0ELi1024EiPKDF16_fKPfEviiT3_lPKT2_lT1_lS7_lS8_lS4_lPT4_lS8_li
		.amdhsa_group_segment_fixed_size 128
		.amdhsa_private_segment_fixed_size 0
		.amdhsa_kernarg_size 140
		.amdhsa_user_sgpr_count 6
		.amdhsa_user_sgpr_private_segment_buffer 1
		.amdhsa_user_sgpr_dispatch_ptr 0
		.amdhsa_user_sgpr_queue_ptr 0
		.amdhsa_user_sgpr_kernarg_segment_ptr 1
		.amdhsa_user_sgpr_dispatch_id 0
		.amdhsa_user_sgpr_flat_scratch_init 0
		.amdhsa_user_sgpr_private_segment_size 0
		.amdhsa_wavefront_size32 1
		.amdhsa_uses_dynamic_stack 0
		.amdhsa_system_sgpr_private_segment_wavefront_offset 0
		.amdhsa_system_sgpr_workgroup_id_x 1
		.amdhsa_system_sgpr_workgroup_id_y 0
		.amdhsa_system_sgpr_workgroup_id_z 1
		.amdhsa_system_sgpr_workgroup_info 0
		.amdhsa_system_vgpr_workitem_id 0
		.amdhsa_next_free_vgpr 11
		.amdhsa_next_free_sgpr 20
		.amdhsa_reserve_vcc 1
		.amdhsa_reserve_flat_scratch 0
		.amdhsa_float_round_mode_32 0
		.amdhsa_float_round_mode_16_64 0
		.amdhsa_float_denorm_mode_32 3
		.amdhsa_float_denorm_mode_16_64 3
		.amdhsa_dx10_clamp 1
		.amdhsa_ieee_mode 1
		.amdhsa_fp16_overflow 0
		.amdhsa_workgroup_processor_mode 1
		.amdhsa_memory_ordered 1
		.amdhsa_forward_progress 1
		.amdhsa_shared_vgpr_count 0
		.amdhsa_exception_fp_ieee_invalid_op 0
		.amdhsa_exception_fp_denorm_src 0
		.amdhsa_exception_fp_ieee_div_zero 0
		.amdhsa_exception_fp_ieee_overflow 0
		.amdhsa_exception_fp_ieee_underflow 0
		.amdhsa_exception_fp_ieee_inexact 0
		.amdhsa_exception_int_div_zero 0
	.end_amdhsa_kernel
	.section	.text._ZL32rocblas_gemvt_warp_reduce_kernelILb0ELi1024EiPKDF16_fKPfEviiT3_lPKT2_lT1_lS7_lS8_lS4_lPT4_lS8_li,"axG",@progbits,_ZL32rocblas_gemvt_warp_reduce_kernelILb0ELi1024EiPKDF16_fKPfEviiT3_lPKT2_lT1_lS7_lS8_lS4_lPT4_lS8_li,comdat
.Lfunc_end530:
	.size	_ZL32rocblas_gemvt_warp_reduce_kernelILb0ELi1024EiPKDF16_fKPfEviiT3_lPKT2_lT1_lS7_lS8_lS4_lPT4_lS8_li, .Lfunc_end530-_ZL32rocblas_gemvt_warp_reduce_kernelILb0ELi1024EiPKDF16_fKPfEviiT3_lPKT2_lT1_lS7_lS8_lS4_lPT4_lS8_li
                                        ; -- End function
	.set _ZL32rocblas_gemvt_warp_reduce_kernelILb0ELi1024EiPKDF16_fKPfEviiT3_lPKT2_lT1_lS7_lS8_lS4_lPT4_lS8_li.num_vgpr, 11
	.set _ZL32rocblas_gemvt_warp_reduce_kernelILb0ELi1024EiPKDF16_fKPfEviiT3_lPKT2_lT1_lS7_lS8_lS4_lPT4_lS8_li.num_agpr, 0
	.set _ZL32rocblas_gemvt_warp_reduce_kernelILb0ELi1024EiPKDF16_fKPfEviiT3_lPKT2_lT1_lS7_lS8_lS4_lPT4_lS8_li.numbered_sgpr, 20
	.set _ZL32rocblas_gemvt_warp_reduce_kernelILb0ELi1024EiPKDF16_fKPfEviiT3_lPKT2_lT1_lS7_lS8_lS4_lPT4_lS8_li.num_named_barrier, 0
	.set _ZL32rocblas_gemvt_warp_reduce_kernelILb0ELi1024EiPKDF16_fKPfEviiT3_lPKT2_lT1_lS7_lS8_lS4_lPT4_lS8_li.private_seg_size, 0
	.set _ZL32rocblas_gemvt_warp_reduce_kernelILb0ELi1024EiPKDF16_fKPfEviiT3_lPKT2_lT1_lS7_lS8_lS4_lPT4_lS8_li.uses_vcc, 1
	.set _ZL32rocblas_gemvt_warp_reduce_kernelILb0ELi1024EiPKDF16_fKPfEviiT3_lPKT2_lT1_lS7_lS8_lS4_lPT4_lS8_li.uses_flat_scratch, 0
	.set _ZL32rocblas_gemvt_warp_reduce_kernelILb0ELi1024EiPKDF16_fKPfEviiT3_lPKT2_lT1_lS7_lS8_lS4_lPT4_lS8_li.has_dyn_sized_stack, 0
	.set _ZL32rocblas_gemvt_warp_reduce_kernelILb0ELi1024EiPKDF16_fKPfEviiT3_lPKT2_lT1_lS7_lS8_lS4_lPT4_lS8_li.has_recursion, 0
	.set _ZL32rocblas_gemvt_warp_reduce_kernelILb0ELi1024EiPKDF16_fKPfEviiT3_lPKT2_lT1_lS7_lS8_lS4_lPT4_lS8_li.has_indirect_call, 0
	.section	.AMDGPU.csdata,"",@progbits
; Kernel info:
; codeLenInByte = 1408
; TotalNumSgprs: 22
; NumVgprs: 11
; ScratchSize: 0
; MemoryBound: 0
; FloatMode: 240
; IeeeMode: 1
; LDSByteSize: 128 bytes/workgroup (compile time only)
; SGPRBlocks: 0
; VGPRBlocks: 1
; NumSGPRsForWavesPerEU: 22
; NumVGPRsForWavesPerEU: 11
; Occupancy: 16
; WaveLimiterHint : 1
; COMPUTE_PGM_RSRC2:SCRATCH_EN: 0
; COMPUTE_PGM_RSRC2:USER_SGPR: 6
; COMPUTE_PGM_RSRC2:TRAP_HANDLER: 0
; COMPUTE_PGM_RSRC2:TGID_X_EN: 1
; COMPUTE_PGM_RSRC2:TGID_Y_EN: 0
; COMPUTE_PGM_RSRC2:TGID_Z_EN: 1
; COMPUTE_PGM_RSRC2:TIDIG_COMP_CNT: 0
	.section	.text._ZL32rocblas_gemvt_warp_reduce_kernelILb0ELi1024ElPKDF16_fKPfEviiT3_lPKT2_lT1_lS7_lS8_lS4_lPT4_lS8_li,"axG",@progbits,_ZL32rocblas_gemvt_warp_reduce_kernelILb0ELi1024ElPKDF16_fKPfEviiT3_lPKT2_lT1_lS7_lS8_lS4_lPT4_lS8_li,comdat
	.globl	_ZL32rocblas_gemvt_warp_reduce_kernelILb0ELi1024ElPKDF16_fKPfEviiT3_lPKT2_lT1_lS7_lS8_lS4_lPT4_lS8_li ; -- Begin function _ZL32rocblas_gemvt_warp_reduce_kernelILb0ELi1024ElPKDF16_fKPfEviiT3_lPKT2_lT1_lS7_lS8_lS4_lPT4_lS8_li
	.p2align	8
	.type	_ZL32rocblas_gemvt_warp_reduce_kernelILb0ELi1024ElPKDF16_fKPfEviiT3_lPKT2_lT1_lS7_lS8_lS4_lPT4_lS8_li,@function
_ZL32rocblas_gemvt_warp_reduce_kernelILb0ELi1024ElPKDF16_fKPfEviiT3_lPKT2_lT1_lS7_lS8_lS4_lPT4_lS8_li: ; @_ZL32rocblas_gemvt_warp_reduce_kernelILb0ELi1024ElPKDF16_fKPfEviiT3_lPKT2_lT1_lS7_lS8_lS4_lPT4_lS8_li
; %bb.0:
	s_mov_b32 s10, s7
	s_clause 0x1
	s_load_dword s18, s[4:5], 0x8
	s_load_dword s7, s[4:5], 0x58
	s_mov_b32 s11, 0
	s_waitcnt lgkmcnt(0)
	v_cmp_eq_f32_e64 s20, s18, 0
	v_cmp_eq_f32_e64 s0, s7, 1.0
	s_and_b32 s0, s20, s0
	s_and_b32 vcc_lo, exec_lo, s0
	s_cbranch_vccnz .LBB531_35
; %bb.1:
	s_clause 0x1
	s_load_dwordx4 s[0:3], s[4:5], 0x18
	s_load_dwordx2 s[12:13], s[4:5], 0x28
	v_cmp_neq_f32_e64 s19, s18, 0
	s_and_b32 vcc_lo, exec_lo, s19
	s_cbranch_vccnz .LBB531_3
; %bb.2:
	s_mov_b32 s17, 0
	s_mov_b32 s16, s10
	;; [unrolled: 1-line block ×3, first 2 shown]
	s_mov_b64 s[8:9], 0
	s_andn2_b32 vcc_lo, exec_lo, s14
	s_mov_b64 s[14:15], 0
	s_cbranch_vccz .LBB531_4
	s_branch .LBB531_5
.LBB531_3:
	s_mov_b64 s[16:17], s[10:11]
	s_mov_b64 s[8:9], 0
	;; [unrolled: 1-line block ×3, first 2 shown]
.LBB531_4:
	s_lshl_b64 s[10:11], s[10:11], 3
	s_waitcnt lgkmcnt(0)
	s_add_u32 s0, s0, s10
	s_addc_u32 s1, s1, s11
	s_lshl_b64 s[2:3], s[2:3], 1
	s_load_dwordx2 s[0:1], s[0:1], 0x0
	s_waitcnt lgkmcnt(0)
	s_add_u32 s14, s0, s2
	s_addc_u32 s15, s1, s3
.LBB531_5:
	s_waitcnt lgkmcnt(0)
	s_clause 0x1
	s_load_dwordx4 s[0:3], s[4:5], 0x38
	s_load_dwordx2 s[10:11], s[4:5], 0x48
	s_andn2_b32 vcc_lo, exec_lo, s19
	s_cbranch_vccnz .LBB531_7
; %bb.6:
	s_lshl_b64 s[8:9], s[16:17], 3
	s_waitcnt lgkmcnt(0)
	s_add_u32 s0, s0, s8
	s_addc_u32 s1, s1, s9
	s_lshl_b64 s[2:3], s[2:3], 1
	s_load_dwordx2 s[0:1], s[0:1], 0x0
	s_waitcnt lgkmcnt(0)
	s_add_u32 s8, s0, s2
	s_addc_u32 s9, s1, s3
.LBB531_7:
	s_load_dwordx4 s[24:27], s[4:5], 0x68
	s_waitcnt lgkmcnt(0)
	s_load_dwordx2 s[2:3], s[4:5], 0x78
	s_lshl_b64 s[0:1], s[16:17], 3
	s_add_u32 s0, s24, s0
	s_addc_u32 s1, s25, s1
	s_lshl_b64 s[22:23], s[26:27], 2
	s_load_dwordx2 s[16:17], s[0:1], 0x0
	v_cmp_eq_u32_e64 s0, 0, v0
	s_waitcnt lgkmcnt(0)
	s_add_u32 s1, s16, s22
	s_addc_u32 s19, s17, s23
	s_andn2_b32 vcc_lo, exec_lo, s20
	s_cbranch_vccnz .LBB531_12
; %bb.8:
	s_mov_b32 s21, 0
	s_mov_b32 s20, 0
                                        ; implicit-def: $vgpr1
                                        ; implicit-def: $sgpr16_sgpr17
	s_and_saveexec_b32 s22, s0
	s_cbranch_execz .LBB531_13
; %bb.9:
	s_ashr_i32 s0, s6, 31
	v_cmp_eq_f32_e64 s20, s7, 0
	s_mul_hi_u32 s16, s2, s6
	s_mul_i32 s0, s2, s0
	v_mov_b32_e32 v1, 0
	s_add_i32 s0, s16, s0
	s_mul_i32 s16, s3, s6
	s_and_b32 vcc_lo, exec_lo, s20
	s_add_i32 s17, s0, s16
	s_mul_i32 s16, s2, s6
	s_cbranch_vccnz .LBB531_11
; %bb.10:
	s_lshl_b64 s[24:25], s[16:17], 2
	s_add_u32 s24, s1, s24
	s_addc_u32 s25, s19, s25
	v_mov_b32_e32 v1, s24
	v_mov_b32_e32 v2, s25
	flat_load_dword v1, v[1:2]
	s_waitcnt vmcnt(0) lgkmcnt(0)
	v_mul_f32_e32 v1, s7, v1
.LBB531_11:
	s_mov_b32 s20, exec_lo
	s_or_b32 exec_lo, exec_lo, s22
	s_and_b32 vcc_lo, exec_lo, s21
	s_cbranch_vccnz .LBB531_14
	s_branch .LBB531_33
.LBB531_12:
	s_mov_b32 s20, 0
                                        ; implicit-def: $vgpr1
                                        ; implicit-def: $sgpr16_sgpr17
	s_cbranch_execnz .LBB531_14
	s_branch .LBB531_33
.LBB531_13:
	s_or_b32 exec_lo, exec_lo, s22
	s_and_b32 vcc_lo, exec_lo, s21
	s_cbranch_vccz .LBB531_33
.LBB531_14:
	s_load_dword s5, s[4:5], 0x0
	s_ashr_i32 s21, s6, 31
	s_mul_hi_u32 s0, s12, s6
	s_mul_i32 s4, s13, s6
	s_mul_i32 s13, s12, s21
	;; [unrolled: 1-line block ×3, first 2 shown]
	s_add_i32 s0, s0, s13
	v_mov_b32_e32 v7, 0
	s_add_i32 s13, s0, s4
	s_lshl_b64 s[12:13], s[12:13], 1
	s_waitcnt lgkmcnt(0)
	v_cmp_gt_i32_e32 vcc_lo, s5, v0
	s_ashr_i32 s0, s5, 31
	s_lshr_b32 s0, s0, 22
	s_add_i32 s0, s5, s0
	v_cndmask_b32_e32 v1, 0, v0, vcc_lo
	v_lshlrev_b32_e32 v1, 1, v1
	v_add_co_u32 v1, s4, s14, v1
	v_add_co_ci_u32_e64 v2, null, s15, 0, s4
	s_and_b32 s4, s0, 0xfffffc00
	v_add_co_u32 v1, vcc_lo, v1, s12
	v_add_co_ci_u32_e64 v2, null, s13, v2, vcc_lo
	s_mov_b32 s15, 0
	s_mov_b32 s14, exec_lo
	v_cmpx_gt_i32_e64 s4, v0
	s_cbranch_execz .LBB531_18
; %bb.15:
	v_mad_u64_u32 v[3:4], null, s10, v0, 0
	v_mov_b32_e32 v7, 0
	v_mov_b32_e32 v8, v0
	s_lshl_b64 s[12:13], s[10:11], 11
	v_mad_u64_u32 v[4:5], null, s11, v0, v[4:5]
	v_lshlrev_b64 v[5:6], 1, v[3:4]
	v_mov_b32_e32 v4, v2
	v_mov_b32_e32 v3, v1
	v_add_co_u32 v5, vcc_lo, s8, v5
	v_add_co_ci_u32_e64 v6, null, s9, v6, vcc_lo
	.p2align	6
.LBB531_16:                             ; =>This Inner Loop Header: Depth=1
	flat_load_ushort v9, v[3:4]
	flat_load_ushort v10, v[5:6]
	v_add_nc_u32_e32 v8, 0x400, v8
	v_add_co_u32 v3, vcc_lo, 0x800, v3
	v_add_co_ci_u32_e64 v4, null, 0, v4, vcc_lo
	v_add_co_u32 v5, vcc_lo, v5, s12
	v_cmp_le_i32_e64 s0, s4, v8
	v_add_co_ci_u32_e64 v6, null, s13, v6, vcc_lo
	s_or_b32 s15, s0, s15
	s_waitcnt vmcnt(0) lgkmcnt(0)
	v_mul_f16_e32 v9, v9, v10
	v_cvt_f32_f16_e32 v9, v9
	v_add_f32_e32 v7, v7, v9
	s_andn2_b32 exec_lo, exec_lo, s15
	s_cbranch_execnz .LBB531_16
; %bb.17:
	s_or_b32 exec_lo, exec_lo, s15
.LBB531_18:
	s_or_b32 exec_lo, exec_lo, s14
	v_or_b32_e32 v3, s4, v0
	s_mov_b32 s0, exec_lo
	v_cmpx_gt_i32_e64 s5, v3
	s_cbranch_execz .LBB531_20
; %bb.19:
	v_ashrrev_i32_e32 v5, 31, v3
	v_mul_lo_u32 v6, s11, v3
	v_mad_u64_u32 v[3:4], null, s10, v3, 0
	s_ashr_i32 s5, s4, 31
	v_mul_lo_u32 v5, s10, v5
	s_lshl_b64 s[4:5], s[4:5], 1
	v_add_co_u32 v1, vcc_lo, v1, s4
	v_add_co_ci_u32_e64 v2, null, s5, v2, vcc_lo
	v_add3_u32 v4, v4, v5, v6
	v_lshlrev_b64 v[3:4], 1, v[3:4]
	v_add_co_u32 v3, vcc_lo, s8, v3
	v_add_co_ci_u32_e64 v4, null, s9, v4, vcc_lo
	flat_load_ushort v1, v[1:2]
	flat_load_ushort v2, v[3:4]
	s_waitcnt vmcnt(0) lgkmcnt(0)
	v_mul_f16_e32 v1, v1, v2
	v_cvt_f32_f16_e32 v1, v1
	v_add_f32_e32 v7, v7, v1
.LBB531_20:
	s_or_b32 exec_lo, exec_lo, s0
	v_and_b32_e32 v8, 31, v0
	v_cmp_gt_u32_e32 vcc_lo, 32, v0
	v_lshlrev_b32_e32 v1, 2, v8
	s_and_saveexec_b32 s0, vcc_lo
; %bb.21:
	v_mov_b32_e32 v2, 0
	ds_write_b32 v1, v2
; %bb.22:
	s_or_b32 exec_lo, exec_lo, s0
	v_mbcnt_lo_u32_b32 v6, -1, 0
	s_mov_b32 s4, exec_lo
	s_waitcnt lgkmcnt(0)
	s_barrier
	buffer_gl0_inv
	v_lshl_or_b32 v2, v6, 2, 64
	v_cmp_gt_u32_e64 s0, 24, v6
	ds_bpermute_b32 v4, v2, v7
	v_cndmask_b32_e64 v3, 0, 8, s0
	v_cmp_gt_u32_e64 s0, 28, v6
	v_add_lshl_u32 v3, v3, v6, 2
	s_waitcnt lgkmcnt(0)
	v_add_f32_e32 v5, v7, v4
	v_cndmask_b32_e64 v4, 0, 4, s0
	v_cmp_gt_u32_e64 s0, 30, v6
	ds_bpermute_b32 v7, v3, v5
	v_add_lshl_u32 v4, v4, v6, 2
	s_waitcnt lgkmcnt(0)
	v_add_f32_e32 v7, v5, v7
	v_cndmask_b32_e64 v5, 0, 2, s0
	v_cmp_ne_u32_e64 s0, 31, v6
	ds_bpermute_b32 v9, v4, v7
	v_add_lshl_u32 v5, v5, v6, 2
	v_add_co_ci_u32_e64 v6, null, 0, v6, s0
	v_lshlrev_b32_e32 v6, 2, v6
	s_waitcnt lgkmcnt(0)
	v_add_f32_e32 v7, v7, v9
	ds_bpermute_b32 v9, v5, v7
	s_waitcnt lgkmcnt(0)
	v_add_f32_e32 v7, v7, v9
	ds_bpermute_b32 v9, v6, v7
	v_cmpx_eq_u32_e32 0, v8
	s_cbranch_execz .LBB531_24
; %bb.23:
	v_lshrrev_b32_e32 v8, 3, v0
	s_waitcnt lgkmcnt(0)
	v_add_f32_e32 v7, v7, v9
	v_and_b32_e32 v8, 0x7c, v8
	ds_write_b32 v8, v7
.LBB531_24:
	s_or_b32 exec_lo, exec_lo, s4
	v_mov_b32_e32 v7, 0
	s_waitcnt lgkmcnt(0)
	s_barrier
	buffer_gl0_inv
	s_and_saveexec_b32 s0, vcc_lo
; %bb.25:
	ds_read_b32 v7, v1
; %bb.26:
	s_or_b32 exec_lo, exec_lo, s0
	s_and_saveexec_b32 s0, vcc_lo
	s_cbranch_execz .LBB531_28
; %bb.27:
	s_waitcnt lgkmcnt(0)
	ds_bpermute_b32 v1, v2, v7
	s_waitcnt lgkmcnt(0)
	v_add_f32_e32 v1, v7, v1
	ds_bpermute_b32 v2, v3, v1
	s_waitcnt lgkmcnt(0)
	v_add_f32_e32 v1, v1, v2
	;; [unrolled: 3-line block ×5, first 2 shown]
.LBB531_28:
	s_or_b32 exec_lo, exec_lo, s0
	s_mov_b32 s0, exec_lo
                                        ; implicit-def: $vgpr1
                                        ; implicit-def: $sgpr16_sgpr17
	v_cmpx_eq_u32_e32 0, v0
	s_cbranch_execz .LBB531_32
; %bb.29:
	v_cmp_eq_f32_e64 s8, s7, 0
	s_mul_i32 s4, s2, s21
	s_mul_hi_u32 s5, s2, s6
	s_waitcnt lgkmcnt(0)
	v_mul_f32_e32 v1, s18, v7
	s_add_i32 s4, s5, s4
	s_mul_i32 s3, s3, s6
	s_and_b32 vcc_lo, exec_lo, s8
	s_add_i32 s17, s4, s3
	s_mul_i32 s16, s2, s6
	s_cbranch_vccnz .LBB531_31
; %bb.30:
	s_lshl_b64 s[2:3], s[16:17], 2
	s_add_u32 s2, s1, s2
	s_addc_u32 s3, s19, s3
	v_mov_b32_e32 v2, s2
	v_mov_b32_e32 v3, s3
	flat_load_dword v0, v[2:3]
	s_waitcnt vmcnt(0) lgkmcnt(0)
	v_fmac_f32_e32 v1, s7, v0
.LBB531_31:
	s_or_b32 s20, s20, exec_lo
.LBB531_32:
	s_or_b32 exec_lo, exec_lo, s0
.LBB531_33:
	s_and_saveexec_b32 s0, s20
	s_cbranch_execz .LBB531_35
; %bb.34:
	s_lshl_b64 s[2:3], s[16:17], 2
	s_add_u32 s0, s1, s2
	s_addc_u32 s1, s19, s3
	v_mov_b32_e32 v3, s1
	v_mov_b32_e32 v2, s0
	flat_store_dword v[2:3], v1
.LBB531_35:
	s_endpgm
	.section	.rodata,"a",@progbits
	.p2align	6, 0x0
	.amdhsa_kernel _ZL32rocblas_gemvt_warp_reduce_kernelILb0ELi1024ElPKDF16_fKPfEviiT3_lPKT2_lT1_lS7_lS8_lS4_lPT4_lS8_li
		.amdhsa_group_segment_fixed_size 128
		.amdhsa_private_segment_fixed_size 0
		.amdhsa_kernarg_size 140
		.amdhsa_user_sgpr_count 6
		.amdhsa_user_sgpr_private_segment_buffer 1
		.amdhsa_user_sgpr_dispatch_ptr 0
		.amdhsa_user_sgpr_queue_ptr 0
		.amdhsa_user_sgpr_kernarg_segment_ptr 1
		.amdhsa_user_sgpr_dispatch_id 0
		.amdhsa_user_sgpr_flat_scratch_init 0
		.amdhsa_user_sgpr_private_segment_size 0
		.amdhsa_wavefront_size32 1
		.amdhsa_uses_dynamic_stack 0
		.amdhsa_system_sgpr_private_segment_wavefront_offset 0
		.amdhsa_system_sgpr_workgroup_id_x 1
		.amdhsa_system_sgpr_workgroup_id_y 0
		.amdhsa_system_sgpr_workgroup_id_z 1
		.amdhsa_system_sgpr_workgroup_info 0
		.amdhsa_system_vgpr_workitem_id 0
		.amdhsa_next_free_vgpr 11
		.amdhsa_next_free_sgpr 28
		.amdhsa_reserve_vcc 1
		.amdhsa_reserve_flat_scratch 0
		.amdhsa_float_round_mode_32 0
		.amdhsa_float_round_mode_16_64 0
		.amdhsa_float_denorm_mode_32 3
		.amdhsa_float_denorm_mode_16_64 3
		.amdhsa_dx10_clamp 1
		.amdhsa_ieee_mode 1
		.amdhsa_fp16_overflow 0
		.amdhsa_workgroup_processor_mode 1
		.amdhsa_memory_ordered 1
		.amdhsa_forward_progress 1
		.amdhsa_shared_vgpr_count 0
		.amdhsa_exception_fp_ieee_invalid_op 0
		.amdhsa_exception_fp_denorm_src 0
		.amdhsa_exception_fp_ieee_div_zero 0
		.amdhsa_exception_fp_ieee_overflow 0
		.amdhsa_exception_fp_ieee_underflow 0
		.amdhsa_exception_fp_ieee_inexact 0
		.amdhsa_exception_int_div_zero 0
	.end_amdhsa_kernel
	.section	.text._ZL32rocblas_gemvt_warp_reduce_kernelILb0ELi1024ElPKDF16_fKPfEviiT3_lPKT2_lT1_lS7_lS8_lS4_lPT4_lS8_li,"axG",@progbits,_ZL32rocblas_gemvt_warp_reduce_kernelILb0ELi1024ElPKDF16_fKPfEviiT3_lPKT2_lT1_lS7_lS8_lS4_lPT4_lS8_li,comdat
.Lfunc_end531:
	.size	_ZL32rocblas_gemvt_warp_reduce_kernelILb0ELi1024ElPKDF16_fKPfEviiT3_lPKT2_lT1_lS7_lS8_lS4_lPT4_lS8_li, .Lfunc_end531-_ZL32rocblas_gemvt_warp_reduce_kernelILb0ELi1024ElPKDF16_fKPfEviiT3_lPKT2_lT1_lS7_lS8_lS4_lPT4_lS8_li
                                        ; -- End function
	.set _ZL32rocblas_gemvt_warp_reduce_kernelILb0ELi1024ElPKDF16_fKPfEviiT3_lPKT2_lT1_lS7_lS8_lS4_lPT4_lS8_li.num_vgpr, 11
	.set _ZL32rocblas_gemvt_warp_reduce_kernelILb0ELi1024ElPKDF16_fKPfEviiT3_lPKT2_lT1_lS7_lS8_lS4_lPT4_lS8_li.num_agpr, 0
	.set _ZL32rocblas_gemvt_warp_reduce_kernelILb0ELi1024ElPKDF16_fKPfEviiT3_lPKT2_lT1_lS7_lS8_lS4_lPT4_lS8_li.numbered_sgpr, 28
	.set _ZL32rocblas_gemvt_warp_reduce_kernelILb0ELi1024ElPKDF16_fKPfEviiT3_lPKT2_lT1_lS7_lS8_lS4_lPT4_lS8_li.num_named_barrier, 0
	.set _ZL32rocblas_gemvt_warp_reduce_kernelILb0ELi1024ElPKDF16_fKPfEviiT3_lPKT2_lT1_lS7_lS8_lS4_lPT4_lS8_li.private_seg_size, 0
	.set _ZL32rocblas_gemvt_warp_reduce_kernelILb0ELi1024ElPKDF16_fKPfEviiT3_lPKT2_lT1_lS7_lS8_lS4_lPT4_lS8_li.uses_vcc, 1
	.set _ZL32rocblas_gemvt_warp_reduce_kernelILb0ELi1024ElPKDF16_fKPfEviiT3_lPKT2_lT1_lS7_lS8_lS4_lPT4_lS8_li.uses_flat_scratch, 0
	.set _ZL32rocblas_gemvt_warp_reduce_kernelILb0ELi1024ElPKDF16_fKPfEviiT3_lPKT2_lT1_lS7_lS8_lS4_lPT4_lS8_li.has_dyn_sized_stack, 0
	.set _ZL32rocblas_gemvt_warp_reduce_kernelILb0ELi1024ElPKDF16_fKPfEviiT3_lPKT2_lT1_lS7_lS8_lS4_lPT4_lS8_li.has_recursion, 0
	.set _ZL32rocblas_gemvt_warp_reduce_kernelILb0ELi1024ElPKDF16_fKPfEviiT3_lPKT2_lT1_lS7_lS8_lS4_lPT4_lS8_li.has_indirect_call, 0
	.section	.AMDGPU.csdata,"",@progbits
; Kernel info:
; codeLenInByte = 1496
; TotalNumSgprs: 30
; NumVgprs: 11
; ScratchSize: 0
; MemoryBound: 0
; FloatMode: 240
; IeeeMode: 1
; LDSByteSize: 128 bytes/workgroup (compile time only)
; SGPRBlocks: 0
; VGPRBlocks: 1
; NumSGPRsForWavesPerEU: 30
; NumVGPRsForWavesPerEU: 11
; Occupancy: 16
; WaveLimiterHint : 1
; COMPUTE_PGM_RSRC2:SCRATCH_EN: 0
; COMPUTE_PGM_RSRC2:USER_SGPR: 6
; COMPUTE_PGM_RSRC2:TRAP_HANDLER: 0
; COMPUTE_PGM_RSRC2:TGID_X_EN: 1
; COMPUTE_PGM_RSRC2:TGID_Y_EN: 0
; COMPUTE_PGM_RSRC2:TGID_Z_EN: 1
; COMPUTE_PGM_RSRC2:TIDIG_COMP_CNT: 0
	.section	.text._ZL22rocblas_gemvtsm_kernelILb1ELi256EPKDF16_PKfKPfEviiT2_lPKT1_lilS9_lilS6_lPT3_lil,"axG",@progbits,_ZL22rocblas_gemvtsm_kernelILb1ELi256EPKDF16_PKfKPfEviiT2_lPKT1_lilS9_lilS6_lPT3_lil,comdat
	.globl	_ZL22rocblas_gemvtsm_kernelILb1ELi256EPKDF16_PKfKPfEviiT2_lPKT1_lilS9_lilS6_lPT3_lil ; -- Begin function _ZL22rocblas_gemvtsm_kernelILb1ELi256EPKDF16_PKfKPfEviiT2_lPKT1_lilS9_lilS6_lPT3_lil
	.p2align	8
	.type	_ZL22rocblas_gemvtsm_kernelILb1ELi256EPKDF16_PKfKPfEviiT2_lPKT1_lilS9_lilS6_lPT3_lil,@function
_ZL22rocblas_gemvtsm_kernelILb1ELi256EPKDF16_PKfKPfEviiT2_lPKT1_lilS9_lilS6_lPT3_lil: ; @_ZL22rocblas_gemvtsm_kernelILb1ELi256EPKDF16_PKfKPfEviiT2_lPKT1_lilS9_lilS6_lPT3_lil
; %bb.0:
	s_clause 0x1
	s_load_dwordx8 s[16:23], s[4:5], 0x8
	s_load_dwordx8 s[8:15], s[4:5], 0x58
	s_mov_b32 s7, 0
	s_waitcnt lgkmcnt(0)
	s_mul_i32 s1, s19, s6
	s_mul_hi_u32 s2, s18, s6
	s_mul_i32 s0, s18, s6
	s_add_i32 s1, s2, s1
	s_mul_i32 s2, s11, s6
	s_lshl_b64 s[0:1], s[0:1], 2
	s_mul_hi_u32 s3, s10, s6
	s_add_u32 s0, s16, s0
	s_addc_u32 s1, s17, s1
	s_add_i32 s3, s3, s2
	s_mul_i32 s2, s10, s6
	s_lshl_b64 s[2:3], s[2:3], 2
	s_add_u32 s2, s8, s2
	s_addc_u32 s3, s9, s3
	s_load_dword s17, s[0:1], 0x0
	s_load_dword s16, s[2:3], 0x0
	s_waitcnt lgkmcnt(0)
	v_cmp_eq_f32_e64 s0, s17, 0
	v_cmp_eq_f32_e64 s1, s16, 1.0
	s_and_b32 s1, s0, s1
	s_and_b32 vcc_lo, exec_lo, s1
	s_cbranch_vccnz .LBB532_38
; %bb.1:
	v_cmp_neq_f32_e64 s1, s17, 0
	s_mov_b64 s[10:11], 0
	s_and_b32 vcc_lo, exec_lo, s0
	s_mov_b64 s[8:9], 0
	s_cbranch_vccnz .LBB532_3
; %bb.2:
	s_lshl_b64 s[2:3], s[6:7], 3
	s_add_u32 s2, s20, s2
	s_addc_u32 s3, s21, s3
	s_lshl_b64 s[8:9], s[22:23], 1
	s_load_dwordx2 s[2:3], s[2:3], 0x0
	s_waitcnt lgkmcnt(0)
	s_add_u32 s8, s2, s8
	s_addc_u32 s9, s3, s9
.LBB532_3:
	s_andn2_b32 vcc_lo, exec_lo, s1
	s_cbranch_vccnz .LBB532_5
; %bb.4:
	s_load_dwordx4 s[20:23], s[4:5], 0x38
	s_lshl_b64 s[2:3], s[6:7], 3
	s_waitcnt lgkmcnt(0)
	s_add_u32 s2, s20, s2
	s_addc_u32 s3, s21, s3
	s_lshl_b64 s[10:11], s[22:23], 1
	s_load_dwordx2 s[2:3], s[2:3], 0x0
	s_waitcnt lgkmcnt(0)
	s_add_u32 s10, s2, s10
	s_addc_u32 s11, s3, s11
.LBB532_5:
	s_lshl_b64 s[2:3], s[6:7], 3
	s_add_u32 s12, s12, s2
	s_addc_u32 s13, s13, s3
	s_clause 0x1
	s_load_dwordx2 s[2:3], s[4:5], 0x0
	s_load_dword s6, s[4:5], 0x78
	s_load_dwordx2 s[12:13], s[12:13], 0x0
	s_andn2_b32 vcc_lo, exec_lo, s0
	s_mov_b32 s0, -1
	s_cbranch_vccnz .LBB532_20
; %bb.6:
	s_waitcnt lgkmcnt(0)
	s_cmp_gt_i32 s3, 0
	v_cmp_neq_f32_e64 s0, s16, 0
	s_cselect_b32 s18, -1, 0
	v_cndmask_b32_e64 v1, 0, 1, s18
	s_and_b32 vcc_lo, exec_lo, s0
	v_cmp_ne_u32_e64 s0, 1, v1
	s_cbranch_vccnz .LBB532_13
; %bb.7:
	s_and_b32 vcc_lo, exec_lo, s0
	s_cbranch_vccnz .LBB532_12
; %bb.8:
	v_mad_i64_i32 v[1:2], null, s6, v0, 0
	s_lshl_b64 s[0:1], s[14:15], 2
	s_ashr_i32 s7, s6, 31
	s_add_u32 s0, s12, s0
	s_addc_u32 s1, s13, s1
	v_mov_b32_e32 v3, 0
	v_lshlrev_b64 v[1:2], 2, v[1:2]
	v_add_co_u32 v1, vcc_lo, s0, v1
	v_add_co_ci_u32_e64 v2, null, s1, v2, vcc_lo
	s_lshl_b64 s[0:1], s[6:7], 10
	s_mov_b32 s7, 0
	s_branch .LBB532_10
.LBB532_9:                              ;   in Loop: Header=BB532_10 Depth=1
	s_or_b32 exec_lo, exec_lo, s19
	v_add_co_u32 v1, vcc_lo, v1, s0
	v_add_co_ci_u32_e64 v2, null, s1, v2, vcc_lo
	s_addk_i32 s7, 0x100
	s_cmp_ge_i32 s7, s3
	s_cbranch_scc1 .LBB532_12
.LBB532_10:                             ; =>This Inner Loop Header: Depth=1
	v_add_nc_u32_e32 v4, s7, v0
	s_mov_b32 s19, exec_lo
	v_cmpx_gt_i32_e64 s3, v4
	s_cbranch_execz .LBB532_9
; %bb.11:                               ;   in Loop: Header=BB532_10 Depth=1
	flat_store_dword v[1:2], v3
	s_branch .LBB532_9
.LBB532_12:
	s_cbranch_execz .LBB532_14
	s_branch .LBB532_19
.LBB532_13:
.LBB532_14:
	s_andn2_b32 vcc_lo, exec_lo, s18
	s_cbranch_vccnz .LBB532_19
; %bb.15:
	v_mad_i64_i32 v[1:2], null, s6, v0, 0
	s_lshl_b64 s[0:1], s[14:15], 2
	s_ashr_i32 s7, s6, 31
	s_add_u32 s0, s12, s0
	s_addc_u32 s1, s13, s1
	v_lshlrev_b64 v[1:2], 2, v[1:2]
	v_add_co_u32 v1, vcc_lo, s0, v1
	v_add_co_ci_u32_e64 v2, null, s1, v2, vcc_lo
	s_lshl_b64 s[0:1], s[6:7], 10
	s_mov_b32 s7, 0
	s_branch .LBB532_17
	.p2align	6
.LBB532_16:                             ;   in Loop: Header=BB532_17 Depth=1
	s_or_b32 exec_lo, exec_lo, s18
	v_add_co_u32 v1, vcc_lo, v1, s0
	v_add_co_ci_u32_e64 v2, null, s1, v2, vcc_lo
	s_addk_i32 s7, 0x100
	s_cmp_ge_i32 s7, s3
	s_cbranch_scc1 .LBB532_19
.LBB532_17:                             ; =>This Inner Loop Header: Depth=1
	v_add_nc_u32_e32 v3, s7, v0
	s_mov_b32 s18, exec_lo
	v_cmpx_gt_i32_e64 s3, v3
	s_cbranch_execz .LBB532_16
; %bb.18:                               ;   in Loop: Header=BB532_17 Depth=1
	flat_load_dword v3, v[1:2]
	s_waitcnt vmcnt(0) lgkmcnt(0)
	v_mul_f32_e32 v3, s16, v3
	flat_store_dword v[1:2], v3
	s_branch .LBB532_16
.LBB532_19:
	s_mov_b32 s0, 0
.LBB532_20:
	s_andn2_b32 vcc_lo, exec_lo, s0
	s_cbranch_vccnz .LBB532_38
; %bb.21:
	s_mov_b32 s0, exec_lo
	s_waitcnt lgkmcnt(0)
	v_cmpx_gt_i32_e64 s2, v0
	s_cbranch_execz .LBB532_23
; %bb.22:
	s_load_dword s1, s[4:5], 0x48
	s_waitcnt lgkmcnt(0)
	v_mad_i64_i32 v[1:2], null, s1, v0, 0
	v_lshlrev_b64 v[1:2], 1, v[1:2]
	v_add_co_u32 v1, vcc_lo, s10, v1
	v_add_co_ci_u32_e64 v2, null, s11, v2, vcc_lo
	flat_load_ushort v1, v[1:2]
	v_lshlrev_b32_e32 v2, 2, v0
	s_waitcnt vmcnt(0) lgkmcnt(0)
	v_cvt_f32_f16_e32 v1, v1
	v_mul_f32_e32 v1, s17, v1
	ds_write_b32 v2, v1
.LBB532_23:
	s_or_b32 exec_lo, exec_lo, s0
	s_cmp_lt_i32 s3, 1
	s_waitcnt lgkmcnt(0)
	s_waitcnt_vscnt null, 0x0
	s_barrier
	buffer_gl0_inv
	s_cbranch_scc1 .LBB532_38
; %bb.24:
	s_load_dword s0, s[4:5], 0x28
	s_lshl_b64 s[4:5], s[14:15], 2
	v_cmp_neq_f32_e64 s10, s16, 0
	s_add_u32 s4, s12, s4
	s_addc_u32 s5, s13, s5
	s_ashr_i32 s7, s6, 31
	s_waitcnt lgkmcnt(0)
	v_mad_i64_i32 v[1:2], null, s0, v0, 0
	s_ashr_i32 s1, s0, 31
	s_cmp_gt_i32 s2, 0
	s_cselect_b32 s11, -1, 0
	s_and_b32 s12, s2, 7
	s_cmp_gt_u32 s2, 7
	v_lshlrev_b64 v[1:2], 1, v[1:2]
	s_cselect_b32 s13, -1, 0
	s_and_b32 s2, s2, 0x7ffffff8
	s_cmp_lg_u32 s12, 0
	v_add_co_u32 v1, vcc_lo, s8, v1
	v_add_co_ci_u32_e64 v2, null, s9, v2, vcc_lo
	s_cselect_b32 s8, -1, 0
	s_mov_b32 s9, 0
	s_lshl_b64 s[0:1], s[0:1], 9
	s_branch .LBB532_27
.LBB532_25:                             ;   in Loop: Header=BB532_27 Depth=1
	v_add_co_u32 v3, vcc_lo, s4, v3
	v_add_co_ci_u32_e64 v4, null, s5, v4, vcc_lo
	flat_store_dword v[3:4], v7
.LBB532_26:                             ;   in Loop: Header=BB532_27 Depth=1
	s_or_b32 exec_lo, exec_lo, s14
	v_add_co_u32 v1, vcc_lo, v1, s0
	v_add_co_ci_u32_e64 v2, null, s1, v2, vcc_lo
	s_addk_i32 s9, 0x100
	s_cmp_ge_i32 s9, s3
	s_cbranch_scc1 .LBB532_38
.LBB532_27:                             ; =>This Loop Header: Depth=1
                                        ;     Child Loop BB532_33 Depth 2
                                        ;     Child Loop BB532_37 Depth 2
	v_add_nc_u32_e32 v3, s9, v0
	s_mov_b32 s14, exec_lo
	v_cmpx_gt_i32_e64 s3, v3
	s_cbranch_execz .LBB532_26
; %bb.28:                               ;   in Loop: Header=BB532_27 Depth=1
	v_mad_u64_u32 v[4:5], null, v3, s6, 0
	s_andn2_b32 vcc_lo, exec_lo, s10
	v_mad_u64_u32 v[5:6], null, v3, s7, v[5:6]
	v_lshlrev_b64 v[3:4], 2, v[4:5]
	s_cbranch_vccnz .LBB532_30
; %bb.29:                               ;   in Loop: Header=BB532_27 Depth=1
	v_add_co_u32 v5, vcc_lo, s4, v3
	v_add_co_ci_u32_e64 v6, null, s5, v4, vcc_lo
	flat_load_dword v5, v[5:6]
	s_waitcnt vmcnt(0) lgkmcnt(0)
	v_mul_f32_e32 v7, s16, v5
	s_andn2_b32 vcc_lo, exec_lo, s11
	s_cbranch_vccz .LBB532_31
	s_branch .LBB532_25
.LBB532_30:                             ;   in Loop: Header=BB532_27 Depth=1
	v_mov_b32_e32 v7, 0
	s_andn2_b32 vcc_lo, exec_lo, s11
	s_cbranch_vccnz .LBB532_25
.LBB532_31:                             ;   in Loop: Header=BB532_27 Depth=1
	s_andn2_b32 vcc_lo, exec_lo, s13
	s_mov_b32 s15, 0
	s_cbranch_vccnz .LBB532_35
; %bb.32:                               ;   in Loop: Header=BB532_27 Depth=1
	v_mov_b32_e32 v6, v2
	v_mov_b32_e32 v5, v1
	s_mov_b32 s17, 0
	.p2align	6
.LBB532_33:                             ;   Parent Loop BB532_27 Depth=1
                                        ; =>  This Inner Loop Header: Depth=2
	flat_load_dwordx4 v[8:11], v[5:6]
	v_mov_b32_e32 v16, s15
	v_add_co_u32 v5, vcc_lo, v5, 16
	v_add_co_ci_u32_e64 v6, null, 0, v6, vcc_lo
	ds_read_b128 v[12:15], v16
	ds_read_b128 v[16:19], v16 offset:16
	s_add_i32 s17, s17, 8
	s_add_i32 s15, s15, 32
	s_cmp_eq_u32 s2, s17
	s_waitcnt vmcnt(0) lgkmcnt(1)
	v_fma_mix_f32 v7, v12, v8, v7 op_sel_hi:[0,1,0]
	v_fma_mix_f32 v7, v13, v8, v7 op_sel:[0,1,0] op_sel_hi:[0,1,0]
	v_fma_mix_f32 v7, v14, v9, v7 op_sel_hi:[0,1,0]
	v_fma_mix_f32 v7, v15, v9, v7 op_sel:[0,1,0] op_sel_hi:[0,1,0]
	s_waitcnt lgkmcnt(0)
	v_fma_mix_f32 v7, v16, v10, v7 op_sel_hi:[0,1,0]
	v_fma_mix_f32 v7, v17, v10, v7 op_sel:[0,1,0] op_sel_hi:[0,1,0]
	v_fma_mix_f32 v7, v18, v11, v7 op_sel_hi:[0,1,0]
	v_fma_mix_f32 v7, v19, v11, v7 op_sel:[0,1,0] op_sel_hi:[0,1,0]
	s_cbranch_scc0 .LBB532_33
; %bb.34:                               ;   in Loop: Header=BB532_27 Depth=1
	s_mov_b32 s15, s2
.LBB532_35:                             ;   in Loop: Header=BB532_27 Depth=1
	s_andn2_b32 vcc_lo, exec_lo, s8
	s_cbranch_vccnz .LBB532_25
; %bb.36:                               ;   in Loop: Header=BB532_27 Depth=1
	s_lshl_b32 s17, s15, 1
	s_lshl_b32 s15, s15, 2
	v_add_co_u32 v5, vcc_lo, v1, s17
	v_add_co_ci_u32_e64 v6, null, 0, v2, vcc_lo
	s_mov_b32 s17, s12
.LBB532_37:                             ;   Parent Loop BB532_27 Depth=1
                                        ; =>  This Inner Loop Header: Depth=2
	flat_load_ushort v8, v[5:6]
	v_mov_b32_e32 v9, s15
	v_add_co_u32 v5, vcc_lo, v5, 2
	v_add_co_ci_u32_e64 v6, null, 0, v6, vcc_lo
	ds_read_b32 v9, v9
	s_add_i32 s17, s17, -1
	s_add_i32 s15, s15, 4
	s_cmp_lg_u32 s17, 0
	s_waitcnt vmcnt(0) lgkmcnt(0)
	v_fma_mix_f32 v7, v9, v8, v7 op_sel_hi:[0,1,0]
	s_cbranch_scc1 .LBB532_37
	s_branch .LBB532_25
.LBB532_38:
	s_endpgm
	.section	.rodata,"a",@progbits
	.p2align	6, 0x0
	.amdhsa_kernel _ZL22rocblas_gemvtsm_kernelILb1ELi256EPKDF16_PKfKPfEviiT2_lPKT1_lilS9_lilS6_lPT3_lil
		.amdhsa_group_segment_fixed_size 256
		.amdhsa_private_segment_fixed_size 0
		.amdhsa_kernarg_size 136
		.amdhsa_user_sgpr_count 6
		.amdhsa_user_sgpr_private_segment_buffer 1
		.amdhsa_user_sgpr_dispatch_ptr 0
		.amdhsa_user_sgpr_queue_ptr 0
		.amdhsa_user_sgpr_kernarg_segment_ptr 1
		.amdhsa_user_sgpr_dispatch_id 0
		.amdhsa_user_sgpr_flat_scratch_init 0
		.amdhsa_user_sgpr_private_segment_size 0
		.amdhsa_wavefront_size32 1
		.amdhsa_uses_dynamic_stack 0
		.amdhsa_system_sgpr_private_segment_wavefront_offset 0
		.amdhsa_system_sgpr_workgroup_id_x 1
		.amdhsa_system_sgpr_workgroup_id_y 0
		.amdhsa_system_sgpr_workgroup_id_z 0
		.amdhsa_system_sgpr_workgroup_info 0
		.amdhsa_system_vgpr_workitem_id 0
		.amdhsa_next_free_vgpr 20
		.amdhsa_next_free_sgpr 24
		.amdhsa_reserve_vcc 1
		.amdhsa_reserve_flat_scratch 0
		.amdhsa_float_round_mode_32 0
		.amdhsa_float_round_mode_16_64 0
		.amdhsa_float_denorm_mode_32 3
		.amdhsa_float_denorm_mode_16_64 3
		.amdhsa_dx10_clamp 1
		.amdhsa_ieee_mode 1
		.amdhsa_fp16_overflow 0
		.amdhsa_workgroup_processor_mode 1
		.amdhsa_memory_ordered 1
		.amdhsa_forward_progress 1
		.amdhsa_shared_vgpr_count 0
		.amdhsa_exception_fp_ieee_invalid_op 0
		.amdhsa_exception_fp_denorm_src 0
		.amdhsa_exception_fp_ieee_div_zero 0
		.amdhsa_exception_fp_ieee_overflow 0
		.amdhsa_exception_fp_ieee_underflow 0
		.amdhsa_exception_fp_ieee_inexact 0
		.amdhsa_exception_int_div_zero 0
	.end_amdhsa_kernel
	.section	.text._ZL22rocblas_gemvtsm_kernelILb1ELi256EPKDF16_PKfKPfEviiT2_lPKT1_lilS9_lilS6_lPT3_lil,"axG",@progbits,_ZL22rocblas_gemvtsm_kernelILb1ELi256EPKDF16_PKfKPfEviiT2_lPKT1_lilS9_lilS6_lPT3_lil,comdat
.Lfunc_end532:
	.size	_ZL22rocblas_gemvtsm_kernelILb1ELi256EPKDF16_PKfKPfEviiT2_lPKT1_lilS9_lilS6_lPT3_lil, .Lfunc_end532-_ZL22rocblas_gemvtsm_kernelILb1ELi256EPKDF16_PKfKPfEviiT2_lPKT1_lilS9_lilS6_lPT3_lil
                                        ; -- End function
	.set _ZL22rocblas_gemvtsm_kernelILb1ELi256EPKDF16_PKfKPfEviiT2_lPKT1_lilS9_lilS6_lPT3_lil.num_vgpr, 20
	.set _ZL22rocblas_gemvtsm_kernelILb1ELi256EPKDF16_PKfKPfEviiT2_lPKT1_lilS9_lilS6_lPT3_lil.num_agpr, 0
	.set _ZL22rocblas_gemvtsm_kernelILb1ELi256EPKDF16_PKfKPfEviiT2_lPKT1_lilS9_lilS6_lPT3_lil.numbered_sgpr, 24
	.set _ZL22rocblas_gemvtsm_kernelILb1ELi256EPKDF16_PKfKPfEviiT2_lPKT1_lilS9_lilS6_lPT3_lil.num_named_barrier, 0
	.set _ZL22rocblas_gemvtsm_kernelILb1ELi256EPKDF16_PKfKPfEviiT2_lPKT1_lilS9_lilS6_lPT3_lil.private_seg_size, 0
	.set _ZL22rocblas_gemvtsm_kernelILb1ELi256EPKDF16_PKfKPfEviiT2_lPKT1_lilS9_lilS6_lPT3_lil.uses_vcc, 1
	.set _ZL22rocblas_gemvtsm_kernelILb1ELi256EPKDF16_PKfKPfEviiT2_lPKT1_lilS9_lilS6_lPT3_lil.uses_flat_scratch, 0
	.set _ZL22rocblas_gemvtsm_kernelILb1ELi256EPKDF16_PKfKPfEviiT2_lPKT1_lilS9_lilS6_lPT3_lil.has_dyn_sized_stack, 0
	.set _ZL22rocblas_gemvtsm_kernelILb1ELi256EPKDF16_PKfKPfEviiT2_lPKT1_lilS9_lilS6_lPT3_lil.has_recursion, 0
	.set _ZL22rocblas_gemvtsm_kernelILb1ELi256EPKDF16_PKfKPfEviiT2_lPKT1_lilS9_lilS6_lPT3_lil.has_indirect_call, 0
	.section	.AMDGPU.csdata,"",@progbits
; Kernel info:
; codeLenInByte = 1396
; TotalNumSgprs: 26
; NumVgprs: 20
; ScratchSize: 0
; MemoryBound: 0
; FloatMode: 240
; IeeeMode: 1
; LDSByteSize: 256 bytes/workgroup (compile time only)
; SGPRBlocks: 0
; VGPRBlocks: 2
; NumSGPRsForWavesPerEU: 26
; NumVGPRsForWavesPerEU: 20
; Occupancy: 16
; WaveLimiterHint : 1
; COMPUTE_PGM_RSRC2:SCRATCH_EN: 0
; COMPUTE_PGM_RSRC2:USER_SGPR: 6
; COMPUTE_PGM_RSRC2:TRAP_HANDLER: 0
; COMPUTE_PGM_RSRC2:TGID_X_EN: 1
; COMPUTE_PGM_RSRC2:TGID_Y_EN: 0
; COMPUTE_PGM_RSRC2:TGID_Z_EN: 0
; COMPUTE_PGM_RSRC2:TIDIG_COMP_CNT: 0
	.section	.text._ZL22rocblas_gemvtsm_kernelILb1ELi256EPKDF16_fKPfEviiT2_lPKT1_lilS7_lilS4_lPT3_lil,"axG",@progbits,_ZL22rocblas_gemvtsm_kernelILb1ELi256EPKDF16_fKPfEviiT2_lPKT1_lilS7_lilS4_lPT3_lil,comdat
	.globl	_ZL22rocblas_gemvtsm_kernelILb1ELi256EPKDF16_fKPfEviiT2_lPKT1_lilS7_lilS4_lPT3_lil ; -- Begin function _ZL22rocblas_gemvtsm_kernelILb1ELi256EPKDF16_fKPfEviiT2_lPKT1_lilS7_lilS4_lPT3_lil
	.p2align	8
	.type	_ZL22rocblas_gemvtsm_kernelILb1ELi256EPKDF16_fKPfEviiT2_lPKT1_lilS7_lilS4_lPT3_lil,@function
_ZL22rocblas_gemvtsm_kernelILb1ELi256EPKDF16_fKPfEviiT2_lPKT1_lilS7_lilS4_lPT3_lil: ; @_ZL22rocblas_gemvtsm_kernelILb1ELi256EPKDF16_fKPfEviiT2_lPKT1_lilS7_lilS4_lPT3_lil
; %bb.0:
	s_load_dwordx4 s[8:11], s[4:5], 0x0
	s_waitcnt lgkmcnt(0)
	s_load_dword s11, s[4:5], 0x58
	s_mov_b32 s7, 0
	v_cmp_eq_f32_e64 s18, s10, 0
	s_waitcnt lgkmcnt(0)
	v_cmp_eq_f32_e64 s0, s11, 1.0
	s_and_b32 s0, s18, s0
	s_and_b32 vcc_lo, exec_lo, s0
	s_cbranch_vccnz .LBB533_40
; %bb.1:
	v_cmp_neq_f32_e64 s0, s10, 0
	s_and_b32 vcc_lo, exec_lo, s0
	s_cbranch_vccnz .LBB533_3
; %bb.2:
	s_mov_b32 s17, 0
	s_mov_b32 s16, s6
	;; [unrolled: 1-line block ×3, first 2 shown]
	s_mov_b64 s[14:15], 0
	s_andn2_b32 vcc_lo, exec_lo, s1
	s_mov_b64 s[12:13], 0
	s_cbranch_vccz .LBB533_4
	s_branch .LBB533_5
.LBB533_3:
	s_mov_b64 s[16:17], s[6:7]
	s_mov_b64 s[14:15], 0
	;; [unrolled: 1-line block ×3, first 2 shown]
.LBB533_4:
	s_load_dwordx4 s[20:23], s[4:5], 0x18
	s_lshl_b64 s[2:3], s[6:7], 3
	s_waitcnt lgkmcnt(0)
	s_add_u32 s2, s20, s2
	s_addc_u32 s3, s21, s3
	s_lshl_b64 s[6:7], s[22:23], 1
	s_load_dwordx2 s[2:3], s[2:3], 0x0
	s_waitcnt lgkmcnt(0)
	s_add_u32 s12, s2, s6
	s_addc_u32 s13, s3, s7
.LBB533_5:
	s_andn2_b32 vcc_lo, exec_lo, s0
	s_cbranch_vccnz .LBB533_7
; %bb.6:
	s_load_dwordx4 s[0:3], s[4:5], 0x38
	s_lshl_b64 s[6:7], s[16:17], 3
	s_waitcnt lgkmcnt(0)
	s_add_u32 s0, s0, s6
	s_addc_u32 s1, s1, s7
	s_lshl_b64 s[2:3], s[2:3], 1
	s_load_dwordx2 s[0:1], s[0:1], 0x0
	s_waitcnt lgkmcnt(0)
	s_add_u32 s14, s0, s2
	s_addc_u32 s15, s1, s3
.LBB533_7:
	s_clause 0x1
	s_load_dwordx4 s[0:3], s[4:5], 0x68
	s_load_dword s6, s[4:5], 0x78
	s_lshl_b64 s[16:17], s[16:17], 3
	s_waitcnt lgkmcnt(0)
	s_add_u32 s0, s0, s16
	s_addc_u32 s1, s1, s17
	s_andn2_b32 vcc_lo, exec_lo, s18
	s_load_dwordx2 s[16:17], s[0:1], 0x0
	s_mov_b32 s0, -1
	s_cbranch_vccnz .LBB533_22
; %bb.8:
	s_cmp_gt_i32 s9, 0
	v_cmp_neq_f32_e64 s0, s11, 0
	s_cselect_b32 s18, -1, 0
	v_cndmask_b32_e64 v1, 0, 1, s18
	s_and_b32 vcc_lo, exec_lo, s0
	v_cmp_ne_u32_e64 s0, 1, v1
	s_cbranch_vccnz .LBB533_15
; %bb.9:
	s_and_b32 vcc_lo, exec_lo, s0
	s_cbranch_vccnz .LBB533_14
; %bb.10:
	v_mad_i64_i32 v[1:2], null, s6, v0, 0
	s_lshl_b64 s[0:1], s[2:3], 2
	s_ashr_i32 s7, s6, 31
	s_waitcnt lgkmcnt(0)
	s_add_u32 s0, s16, s0
	s_addc_u32 s1, s17, s1
	v_mov_b32_e32 v3, 0
	v_lshlrev_b64 v[1:2], 2, v[1:2]
	v_add_co_u32 v1, vcc_lo, s0, v1
	v_add_co_ci_u32_e64 v2, null, s1, v2, vcc_lo
	s_lshl_b64 s[0:1], s[6:7], 10
	s_mov_b32 s7, 0
	s_branch .LBB533_12
.LBB533_11:                             ;   in Loop: Header=BB533_12 Depth=1
	s_or_b32 exec_lo, exec_lo, s19
	v_add_co_u32 v1, vcc_lo, v1, s0
	v_add_co_ci_u32_e64 v2, null, s1, v2, vcc_lo
	s_addk_i32 s7, 0x100
	s_cmp_ge_i32 s7, s9
	s_cbranch_scc1 .LBB533_14
.LBB533_12:                             ; =>This Inner Loop Header: Depth=1
	v_add_nc_u32_e32 v4, s7, v0
	s_mov_b32 s19, exec_lo
	v_cmpx_gt_i32_e64 s9, v4
	s_cbranch_execz .LBB533_11
; %bb.13:                               ;   in Loop: Header=BB533_12 Depth=1
	flat_store_dword v[1:2], v3
	s_branch .LBB533_11
.LBB533_14:
	s_cbranch_execz .LBB533_16
	s_branch .LBB533_21
.LBB533_15:
.LBB533_16:
	s_andn2_b32 vcc_lo, exec_lo, s18
	s_cbranch_vccnz .LBB533_21
; %bb.17:
	v_mad_i64_i32 v[1:2], null, s6, v0, 0
	s_lshl_b64 s[0:1], s[2:3], 2
	s_ashr_i32 s7, s6, 31
	s_waitcnt lgkmcnt(0)
	s_add_u32 s0, s16, s0
	s_addc_u32 s1, s17, s1
	v_lshlrev_b64 v[1:2], 2, v[1:2]
	v_add_co_u32 v1, vcc_lo, s0, v1
	v_add_co_ci_u32_e64 v2, null, s1, v2, vcc_lo
	s_lshl_b64 s[0:1], s[6:7], 10
	s_mov_b32 s7, 0
	s_branch .LBB533_19
	.p2align	6
.LBB533_18:                             ;   in Loop: Header=BB533_19 Depth=1
	s_or_b32 exec_lo, exec_lo, s18
	v_add_co_u32 v1, vcc_lo, v1, s0
	v_add_co_ci_u32_e64 v2, null, s1, v2, vcc_lo
	s_addk_i32 s7, 0x100
	s_cmp_ge_i32 s7, s9
	s_cbranch_scc1 .LBB533_21
.LBB533_19:                             ; =>This Inner Loop Header: Depth=1
	v_add_nc_u32_e32 v3, s7, v0
	s_mov_b32 s18, exec_lo
	v_cmpx_gt_i32_e64 s9, v3
	s_cbranch_execz .LBB533_18
; %bb.20:                               ;   in Loop: Header=BB533_19 Depth=1
	flat_load_dword v3, v[1:2]
	s_waitcnt vmcnt(0) lgkmcnt(0)
	v_mul_f32_e32 v3, s11, v3
	flat_store_dword v[1:2], v3
	s_branch .LBB533_18
.LBB533_21:
	s_mov_b32 s0, 0
.LBB533_22:
	s_andn2_b32 vcc_lo, exec_lo, s0
	s_cbranch_vccnz .LBB533_40
; %bb.23:
	s_mov_b32 s0, exec_lo
	v_cmpx_gt_i32_e64 s8, v0
	s_cbranch_execz .LBB533_25
; %bb.24:
	s_load_dword s1, s[4:5], 0x48
	s_waitcnt lgkmcnt(0)
	v_mad_i64_i32 v[1:2], null, s1, v0, 0
	v_lshlrev_b64 v[1:2], 1, v[1:2]
	v_add_co_u32 v1, vcc_lo, s14, v1
	v_add_co_ci_u32_e64 v2, null, s15, v2, vcc_lo
	flat_load_ushort v1, v[1:2]
	v_lshlrev_b32_e32 v2, 2, v0
	s_waitcnt vmcnt(0) lgkmcnt(0)
	v_cvt_f32_f16_e32 v1, v1
	v_mul_f32_e32 v1, s10, v1
	ds_write_b32 v2, v1
.LBB533_25:
	s_or_b32 exec_lo, exec_lo, s0
	s_cmp_lt_i32 s9, 1
	s_waitcnt lgkmcnt(0)
	s_waitcnt_vscnt null, 0x0
	s_barrier
	buffer_gl0_inv
	s_cbranch_scc1 .LBB533_40
; %bb.26:
	s_load_dword s0, s[4:5], 0x28
	s_lshl_b64 s[2:3], s[2:3], 2
	v_cmp_neq_f32_e64 s5, s11, 0
	s_add_u32 s2, s16, s2
	s_addc_u32 s3, s17, s3
	s_ashr_i32 s4, s6, 31
	s_waitcnt lgkmcnt(0)
	v_mad_i64_i32 v[1:2], null, s0, v0, 0
	s_ashr_i32 s1, s0, 31
	s_cmp_gt_i32 s8, 0
	s_cselect_b32 s7, -1, 0
	s_and_b32 s10, s8, 7
	s_cmp_gt_u32 s8, 7
	v_lshlrev_b64 v[1:2], 1, v[1:2]
	s_cselect_b32 s14, -1, 0
	s_and_b32 s8, s8, 0x7ffffff8
	s_cmp_lg_u32 s10, 0
	v_add_co_u32 v1, vcc_lo, s12, v1
	v_add_co_ci_u32_e64 v2, null, s13, v2, vcc_lo
	s_cselect_b32 s12, -1, 0
	s_mov_b32 s13, 0
	s_lshl_b64 s[0:1], s[0:1], 9
	s_branch .LBB533_29
.LBB533_27:                             ;   in Loop: Header=BB533_29 Depth=1
	v_add_co_u32 v3, vcc_lo, s2, v3
	v_add_co_ci_u32_e64 v4, null, s3, v4, vcc_lo
	flat_store_dword v[3:4], v7
.LBB533_28:                             ;   in Loop: Header=BB533_29 Depth=1
	s_or_b32 exec_lo, exec_lo, s15
	v_add_co_u32 v1, vcc_lo, v1, s0
	v_add_co_ci_u32_e64 v2, null, s1, v2, vcc_lo
	s_addk_i32 s13, 0x100
	s_cmp_ge_i32 s13, s9
	s_cbranch_scc1 .LBB533_40
.LBB533_29:                             ; =>This Loop Header: Depth=1
                                        ;     Child Loop BB533_35 Depth 2
                                        ;     Child Loop BB533_39 Depth 2
	v_add_nc_u32_e32 v3, s13, v0
	s_mov_b32 s15, exec_lo
	v_cmpx_gt_i32_e64 s9, v3
	s_cbranch_execz .LBB533_28
; %bb.30:                               ;   in Loop: Header=BB533_29 Depth=1
	v_mad_u64_u32 v[4:5], null, v3, s6, 0
	s_andn2_b32 vcc_lo, exec_lo, s5
	v_mad_u64_u32 v[5:6], null, v3, s4, v[5:6]
	v_lshlrev_b64 v[3:4], 2, v[4:5]
	s_cbranch_vccnz .LBB533_32
; %bb.31:                               ;   in Loop: Header=BB533_29 Depth=1
	v_add_co_u32 v5, vcc_lo, s2, v3
	v_add_co_ci_u32_e64 v6, null, s3, v4, vcc_lo
	flat_load_dword v5, v[5:6]
	s_waitcnt vmcnt(0) lgkmcnt(0)
	v_mul_f32_e32 v7, s11, v5
	s_andn2_b32 vcc_lo, exec_lo, s7
	s_cbranch_vccz .LBB533_33
	s_branch .LBB533_27
.LBB533_32:                             ;   in Loop: Header=BB533_29 Depth=1
	v_mov_b32_e32 v7, 0
	s_andn2_b32 vcc_lo, exec_lo, s7
	s_cbranch_vccnz .LBB533_27
.LBB533_33:                             ;   in Loop: Header=BB533_29 Depth=1
	s_andn2_b32 vcc_lo, exec_lo, s14
	s_mov_b32 s16, 0
	s_cbranch_vccnz .LBB533_37
; %bb.34:                               ;   in Loop: Header=BB533_29 Depth=1
	v_mov_b32_e32 v6, v2
	v_mov_b32_e32 v5, v1
	s_mov_b32 s17, 0
	.p2align	6
.LBB533_35:                             ;   Parent Loop BB533_29 Depth=1
                                        ; =>  This Inner Loop Header: Depth=2
	flat_load_dwordx4 v[8:11], v[5:6]
	v_mov_b32_e32 v16, s16
	v_add_co_u32 v5, vcc_lo, v5, 16
	v_add_co_ci_u32_e64 v6, null, 0, v6, vcc_lo
	ds_read_b128 v[12:15], v16
	ds_read_b128 v[16:19], v16 offset:16
	s_add_i32 s17, s17, 8
	s_add_i32 s16, s16, 32
	s_cmp_eq_u32 s8, s17
	s_waitcnt vmcnt(0) lgkmcnt(1)
	v_fma_mix_f32 v7, v12, v8, v7 op_sel_hi:[0,1,0]
	v_fma_mix_f32 v7, v13, v8, v7 op_sel:[0,1,0] op_sel_hi:[0,1,0]
	v_fma_mix_f32 v7, v14, v9, v7 op_sel_hi:[0,1,0]
	v_fma_mix_f32 v7, v15, v9, v7 op_sel:[0,1,0] op_sel_hi:[0,1,0]
	s_waitcnt lgkmcnt(0)
	v_fma_mix_f32 v7, v16, v10, v7 op_sel_hi:[0,1,0]
	v_fma_mix_f32 v7, v17, v10, v7 op_sel:[0,1,0] op_sel_hi:[0,1,0]
	v_fma_mix_f32 v7, v18, v11, v7 op_sel_hi:[0,1,0]
	v_fma_mix_f32 v7, v19, v11, v7 op_sel:[0,1,0] op_sel_hi:[0,1,0]
	s_cbranch_scc0 .LBB533_35
; %bb.36:                               ;   in Loop: Header=BB533_29 Depth=1
	s_mov_b32 s16, s8
.LBB533_37:                             ;   in Loop: Header=BB533_29 Depth=1
	s_andn2_b32 vcc_lo, exec_lo, s12
	s_cbranch_vccnz .LBB533_27
; %bb.38:                               ;   in Loop: Header=BB533_29 Depth=1
	s_lshl_b32 s17, s16, 1
	s_lshl_b32 s16, s16, 2
	v_add_co_u32 v5, vcc_lo, v1, s17
	v_add_co_ci_u32_e64 v6, null, 0, v2, vcc_lo
	s_mov_b32 s17, s10
.LBB533_39:                             ;   Parent Loop BB533_29 Depth=1
                                        ; =>  This Inner Loop Header: Depth=2
	flat_load_ushort v8, v[5:6]
	v_mov_b32_e32 v9, s16
	v_add_co_u32 v5, vcc_lo, v5, 2
	v_add_co_ci_u32_e64 v6, null, 0, v6, vcc_lo
	ds_read_b32 v9, v9
	s_add_i32 s17, s17, -1
	s_add_i32 s16, s16, 4
	s_cmp_lg_u32 s17, 0
	s_waitcnt vmcnt(0) lgkmcnt(0)
	v_fma_mix_f32 v7, v9, v8, v7 op_sel_hi:[0,1,0]
	s_cbranch_scc1 .LBB533_39
	s_branch .LBB533_27
.LBB533_40:
	s_endpgm
	.section	.rodata,"a",@progbits
	.p2align	6, 0x0
	.amdhsa_kernel _ZL22rocblas_gemvtsm_kernelILb1ELi256EPKDF16_fKPfEviiT2_lPKT1_lilS7_lilS4_lPT3_lil
		.amdhsa_group_segment_fixed_size 256
		.amdhsa_private_segment_fixed_size 0
		.amdhsa_kernarg_size 136
		.amdhsa_user_sgpr_count 6
		.amdhsa_user_sgpr_private_segment_buffer 1
		.amdhsa_user_sgpr_dispatch_ptr 0
		.amdhsa_user_sgpr_queue_ptr 0
		.amdhsa_user_sgpr_kernarg_segment_ptr 1
		.amdhsa_user_sgpr_dispatch_id 0
		.amdhsa_user_sgpr_flat_scratch_init 0
		.amdhsa_user_sgpr_private_segment_size 0
		.amdhsa_wavefront_size32 1
		.amdhsa_uses_dynamic_stack 0
		.amdhsa_system_sgpr_private_segment_wavefront_offset 0
		.amdhsa_system_sgpr_workgroup_id_x 1
		.amdhsa_system_sgpr_workgroup_id_y 0
		.amdhsa_system_sgpr_workgroup_id_z 0
		.amdhsa_system_sgpr_workgroup_info 0
		.amdhsa_system_vgpr_workitem_id 0
		.amdhsa_next_free_vgpr 20
		.amdhsa_next_free_sgpr 24
		.amdhsa_reserve_vcc 1
		.amdhsa_reserve_flat_scratch 0
		.amdhsa_float_round_mode_32 0
		.amdhsa_float_round_mode_16_64 0
		.amdhsa_float_denorm_mode_32 3
		.amdhsa_float_denorm_mode_16_64 3
		.amdhsa_dx10_clamp 1
		.amdhsa_ieee_mode 1
		.amdhsa_fp16_overflow 0
		.amdhsa_workgroup_processor_mode 1
		.amdhsa_memory_ordered 1
		.amdhsa_forward_progress 1
		.amdhsa_shared_vgpr_count 0
		.amdhsa_exception_fp_ieee_invalid_op 0
		.amdhsa_exception_fp_denorm_src 0
		.amdhsa_exception_fp_ieee_div_zero 0
		.amdhsa_exception_fp_ieee_overflow 0
		.amdhsa_exception_fp_ieee_underflow 0
		.amdhsa_exception_fp_ieee_inexact 0
		.amdhsa_exception_int_div_zero 0
	.end_amdhsa_kernel
	.section	.text._ZL22rocblas_gemvtsm_kernelILb1ELi256EPKDF16_fKPfEviiT2_lPKT1_lilS7_lilS4_lPT3_lil,"axG",@progbits,_ZL22rocblas_gemvtsm_kernelILb1ELi256EPKDF16_fKPfEviiT2_lPKT1_lilS7_lilS4_lPT3_lil,comdat
.Lfunc_end533:
	.size	_ZL22rocblas_gemvtsm_kernelILb1ELi256EPKDF16_fKPfEviiT2_lPKT1_lilS7_lilS4_lPT3_lil, .Lfunc_end533-_ZL22rocblas_gemvtsm_kernelILb1ELi256EPKDF16_fKPfEviiT2_lPKT1_lilS7_lilS4_lPT3_lil
                                        ; -- End function
	.set _ZL22rocblas_gemvtsm_kernelILb1ELi256EPKDF16_fKPfEviiT2_lPKT1_lilS7_lilS4_lPT3_lil.num_vgpr, 20
	.set _ZL22rocblas_gemvtsm_kernelILb1ELi256EPKDF16_fKPfEviiT2_lPKT1_lilS7_lilS4_lPT3_lil.num_agpr, 0
	.set _ZL22rocblas_gemvtsm_kernelILb1ELi256EPKDF16_fKPfEviiT2_lPKT1_lilS7_lilS4_lPT3_lil.numbered_sgpr, 24
	.set _ZL22rocblas_gemvtsm_kernelILb1ELi256EPKDF16_fKPfEviiT2_lPKT1_lilS7_lilS4_lPT3_lil.num_named_barrier, 0
	.set _ZL22rocblas_gemvtsm_kernelILb1ELi256EPKDF16_fKPfEviiT2_lPKT1_lilS7_lilS4_lPT3_lil.private_seg_size, 0
	.set _ZL22rocblas_gemvtsm_kernelILb1ELi256EPKDF16_fKPfEviiT2_lPKT1_lilS7_lilS4_lPT3_lil.uses_vcc, 1
	.set _ZL22rocblas_gemvtsm_kernelILb1ELi256EPKDF16_fKPfEviiT2_lPKT1_lilS7_lilS4_lPT3_lil.uses_flat_scratch, 0
	.set _ZL22rocblas_gemvtsm_kernelILb1ELi256EPKDF16_fKPfEviiT2_lPKT1_lilS7_lilS4_lPT3_lil.has_dyn_sized_stack, 0
	.set _ZL22rocblas_gemvtsm_kernelILb1ELi256EPKDF16_fKPfEviiT2_lPKT1_lilS7_lilS4_lPT3_lil.has_recursion, 0
	.set _ZL22rocblas_gemvtsm_kernelILb1ELi256EPKDF16_fKPfEviiT2_lPKT1_lilS7_lilS4_lPT3_lil.has_indirect_call, 0
	.section	.AMDGPU.csdata,"",@progbits
; Kernel info:
; codeLenInByte = 1396
; TotalNumSgprs: 26
; NumVgprs: 20
; ScratchSize: 0
; MemoryBound: 0
; FloatMode: 240
; IeeeMode: 1
; LDSByteSize: 256 bytes/workgroup (compile time only)
; SGPRBlocks: 0
; VGPRBlocks: 2
; NumSGPRsForWavesPerEU: 26
; NumVGPRsForWavesPerEU: 20
; Occupancy: 16
; WaveLimiterHint : 1
; COMPUTE_PGM_RSRC2:SCRATCH_EN: 0
; COMPUTE_PGM_RSRC2:USER_SGPR: 6
; COMPUTE_PGM_RSRC2:TRAP_HANDLER: 0
; COMPUTE_PGM_RSRC2:TGID_X_EN: 1
; COMPUTE_PGM_RSRC2:TGID_Y_EN: 0
; COMPUTE_PGM_RSRC2:TGID_Z_EN: 0
; COMPUTE_PGM_RSRC2:TIDIG_COMP_CNT: 0
	.section	.text._ZL20rocblas_gemvt_kernelILb1ELi256EPKDF16_PKfKPfEviiT2_lPKT1_lilS9_lilS6_lPT3_lili,"axG",@progbits,_ZL20rocblas_gemvt_kernelILb1ELi256EPKDF16_PKfKPfEviiT2_lPKT1_lilS9_lilS6_lPT3_lili,comdat
	.globl	_ZL20rocblas_gemvt_kernelILb1ELi256EPKDF16_PKfKPfEviiT2_lPKT1_lilS9_lilS6_lPT3_lili ; -- Begin function _ZL20rocblas_gemvt_kernelILb1ELi256EPKDF16_PKfKPfEviiT2_lPKT1_lilS9_lilS6_lPT3_lili
	.p2align	8
	.type	_ZL20rocblas_gemvt_kernelILb1ELi256EPKDF16_PKfKPfEviiT2_lPKT1_lilS9_lilS6_lPT3_lili,@function
_ZL20rocblas_gemvt_kernelILb1ELi256EPKDF16_PKfKPfEviiT2_lPKT1_lilS9_lilS6_lPT3_lili: ; @_ZL20rocblas_gemvt_kernelILb1ELi256EPKDF16_PKfKPfEviiT2_lPKT1_lilS9_lilS6_lPT3_lili
; %bb.0:
	s_clause 0x1
	s_load_dwordx8 s[16:23], s[4:5], 0x8
	s_load_dwordx8 s[8:15], s[4:5], 0x58
	s_mov_b32 s0, s7
	s_waitcnt lgkmcnt(0)
	s_mul_i32 s1, s19, s7
	s_mul_hi_u32 s3, s18, s7
	s_mul_i32 s2, s18, s7
	s_add_i32 s3, s3, s1
	s_mul_i32 s1, s11, s7
	s_lshl_b64 s[2:3], s[2:3], 2
	s_mul_hi_u32 s7, s10, s7
	s_add_u32 s2, s16, s2
	s_addc_u32 s3, s17, s3
	s_add_i32 s11, s7, s1
	s_mul_i32 s10, s10, s0
	s_lshl_b64 s[10:11], s[10:11], 2
	s_add_u32 s8, s8, s10
	s_addc_u32 s9, s9, s11
	s_load_dword s16, s[2:3], 0x0
	s_load_dword s7, s[8:9], 0x0
	s_waitcnt lgkmcnt(0)
	v_cmp_eq_f32_e64 s10, s16, 0
	v_cmp_eq_f32_e64 s1, s7, 1.0
	s_and_b32 s1, s10, s1
	s_and_b32 vcc_lo, exec_lo, s1
	s_mov_b32 s1, 0
	s_cbranch_vccnz .LBB534_40
; %bb.1:
	v_cmp_neq_f32_e64 s11, s16, 0
	s_mov_b64 s[2:3], 0
	s_and_b32 vcc_lo, exec_lo, s10
	s_mov_b64 s[8:9], 0
	s_cbranch_vccnz .LBB534_3
; %bb.2:
	s_lshl_b64 s[8:9], s[0:1], 3
	s_add_u32 s8, s20, s8
	s_addc_u32 s9, s21, s9
	s_lshl_b64 s[18:19], s[22:23], 1
	s_load_dwordx2 s[8:9], s[8:9], 0x0
	s_waitcnt lgkmcnt(0)
	s_add_u32 s8, s8, s18
	s_addc_u32 s9, s9, s19
.LBB534_3:
	s_andn2_b32 vcc_lo, exec_lo, s11
	s_cbranch_vccnz .LBB534_5
; %bb.4:
	s_load_dwordx4 s[20:23], s[4:5], 0x38
	s_lshl_b64 s[2:3], s[0:1], 3
	s_waitcnt lgkmcnt(0)
	s_add_u32 s2, s20, s2
	s_addc_u32 s3, s21, s3
	s_lshl_b64 s[18:19], s[22:23], 1
	s_load_dwordx2 s[2:3], s[2:3], 0x0
	s_waitcnt lgkmcnt(0)
	s_add_u32 s2, s2, s18
	s_addc_u32 s3, s3, s19
.LBB534_5:
	s_lshl_b64 s[0:1], s[0:1], 3
	s_add_u32 s0, s12, s0
	s_addc_u32 s1, s13, s1
	s_lshl_b64 s[14:15], s[14:15], 2
	s_load_dwordx2 s[12:13], s[0:1], 0x0
	s_load_dword s17, s[4:5], 0x78
	v_cmp_eq_u32_e64 s0, 0, v0
	s_waitcnt lgkmcnt(0)
	s_add_u32 s12, s12, s14
	s_addc_u32 s13, s13, s15
	s_andn2_b32 vcc_lo, exec_lo, s10
	s_cbranch_vccnz .LBB534_10
; %bb.6:
	s_mov_b32 s1, 0
	s_mov_b32 s14, 0
                                        ; implicit-def: $vgpr1
                                        ; implicit-def: $sgpr10_sgpr11
	s_and_saveexec_b32 s15, s0
	s_cbranch_execz .LBB534_11
; %bb.7:
	v_cmp_eq_f32_e64 s0, s7, 0
	v_mov_b32_e32 v1, 0
	s_mul_hi_i32 s11, s17, s6
	s_mul_i32 s10, s17, s6
	s_and_b32 vcc_lo, exec_lo, s0
	s_cbranch_vccnz .LBB534_9
; %bb.8:
	s_lshl_b64 s[18:19], s[10:11], 2
	s_add_u32 s18, s12, s18
	s_addc_u32 s19, s13, s19
	v_mov_b32_e32 v1, s18
	v_mov_b32_e32 v2, s19
	flat_load_dword v1, v[1:2]
	s_waitcnt vmcnt(0) lgkmcnt(0)
	v_mul_f32_e32 v1, s7, v1
.LBB534_9:
	s_mov_b32 s14, exec_lo
	s_or_b32 exec_lo, exec_lo, s15
	s_and_b32 vcc_lo, exec_lo, s1
	s_cbranch_vccnz .LBB534_12
	s_branch .LBB534_38
.LBB534_10:
	s_mov_b32 s14, 0
                                        ; implicit-def: $vgpr1
                                        ; implicit-def: $sgpr10_sgpr11
	s_cbranch_execnz .LBB534_12
	s_branch .LBB534_38
.LBB534_11:
	s_or_b32 exec_lo, exec_lo, s15
	s_and_b32 vcc_lo, exec_lo, s1
	s_cbranch_vccz .LBB534_38
.LBB534_12:
	s_clause 0x2
	s_load_dword s10, s[4:5], 0x0
	s_load_dword s1, s[4:5], 0x28
	;; [unrolled: 1-line block ×3, first 2 shown]
	v_mov_b32_e32 v7, 0
	s_waitcnt lgkmcnt(0)
	v_cmp_gt_i32_e32 vcc_lo, s10, v0
	s_mul_hi_i32 s5, s1, s6
	s_mul_i32 s4, s1, s6
	s_ashr_i32 s1, s10, 31
	s_lshl_b64 s[4:5], s[4:5], 1
	v_cndmask_b32_e32 v1, 0, v0, vcc_lo
	s_lshr_b32 s1, s1, 24
	s_add_i32 s1, s10, s1
	v_lshlrev_b32_e32 v1, 1, v1
	v_add_co_u32 v1, s8, s8, v1
	v_add_co_ci_u32_e64 v2, null, s9, 0, s8
	v_add_co_u32 v1, vcc_lo, v1, s4
	v_add_co_ci_u32_e64 v2, null, s5, v2, vcc_lo
	s_and_b32 s4, s1, 0xffffff00
	s_cmpk_lt_i32 s10, 0x100
	s_mov_b32 s5, 0
	s_cbranch_scc1 .LBB534_15
; %bb.13:
	v_mad_i64_i32 v[3:4], null, s0, v0, 0
	v_mov_b32_e32 v6, v2
	v_mov_b32_e32 v7, 0
	;; [unrolled: 1-line block ×3, first 2 shown]
	s_ashr_i32 s1, s0, 31
	s_lshl_b64 s[8:9], s[0:1], 9
	v_lshlrev_b64 v[3:4], 1, v[3:4]
	v_add_co_u32 v3, vcc_lo, s2, v3
	v_add_co_ci_u32_e64 v4, null, s3, v4, vcc_lo
	.p2align	6
.LBB534_14:                             ; =>This Inner Loop Header: Depth=1
	flat_load_ushort v8, v[5:6]
	flat_load_ushort v9, v[3:4]
	v_add_co_u32 v3, vcc_lo, v3, s8
	v_add_co_ci_u32_e64 v4, null, s9, v4, vcc_lo
	v_add_co_u32 v5, vcc_lo, 0x200, v5
	v_add_co_ci_u32_e64 v6, null, 0, v6, vcc_lo
	s_addk_i32 s5, 0x100
	s_cmp_ge_i32 s5, s4
	s_waitcnt vmcnt(0) lgkmcnt(0)
	v_mul_f16_e32 v8, v8, v9
	v_cvt_f32_f16_e32 v8, v8
	v_add_f32_e32 v7, v7, v8
	s_cbranch_scc0 .LBB534_14
.LBB534_15:
	v_add_nc_u32_e32 v3, s4, v0
	s_mov_b32 s1, exec_lo
	v_cmpx_gt_i32_e64 s10, v3
	s_cbranch_execz .LBB534_17
; %bb.16:
	v_mad_i64_i32 v[3:4], null, s0, v3, 0
	s_ashr_i32 s5, s4, 31
	s_lshl_b64 s[4:5], s[4:5], 1
	v_add_co_u32 v1, vcc_lo, v1, s4
	v_lshlrev_b64 v[3:4], 1, v[3:4]
	v_add_co_ci_u32_e64 v2, null, s5, v2, vcc_lo
	v_add_co_u32 v3, vcc_lo, s2, v3
	v_add_co_ci_u32_e64 v4, null, s3, v4, vcc_lo
	flat_load_ushort v1, v[1:2]
	flat_load_ushort v2, v[3:4]
	s_waitcnt vmcnt(0) lgkmcnt(0)
	v_mul_f16_e32 v1, v1, v2
	v_cvt_f32_f16_e32 v1, v1
	v_add_f32_e32 v7, v7, v1
.LBB534_17:
	s_or_b32 exec_lo, exec_lo, s1
	v_lshlrev_b32_e32 v1, 2, v0
	s_mov_b32 s0, exec_lo
	ds_write_b32 v1, v7
	s_waitcnt lgkmcnt(0)
	s_barrier
	buffer_gl0_inv
	v_cmpx_gt_u32_e32 0x80, v0
	s_cbranch_execz .LBB534_19
; %bb.18:
	ds_read2st64_b32 v[2:3], v1 offset1:2
	s_waitcnt lgkmcnt(0)
	v_add_f32_e32 v2, v3, v2
	ds_write_b32 v1, v2
.LBB534_19:
	s_or_b32 exec_lo, exec_lo, s0
	s_mov_b32 s0, exec_lo
	s_waitcnt lgkmcnt(0)
	s_barrier
	buffer_gl0_inv
	v_cmpx_gt_u32_e32 64, v0
	s_cbranch_execz .LBB534_21
; %bb.20:
	ds_read2st64_b32 v[2:3], v1 offset1:1
	s_waitcnt lgkmcnt(0)
	v_add_f32_e32 v2, v3, v2
	ds_write_b32 v1, v2
.LBB534_21:
	s_or_b32 exec_lo, exec_lo, s0
	s_mov_b32 s0, exec_lo
	s_waitcnt lgkmcnt(0)
	s_barrier
	buffer_gl0_inv
	v_cmpx_gt_u32_e32 32, v0
	s_cbranch_execz .LBB534_23
; %bb.22:
	ds_read2_b32 v[2:3], v1 offset1:32
	s_waitcnt lgkmcnt(0)
	v_add_f32_e32 v2, v3, v2
	ds_write_b32 v1, v2
.LBB534_23:
	s_or_b32 exec_lo, exec_lo, s0
	s_mov_b32 s0, exec_lo
	s_waitcnt lgkmcnt(0)
	s_barrier
	buffer_gl0_inv
	v_cmpx_gt_u32_e32 16, v0
	s_cbranch_execz .LBB534_25
; %bb.24:
	ds_read2_b32 v[2:3], v1 offset1:16
	s_waitcnt lgkmcnt(0)
	v_add_f32_e32 v2, v3, v2
	ds_write_b32 v1, v2
.LBB534_25:
	;; [unrolled: 13-line block ×5, first 2 shown]
	s_or_b32 exec_lo, exec_lo, s0
	v_cmp_eq_u32_e32 vcc_lo, 0, v0
	s_waitcnt lgkmcnt(0)
	s_barrier
	buffer_gl0_inv
	s_and_saveexec_b32 s0, vcc_lo
	s_cbranch_execz .LBB534_33
; %bb.32:
	v_mov_b32_e32 v2, 0
	ds_read_b64 v[0:1], v2
	s_waitcnt lgkmcnt(0)
	v_add_f32_e32 v0, v1, v0
	ds_write_b32 v2, v0
.LBB534_33:
	s_or_b32 exec_lo, exec_lo, s0
	s_waitcnt lgkmcnt(0)
	s_barrier
	buffer_gl0_inv
                                        ; implicit-def: $vgpr1
                                        ; implicit-def: $sgpr10_sgpr11
	s_and_saveexec_b32 s0, vcc_lo
	s_cbranch_execz .LBB534_37
; %bb.34:
	v_mov_b32_e32 v0, 0
	v_cmp_eq_f32_e64 s1, s7, 0
	s_mul_hi_i32 s11, s17, s6
	s_mul_i32 s10, s17, s6
	ds_read_b32 v0, v0
	s_and_b32 vcc_lo, exec_lo, s1
	s_waitcnt lgkmcnt(0)
	v_mul_f32_e32 v1, s16, v0
	s_cbranch_vccnz .LBB534_36
; %bb.35:
	s_lshl_b64 s[2:3], s[10:11], 2
	s_add_u32 s2, s12, s2
	s_addc_u32 s3, s13, s3
	v_mov_b32_e32 v2, s2
	v_mov_b32_e32 v3, s3
	flat_load_dword v0, v[2:3]
	s_waitcnt vmcnt(0) lgkmcnt(0)
	v_fmac_f32_e32 v1, s7, v0
.LBB534_36:
	s_or_b32 s14, s14, exec_lo
.LBB534_37:
	s_or_b32 exec_lo, exec_lo, s0
.LBB534_38:
	s_and_saveexec_b32 s0, s14
	s_cbranch_execz .LBB534_40
; %bb.39:
	s_lshl_b64 s[0:1], s[10:11], 2
	s_add_u32 s0, s12, s0
	s_addc_u32 s1, s13, s1
	v_mov_b32_e32 v3, s1
	v_mov_b32_e32 v2, s0
	flat_store_dword v[2:3], v1
.LBB534_40:
	s_endpgm
	.section	.rodata,"a",@progbits
	.p2align	6, 0x0
	.amdhsa_kernel _ZL20rocblas_gemvt_kernelILb1ELi256EPKDF16_PKfKPfEviiT2_lPKT1_lilS9_lilS6_lPT3_lili
		.amdhsa_group_segment_fixed_size 1024
		.amdhsa_private_segment_fixed_size 0
		.amdhsa_kernarg_size 140
		.amdhsa_user_sgpr_count 6
		.amdhsa_user_sgpr_private_segment_buffer 1
		.amdhsa_user_sgpr_dispatch_ptr 0
		.amdhsa_user_sgpr_queue_ptr 0
		.amdhsa_user_sgpr_kernarg_segment_ptr 1
		.amdhsa_user_sgpr_dispatch_id 0
		.amdhsa_user_sgpr_flat_scratch_init 0
		.amdhsa_user_sgpr_private_segment_size 0
		.amdhsa_wavefront_size32 1
		.amdhsa_uses_dynamic_stack 0
		.amdhsa_system_sgpr_private_segment_wavefront_offset 0
		.amdhsa_system_sgpr_workgroup_id_x 1
		.amdhsa_system_sgpr_workgroup_id_y 0
		.amdhsa_system_sgpr_workgroup_id_z 1
		.amdhsa_system_sgpr_workgroup_info 0
		.amdhsa_system_vgpr_workitem_id 0
		.amdhsa_next_free_vgpr 10
		.amdhsa_next_free_sgpr 24
		.amdhsa_reserve_vcc 1
		.amdhsa_reserve_flat_scratch 0
		.amdhsa_float_round_mode_32 0
		.amdhsa_float_round_mode_16_64 0
		.amdhsa_float_denorm_mode_32 3
		.amdhsa_float_denorm_mode_16_64 3
		.amdhsa_dx10_clamp 1
		.amdhsa_ieee_mode 1
		.amdhsa_fp16_overflow 0
		.amdhsa_workgroup_processor_mode 1
		.amdhsa_memory_ordered 1
		.amdhsa_forward_progress 1
		.amdhsa_shared_vgpr_count 0
		.amdhsa_exception_fp_ieee_invalid_op 0
		.amdhsa_exception_fp_denorm_src 0
		.amdhsa_exception_fp_ieee_div_zero 0
		.amdhsa_exception_fp_ieee_overflow 0
		.amdhsa_exception_fp_ieee_underflow 0
		.amdhsa_exception_fp_ieee_inexact 0
		.amdhsa_exception_int_div_zero 0
	.end_amdhsa_kernel
	.section	.text._ZL20rocblas_gemvt_kernelILb1ELi256EPKDF16_PKfKPfEviiT2_lPKT1_lilS9_lilS6_lPT3_lili,"axG",@progbits,_ZL20rocblas_gemvt_kernelILb1ELi256EPKDF16_PKfKPfEviiT2_lPKT1_lilS9_lilS6_lPT3_lili,comdat
.Lfunc_end534:
	.size	_ZL20rocblas_gemvt_kernelILb1ELi256EPKDF16_PKfKPfEviiT2_lPKT1_lilS9_lilS6_lPT3_lili, .Lfunc_end534-_ZL20rocblas_gemvt_kernelILb1ELi256EPKDF16_PKfKPfEviiT2_lPKT1_lilS9_lilS6_lPT3_lili
                                        ; -- End function
	.set _ZL20rocblas_gemvt_kernelILb1ELi256EPKDF16_PKfKPfEviiT2_lPKT1_lilS9_lilS6_lPT3_lili.num_vgpr, 10
	.set _ZL20rocblas_gemvt_kernelILb1ELi256EPKDF16_PKfKPfEviiT2_lPKT1_lilS9_lilS6_lPT3_lili.num_agpr, 0
	.set _ZL20rocblas_gemvt_kernelILb1ELi256EPKDF16_PKfKPfEviiT2_lPKT1_lilS9_lilS6_lPT3_lili.numbered_sgpr, 24
	.set _ZL20rocblas_gemvt_kernelILb1ELi256EPKDF16_PKfKPfEviiT2_lPKT1_lilS9_lilS6_lPT3_lili.num_named_barrier, 0
	.set _ZL20rocblas_gemvt_kernelILb1ELi256EPKDF16_PKfKPfEviiT2_lPKT1_lilS9_lilS6_lPT3_lili.private_seg_size, 0
	.set _ZL20rocblas_gemvt_kernelILb1ELi256EPKDF16_PKfKPfEviiT2_lPKT1_lilS9_lilS6_lPT3_lili.uses_vcc, 1
	.set _ZL20rocblas_gemvt_kernelILb1ELi256EPKDF16_PKfKPfEviiT2_lPKT1_lilS9_lilS6_lPT3_lili.uses_flat_scratch, 0
	.set _ZL20rocblas_gemvt_kernelILb1ELi256EPKDF16_PKfKPfEviiT2_lPKT1_lilS9_lilS6_lPT3_lili.has_dyn_sized_stack, 0
	.set _ZL20rocblas_gemvt_kernelILb1ELi256EPKDF16_PKfKPfEviiT2_lPKT1_lilS9_lilS6_lPT3_lili.has_recursion, 0
	.set _ZL20rocblas_gemvt_kernelILb1ELi256EPKDF16_PKfKPfEviiT2_lPKT1_lilS9_lilS6_lPT3_lili.has_indirect_call, 0
	.section	.AMDGPU.csdata,"",@progbits
; Kernel info:
; codeLenInByte = 1452
; TotalNumSgprs: 26
; NumVgprs: 10
; ScratchSize: 0
; MemoryBound: 0
; FloatMode: 240
; IeeeMode: 1
; LDSByteSize: 1024 bytes/workgroup (compile time only)
; SGPRBlocks: 0
; VGPRBlocks: 1
; NumSGPRsForWavesPerEU: 26
; NumVGPRsForWavesPerEU: 10
; Occupancy: 16
; WaveLimiterHint : 1
; COMPUTE_PGM_RSRC2:SCRATCH_EN: 0
; COMPUTE_PGM_RSRC2:USER_SGPR: 6
; COMPUTE_PGM_RSRC2:TRAP_HANDLER: 0
; COMPUTE_PGM_RSRC2:TGID_X_EN: 1
; COMPUTE_PGM_RSRC2:TGID_Y_EN: 0
; COMPUTE_PGM_RSRC2:TGID_Z_EN: 1
; COMPUTE_PGM_RSRC2:TIDIG_COMP_CNT: 0
	.section	.text._ZL20rocblas_gemvt_kernelILb1ELi256EPKDF16_fKPfEviiT2_lPKT1_lilS7_lilS4_lPT3_lili,"axG",@progbits,_ZL20rocblas_gemvt_kernelILb1ELi256EPKDF16_fKPfEviiT2_lPKT1_lilS7_lilS4_lPT3_lili,comdat
	.globl	_ZL20rocblas_gemvt_kernelILb1ELi256EPKDF16_fKPfEviiT2_lPKT1_lilS7_lilS4_lPT3_lili ; -- Begin function _ZL20rocblas_gemvt_kernelILb1ELi256EPKDF16_fKPfEviiT2_lPKT1_lilS7_lilS4_lPT3_lili
	.p2align	8
	.type	_ZL20rocblas_gemvt_kernelILb1ELi256EPKDF16_fKPfEviiT2_lPKT1_lilS7_lilS4_lPT3_lili,@function
_ZL20rocblas_gemvt_kernelILb1ELi256EPKDF16_fKPfEviiT2_lPKT1_lilS7_lilS4_lPT3_lili: ; @_ZL20rocblas_gemvt_kernelILb1ELi256EPKDF16_fKPfEviiT2_lPKT1_lilS7_lilS4_lPT3_lili
; %bb.0:
	s_mov_b32 s10, s7
	s_clause 0x1
	s_load_dword s12, s[4:5], 0x8
	s_load_dword s7, s[4:5], 0x58
	s_mov_b32 s11, 0
	s_waitcnt lgkmcnt(0)
	v_cmp_eq_f32_e64 s16, s12, 0
	v_cmp_eq_f32_e64 s0, s7, 1.0
	s_and_b32 s0, s16, s0
	s_and_b32 vcc_lo, exec_lo, s0
	s_cbranch_vccnz .LBB535_42
; %bb.1:
	v_cmp_neq_f32_e64 s13, s12, 0
	s_and_b32 vcc_lo, exec_lo, s13
	s_cbranch_vccnz .LBB535_3
; %bb.2:
	s_mov_b32 s1, 0
	s_mov_b32 s0, s10
	s_mov_b32 s8, s1
	s_mov_b64 s[2:3], 0
	s_andn2_b32 vcc_lo, exec_lo, s8
	s_mov_b64 s[8:9], 0
	s_cbranch_vccz .LBB535_4
	s_branch .LBB535_5
.LBB535_3:
	s_mov_b64 s[0:1], s[10:11]
	s_mov_b64 s[2:3], 0
	;; [unrolled: 1-line block ×3, first 2 shown]
.LBB535_4:
	s_load_dwordx4 s[20:23], s[4:5], 0x18
	s_lshl_b64 s[8:9], s[10:11], 3
	s_waitcnt lgkmcnt(0)
	s_add_u32 s8, s20, s8
	s_addc_u32 s9, s21, s9
	s_lshl_b64 s[10:11], s[22:23], 1
	s_load_dwordx2 s[8:9], s[8:9], 0x0
	s_waitcnt lgkmcnt(0)
	s_add_u32 s8, s8, s10
	s_addc_u32 s9, s9, s11
.LBB535_5:
	s_andn2_b32 vcc_lo, exec_lo, s13
	s_cbranch_vccnz .LBB535_7
; %bb.6:
	s_load_dwordx4 s[20:23], s[4:5], 0x38
	s_lshl_b64 s[2:3], s[0:1], 3
	s_waitcnt lgkmcnt(0)
	s_add_u32 s2, s20, s2
	s_addc_u32 s3, s21, s3
	s_lshl_b64 s[10:11], s[22:23], 1
	s_load_dwordx2 s[2:3], s[2:3], 0x0
	s_waitcnt lgkmcnt(0)
	s_add_u32 s2, s2, s10
	s_addc_u32 s3, s3, s11
.LBB535_7:
	s_clause 0x1
	s_load_dwordx4 s[20:23], s[4:5], 0x68
	s_load_dword s15, s[4:5], 0x78
	s_lshl_b64 s[0:1], s[0:1], 3
	s_waitcnt lgkmcnt(0)
	s_add_u32 s0, s20, s0
	s_addc_u32 s1, s21, s1
	s_lshl_b64 s[18:19], s[22:23], 2
	s_load_dwordx2 s[10:11], s[0:1], 0x0
	v_cmp_eq_u32_e64 s0, 0, v0
	s_waitcnt lgkmcnt(0)
	s_add_u32 s13, s10, s18
	s_addc_u32 s14, s11, s19
	s_andn2_b32 vcc_lo, exec_lo, s16
	s_cbranch_vccnz .LBB535_12
; %bb.8:
	s_mov_b32 s1, 0
	s_mov_b32 s16, 0
                                        ; implicit-def: $vgpr1
                                        ; implicit-def: $sgpr10_sgpr11
	s_and_saveexec_b32 s17, s0
	s_cbranch_execz .LBB535_13
; %bb.9:
	v_cmp_eq_f32_e64 s0, s7, 0
	v_mov_b32_e32 v1, 0
	s_mul_hi_i32 s11, s15, s6
	s_mul_i32 s10, s15, s6
	s_and_b32 vcc_lo, exec_lo, s0
	s_cbranch_vccnz .LBB535_11
; %bb.10:
	s_lshl_b64 s[18:19], s[10:11], 2
	s_add_u32 s18, s13, s18
	s_addc_u32 s19, s14, s19
	v_mov_b32_e32 v1, s18
	v_mov_b32_e32 v2, s19
	flat_load_dword v1, v[1:2]
	s_waitcnt vmcnt(0) lgkmcnt(0)
	v_mul_f32_e32 v1, s7, v1
.LBB535_11:
	s_mov_b32 s16, exec_lo
	s_or_b32 exec_lo, exec_lo, s17
	s_and_b32 vcc_lo, exec_lo, s1
	s_cbranch_vccnz .LBB535_14
	s_branch .LBB535_40
.LBB535_12:
	s_mov_b32 s16, 0
                                        ; implicit-def: $vgpr1
                                        ; implicit-def: $sgpr10_sgpr11
	s_cbranch_execnz .LBB535_14
	s_branch .LBB535_40
.LBB535_13:
	s_or_b32 exec_lo, exec_lo, s17
	s_and_b32 vcc_lo, exec_lo, s1
	s_cbranch_vccz .LBB535_40
.LBB535_14:
	s_clause 0x2
	s_load_dword s10, s[4:5], 0x0
	s_load_dword s1, s[4:5], 0x28
	;; [unrolled: 1-line block ×3, first 2 shown]
	v_mov_b32_e32 v7, 0
	s_waitcnt lgkmcnt(0)
	v_cmp_gt_i32_e32 vcc_lo, s10, v0
	s_mul_hi_i32 s5, s1, s6
	s_mul_i32 s4, s1, s6
	s_ashr_i32 s1, s10, 31
	s_lshl_b64 s[4:5], s[4:5], 1
	v_cndmask_b32_e32 v1, 0, v0, vcc_lo
	s_lshr_b32 s1, s1, 24
	s_add_i32 s1, s10, s1
	v_lshlrev_b32_e32 v1, 1, v1
	v_add_co_u32 v1, s8, s8, v1
	v_add_co_ci_u32_e64 v2, null, s9, 0, s8
	v_add_co_u32 v1, vcc_lo, v1, s4
	v_add_co_ci_u32_e64 v2, null, s5, v2, vcc_lo
	s_and_b32 s4, s1, 0xffffff00
	s_cmpk_lt_i32 s10, 0x100
	s_mov_b32 s5, 0
	s_cbranch_scc1 .LBB535_17
; %bb.15:
	v_mad_i64_i32 v[3:4], null, s0, v0, 0
	v_mov_b32_e32 v6, v2
	v_mov_b32_e32 v7, 0
	v_mov_b32_e32 v5, v1
	s_ashr_i32 s1, s0, 31
	s_lshl_b64 s[8:9], s[0:1], 9
	v_lshlrev_b64 v[3:4], 1, v[3:4]
	v_add_co_u32 v3, vcc_lo, s2, v3
	v_add_co_ci_u32_e64 v4, null, s3, v4, vcc_lo
	.p2align	6
.LBB535_16:                             ; =>This Inner Loop Header: Depth=1
	flat_load_ushort v8, v[5:6]
	flat_load_ushort v9, v[3:4]
	v_add_co_u32 v3, vcc_lo, v3, s8
	v_add_co_ci_u32_e64 v4, null, s9, v4, vcc_lo
	v_add_co_u32 v5, vcc_lo, 0x200, v5
	v_add_co_ci_u32_e64 v6, null, 0, v6, vcc_lo
	s_addk_i32 s5, 0x100
	s_cmp_ge_i32 s5, s4
	s_waitcnt vmcnt(0) lgkmcnt(0)
	v_mul_f16_e32 v8, v8, v9
	v_cvt_f32_f16_e32 v8, v8
	v_add_f32_e32 v7, v7, v8
	s_cbranch_scc0 .LBB535_16
.LBB535_17:
	v_add_nc_u32_e32 v3, s4, v0
	s_mov_b32 s1, exec_lo
	v_cmpx_gt_i32_e64 s10, v3
	s_cbranch_execz .LBB535_19
; %bb.18:
	v_mad_i64_i32 v[3:4], null, s0, v3, 0
	s_ashr_i32 s5, s4, 31
	s_lshl_b64 s[4:5], s[4:5], 1
	v_add_co_u32 v1, vcc_lo, v1, s4
	v_lshlrev_b64 v[3:4], 1, v[3:4]
	v_add_co_ci_u32_e64 v2, null, s5, v2, vcc_lo
	v_add_co_u32 v3, vcc_lo, s2, v3
	v_add_co_ci_u32_e64 v4, null, s3, v4, vcc_lo
	flat_load_ushort v1, v[1:2]
	flat_load_ushort v2, v[3:4]
	s_waitcnt vmcnt(0) lgkmcnt(0)
	v_mul_f16_e32 v1, v1, v2
	v_cvt_f32_f16_e32 v1, v1
	v_add_f32_e32 v7, v7, v1
.LBB535_19:
	s_or_b32 exec_lo, exec_lo, s1
	v_lshlrev_b32_e32 v1, 2, v0
	s_mov_b32 s0, exec_lo
	ds_write_b32 v1, v7
	s_waitcnt lgkmcnt(0)
	s_barrier
	buffer_gl0_inv
	v_cmpx_gt_u32_e32 0x80, v0
	s_cbranch_execz .LBB535_21
; %bb.20:
	ds_read2st64_b32 v[2:3], v1 offset1:2
	s_waitcnt lgkmcnt(0)
	v_add_f32_e32 v2, v3, v2
	ds_write_b32 v1, v2
.LBB535_21:
	s_or_b32 exec_lo, exec_lo, s0
	s_mov_b32 s0, exec_lo
	s_waitcnt lgkmcnt(0)
	s_barrier
	buffer_gl0_inv
	v_cmpx_gt_u32_e32 64, v0
	s_cbranch_execz .LBB535_23
; %bb.22:
	ds_read2st64_b32 v[2:3], v1 offset1:1
	s_waitcnt lgkmcnt(0)
	v_add_f32_e32 v2, v3, v2
	ds_write_b32 v1, v2
.LBB535_23:
	s_or_b32 exec_lo, exec_lo, s0
	s_mov_b32 s0, exec_lo
	s_waitcnt lgkmcnt(0)
	s_barrier
	buffer_gl0_inv
	v_cmpx_gt_u32_e32 32, v0
	s_cbranch_execz .LBB535_25
; %bb.24:
	ds_read2_b32 v[2:3], v1 offset1:32
	s_waitcnt lgkmcnt(0)
	v_add_f32_e32 v2, v3, v2
	ds_write_b32 v1, v2
.LBB535_25:
	s_or_b32 exec_lo, exec_lo, s0
	s_mov_b32 s0, exec_lo
	s_waitcnt lgkmcnt(0)
	s_barrier
	buffer_gl0_inv
	v_cmpx_gt_u32_e32 16, v0
	s_cbranch_execz .LBB535_27
; %bb.26:
	ds_read2_b32 v[2:3], v1 offset1:16
	s_waitcnt lgkmcnt(0)
	v_add_f32_e32 v2, v3, v2
	ds_write_b32 v1, v2
.LBB535_27:
	;; [unrolled: 13-line block ×5, first 2 shown]
	s_or_b32 exec_lo, exec_lo, s0
	v_cmp_eq_u32_e32 vcc_lo, 0, v0
	s_waitcnt lgkmcnt(0)
	s_barrier
	buffer_gl0_inv
	s_and_saveexec_b32 s0, vcc_lo
	s_cbranch_execz .LBB535_35
; %bb.34:
	v_mov_b32_e32 v2, 0
	ds_read_b64 v[0:1], v2
	s_waitcnt lgkmcnt(0)
	v_add_f32_e32 v0, v1, v0
	ds_write_b32 v2, v0
.LBB535_35:
	s_or_b32 exec_lo, exec_lo, s0
	s_waitcnt lgkmcnt(0)
	s_barrier
	buffer_gl0_inv
                                        ; implicit-def: $vgpr1
                                        ; implicit-def: $sgpr10_sgpr11
	s_and_saveexec_b32 s0, vcc_lo
	s_cbranch_execz .LBB535_39
; %bb.36:
	v_mov_b32_e32 v0, 0
	v_cmp_eq_f32_e64 s1, s7, 0
	s_mul_hi_i32 s11, s15, s6
	s_mul_i32 s10, s15, s6
	ds_read_b32 v0, v0
	s_and_b32 vcc_lo, exec_lo, s1
	s_waitcnt lgkmcnt(0)
	v_mul_f32_e32 v1, s12, v0
	s_cbranch_vccnz .LBB535_38
; %bb.37:
	s_lshl_b64 s[2:3], s[10:11], 2
	s_add_u32 s2, s13, s2
	s_addc_u32 s3, s14, s3
	v_mov_b32_e32 v2, s2
	v_mov_b32_e32 v3, s3
	flat_load_dword v0, v[2:3]
	s_waitcnt vmcnt(0) lgkmcnt(0)
	v_fmac_f32_e32 v1, s7, v0
.LBB535_38:
	s_or_b32 s16, s16, exec_lo
.LBB535_39:
	s_or_b32 exec_lo, exec_lo, s0
.LBB535_40:
	s_and_saveexec_b32 s0, s16
	s_cbranch_execz .LBB535_42
; %bb.41:
	s_lshl_b64 s[0:1], s[10:11], 2
	s_add_u32 s0, s13, s0
	s_addc_u32 s1, s14, s1
	v_mov_b32_e32 v3, s1
	v_mov_b32_e32 v2, s0
	flat_store_dword v[2:3], v1
.LBB535_42:
	s_endpgm
	.section	.rodata,"a",@progbits
	.p2align	6, 0x0
	.amdhsa_kernel _ZL20rocblas_gemvt_kernelILb1ELi256EPKDF16_fKPfEviiT2_lPKT1_lilS7_lilS4_lPT3_lili
		.amdhsa_group_segment_fixed_size 1024
		.amdhsa_private_segment_fixed_size 0
		.amdhsa_kernarg_size 140
		.amdhsa_user_sgpr_count 6
		.amdhsa_user_sgpr_private_segment_buffer 1
		.amdhsa_user_sgpr_dispatch_ptr 0
		.amdhsa_user_sgpr_queue_ptr 0
		.amdhsa_user_sgpr_kernarg_segment_ptr 1
		.amdhsa_user_sgpr_dispatch_id 0
		.amdhsa_user_sgpr_flat_scratch_init 0
		.amdhsa_user_sgpr_private_segment_size 0
		.amdhsa_wavefront_size32 1
		.amdhsa_uses_dynamic_stack 0
		.amdhsa_system_sgpr_private_segment_wavefront_offset 0
		.amdhsa_system_sgpr_workgroup_id_x 1
		.amdhsa_system_sgpr_workgroup_id_y 0
		.amdhsa_system_sgpr_workgroup_id_z 1
		.amdhsa_system_sgpr_workgroup_info 0
		.amdhsa_system_vgpr_workitem_id 0
		.amdhsa_next_free_vgpr 10
		.amdhsa_next_free_sgpr 24
		.amdhsa_reserve_vcc 1
		.amdhsa_reserve_flat_scratch 0
		.amdhsa_float_round_mode_32 0
		.amdhsa_float_round_mode_16_64 0
		.amdhsa_float_denorm_mode_32 3
		.amdhsa_float_denorm_mode_16_64 3
		.amdhsa_dx10_clamp 1
		.amdhsa_ieee_mode 1
		.amdhsa_fp16_overflow 0
		.amdhsa_workgroup_processor_mode 1
		.amdhsa_memory_ordered 1
		.amdhsa_forward_progress 1
		.amdhsa_shared_vgpr_count 0
		.amdhsa_exception_fp_ieee_invalid_op 0
		.amdhsa_exception_fp_denorm_src 0
		.amdhsa_exception_fp_ieee_div_zero 0
		.amdhsa_exception_fp_ieee_overflow 0
		.amdhsa_exception_fp_ieee_underflow 0
		.amdhsa_exception_fp_ieee_inexact 0
		.amdhsa_exception_int_div_zero 0
	.end_amdhsa_kernel
	.section	.text._ZL20rocblas_gemvt_kernelILb1ELi256EPKDF16_fKPfEviiT2_lPKT1_lilS7_lilS4_lPT3_lili,"axG",@progbits,_ZL20rocblas_gemvt_kernelILb1ELi256EPKDF16_fKPfEviiT2_lPKT1_lilS7_lilS4_lPT3_lili,comdat
.Lfunc_end535:
	.size	_ZL20rocblas_gemvt_kernelILb1ELi256EPKDF16_fKPfEviiT2_lPKT1_lilS7_lilS4_lPT3_lili, .Lfunc_end535-_ZL20rocblas_gemvt_kernelILb1ELi256EPKDF16_fKPfEviiT2_lPKT1_lilS7_lilS4_lPT3_lili
                                        ; -- End function
	.set _ZL20rocblas_gemvt_kernelILb1ELi256EPKDF16_fKPfEviiT2_lPKT1_lilS7_lilS4_lPT3_lili.num_vgpr, 10
	.set _ZL20rocblas_gemvt_kernelILb1ELi256EPKDF16_fKPfEviiT2_lPKT1_lilS7_lilS4_lPT3_lili.num_agpr, 0
	.set _ZL20rocblas_gemvt_kernelILb1ELi256EPKDF16_fKPfEviiT2_lPKT1_lilS7_lilS4_lPT3_lili.numbered_sgpr, 24
	.set _ZL20rocblas_gemvt_kernelILb1ELi256EPKDF16_fKPfEviiT2_lPKT1_lilS7_lilS4_lPT3_lili.num_named_barrier, 0
	.set _ZL20rocblas_gemvt_kernelILb1ELi256EPKDF16_fKPfEviiT2_lPKT1_lilS7_lilS4_lPT3_lili.private_seg_size, 0
	.set _ZL20rocblas_gemvt_kernelILb1ELi256EPKDF16_fKPfEviiT2_lPKT1_lilS7_lilS4_lPT3_lili.uses_vcc, 1
	.set _ZL20rocblas_gemvt_kernelILb1ELi256EPKDF16_fKPfEviiT2_lPKT1_lilS7_lilS4_lPT3_lili.uses_flat_scratch, 0
	.set _ZL20rocblas_gemvt_kernelILb1ELi256EPKDF16_fKPfEviiT2_lPKT1_lilS7_lilS4_lPT3_lili.has_dyn_sized_stack, 0
	.set _ZL20rocblas_gemvt_kernelILb1ELi256EPKDF16_fKPfEviiT2_lPKT1_lilS7_lilS4_lPT3_lili.has_recursion, 0
	.set _ZL20rocblas_gemvt_kernelILb1ELi256EPKDF16_fKPfEviiT2_lPKT1_lilS7_lilS4_lPT3_lili.has_indirect_call, 0
	.section	.AMDGPU.csdata,"",@progbits
; Kernel info:
; codeLenInByte = 1452
; TotalNumSgprs: 26
; NumVgprs: 10
; ScratchSize: 0
; MemoryBound: 0
; FloatMode: 240
; IeeeMode: 1
; LDSByteSize: 1024 bytes/workgroup (compile time only)
; SGPRBlocks: 0
; VGPRBlocks: 1
; NumSGPRsForWavesPerEU: 26
; NumVGPRsForWavesPerEU: 10
; Occupancy: 16
; WaveLimiterHint : 1
; COMPUTE_PGM_RSRC2:SCRATCH_EN: 0
; COMPUTE_PGM_RSRC2:USER_SGPR: 6
; COMPUTE_PGM_RSRC2:TRAP_HANDLER: 0
; COMPUTE_PGM_RSRC2:TGID_X_EN: 1
; COMPUTE_PGM_RSRC2:TGID_Y_EN: 0
; COMPUTE_PGM_RSRC2:TGID_Z_EN: 1
; COMPUTE_PGM_RSRC2:TIDIG_COMP_CNT: 0
	.section	.text._ZL32rocblas_gemvt_warp_reduce_kernelILb1ELi1024EiPKDF16_PKfKPfEviiT3_lPKT2_lT1_lS9_lSA_lS6_lPT4_lSA_li,"axG",@progbits,_ZL32rocblas_gemvt_warp_reduce_kernelILb1ELi1024EiPKDF16_PKfKPfEviiT3_lPKT2_lT1_lS9_lSA_lS6_lPT4_lSA_li,comdat
	.globl	_ZL32rocblas_gemvt_warp_reduce_kernelILb1ELi1024EiPKDF16_PKfKPfEviiT3_lPKT2_lT1_lS9_lSA_lS6_lPT4_lSA_li ; -- Begin function _ZL32rocblas_gemvt_warp_reduce_kernelILb1ELi1024EiPKDF16_PKfKPfEviiT3_lPKT2_lT1_lS9_lSA_lS6_lPT4_lSA_li
	.p2align	8
	.type	_ZL32rocblas_gemvt_warp_reduce_kernelILb1ELi1024EiPKDF16_PKfKPfEviiT3_lPKT2_lT1_lS9_lSA_lS6_lPT4_lSA_li,@function
_ZL32rocblas_gemvt_warp_reduce_kernelILb1ELi1024EiPKDF16_PKfKPfEviiT3_lPKT2_lT1_lS9_lSA_lS6_lPT4_lSA_li: ; @_ZL32rocblas_gemvt_warp_reduce_kernelILb1ELi1024EiPKDF16_PKfKPfEviiT3_lPKT2_lT1_lS9_lSA_lS6_lPT4_lSA_li
; %bb.0:
	s_clause 0x1
	s_load_dwordx8 s[16:23], s[4:5], 0x8
	s_load_dwordx8 s[8:15], s[4:5], 0x58
	s_mov_b32 s0, s7
	s_waitcnt lgkmcnt(0)
	s_mul_i32 s1, s19, s7
	s_mul_hi_u32 s3, s18, s7
	s_mul_i32 s2, s18, s7
	s_add_i32 s3, s3, s1
	s_mul_i32 s1, s11, s7
	s_lshl_b64 s[2:3], s[2:3], 2
	s_mul_hi_u32 s7, s10, s7
	s_add_u32 s2, s16, s2
	s_addc_u32 s3, s17, s3
	s_add_i32 s11, s7, s1
	s_mul_i32 s10, s10, s0
	s_lshl_b64 s[10:11], s[10:11], 2
	s_add_u32 s8, s8, s10
	s_addc_u32 s9, s9, s11
	s_load_dword s16, s[2:3], 0x0
	s_load_dword s7, s[8:9], 0x0
	s_waitcnt lgkmcnt(0)
	v_cmp_eq_f32_e64 s10, s16, 0
	v_cmp_eq_f32_e64 s1, s7, 1.0
	s_and_b32 s1, s10, s1
	s_and_b32 vcc_lo, exec_lo, s1
	s_mov_b32 s1, 0
	s_cbranch_vccnz .LBB536_33
; %bb.1:
	v_cmp_neq_f32_e64 s11, s16, 0
	s_mov_b64 s[2:3], 0
	s_and_b32 vcc_lo, exec_lo, s10
	s_mov_b64 s[8:9], 0
	s_cbranch_vccnz .LBB536_3
; %bb.2:
	s_lshl_b64 s[8:9], s[0:1], 3
	s_add_u32 s8, s20, s8
	s_addc_u32 s9, s21, s9
	s_lshl_b64 s[18:19], s[22:23], 1
	s_load_dwordx2 s[8:9], s[8:9], 0x0
	s_waitcnt lgkmcnt(0)
	s_add_u32 s8, s8, s18
	s_addc_u32 s9, s9, s19
.LBB536_3:
	s_andn2_b32 vcc_lo, exec_lo, s11
	s_cbranch_vccnz .LBB536_5
; %bb.4:
	s_load_dwordx4 s[20:23], s[4:5], 0x38
	s_lshl_b64 s[2:3], s[0:1], 3
	s_waitcnt lgkmcnt(0)
	s_add_u32 s2, s20, s2
	s_addc_u32 s3, s21, s3
	s_lshl_b64 s[18:19], s[22:23], 1
	s_load_dwordx2 s[2:3], s[2:3], 0x0
	s_waitcnt lgkmcnt(0)
	s_add_u32 s2, s2, s18
	s_addc_u32 s3, s3, s19
.LBB536_5:
	s_lshl_b64 s[0:1], s[0:1], 3
	s_add_u32 s0, s12, s0
	s_addc_u32 s1, s13, s1
	s_lshl_b64 s[14:15], s[14:15], 2
	s_load_dwordx2 s[12:13], s[0:1], 0x0
	s_load_dword s17, s[4:5], 0x78
	v_cmp_eq_u32_e64 s0, 0, v0
	s_waitcnt lgkmcnt(0)
	s_add_u32 s1, s12, s14
	s_addc_u32 s12, s13, s15
	s_andn2_b32 vcc_lo, exec_lo, s10
	s_cbranch_vccnz .LBB536_10
; %bb.6:
	s_mov_b32 s14, 0
	s_mov_b32 s13, 0
                                        ; implicit-def: $vgpr1
                                        ; implicit-def: $sgpr10_sgpr11
	s_and_saveexec_b32 s15, s0
	s_cbranch_execz .LBB536_11
; %bb.7:
	v_cmp_eq_f32_e64 s0, s7, 0
	v_mov_b32_e32 v1, 0
	s_mul_i32 s10, s17, s6
	s_ashr_i32 s11, s10, 31
	s_and_b32 vcc_lo, exec_lo, s0
	s_cbranch_vccnz .LBB536_9
; %bb.8:
	s_lshl_b64 s[18:19], s[10:11], 2
	s_add_u32 s18, s1, s18
	s_addc_u32 s19, s12, s19
	v_mov_b32_e32 v1, s18
	v_mov_b32_e32 v2, s19
	flat_load_dword v1, v[1:2]
	s_waitcnt vmcnt(0) lgkmcnt(0)
	v_mul_f32_e32 v1, s7, v1
.LBB536_9:
	s_mov_b32 s13, exec_lo
	s_or_b32 exec_lo, exec_lo, s15
	s_and_b32 vcc_lo, exec_lo, s14
	s_cbranch_vccnz .LBB536_12
	s_branch .LBB536_31
.LBB536_10:
	s_mov_b32 s13, 0
                                        ; implicit-def: $vgpr1
                                        ; implicit-def: $sgpr10_sgpr11
	s_cbranch_execnz .LBB536_12
	s_branch .LBB536_31
.LBB536_11:
	s_or_b32 exec_lo, exec_lo, s15
	s_and_b32 vcc_lo, exec_lo, s14
	s_cbranch_vccz .LBB536_31
.LBB536_12:
	s_clause 0x2
	s_load_dword s10, s[4:5], 0x0
	s_load_dword s0, s[4:5], 0x28
	;; [unrolled: 1-line block ×3, first 2 shown]
	v_mov_b32_e32 v7, 0
	s_waitcnt lgkmcnt(0)
	v_cmp_gt_i32_e32 vcc_lo, s10, v0
	s_mul_i32 s14, s0, s6
	s_ashr_i32 s0, s10, 31
	s_ashr_i32 s15, s14, 31
	s_lshr_b32 s0, s0, 22
	v_cndmask_b32_e32 v1, 0, v0, vcc_lo
	s_lshl_b64 s[14:15], s[14:15], 1
	s_add_i32 s0, s10, s0
	v_lshlrev_b32_e32 v1, 1, v1
	v_add_co_u32 v1, s4, s8, v1
	v_add_co_ci_u32_e64 v2, null, s9, 0, s4
	s_and_b32 s4, s0, 0xfffffc00
	v_add_co_u32 v1, vcc_lo, v1, s14
	v_add_co_ci_u32_e64 v2, null, s15, v2, vcc_lo
	s_mov_b32 s9, 0
	s_mov_b32 s8, exec_lo
	v_cmpx_gt_i32_e64 s4, v0
	s_cbranch_execz .LBB536_16
; %bb.13:
	v_mul_lo_u32 v3, v0, s5
	v_mov_b32_e32 v6, v2
	v_mov_b32_e32 v7, 0
	v_mov_b32_e32 v5, v1
	v_mov_b32_e32 v8, v0
	s_lshl_b32 s11, s5, 10
	.p2align	6
.LBB536_14:                             ; =>This Inner Loop Header: Depth=1
	v_ashrrev_i32_e32 v4, 31, v3
	v_add_nc_u32_e32 v8, 0x400, v8
	v_lshlrev_b64 v[9:10], 1, v[3:4]
	v_cmp_le_i32_e64 s0, s4, v8
	v_add_nc_u32_e32 v3, s11, v3
	s_or_b32 s9, s0, s9
	v_add_co_u32 v9, vcc_lo, s2, v9
	v_add_co_ci_u32_e64 v10, null, s3, v10, vcc_lo
	flat_load_ushort v4, v[5:6]
	flat_load_ushort v9, v[9:10]
	v_add_co_u32 v5, vcc_lo, 0x800, v5
	v_add_co_ci_u32_e64 v6, null, 0, v6, vcc_lo
	s_waitcnt vmcnt(0) lgkmcnt(0)
	v_mul_f16_e32 v4, v4, v9
	v_cvt_f32_f16_e32 v4, v4
	v_add_f32_e32 v7, v7, v4
	s_andn2_b32 exec_lo, exec_lo, s9
	s_cbranch_execnz .LBB536_14
; %bb.15:
	s_or_b32 exec_lo, exec_lo, s9
.LBB536_16:
	s_or_b32 exec_lo, exec_lo, s8
	v_or_b32_e32 v3, s4, v0
	s_mov_b32 s0, exec_lo
	v_cmpx_gt_i32_e64 s10, v3
	s_cbranch_execz .LBB536_18
; %bb.17:
	v_mul_lo_u32 v3, s5, v3
	s_ashr_i32 s5, s4, 31
	s_lshl_b64 s[4:5], s[4:5], 1
	v_add_co_u32 v1, vcc_lo, v1, s4
	v_add_co_ci_u32_e64 v2, null, s5, v2, vcc_lo
	v_ashrrev_i32_e32 v4, 31, v3
	v_lshlrev_b64 v[3:4], 1, v[3:4]
	v_add_co_u32 v3, vcc_lo, s2, v3
	v_add_co_ci_u32_e64 v4, null, s3, v4, vcc_lo
	flat_load_ushort v1, v[1:2]
	flat_load_ushort v2, v[3:4]
	s_waitcnt vmcnt(0) lgkmcnt(0)
	v_mul_f16_e32 v1, v1, v2
	v_cvt_f32_f16_e32 v1, v1
	v_add_f32_e32 v7, v7, v1
.LBB536_18:
	s_or_b32 exec_lo, exec_lo, s0
	v_and_b32_e32 v8, 31, v0
	v_cmp_gt_u32_e32 vcc_lo, 32, v0
	v_lshlrev_b32_e32 v1, 2, v8
	s_and_saveexec_b32 s0, vcc_lo
; %bb.19:
	v_mov_b32_e32 v2, 0
	ds_write_b32 v1, v2
; %bb.20:
	s_or_b32 exec_lo, exec_lo, s0
	v_mbcnt_lo_u32_b32 v6, -1, 0
	s_mov_b32 s2, exec_lo
	s_waitcnt lgkmcnt(0)
	s_barrier
	buffer_gl0_inv
	v_lshl_or_b32 v2, v6, 2, 64
	v_cmp_gt_u32_e64 s0, 24, v6
	ds_bpermute_b32 v4, v2, v7
	v_cndmask_b32_e64 v3, 0, 8, s0
	v_cmp_gt_u32_e64 s0, 28, v6
	v_add_lshl_u32 v3, v3, v6, 2
	s_waitcnt lgkmcnt(0)
	v_add_f32_e32 v5, v7, v4
	v_cndmask_b32_e64 v4, 0, 4, s0
	v_cmp_gt_u32_e64 s0, 30, v6
	ds_bpermute_b32 v7, v3, v5
	v_add_lshl_u32 v4, v4, v6, 2
	s_waitcnt lgkmcnt(0)
	v_add_f32_e32 v7, v5, v7
	v_cndmask_b32_e64 v5, 0, 2, s0
	v_cmp_ne_u32_e64 s0, 31, v6
	ds_bpermute_b32 v9, v4, v7
	v_add_lshl_u32 v5, v5, v6, 2
	v_add_co_ci_u32_e64 v6, null, 0, v6, s0
	v_lshlrev_b32_e32 v6, 2, v6
	s_waitcnt lgkmcnt(0)
	v_add_f32_e32 v7, v7, v9
	ds_bpermute_b32 v9, v5, v7
	s_waitcnt lgkmcnt(0)
	v_add_f32_e32 v7, v7, v9
	ds_bpermute_b32 v9, v6, v7
	v_cmpx_eq_u32_e32 0, v8
	s_cbranch_execz .LBB536_22
; %bb.21:
	v_lshrrev_b32_e32 v8, 3, v0
	s_waitcnt lgkmcnt(0)
	v_add_f32_e32 v7, v7, v9
	v_and_b32_e32 v8, 0x7c, v8
	ds_write_b32 v8, v7
.LBB536_22:
	s_or_b32 exec_lo, exec_lo, s2
	v_mov_b32_e32 v7, 0
	s_waitcnt lgkmcnt(0)
	s_barrier
	buffer_gl0_inv
	s_and_saveexec_b32 s0, vcc_lo
; %bb.23:
	ds_read_b32 v7, v1
; %bb.24:
	s_or_b32 exec_lo, exec_lo, s0
	s_and_saveexec_b32 s0, vcc_lo
	s_cbranch_execz .LBB536_26
; %bb.25:
	s_waitcnt lgkmcnt(0)
	ds_bpermute_b32 v1, v2, v7
	s_waitcnt lgkmcnt(0)
	v_add_f32_e32 v1, v7, v1
	ds_bpermute_b32 v2, v3, v1
	s_waitcnt lgkmcnt(0)
	v_add_f32_e32 v1, v1, v2
	;; [unrolled: 3-line block ×5, first 2 shown]
.LBB536_26:
	s_or_b32 exec_lo, exec_lo, s0
	s_mov_b32 s0, exec_lo
                                        ; implicit-def: $vgpr1
                                        ; implicit-def: $sgpr10_sgpr11
	v_cmpx_eq_u32_e32 0, v0
	s_cbranch_execz .LBB536_30
; %bb.27:
	v_cmp_eq_f32_e64 s2, s7, 0
	s_waitcnt lgkmcnt(0)
	v_mul_f32_e32 v1, s16, v7
	s_mul_i32 s10, s17, s6
	s_ashr_i32 s11, s10, 31
	s_and_b32 vcc_lo, exec_lo, s2
	s_cbranch_vccnz .LBB536_29
; %bb.28:
	s_lshl_b64 s[2:3], s[10:11], 2
	s_add_u32 s2, s1, s2
	s_addc_u32 s3, s12, s3
	v_mov_b32_e32 v2, s2
	v_mov_b32_e32 v3, s3
	flat_load_dword v0, v[2:3]
	s_waitcnt vmcnt(0) lgkmcnt(0)
	v_fmac_f32_e32 v1, s7, v0
.LBB536_29:
	s_or_b32 s13, s13, exec_lo
.LBB536_30:
	s_or_b32 exec_lo, exec_lo, s0
.LBB536_31:
	s_and_saveexec_b32 s0, s13
	s_cbranch_execz .LBB536_33
; %bb.32:
	s_lshl_b64 s[2:3], s[10:11], 2
	s_add_u32 s0, s1, s2
	s_addc_u32 s1, s12, s3
	v_mov_b32_e32 v3, s1
	v_mov_b32_e32 v2, s0
	flat_store_dword v[2:3], v1
.LBB536_33:
	s_endpgm
	.section	.rodata,"a",@progbits
	.p2align	6, 0x0
	.amdhsa_kernel _ZL32rocblas_gemvt_warp_reduce_kernelILb1ELi1024EiPKDF16_PKfKPfEviiT3_lPKT2_lT1_lS9_lSA_lS6_lPT4_lSA_li
		.amdhsa_group_segment_fixed_size 128
		.amdhsa_private_segment_fixed_size 0
		.amdhsa_kernarg_size 140
		.amdhsa_user_sgpr_count 6
		.amdhsa_user_sgpr_private_segment_buffer 1
		.amdhsa_user_sgpr_dispatch_ptr 0
		.amdhsa_user_sgpr_queue_ptr 0
		.amdhsa_user_sgpr_kernarg_segment_ptr 1
		.amdhsa_user_sgpr_dispatch_id 0
		.amdhsa_user_sgpr_flat_scratch_init 0
		.amdhsa_user_sgpr_private_segment_size 0
		.amdhsa_wavefront_size32 1
		.amdhsa_uses_dynamic_stack 0
		.amdhsa_system_sgpr_private_segment_wavefront_offset 0
		.amdhsa_system_sgpr_workgroup_id_x 1
		.amdhsa_system_sgpr_workgroup_id_y 0
		.amdhsa_system_sgpr_workgroup_id_z 1
		.amdhsa_system_sgpr_workgroup_info 0
		.amdhsa_system_vgpr_workitem_id 0
		.amdhsa_next_free_vgpr 11
		.amdhsa_next_free_sgpr 24
		.amdhsa_reserve_vcc 1
		.amdhsa_reserve_flat_scratch 0
		.amdhsa_float_round_mode_32 0
		.amdhsa_float_round_mode_16_64 0
		.amdhsa_float_denorm_mode_32 3
		.amdhsa_float_denorm_mode_16_64 3
		.amdhsa_dx10_clamp 1
		.amdhsa_ieee_mode 1
		.amdhsa_fp16_overflow 0
		.amdhsa_workgroup_processor_mode 1
		.amdhsa_memory_ordered 1
		.amdhsa_forward_progress 1
		.amdhsa_shared_vgpr_count 0
		.amdhsa_exception_fp_ieee_invalid_op 0
		.amdhsa_exception_fp_denorm_src 0
		.amdhsa_exception_fp_ieee_div_zero 0
		.amdhsa_exception_fp_ieee_overflow 0
		.amdhsa_exception_fp_ieee_underflow 0
		.amdhsa_exception_fp_ieee_inexact 0
		.amdhsa_exception_int_div_zero 0
	.end_amdhsa_kernel
	.section	.text._ZL32rocblas_gemvt_warp_reduce_kernelILb1ELi1024EiPKDF16_PKfKPfEviiT3_lPKT2_lT1_lS9_lSA_lS6_lPT4_lSA_li,"axG",@progbits,_ZL32rocblas_gemvt_warp_reduce_kernelILb1ELi1024EiPKDF16_PKfKPfEviiT3_lPKT2_lT1_lS9_lSA_lS6_lPT4_lSA_li,comdat
.Lfunc_end536:
	.size	_ZL32rocblas_gemvt_warp_reduce_kernelILb1ELi1024EiPKDF16_PKfKPfEviiT3_lPKT2_lT1_lS9_lSA_lS6_lPT4_lSA_li, .Lfunc_end536-_ZL32rocblas_gemvt_warp_reduce_kernelILb1ELi1024EiPKDF16_PKfKPfEviiT3_lPKT2_lT1_lS9_lSA_lS6_lPT4_lSA_li
                                        ; -- End function
	.set _ZL32rocblas_gemvt_warp_reduce_kernelILb1ELi1024EiPKDF16_PKfKPfEviiT3_lPKT2_lT1_lS9_lSA_lS6_lPT4_lSA_li.num_vgpr, 11
	.set _ZL32rocblas_gemvt_warp_reduce_kernelILb1ELi1024EiPKDF16_PKfKPfEviiT3_lPKT2_lT1_lS9_lSA_lS6_lPT4_lSA_li.num_agpr, 0
	.set _ZL32rocblas_gemvt_warp_reduce_kernelILb1ELi1024EiPKDF16_PKfKPfEviiT3_lPKT2_lT1_lS9_lSA_lS6_lPT4_lSA_li.numbered_sgpr, 24
	.set _ZL32rocblas_gemvt_warp_reduce_kernelILb1ELi1024EiPKDF16_PKfKPfEviiT3_lPKT2_lT1_lS9_lSA_lS6_lPT4_lSA_li.num_named_barrier, 0
	.set _ZL32rocblas_gemvt_warp_reduce_kernelILb1ELi1024EiPKDF16_PKfKPfEviiT3_lPKT2_lT1_lS9_lSA_lS6_lPT4_lSA_li.private_seg_size, 0
	.set _ZL32rocblas_gemvt_warp_reduce_kernelILb1ELi1024EiPKDF16_PKfKPfEviiT3_lPKT2_lT1_lS9_lSA_lS6_lPT4_lSA_li.uses_vcc, 1
	.set _ZL32rocblas_gemvt_warp_reduce_kernelILb1ELi1024EiPKDF16_PKfKPfEviiT3_lPKT2_lT1_lS9_lSA_lS6_lPT4_lSA_li.uses_flat_scratch, 0
	.set _ZL32rocblas_gemvt_warp_reduce_kernelILb1ELi1024EiPKDF16_PKfKPfEviiT3_lPKT2_lT1_lS9_lSA_lS6_lPT4_lSA_li.has_dyn_sized_stack, 0
	.set _ZL32rocblas_gemvt_warp_reduce_kernelILb1ELi1024EiPKDF16_PKfKPfEviiT3_lPKT2_lT1_lS9_lSA_lS6_lPT4_lSA_li.has_recursion, 0
	.set _ZL32rocblas_gemvt_warp_reduce_kernelILb1ELi1024EiPKDF16_PKfKPfEviiT3_lPKT2_lT1_lS9_lSA_lS6_lPT4_lSA_li.has_indirect_call, 0
	.section	.AMDGPU.csdata,"",@progbits
; Kernel info:
; codeLenInByte = 1408
; TotalNumSgprs: 26
; NumVgprs: 11
; ScratchSize: 0
; MemoryBound: 0
; FloatMode: 240
; IeeeMode: 1
; LDSByteSize: 128 bytes/workgroup (compile time only)
; SGPRBlocks: 0
; VGPRBlocks: 1
; NumSGPRsForWavesPerEU: 26
; NumVGPRsForWavesPerEU: 11
; Occupancy: 16
; WaveLimiterHint : 1
; COMPUTE_PGM_RSRC2:SCRATCH_EN: 0
; COMPUTE_PGM_RSRC2:USER_SGPR: 6
; COMPUTE_PGM_RSRC2:TRAP_HANDLER: 0
; COMPUTE_PGM_RSRC2:TGID_X_EN: 1
; COMPUTE_PGM_RSRC2:TGID_Y_EN: 0
; COMPUTE_PGM_RSRC2:TGID_Z_EN: 1
; COMPUTE_PGM_RSRC2:TIDIG_COMP_CNT: 0
	.section	.text._ZL32rocblas_gemvt_warp_reduce_kernelILb1ELi1024ElPKDF16_PKfKPfEviiT3_lPKT2_lT1_lS9_lSA_lS6_lPT4_lSA_li,"axG",@progbits,_ZL32rocblas_gemvt_warp_reduce_kernelILb1ELi1024ElPKDF16_PKfKPfEviiT3_lPKT2_lT1_lS9_lSA_lS6_lPT4_lSA_li,comdat
	.globl	_ZL32rocblas_gemvt_warp_reduce_kernelILb1ELi1024ElPKDF16_PKfKPfEviiT3_lPKT2_lT1_lS9_lSA_lS6_lPT4_lSA_li ; -- Begin function _ZL32rocblas_gemvt_warp_reduce_kernelILb1ELi1024ElPKDF16_PKfKPfEviiT3_lPKT2_lT1_lS9_lSA_lS6_lPT4_lSA_li
	.p2align	8
	.type	_ZL32rocblas_gemvt_warp_reduce_kernelILb1ELi1024ElPKDF16_PKfKPfEviiT3_lPKT2_lT1_lS9_lSA_lS6_lPT4_lSA_li,@function
_ZL32rocblas_gemvt_warp_reduce_kernelILb1ELi1024ElPKDF16_PKfKPfEviiT3_lPKT2_lT1_lS9_lSA_lS6_lPT4_lSA_li: ; @_ZL32rocblas_gemvt_warp_reduce_kernelILb1ELi1024ElPKDF16_PKfKPfEviiT3_lPKT2_lT1_lS9_lSA_lS6_lPT4_lSA_li
; %bb.0:
	s_clause 0x1
	s_load_dwordx8 s[16:23], s[4:5], 0x8
	s_load_dwordx8 s[8:15], s[4:5], 0x58
	s_mov_b32 s26, s7
	s_mov_b32 s27, 0
	s_waitcnt lgkmcnt(0)
	s_mul_i32 s1, s19, s7
	s_mul_hi_u32 s2, s18, s7
	s_mul_i32 s0, s18, s7
	s_add_i32 s1, s2, s1
	s_mul_i32 s2, s11, s7
	s_lshl_b64 s[0:1], s[0:1], 2
	s_mul_hi_u32 s3, s10, s7
	s_add_u32 s0, s16, s0
	s_addc_u32 s1, s17, s1
	s_add_i32 s3, s3, s2
	s_mul_i32 s2, s10, s7
	s_lshl_b64 s[2:3], s[2:3], 2
	s_add_u32 s2, s8, s2
	s_addc_u32 s3, s9, s3
	s_load_dword s28, s[0:1], 0x0
	s_load_dword s7, s[2:3], 0x0
	s_waitcnt lgkmcnt(0)
	v_cmp_eq_f32_e64 s29, s28, 0
	v_cmp_eq_f32_e64 s0, s7, 1.0
	s_and_b32 s0, s29, s0
	s_and_b32 vcc_lo, exec_lo, s0
	s_cbranch_vccnz .LBB537_33
; %bb.1:
	s_clause 0x1
	s_load_dwordx2 s[18:19], s[4:5], 0x28
	s_load_dwordx2 s[8:9], s[4:5], 0x78
	v_cmp_neq_f32_e64 s30, s28, 0
	s_mov_b64 s[10:11], 0
	s_and_b32 vcc_lo, exec_lo, s29
	s_mov_b64 s[24:25], 0
	s_cbranch_vccnz .LBB537_3
; %bb.2:
	s_lshl_b64 s[0:1], s[26:27], 3
	s_add_u32 s0, s20, s0
	s_addc_u32 s1, s21, s1
	s_lshl_b64 s[2:3], s[22:23], 1
	s_load_dwordx2 s[0:1], s[0:1], 0x0
	s_waitcnt lgkmcnt(0)
	s_add_u32 s24, s0, s2
	s_addc_u32 s25, s1, s3
.LBB537_3:
	s_clause 0x1
	s_load_dwordx4 s[0:3], s[4:5], 0x38
	s_load_dwordx2 s[16:17], s[4:5], 0x48
	s_andn2_b32 vcc_lo, exec_lo, s30
	s_cbranch_vccnz .LBB537_5
; %bb.4:
	s_lshl_b64 s[10:11], s[26:27], 3
	s_waitcnt lgkmcnt(0)
	s_add_u32 s0, s0, s10
	s_addc_u32 s1, s1, s11
	s_lshl_b64 s[2:3], s[2:3], 1
	s_load_dwordx2 s[0:1], s[0:1], 0x0
	s_waitcnt lgkmcnt(0)
	s_add_u32 s10, s0, s2
	s_addc_u32 s11, s1, s3
.LBB537_5:
	s_waitcnt lgkmcnt(0)
	s_lshl_b64 s[0:1], s[26:27], 3
	s_add_u32 s0, s12, s0
	s_addc_u32 s1, s13, s1
	s_lshl_b64 s[12:13], s[14:15], 2
	s_load_dwordx2 s[2:3], s[0:1], 0x0
	v_cmp_eq_u32_e64 s0, 0, v0
	s_waitcnt lgkmcnt(0)
	s_add_u32 s1, s2, s12
	s_addc_u32 s12, s3, s13
	s_andn2_b32 vcc_lo, exec_lo, s29
	s_cbranch_vccnz .LBB537_10
; %bb.6:
	s_mov_b32 s14, 0
	s_mov_b32 s13, 0
                                        ; implicit-def: $vgpr1
                                        ; implicit-def: $sgpr2_sgpr3
	s_and_saveexec_b32 s15, s0
	s_cbranch_execz .LBB537_11
; %bb.7:
	s_ashr_i32 s0, s6, 31
	v_cmp_eq_f32_e64 s13, s7, 0
	s_mul_hi_u32 s2, s8, s6
	s_mul_i32 s0, s8, s0
	v_mov_b32_e32 v1, 0
	s_add_i32 s0, s2, s0
	s_mul_i32 s2, s9, s6
	s_and_b32 vcc_lo, exec_lo, s13
	s_add_i32 s3, s0, s2
	s_mul_i32 s2, s8, s6
	s_cbranch_vccnz .LBB537_9
; %bb.8:
	s_lshl_b64 s[20:21], s[2:3], 2
	s_add_u32 s20, s1, s20
	s_addc_u32 s21, s12, s21
	v_mov_b32_e32 v1, s20
	v_mov_b32_e32 v2, s21
	flat_load_dword v1, v[1:2]
	s_waitcnt vmcnt(0) lgkmcnt(0)
	v_mul_f32_e32 v1, s7, v1
.LBB537_9:
	s_mov_b32 s13, exec_lo
	s_or_b32 exec_lo, exec_lo, s15
	s_and_b32 vcc_lo, exec_lo, s14
	s_cbranch_vccnz .LBB537_12
	s_branch .LBB537_31
.LBB537_10:
	s_mov_b32 s13, 0
                                        ; implicit-def: $vgpr1
                                        ; implicit-def: $sgpr2_sgpr3
	s_cbranch_execnz .LBB537_12
	s_branch .LBB537_31
.LBB537_11:
	s_or_b32 exec_lo, exec_lo, s15
	s_and_b32 vcc_lo, exec_lo, s14
	s_cbranch_vccz .LBB537_31
.LBB537_12:
	s_load_dword s3, s[4:5], 0x0
	s_ashr_i32 s14, s6, 31
	s_mul_hi_u32 s0, s18, s6
	s_mul_i32 s4, s18, s14
	s_mul_i32 s2, s19, s6
	s_add_i32 s0, s0, s4
	s_mul_i32 s4, s18, s6
	s_add_i32 s5, s0, s2
	v_mov_b32_e32 v7, 0
	s_lshl_b64 s[4:5], s[4:5], 1
	s_mov_b32 s18, 0
	s_mov_b32 s15, exec_lo
	s_waitcnt lgkmcnt(0)
	v_cmp_gt_i32_e32 vcc_lo, s3, v0
	s_ashr_i32 s0, s3, 31
	s_lshr_b32 s0, s0, 22
	s_add_i32 s0, s3, s0
	v_cndmask_b32_e32 v1, 0, v0, vcc_lo
	v_lshlrev_b32_e32 v1, 1, v1
	v_add_co_u32 v1, s2, s24, v1
	v_add_co_ci_u32_e64 v2, null, s25, 0, s2
	s_and_b32 s2, s0, 0xfffffc00
	v_add_co_u32 v1, vcc_lo, v1, s4
	v_add_co_ci_u32_e64 v2, null, s5, v2, vcc_lo
	v_cmpx_gt_i32_e64 s2, v0
	s_cbranch_execz .LBB537_16
; %bb.13:
	v_mad_u64_u32 v[3:4], null, s16, v0, 0
	v_mov_b32_e32 v7, 0
	v_mov_b32_e32 v8, v0
	s_lshl_b64 s[4:5], s[16:17], 11
	v_mad_u64_u32 v[4:5], null, s17, v0, v[4:5]
	v_lshlrev_b64 v[5:6], 1, v[3:4]
	v_mov_b32_e32 v4, v2
	v_mov_b32_e32 v3, v1
	v_add_co_u32 v5, vcc_lo, s10, v5
	v_add_co_ci_u32_e64 v6, null, s11, v6, vcc_lo
	.p2align	6
.LBB537_14:                             ; =>This Inner Loop Header: Depth=1
	flat_load_ushort v9, v[3:4]
	flat_load_ushort v10, v[5:6]
	v_add_nc_u32_e32 v8, 0x400, v8
	v_add_co_u32 v3, vcc_lo, 0x800, v3
	v_add_co_ci_u32_e64 v4, null, 0, v4, vcc_lo
	v_add_co_u32 v5, vcc_lo, v5, s4
	v_cmp_le_i32_e64 s0, s2, v8
	v_add_co_ci_u32_e64 v6, null, s5, v6, vcc_lo
	s_or_b32 s18, s0, s18
	s_waitcnt vmcnt(0) lgkmcnt(0)
	v_mul_f16_e32 v9, v9, v10
	v_cvt_f32_f16_e32 v9, v9
	v_add_f32_e32 v7, v7, v9
	s_andn2_b32 exec_lo, exec_lo, s18
	s_cbranch_execnz .LBB537_14
; %bb.15:
	s_or_b32 exec_lo, exec_lo, s18
.LBB537_16:
	s_or_b32 exec_lo, exec_lo, s15
	v_or_b32_e32 v3, s2, v0
	s_mov_b32 s0, exec_lo
	v_cmpx_gt_i32_e64 s3, v3
	s_cbranch_execz .LBB537_18
; %bb.17:
	v_ashrrev_i32_e32 v5, 31, v3
	v_mul_lo_u32 v6, s17, v3
	v_mad_u64_u32 v[3:4], null, s16, v3, 0
	s_ashr_i32 s3, s2, 31
	v_mul_lo_u32 v5, s16, v5
	s_lshl_b64 s[2:3], s[2:3], 1
	v_add_co_u32 v1, vcc_lo, v1, s2
	v_add_co_ci_u32_e64 v2, null, s3, v2, vcc_lo
	v_add3_u32 v4, v4, v5, v6
	v_lshlrev_b64 v[3:4], 1, v[3:4]
	v_add_co_u32 v3, vcc_lo, s10, v3
	v_add_co_ci_u32_e64 v4, null, s11, v4, vcc_lo
	flat_load_ushort v1, v[1:2]
	flat_load_ushort v2, v[3:4]
	s_waitcnt vmcnt(0) lgkmcnt(0)
	v_mul_f16_e32 v1, v1, v2
	v_cvt_f32_f16_e32 v1, v1
	v_add_f32_e32 v7, v7, v1
.LBB537_18:
	s_or_b32 exec_lo, exec_lo, s0
	v_and_b32_e32 v8, 31, v0
	v_cmp_gt_u32_e32 vcc_lo, 32, v0
	v_lshlrev_b32_e32 v1, 2, v8
	s_and_saveexec_b32 s0, vcc_lo
; %bb.19:
	v_mov_b32_e32 v2, 0
	ds_write_b32 v1, v2
; %bb.20:
	s_or_b32 exec_lo, exec_lo, s0
	v_mbcnt_lo_u32_b32 v6, -1, 0
	s_mov_b32 s2, exec_lo
	s_waitcnt lgkmcnt(0)
	s_barrier
	buffer_gl0_inv
	v_lshl_or_b32 v2, v6, 2, 64
	v_cmp_gt_u32_e64 s0, 24, v6
	ds_bpermute_b32 v4, v2, v7
	v_cndmask_b32_e64 v3, 0, 8, s0
	v_cmp_gt_u32_e64 s0, 28, v6
	v_add_lshl_u32 v3, v3, v6, 2
	s_waitcnt lgkmcnt(0)
	v_add_f32_e32 v5, v7, v4
	v_cndmask_b32_e64 v4, 0, 4, s0
	v_cmp_gt_u32_e64 s0, 30, v6
	ds_bpermute_b32 v7, v3, v5
	v_add_lshl_u32 v4, v4, v6, 2
	s_waitcnt lgkmcnt(0)
	v_add_f32_e32 v7, v5, v7
	v_cndmask_b32_e64 v5, 0, 2, s0
	v_cmp_ne_u32_e64 s0, 31, v6
	ds_bpermute_b32 v9, v4, v7
	v_add_lshl_u32 v5, v5, v6, 2
	v_add_co_ci_u32_e64 v6, null, 0, v6, s0
	v_lshlrev_b32_e32 v6, 2, v6
	s_waitcnt lgkmcnt(0)
	v_add_f32_e32 v7, v7, v9
	ds_bpermute_b32 v9, v5, v7
	s_waitcnt lgkmcnt(0)
	v_add_f32_e32 v7, v7, v9
	ds_bpermute_b32 v9, v6, v7
	v_cmpx_eq_u32_e32 0, v8
	s_cbranch_execz .LBB537_22
; %bb.21:
	v_lshrrev_b32_e32 v8, 3, v0
	s_waitcnt lgkmcnt(0)
	v_add_f32_e32 v7, v7, v9
	v_and_b32_e32 v8, 0x7c, v8
	ds_write_b32 v8, v7
.LBB537_22:
	s_or_b32 exec_lo, exec_lo, s2
	v_mov_b32_e32 v7, 0
	s_waitcnt lgkmcnt(0)
	s_barrier
	buffer_gl0_inv
	s_and_saveexec_b32 s0, vcc_lo
; %bb.23:
	ds_read_b32 v7, v1
; %bb.24:
	s_or_b32 exec_lo, exec_lo, s0
	s_and_saveexec_b32 s0, vcc_lo
	s_cbranch_execz .LBB537_26
; %bb.25:
	s_waitcnt lgkmcnt(0)
	ds_bpermute_b32 v1, v2, v7
	s_waitcnt lgkmcnt(0)
	v_add_f32_e32 v1, v7, v1
	ds_bpermute_b32 v2, v3, v1
	s_waitcnt lgkmcnt(0)
	v_add_f32_e32 v1, v1, v2
	;; [unrolled: 3-line block ×5, first 2 shown]
.LBB537_26:
	s_or_b32 exec_lo, exec_lo, s0
	s_mov_b32 s0, exec_lo
                                        ; implicit-def: $vgpr1
                                        ; implicit-def: $sgpr2_sgpr3
	v_cmpx_eq_u32_e32 0, v0
	s_cbranch_execz .LBB537_30
; %bb.27:
	v_cmp_eq_f32_e64 s4, s7, 0
	s_mul_i32 s2, s8, s14
	s_mul_hi_u32 s3, s8, s6
	s_waitcnt lgkmcnt(0)
	v_mul_f32_e32 v1, s28, v7
	s_add_i32 s2, s3, s2
	s_mul_i32 s3, s9, s6
	s_and_b32 vcc_lo, exec_lo, s4
	s_add_i32 s3, s2, s3
	s_mul_i32 s2, s8, s6
	s_cbranch_vccnz .LBB537_29
; %bb.28:
	s_lshl_b64 s[4:5], s[2:3], 2
	s_add_u32 s4, s1, s4
	s_addc_u32 s5, s12, s5
	v_mov_b32_e32 v2, s4
	v_mov_b32_e32 v3, s5
	flat_load_dword v0, v[2:3]
	s_waitcnt vmcnt(0) lgkmcnt(0)
	v_fmac_f32_e32 v1, s7, v0
.LBB537_29:
	s_or_b32 s13, s13, exec_lo
.LBB537_30:
	s_or_b32 exec_lo, exec_lo, s0
.LBB537_31:
	s_and_saveexec_b32 s0, s13
	s_cbranch_execz .LBB537_33
; %bb.32:
	s_lshl_b64 s[2:3], s[2:3], 2
	s_add_u32 s0, s1, s2
	s_addc_u32 s1, s12, s3
	v_mov_b32_e32 v3, s1
	v_mov_b32_e32 v2, s0
	flat_store_dword v[2:3], v1
.LBB537_33:
	s_endpgm
	.section	.rodata,"a",@progbits
	.p2align	6, 0x0
	.amdhsa_kernel _ZL32rocblas_gemvt_warp_reduce_kernelILb1ELi1024ElPKDF16_PKfKPfEviiT3_lPKT2_lT1_lS9_lSA_lS6_lPT4_lSA_li
		.amdhsa_group_segment_fixed_size 128
		.amdhsa_private_segment_fixed_size 0
		.amdhsa_kernarg_size 140
		.amdhsa_user_sgpr_count 6
		.amdhsa_user_sgpr_private_segment_buffer 1
		.amdhsa_user_sgpr_dispatch_ptr 0
		.amdhsa_user_sgpr_queue_ptr 0
		.amdhsa_user_sgpr_kernarg_segment_ptr 1
		.amdhsa_user_sgpr_dispatch_id 0
		.amdhsa_user_sgpr_flat_scratch_init 0
		.amdhsa_user_sgpr_private_segment_size 0
		.amdhsa_wavefront_size32 1
		.amdhsa_uses_dynamic_stack 0
		.amdhsa_system_sgpr_private_segment_wavefront_offset 0
		.amdhsa_system_sgpr_workgroup_id_x 1
		.amdhsa_system_sgpr_workgroup_id_y 0
		.amdhsa_system_sgpr_workgroup_id_z 1
		.amdhsa_system_sgpr_workgroup_info 0
		.amdhsa_system_vgpr_workitem_id 0
		.amdhsa_next_free_vgpr 11
		.amdhsa_next_free_sgpr 31
		.amdhsa_reserve_vcc 1
		.amdhsa_reserve_flat_scratch 0
		.amdhsa_float_round_mode_32 0
		.amdhsa_float_round_mode_16_64 0
		.amdhsa_float_denorm_mode_32 3
		.amdhsa_float_denorm_mode_16_64 3
		.amdhsa_dx10_clamp 1
		.amdhsa_ieee_mode 1
		.amdhsa_fp16_overflow 0
		.amdhsa_workgroup_processor_mode 1
		.amdhsa_memory_ordered 1
		.amdhsa_forward_progress 1
		.amdhsa_shared_vgpr_count 0
		.amdhsa_exception_fp_ieee_invalid_op 0
		.amdhsa_exception_fp_denorm_src 0
		.amdhsa_exception_fp_ieee_div_zero 0
		.amdhsa_exception_fp_ieee_overflow 0
		.amdhsa_exception_fp_ieee_underflow 0
		.amdhsa_exception_fp_ieee_inexact 0
		.amdhsa_exception_int_div_zero 0
	.end_amdhsa_kernel
	.section	.text._ZL32rocblas_gemvt_warp_reduce_kernelILb1ELi1024ElPKDF16_PKfKPfEviiT3_lPKT2_lT1_lS9_lSA_lS6_lPT4_lSA_li,"axG",@progbits,_ZL32rocblas_gemvt_warp_reduce_kernelILb1ELi1024ElPKDF16_PKfKPfEviiT3_lPKT2_lT1_lS9_lSA_lS6_lPT4_lSA_li,comdat
.Lfunc_end537:
	.size	_ZL32rocblas_gemvt_warp_reduce_kernelILb1ELi1024ElPKDF16_PKfKPfEviiT3_lPKT2_lT1_lS9_lSA_lS6_lPT4_lSA_li, .Lfunc_end537-_ZL32rocblas_gemvt_warp_reduce_kernelILb1ELi1024ElPKDF16_PKfKPfEviiT3_lPKT2_lT1_lS9_lSA_lS6_lPT4_lSA_li
                                        ; -- End function
	.set _ZL32rocblas_gemvt_warp_reduce_kernelILb1ELi1024ElPKDF16_PKfKPfEviiT3_lPKT2_lT1_lS9_lSA_lS6_lPT4_lSA_li.num_vgpr, 11
	.set _ZL32rocblas_gemvt_warp_reduce_kernelILb1ELi1024ElPKDF16_PKfKPfEviiT3_lPKT2_lT1_lS9_lSA_lS6_lPT4_lSA_li.num_agpr, 0
	.set _ZL32rocblas_gemvt_warp_reduce_kernelILb1ELi1024ElPKDF16_PKfKPfEviiT3_lPKT2_lT1_lS9_lSA_lS6_lPT4_lSA_li.numbered_sgpr, 31
	.set _ZL32rocblas_gemvt_warp_reduce_kernelILb1ELi1024ElPKDF16_PKfKPfEviiT3_lPKT2_lT1_lS9_lSA_lS6_lPT4_lSA_li.num_named_barrier, 0
	.set _ZL32rocblas_gemvt_warp_reduce_kernelILb1ELi1024ElPKDF16_PKfKPfEviiT3_lPKT2_lT1_lS9_lSA_lS6_lPT4_lSA_li.private_seg_size, 0
	.set _ZL32rocblas_gemvt_warp_reduce_kernelILb1ELi1024ElPKDF16_PKfKPfEviiT3_lPKT2_lT1_lS9_lSA_lS6_lPT4_lSA_li.uses_vcc, 1
	.set _ZL32rocblas_gemvt_warp_reduce_kernelILb1ELi1024ElPKDF16_PKfKPfEviiT3_lPKT2_lT1_lS9_lSA_lS6_lPT4_lSA_li.uses_flat_scratch, 0
	.set _ZL32rocblas_gemvt_warp_reduce_kernelILb1ELi1024ElPKDF16_PKfKPfEviiT3_lPKT2_lT1_lS9_lSA_lS6_lPT4_lSA_li.has_dyn_sized_stack, 0
	.set _ZL32rocblas_gemvt_warp_reduce_kernelILb1ELi1024ElPKDF16_PKfKPfEviiT3_lPKT2_lT1_lS9_lSA_lS6_lPT4_lSA_li.has_recursion, 0
	.set _ZL32rocblas_gemvt_warp_reduce_kernelILb1ELi1024ElPKDF16_PKfKPfEviiT3_lPKT2_lT1_lS9_lSA_lS6_lPT4_lSA_li.has_indirect_call, 0
	.section	.AMDGPU.csdata,"",@progbits
; Kernel info:
; codeLenInByte = 1496
; TotalNumSgprs: 33
; NumVgprs: 11
; ScratchSize: 0
; MemoryBound: 0
; FloatMode: 240
; IeeeMode: 1
; LDSByteSize: 128 bytes/workgroup (compile time only)
; SGPRBlocks: 0
; VGPRBlocks: 1
; NumSGPRsForWavesPerEU: 33
; NumVGPRsForWavesPerEU: 11
; Occupancy: 16
; WaveLimiterHint : 1
; COMPUTE_PGM_RSRC2:SCRATCH_EN: 0
; COMPUTE_PGM_RSRC2:USER_SGPR: 6
; COMPUTE_PGM_RSRC2:TRAP_HANDLER: 0
; COMPUTE_PGM_RSRC2:TGID_X_EN: 1
; COMPUTE_PGM_RSRC2:TGID_Y_EN: 0
; COMPUTE_PGM_RSRC2:TGID_Z_EN: 1
; COMPUTE_PGM_RSRC2:TIDIG_COMP_CNT: 0
	.section	.text._ZL32rocblas_gemvt_warp_reduce_kernelILb1ELi1024EiPKDF16_fKPfEviiT3_lPKT2_lT1_lS7_lS8_lS4_lPT4_lS8_li,"axG",@progbits,_ZL32rocblas_gemvt_warp_reduce_kernelILb1ELi1024EiPKDF16_fKPfEviiT3_lPKT2_lT1_lS7_lS8_lS4_lPT4_lS8_li,comdat
	.globl	_ZL32rocblas_gemvt_warp_reduce_kernelILb1ELi1024EiPKDF16_fKPfEviiT3_lPKT2_lT1_lS7_lS8_lS4_lPT4_lS8_li ; -- Begin function _ZL32rocblas_gemvt_warp_reduce_kernelILb1ELi1024EiPKDF16_fKPfEviiT3_lPKT2_lT1_lS7_lS8_lS4_lPT4_lS8_li
	.p2align	8
	.type	_ZL32rocblas_gemvt_warp_reduce_kernelILb1ELi1024EiPKDF16_fKPfEviiT3_lPKT2_lT1_lS7_lS8_lS4_lPT4_lS8_li,@function
_ZL32rocblas_gemvt_warp_reduce_kernelILb1ELi1024EiPKDF16_fKPfEviiT3_lPKT2_lT1_lS7_lS8_lS4_lPT4_lS8_li: ; @_ZL32rocblas_gemvt_warp_reduce_kernelILb1ELi1024EiPKDF16_fKPfEviiT3_lPKT2_lT1_lS7_lS8_lS4_lPT4_lS8_li
; %bb.0:
	s_mov_b32 s10, s7
	s_clause 0x1
	s_load_dword s12, s[4:5], 0x8
	s_load_dword s7, s[4:5], 0x58
	s_mov_b32 s11, 0
	s_waitcnt lgkmcnt(0)
	v_cmp_eq_f32_e64 s15, s12, 0
	v_cmp_eq_f32_e64 s0, s7, 1.0
	s_and_b32 s0, s15, s0
	s_and_b32 vcc_lo, exec_lo, s0
	s_cbranch_vccnz .LBB538_35
; %bb.1:
	v_cmp_neq_f32_e64 s13, s12, 0
	s_and_b32 vcc_lo, exec_lo, s13
	s_cbranch_vccnz .LBB538_3
; %bb.2:
	s_mov_b32 s1, 0
	s_mov_b32 s0, s10
	;; [unrolled: 1-line block ×3, first 2 shown]
	s_mov_b64 s[2:3], 0
	s_andn2_b32 vcc_lo, exec_lo, s8
	s_mov_b64 s[8:9], 0
	s_cbranch_vccz .LBB538_4
	s_branch .LBB538_5
.LBB538_3:
	s_mov_b64 s[0:1], s[10:11]
	s_mov_b64 s[2:3], 0
	s_mov_b64 s[8:9], 0
.LBB538_4:
	s_load_dwordx4 s[16:19], s[4:5], 0x18
	s_lshl_b64 s[8:9], s[10:11], 3
	s_waitcnt lgkmcnt(0)
	s_add_u32 s8, s16, s8
	s_addc_u32 s9, s17, s9
	s_lshl_b64 s[10:11], s[18:19], 1
	s_load_dwordx2 s[8:9], s[8:9], 0x0
	s_waitcnt lgkmcnt(0)
	s_add_u32 s8, s8, s10
	s_addc_u32 s9, s9, s11
.LBB538_5:
	s_andn2_b32 vcc_lo, exec_lo, s13
	s_cbranch_vccnz .LBB538_7
; %bb.6:
	s_load_dwordx4 s[16:19], s[4:5], 0x38
	s_lshl_b64 s[2:3], s[0:1], 3
	s_waitcnt lgkmcnt(0)
	s_add_u32 s2, s16, s2
	s_addc_u32 s3, s17, s3
	s_lshl_b64 s[10:11], s[18:19], 1
	s_load_dwordx2 s[2:3], s[2:3], 0x0
	s_waitcnt lgkmcnt(0)
	s_add_u32 s2, s2, s10
	s_addc_u32 s3, s3, s11
.LBB538_7:
	s_clause 0x1
	s_load_dwordx4 s[16:19], s[4:5], 0x68
	s_load_dword s14, s[4:5], 0x78
	s_lshl_b64 s[0:1], s[0:1], 3
	s_waitcnt lgkmcnt(0)
	s_add_u32 s0, s16, s0
	s_addc_u32 s1, s17, s1
	s_lshl_b64 s[16:17], s[18:19], 2
	s_load_dwordx2 s[10:11], s[0:1], 0x0
	v_cmp_eq_u32_e64 s0, 0, v0
	s_waitcnt lgkmcnt(0)
	s_add_u32 s1, s10, s16
	s_addc_u32 s13, s11, s17
	s_andn2_b32 vcc_lo, exec_lo, s15
	s_cbranch_vccnz .LBB538_12
; %bb.8:
	s_mov_b32 s16, 0
	s_mov_b32 s15, 0
                                        ; implicit-def: $vgpr1
                                        ; implicit-def: $sgpr10_sgpr11
	s_and_saveexec_b32 s17, s0
	s_cbranch_execz .LBB538_13
; %bb.9:
	v_cmp_eq_f32_e64 s0, s7, 0
	v_mov_b32_e32 v1, 0
	s_mul_i32 s10, s14, s6
	s_ashr_i32 s11, s10, 31
	s_and_b32 vcc_lo, exec_lo, s0
	s_cbranch_vccnz .LBB538_11
; %bb.10:
	s_lshl_b64 s[18:19], s[10:11], 2
	s_add_u32 s18, s1, s18
	s_addc_u32 s19, s13, s19
	v_mov_b32_e32 v1, s18
	v_mov_b32_e32 v2, s19
	flat_load_dword v1, v[1:2]
	s_waitcnt vmcnt(0) lgkmcnt(0)
	v_mul_f32_e32 v1, s7, v1
.LBB538_11:
	s_mov_b32 s15, exec_lo
	s_or_b32 exec_lo, exec_lo, s17
	s_and_b32 vcc_lo, exec_lo, s16
	s_cbranch_vccnz .LBB538_14
	s_branch .LBB538_33
.LBB538_12:
	s_mov_b32 s15, 0
                                        ; implicit-def: $vgpr1
                                        ; implicit-def: $sgpr10_sgpr11
	s_cbranch_execnz .LBB538_14
	s_branch .LBB538_33
.LBB538_13:
	s_or_b32 exec_lo, exec_lo, s17
	s_and_b32 vcc_lo, exec_lo, s16
	s_cbranch_vccz .LBB538_33
.LBB538_14:
	s_clause 0x2
	s_load_dword s10, s[4:5], 0x0
	s_load_dword s0, s[4:5], 0x28
	;; [unrolled: 1-line block ×3, first 2 shown]
	v_mov_b32_e32 v7, 0
	s_waitcnt lgkmcnt(0)
	v_cmp_gt_i32_e32 vcc_lo, s10, v0
	s_mul_i32 s16, s0, s6
	s_ashr_i32 s0, s10, 31
	s_ashr_i32 s17, s16, 31
	s_lshr_b32 s0, s0, 22
	v_cndmask_b32_e32 v1, 0, v0, vcc_lo
	s_lshl_b64 s[16:17], s[16:17], 1
	s_add_i32 s0, s10, s0
	v_lshlrev_b32_e32 v1, 1, v1
	v_add_co_u32 v1, s4, s8, v1
	v_add_co_ci_u32_e64 v2, null, s9, 0, s4
	s_and_b32 s4, s0, 0xfffffc00
	v_add_co_u32 v1, vcc_lo, v1, s16
	v_add_co_ci_u32_e64 v2, null, s17, v2, vcc_lo
	s_mov_b32 s9, 0
	s_mov_b32 s8, exec_lo
	v_cmpx_gt_i32_e64 s4, v0
	s_cbranch_execz .LBB538_18
; %bb.15:
	v_mul_lo_u32 v3, v0, s5
	v_mov_b32_e32 v6, v2
	v_mov_b32_e32 v7, 0
	;; [unrolled: 1-line block ×4, first 2 shown]
	s_lshl_b32 s11, s5, 10
	.p2align	6
.LBB538_16:                             ; =>This Inner Loop Header: Depth=1
	v_ashrrev_i32_e32 v4, 31, v3
	v_add_nc_u32_e32 v8, 0x400, v8
	v_lshlrev_b64 v[9:10], 1, v[3:4]
	v_cmp_le_i32_e64 s0, s4, v8
	v_add_nc_u32_e32 v3, s11, v3
	s_or_b32 s9, s0, s9
	v_add_co_u32 v9, vcc_lo, s2, v9
	v_add_co_ci_u32_e64 v10, null, s3, v10, vcc_lo
	flat_load_ushort v4, v[5:6]
	flat_load_ushort v9, v[9:10]
	v_add_co_u32 v5, vcc_lo, 0x800, v5
	v_add_co_ci_u32_e64 v6, null, 0, v6, vcc_lo
	s_waitcnt vmcnt(0) lgkmcnt(0)
	v_mul_f16_e32 v4, v4, v9
	v_cvt_f32_f16_e32 v4, v4
	v_add_f32_e32 v7, v7, v4
	s_andn2_b32 exec_lo, exec_lo, s9
	s_cbranch_execnz .LBB538_16
; %bb.17:
	s_or_b32 exec_lo, exec_lo, s9
.LBB538_18:
	s_or_b32 exec_lo, exec_lo, s8
	v_or_b32_e32 v3, s4, v0
	s_mov_b32 s0, exec_lo
	v_cmpx_gt_i32_e64 s10, v3
	s_cbranch_execz .LBB538_20
; %bb.19:
	v_mul_lo_u32 v3, s5, v3
	s_ashr_i32 s5, s4, 31
	s_lshl_b64 s[4:5], s[4:5], 1
	v_add_co_u32 v1, vcc_lo, v1, s4
	v_add_co_ci_u32_e64 v2, null, s5, v2, vcc_lo
	v_ashrrev_i32_e32 v4, 31, v3
	v_lshlrev_b64 v[3:4], 1, v[3:4]
	v_add_co_u32 v3, vcc_lo, s2, v3
	v_add_co_ci_u32_e64 v4, null, s3, v4, vcc_lo
	flat_load_ushort v1, v[1:2]
	flat_load_ushort v2, v[3:4]
	s_waitcnt vmcnt(0) lgkmcnt(0)
	v_mul_f16_e32 v1, v1, v2
	v_cvt_f32_f16_e32 v1, v1
	v_add_f32_e32 v7, v7, v1
.LBB538_20:
	s_or_b32 exec_lo, exec_lo, s0
	v_and_b32_e32 v8, 31, v0
	v_cmp_gt_u32_e32 vcc_lo, 32, v0
	v_lshlrev_b32_e32 v1, 2, v8
	s_and_saveexec_b32 s0, vcc_lo
; %bb.21:
	v_mov_b32_e32 v2, 0
	ds_write_b32 v1, v2
; %bb.22:
	s_or_b32 exec_lo, exec_lo, s0
	v_mbcnt_lo_u32_b32 v6, -1, 0
	s_mov_b32 s2, exec_lo
	s_waitcnt lgkmcnt(0)
	s_barrier
	buffer_gl0_inv
	v_lshl_or_b32 v2, v6, 2, 64
	v_cmp_gt_u32_e64 s0, 24, v6
	ds_bpermute_b32 v4, v2, v7
	v_cndmask_b32_e64 v3, 0, 8, s0
	v_cmp_gt_u32_e64 s0, 28, v6
	v_add_lshl_u32 v3, v3, v6, 2
	s_waitcnt lgkmcnt(0)
	v_add_f32_e32 v5, v7, v4
	v_cndmask_b32_e64 v4, 0, 4, s0
	v_cmp_gt_u32_e64 s0, 30, v6
	ds_bpermute_b32 v7, v3, v5
	v_add_lshl_u32 v4, v4, v6, 2
	s_waitcnt lgkmcnt(0)
	v_add_f32_e32 v7, v5, v7
	v_cndmask_b32_e64 v5, 0, 2, s0
	v_cmp_ne_u32_e64 s0, 31, v6
	ds_bpermute_b32 v9, v4, v7
	v_add_lshl_u32 v5, v5, v6, 2
	v_add_co_ci_u32_e64 v6, null, 0, v6, s0
	v_lshlrev_b32_e32 v6, 2, v6
	s_waitcnt lgkmcnt(0)
	v_add_f32_e32 v7, v7, v9
	ds_bpermute_b32 v9, v5, v7
	s_waitcnt lgkmcnt(0)
	v_add_f32_e32 v7, v7, v9
	ds_bpermute_b32 v9, v6, v7
	v_cmpx_eq_u32_e32 0, v8
	s_cbranch_execz .LBB538_24
; %bb.23:
	v_lshrrev_b32_e32 v8, 3, v0
	s_waitcnt lgkmcnt(0)
	v_add_f32_e32 v7, v7, v9
	v_and_b32_e32 v8, 0x7c, v8
	ds_write_b32 v8, v7
.LBB538_24:
	s_or_b32 exec_lo, exec_lo, s2
	v_mov_b32_e32 v7, 0
	s_waitcnt lgkmcnt(0)
	s_barrier
	buffer_gl0_inv
	s_and_saveexec_b32 s0, vcc_lo
; %bb.25:
	ds_read_b32 v7, v1
; %bb.26:
	s_or_b32 exec_lo, exec_lo, s0
	s_and_saveexec_b32 s0, vcc_lo
	s_cbranch_execz .LBB538_28
; %bb.27:
	s_waitcnt lgkmcnt(0)
	ds_bpermute_b32 v1, v2, v7
	s_waitcnt lgkmcnt(0)
	v_add_f32_e32 v1, v7, v1
	ds_bpermute_b32 v2, v3, v1
	s_waitcnt lgkmcnt(0)
	v_add_f32_e32 v1, v1, v2
	;; [unrolled: 3-line block ×5, first 2 shown]
.LBB538_28:
	s_or_b32 exec_lo, exec_lo, s0
	s_mov_b32 s0, exec_lo
                                        ; implicit-def: $vgpr1
                                        ; implicit-def: $sgpr10_sgpr11
	v_cmpx_eq_u32_e32 0, v0
	s_cbranch_execz .LBB538_32
; %bb.29:
	v_cmp_eq_f32_e64 s2, s7, 0
	s_waitcnt lgkmcnt(0)
	v_mul_f32_e32 v1, s12, v7
	s_mul_i32 s10, s14, s6
	s_ashr_i32 s11, s10, 31
	s_and_b32 vcc_lo, exec_lo, s2
	s_cbranch_vccnz .LBB538_31
; %bb.30:
	s_lshl_b64 s[2:3], s[10:11], 2
	s_add_u32 s2, s1, s2
	s_addc_u32 s3, s13, s3
	v_mov_b32_e32 v2, s2
	v_mov_b32_e32 v3, s3
	flat_load_dword v0, v[2:3]
	s_waitcnt vmcnt(0) lgkmcnt(0)
	v_fmac_f32_e32 v1, s7, v0
.LBB538_31:
	s_or_b32 s15, s15, exec_lo
.LBB538_32:
	s_or_b32 exec_lo, exec_lo, s0
.LBB538_33:
	s_and_saveexec_b32 s0, s15
	s_cbranch_execz .LBB538_35
; %bb.34:
	s_lshl_b64 s[2:3], s[10:11], 2
	s_add_u32 s0, s1, s2
	s_addc_u32 s1, s13, s3
	v_mov_b32_e32 v3, s1
	v_mov_b32_e32 v2, s0
	flat_store_dword v[2:3], v1
.LBB538_35:
	s_endpgm
	.section	.rodata,"a",@progbits
	.p2align	6, 0x0
	.amdhsa_kernel _ZL32rocblas_gemvt_warp_reduce_kernelILb1ELi1024EiPKDF16_fKPfEviiT3_lPKT2_lT1_lS7_lS8_lS4_lPT4_lS8_li
		.amdhsa_group_segment_fixed_size 128
		.amdhsa_private_segment_fixed_size 0
		.amdhsa_kernarg_size 140
		.amdhsa_user_sgpr_count 6
		.amdhsa_user_sgpr_private_segment_buffer 1
		.amdhsa_user_sgpr_dispatch_ptr 0
		.amdhsa_user_sgpr_queue_ptr 0
		.amdhsa_user_sgpr_kernarg_segment_ptr 1
		.amdhsa_user_sgpr_dispatch_id 0
		.amdhsa_user_sgpr_flat_scratch_init 0
		.amdhsa_user_sgpr_private_segment_size 0
		.amdhsa_wavefront_size32 1
		.amdhsa_uses_dynamic_stack 0
		.amdhsa_system_sgpr_private_segment_wavefront_offset 0
		.amdhsa_system_sgpr_workgroup_id_x 1
		.amdhsa_system_sgpr_workgroup_id_y 0
		.amdhsa_system_sgpr_workgroup_id_z 1
		.amdhsa_system_sgpr_workgroup_info 0
		.amdhsa_system_vgpr_workitem_id 0
		.amdhsa_next_free_vgpr 11
		.amdhsa_next_free_sgpr 20
		.amdhsa_reserve_vcc 1
		.amdhsa_reserve_flat_scratch 0
		.amdhsa_float_round_mode_32 0
		.amdhsa_float_round_mode_16_64 0
		.amdhsa_float_denorm_mode_32 3
		.amdhsa_float_denorm_mode_16_64 3
		.amdhsa_dx10_clamp 1
		.amdhsa_ieee_mode 1
		.amdhsa_fp16_overflow 0
		.amdhsa_workgroup_processor_mode 1
		.amdhsa_memory_ordered 1
		.amdhsa_forward_progress 1
		.amdhsa_shared_vgpr_count 0
		.amdhsa_exception_fp_ieee_invalid_op 0
		.amdhsa_exception_fp_denorm_src 0
		.amdhsa_exception_fp_ieee_div_zero 0
		.amdhsa_exception_fp_ieee_overflow 0
		.amdhsa_exception_fp_ieee_underflow 0
		.amdhsa_exception_fp_ieee_inexact 0
		.amdhsa_exception_int_div_zero 0
	.end_amdhsa_kernel
	.section	.text._ZL32rocblas_gemvt_warp_reduce_kernelILb1ELi1024EiPKDF16_fKPfEviiT3_lPKT2_lT1_lS7_lS8_lS4_lPT4_lS8_li,"axG",@progbits,_ZL32rocblas_gemvt_warp_reduce_kernelILb1ELi1024EiPKDF16_fKPfEviiT3_lPKT2_lT1_lS7_lS8_lS4_lPT4_lS8_li,comdat
.Lfunc_end538:
	.size	_ZL32rocblas_gemvt_warp_reduce_kernelILb1ELi1024EiPKDF16_fKPfEviiT3_lPKT2_lT1_lS7_lS8_lS4_lPT4_lS8_li, .Lfunc_end538-_ZL32rocblas_gemvt_warp_reduce_kernelILb1ELi1024EiPKDF16_fKPfEviiT3_lPKT2_lT1_lS7_lS8_lS4_lPT4_lS8_li
                                        ; -- End function
	.set _ZL32rocblas_gemvt_warp_reduce_kernelILb1ELi1024EiPKDF16_fKPfEviiT3_lPKT2_lT1_lS7_lS8_lS4_lPT4_lS8_li.num_vgpr, 11
	.set _ZL32rocblas_gemvt_warp_reduce_kernelILb1ELi1024EiPKDF16_fKPfEviiT3_lPKT2_lT1_lS7_lS8_lS4_lPT4_lS8_li.num_agpr, 0
	.set _ZL32rocblas_gemvt_warp_reduce_kernelILb1ELi1024EiPKDF16_fKPfEviiT3_lPKT2_lT1_lS7_lS8_lS4_lPT4_lS8_li.numbered_sgpr, 20
	.set _ZL32rocblas_gemvt_warp_reduce_kernelILb1ELi1024EiPKDF16_fKPfEviiT3_lPKT2_lT1_lS7_lS8_lS4_lPT4_lS8_li.num_named_barrier, 0
	.set _ZL32rocblas_gemvt_warp_reduce_kernelILb1ELi1024EiPKDF16_fKPfEviiT3_lPKT2_lT1_lS7_lS8_lS4_lPT4_lS8_li.private_seg_size, 0
	.set _ZL32rocblas_gemvt_warp_reduce_kernelILb1ELi1024EiPKDF16_fKPfEviiT3_lPKT2_lT1_lS7_lS8_lS4_lPT4_lS8_li.uses_vcc, 1
	.set _ZL32rocblas_gemvt_warp_reduce_kernelILb1ELi1024EiPKDF16_fKPfEviiT3_lPKT2_lT1_lS7_lS8_lS4_lPT4_lS8_li.uses_flat_scratch, 0
	.set _ZL32rocblas_gemvt_warp_reduce_kernelILb1ELi1024EiPKDF16_fKPfEviiT3_lPKT2_lT1_lS7_lS8_lS4_lPT4_lS8_li.has_dyn_sized_stack, 0
	.set _ZL32rocblas_gemvt_warp_reduce_kernelILb1ELi1024EiPKDF16_fKPfEviiT3_lPKT2_lT1_lS7_lS8_lS4_lPT4_lS8_li.has_recursion, 0
	.set _ZL32rocblas_gemvt_warp_reduce_kernelILb1ELi1024EiPKDF16_fKPfEviiT3_lPKT2_lT1_lS7_lS8_lS4_lPT4_lS8_li.has_indirect_call, 0
	.section	.AMDGPU.csdata,"",@progbits
; Kernel info:
; codeLenInByte = 1408
; TotalNumSgprs: 22
; NumVgprs: 11
; ScratchSize: 0
; MemoryBound: 0
; FloatMode: 240
; IeeeMode: 1
; LDSByteSize: 128 bytes/workgroup (compile time only)
; SGPRBlocks: 0
; VGPRBlocks: 1
; NumSGPRsForWavesPerEU: 22
; NumVGPRsForWavesPerEU: 11
; Occupancy: 16
; WaveLimiterHint : 1
; COMPUTE_PGM_RSRC2:SCRATCH_EN: 0
; COMPUTE_PGM_RSRC2:USER_SGPR: 6
; COMPUTE_PGM_RSRC2:TRAP_HANDLER: 0
; COMPUTE_PGM_RSRC2:TGID_X_EN: 1
; COMPUTE_PGM_RSRC2:TGID_Y_EN: 0
; COMPUTE_PGM_RSRC2:TGID_Z_EN: 1
; COMPUTE_PGM_RSRC2:TIDIG_COMP_CNT: 0
	.section	.text._ZL32rocblas_gemvt_warp_reduce_kernelILb1ELi1024ElPKDF16_fKPfEviiT3_lPKT2_lT1_lS7_lS8_lS4_lPT4_lS8_li,"axG",@progbits,_ZL32rocblas_gemvt_warp_reduce_kernelILb1ELi1024ElPKDF16_fKPfEviiT3_lPKT2_lT1_lS7_lS8_lS4_lPT4_lS8_li,comdat
	.globl	_ZL32rocblas_gemvt_warp_reduce_kernelILb1ELi1024ElPKDF16_fKPfEviiT3_lPKT2_lT1_lS7_lS8_lS4_lPT4_lS8_li ; -- Begin function _ZL32rocblas_gemvt_warp_reduce_kernelILb1ELi1024ElPKDF16_fKPfEviiT3_lPKT2_lT1_lS7_lS8_lS4_lPT4_lS8_li
	.p2align	8
	.type	_ZL32rocblas_gemvt_warp_reduce_kernelILb1ELi1024ElPKDF16_fKPfEviiT3_lPKT2_lT1_lS7_lS8_lS4_lPT4_lS8_li,@function
_ZL32rocblas_gemvt_warp_reduce_kernelILb1ELi1024ElPKDF16_fKPfEviiT3_lPKT2_lT1_lS7_lS8_lS4_lPT4_lS8_li: ; @_ZL32rocblas_gemvt_warp_reduce_kernelILb1ELi1024ElPKDF16_fKPfEviiT3_lPKT2_lT1_lS7_lS8_lS4_lPT4_lS8_li
; %bb.0:
	s_mov_b32 s10, s7
	s_clause 0x1
	s_load_dword s18, s[4:5], 0x8
	s_load_dword s7, s[4:5], 0x58
	s_mov_b32 s11, 0
	s_waitcnt lgkmcnt(0)
	v_cmp_eq_f32_e64 s20, s18, 0
	v_cmp_eq_f32_e64 s0, s7, 1.0
	s_and_b32 s0, s20, s0
	s_and_b32 vcc_lo, exec_lo, s0
	s_cbranch_vccnz .LBB539_35
; %bb.1:
	s_clause 0x1
	s_load_dwordx4 s[0:3], s[4:5], 0x18
	s_load_dwordx2 s[12:13], s[4:5], 0x28
	v_cmp_neq_f32_e64 s19, s18, 0
	s_and_b32 vcc_lo, exec_lo, s19
	s_cbranch_vccnz .LBB539_3
; %bb.2:
	s_mov_b32 s17, 0
	s_mov_b32 s16, s10
	;; [unrolled: 1-line block ×3, first 2 shown]
	s_mov_b64 s[8:9], 0
	s_andn2_b32 vcc_lo, exec_lo, s14
	s_mov_b64 s[14:15], 0
	s_cbranch_vccz .LBB539_4
	s_branch .LBB539_5
.LBB539_3:
	s_mov_b64 s[16:17], s[10:11]
	s_mov_b64 s[8:9], 0
	;; [unrolled: 1-line block ×3, first 2 shown]
.LBB539_4:
	s_lshl_b64 s[10:11], s[10:11], 3
	s_waitcnt lgkmcnt(0)
	s_add_u32 s0, s0, s10
	s_addc_u32 s1, s1, s11
	s_lshl_b64 s[2:3], s[2:3], 1
	s_load_dwordx2 s[0:1], s[0:1], 0x0
	s_waitcnt lgkmcnt(0)
	s_add_u32 s14, s0, s2
	s_addc_u32 s15, s1, s3
.LBB539_5:
	s_waitcnt lgkmcnt(0)
	s_clause 0x1
	s_load_dwordx4 s[0:3], s[4:5], 0x38
	s_load_dwordx2 s[10:11], s[4:5], 0x48
	s_andn2_b32 vcc_lo, exec_lo, s19
	s_cbranch_vccnz .LBB539_7
; %bb.6:
	s_lshl_b64 s[8:9], s[16:17], 3
	s_waitcnt lgkmcnt(0)
	s_add_u32 s0, s0, s8
	s_addc_u32 s1, s1, s9
	s_lshl_b64 s[2:3], s[2:3], 1
	s_load_dwordx2 s[0:1], s[0:1], 0x0
	s_waitcnt lgkmcnt(0)
	s_add_u32 s8, s0, s2
	s_addc_u32 s9, s1, s3
.LBB539_7:
	s_load_dwordx4 s[24:27], s[4:5], 0x68
	s_waitcnt lgkmcnt(0)
	s_load_dwordx2 s[2:3], s[4:5], 0x78
	s_lshl_b64 s[0:1], s[16:17], 3
	s_add_u32 s0, s24, s0
	s_addc_u32 s1, s25, s1
	s_lshl_b64 s[22:23], s[26:27], 2
	s_load_dwordx2 s[16:17], s[0:1], 0x0
	v_cmp_eq_u32_e64 s0, 0, v0
	s_waitcnt lgkmcnt(0)
	s_add_u32 s1, s16, s22
	s_addc_u32 s19, s17, s23
	s_andn2_b32 vcc_lo, exec_lo, s20
	s_cbranch_vccnz .LBB539_12
; %bb.8:
	s_mov_b32 s21, 0
	s_mov_b32 s20, 0
                                        ; implicit-def: $vgpr1
                                        ; implicit-def: $sgpr16_sgpr17
	s_and_saveexec_b32 s22, s0
	s_cbranch_execz .LBB539_13
; %bb.9:
	s_ashr_i32 s0, s6, 31
	v_cmp_eq_f32_e64 s20, s7, 0
	s_mul_hi_u32 s16, s2, s6
	s_mul_i32 s0, s2, s0
	v_mov_b32_e32 v1, 0
	s_add_i32 s0, s16, s0
	s_mul_i32 s16, s3, s6
	s_and_b32 vcc_lo, exec_lo, s20
	s_add_i32 s17, s0, s16
	s_mul_i32 s16, s2, s6
	s_cbranch_vccnz .LBB539_11
; %bb.10:
	s_lshl_b64 s[24:25], s[16:17], 2
	s_add_u32 s24, s1, s24
	s_addc_u32 s25, s19, s25
	v_mov_b32_e32 v1, s24
	v_mov_b32_e32 v2, s25
	flat_load_dword v1, v[1:2]
	s_waitcnt vmcnt(0) lgkmcnt(0)
	v_mul_f32_e32 v1, s7, v1
.LBB539_11:
	s_mov_b32 s20, exec_lo
	s_or_b32 exec_lo, exec_lo, s22
	s_and_b32 vcc_lo, exec_lo, s21
	s_cbranch_vccnz .LBB539_14
	s_branch .LBB539_33
.LBB539_12:
	s_mov_b32 s20, 0
                                        ; implicit-def: $vgpr1
                                        ; implicit-def: $sgpr16_sgpr17
	s_cbranch_execnz .LBB539_14
	s_branch .LBB539_33
.LBB539_13:
	s_or_b32 exec_lo, exec_lo, s22
	s_and_b32 vcc_lo, exec_lo, s21
	s_cbranch_vccz .LBB539_33
.LBB539_14:
	s_load_dword s5, s[4:5], 0x0
	s_ashr_i32 s21, s6, 31
	s_mul_hi_u32 s0, s12, s6
	s_mul_i32 s4, s13, s6
	s_mul_i32 s13, s12, s21
	;; [unrolled: 1-line block ×3, first 2 shown]
	s_add_i32 s0, s0, s13
	v_mov_b32_e32 v7, 0
	s_add_i32 s13, s0, s4
	s_lshl_b64 s[12:13], s[12:13], 1
	s_waitcnt lgkmcnt(0)
	v_cmp_gt_i32_e32 vcc_lo, s5, v0
	s_ashr_i32 s0, s5, 31
	s_lshr_b32 s0, s0, 22
	s_add_i32 s0, s5, s0
	v_cndmask_b32_e32 v1, 0, v0, vcc_lo
	v_lshlrev_b32_e32 v1, 1, v1
	v_add_co_u32 v1, s4, s14, v1
	v_add_co_ci_u32_e64 v2, null, s15, 0, s4
	s_and_b32 s4, s0, 0xfffffc00
	v_add_co_u32 v1, vcc_lo, v1, s12
	v_add_co_ci_u32_e64 v2, null, s13, v2, vcc_lo
	s_mov_b32 s15, 0
	s_mov_b32 s14, exec_lo
	v_cmpx_gt_i32_e64 s4, v0
	s_cbranch_execz .LBB539_18
; %bb.15:
	v_mad_u64_u32 v[3:4], null, s10, v0, 0
	v_mov_b32_e32 v7, 0
	v_mov_b32_e32 v8, v0
	s_lshl_b64 s[12:13], s[10:11], 11
	v_mad_u64_u32 v[4:5], null, s11, v0, v[4:5]
	v_lshlrev_b64 v[5:6], 1, v[3:4]
	v_mov_b32_e32 v4, v2
	v_mov_b32_e32 v3, v1
	v_add_co_u32 v5, vcc_lo, s8, v5
	v_add_co_ci_u32_e64 v6, null, s9, v6, vcc_lo
	.p2align	6
.LBB539_16:                             ; =>This Inner Loop Header: Depth=1
	flat_load_ushort v9, v[3:4]
	flat_load_ushort v10, v[5:6]
	v_add_nc_u32_e32 v8, 0x400, v8
	v_add_co_u32 v3, vcc_lo, 0x800, v3
	v_add_co_ci_u32_e64 v4, null, 0, v4, vcc_lo
	v_add_co_u32 v5, vcc_lo, v5, s12
	v_cmp_le_i32_e64 s0, s4, v8
	v_add_co_ci_u32_e64 v6, null, s13, v6, vcc_lo
	s_or_b32 s15, s0, s15
	s_waitcnt vmcnt(0) lgkmcnt(0)
	v_mul_f16_e32 v9, v9, v10
	v_cvt_f32_f16_e32 v9, v9
	v_add_f32_e32 v7, v7, v9
	s_andn2_b32 exec_lo, exec_lo, s15
	s_cbranch_execnz .LBB539_16
; %bb.17:
	s_or_b32 exec_lo, exec_lo, s15
.LBB539_18:
	s_or_b32 exec_lo, exec_lo, s14
	v_or_b32_e32 v3, s4, v0
	s_mov_b32 s0, exec_lo
	v_cmpx_gt_i32_e64 s5, v3
	s_cbranch_execz .LBB539_20
; %bb.19:
	v_ashrrev_i32_e32 v5, 31, v3
	v_mul_lo_u32 v6, s11, v3
	v_mad_u64_u32 v[3:4], null, s10, v3, 0
	s_ashr_i32 s5, s4, 31
	v_mul_lo_u32 v5, s10, v5
	s_lshl_b64 s[4:5], s[4:5], 1
	v_add_co_u32 v1, vcc_lo, v1, s4
	v_add_co_ci_u32_e64 v2, null, s5, v2, vcc_lo
	v_add3_u32 v4, v4, v5, v6
	v_lshlrev_b64 v[3:4], 1, v[3:4]
	v_add_co_u32 v3, vcc_lo, s8, v3
	v_add_co_ci_u32_e64 v4, null, s9, v4, vcc_lo
	flat_load_ushort v1, v[1:2]
	flat_load_ushort v2, v[3:4]
	s_waitcnt vmcnt(0) lgkmcnt(0)
	v_mul_f16_e32 v1, v1, v2
	v_cvt_f32_f16_e32 v1, v1
	v_add_f32_e32 v7, v7, v1
.LBB539_20:
	s_or_b32 exec_lo, exec_lo, s0
	v_and_b32_e32 v8, 31, v0
	v_cmp_gt_u32_e32 vcc_lo, 32, v0
	v_lshlrev_b32_e32 v1, 2, v8
	s_and_saveexec_b32 s0, vcc_lo
; %bb.21:
	v_mov_b32_e32 v2, 0
	ds_write_b32 v1, v2
; %bb.22:
	s_or_b32 exec_lo, exec_lo, s0
	v_mbcnt_lo_u32_b32 v6, -1, 0
	s_mov_b32 s4, exec_lo
	s_waitcnt lgkmcnt(0)
	s_barrier
	buffer_gl0_inv
	v_lshl_or_b32 v2, v6, 2, 64
	v_cmp_gt_u32_e64 s0, 24, v6
	ds_bpermute_b32 v4, v2, v7
	v_cndmask_b32_e64 v3, 0, 8, s0
	v_cmp_gt_u32_e64 s0, 28, v6
	v_add_lshl_u32 v3, v3, v6, 2
	s_waitcnt lgkmcnt(0)
	v_add_f32_e32 v5, v7, v4
	v_cndmask_b32_e64 v4, 0, 4, s0
	v_cmp_gt_u32_e64 s0, 30, v6
	ds_bpermute_b32 v7, v3, v5
	v_add_lshl_u32 v4, v4, v6, 2
	s_waitcnt lgkmcnt(0)
	v_add_f32_e32 v7, v5, v7
	v_cndmask_b32_e64 v5, 0, 2, s0
	v_cmp_ne_u32_e64 s0, 31, v6
	ds_bpermute_b32 v9, v4, v7
	v_add_lshl_u32 v5, v5, v6, 2
	v_add_co_ci_u32_e64 v6, null, 0, v6, s0
	v_lshlrev_b32_e32 v6, 2, v6
	s_waitcnt lgkmcnt(0)
	v_add_f32_e32 v7, v7, v9
	ds_bpermute_b32 v9, v5, v7
	s_waitcnt lgkmcnt(0)
	v_add_f32_e32 v7, v7, v9
	ds_bpermute_b32 v9, v6, v7
	v_cmpx_eq_u32_e32 0, v8
	s_cbranch_execz .LBB539_24
; %bb.23:
	v_lshrrev_b32_e32 v8, 3, v0
	s_waitcnt lgkmcnt(0)
	v_add_f32_e32 v7, v7, v9
	v_and_b32_e32 v8, 0x7c, v8
	ds_write_b32 v8, v7
.LBB539_24:
	s_or_b32 exec_lo, exec_lo, s4
	v_mov_b32_e32 v7, 0
	s_waitcnt lgkmcnt(0)
	s_barrier
	buffer_gl0_inv
	s_and_saveexec_b32 s0, vcc_lo
; %bb.25:
	ds_read_b32 v7, v1
; %bb.26:
	s_or_b32 exec_lo, exec_lo, s0
	s_and_saveexec_b32 s0, vcc_lo
	s_cbranch_execz .LBB539_28
; %bb.27:
	s_waitcnt lgkmcnt(0)
	ds_bpermute_b32 v1, v2, v7
	s_waitcnt lgkmcnt(0)
	v_add_f32_e32 v1, v7, v1
	ds_bpermute_b32 v2, v3, v1
	s_waitcnt lgkmcnt(0)
	v_add_f32_e32 v1, v1, v2
	;; [unrolled: 3-line block ×5, first 2 shown]
.LBB539_28:
	s_or_b32 exec_lo, exec_lo, s0
	s_mov_b32 s0, exec_lo
                                        ; implicit-def: $vgpr1
                                        ; implicit-def: $sgpr16_sgpr17
	v_cmpx_eq_u32_e32 0, v0
	s_cbranch_execz .LBB539_32
; %bb.29:
	v_cmp_eq_f32_e64 s8, s7, 0
	s_mul_i32 s4, s2, s21
	s_mul_hi_u32 s5, s2, s6
	s_waitcnt lgkmcnt(0)
	v_mul_f32_e32 v1, s18, v7
	s_add_i32 s4, s5, s4
	s_mul_i32 s3, s3, s6
	s_and_b32 vcc_lo, exec_lo, s8
	s_add_i32 s17, s4, s3
	s_mul_i32 s16, s2, s6
	s_cbranch_vccnz .LBB539_31
; %bb.30:
	s_lshl_b64 s[2:3], s[16:17], 2
	s_add_u32 s2, s1, s2
	s_addc_u32 s3, s19, s3
	v_mov_b32_e32 v2, s2
	v_mov_b32_e32 v3, s3
	flat_load_dword v0, v[2:3]
	s_waitcnt vmcnt(0) lgkmcnt(0)
	v_fmac_f32_e32 v1, s7, v0
.LBB539_31:
	s_or_b32 s20, s20, exec_lo
.LBB539_32:
	s_or_b32 exec_lo, exec_lo, s0
.LBB539_33:
	s_and_saveexec_b32 s0, s20
	s_cbranch_execz .LBB539_35
; %bb.34:
	s_lshl_b64 s[2:3], s[16:17], 2
	s_add_u32 s0, s1, s2
	s_addc_u32 s1, s19, s3
	v_mov_b32_e32 v3, s1
	v_mov_b32_e32 v2, s0
	flat_store_dword v[2:3], v1
.LBB539_35:
	s_endpgm
	.section	.rodata,"a",@progbits
	.p2align	6, 0x0
	.amdhsa_kernel _ZL32rocblas_gemvt_warp_reduce_kernelILb1ELi1024ElPKDF16_fKPfEviiT3_lPKT2_lT1_lS7_lS8_lS4_lPT4_lS8_li
		.amdhsa_group_segment_fixed_size 128
		.amdhsa_private_segment_fixed_size 0
		.amdhsa_kernarg_size 140
		.amdhsa_user_sgpr_count 6
		.amdhsa_user_sgpr_private_segment_buffer 1
		.amdhsa_user_sgpr_dispatch_ptr 0
		.amdhsa_user_sgpr_queue_ptr 0
		.amdhsa_user_sgpr_kernarg_segment_ptr 1
		.amdhsa_user_sgpr_dispatch_id 0
		.amdhsa_user_sgpr_flat_scratch_init 0
		.amdhsa_user_sgpr_private_segment_size 0
		.amdhsa_wavefront_size32 1
		.amdhsa_uses_dynamic_stack 0
		.amdhsa_system_sgpr_private_segment_wavefront_offset 0
		.amdhsa_system_sgpr_workgroup_id_x 1
		.amdhsa_system_sgpr_workgroup_id_y 0
		.amdhsa_system_sgpr_workgroup_id_z 1
		.amdhsa_system_sgpr_workgroup_info 0
		.amdhsa_system_vgpr_workitem_id 0
		.amdhsa_next_free_vgpr 11
		.amdhsa_next_free_sgpr 28
		.amdhsa_reserve_vcc 1
		.amdhsa_reserve_flat_scratch 0
		.amdhsa_float_round_mode_32 0
		.amdhsa_float_round_mode_16_64 0
		.amdhsa_float_denorm_mode_32 3
		.amdhsa_float_denorm_mode_16_64 3
		.amdhsa_dx10_clamp 1
		.amdhsa_ieee_mode 1
		.amdhsa_fp16_overflow 0
		.amdhsa_workgroup_processor_mode 1
		.amdhsa_memory_ordered 1
		.amdhsa_forward_progress 1
		.amdhsa_shared_vgpr_count 0
		.amdhsa_exception_fp_ieee_invalid_op 0
		.amdhsa_exception_fp_denorm_src 0
		.amdhsa_exception_fp_ieee_div_zero 0
		.amdhsa_exception_fp_ieee_overflow 0
		.amdhsa_exception_fp_ieee_underflow 0
		.amdhsa_exception_fp_ieee_inexact 0
		.amdhsa_exception_int_div_zero 0
	.end_amdhsa_kernel
	.section	.text._ZL32rocblas_gemvt_warp_reduce_kernelILb1ELi1024ElPKDF16_fKPfEviiT3_lPKT2_lT1_lS7_lS8_lS4_lPT4_lS8_li,"axG",@progbits,_ZL32rocblas_gemvt_warp_reduce_kernelILb1ELi1024ElPKDF16_fKPfEviiT3_lPKT2_lT1_lS7_lS8_lS4_lPT4_lS8_li,comdat
.Lfunc_end539:
	.size	_ZL32rocblas_gemvt_warp_reduce_kernelILb1ELi1024ElPKDF16_fKPfEviiT3_lPKT2_lT1_lS7_lS8_lS4_lPT4_lS8_li, .Lfunc_end539-_ZL32rocblas_gemvt_warp_reduce_kernelILb1ELi1024ElPKDF16_fKPfEviiT3_lPKT2_lT1_lS7_lS8_lS4_lPT4_lS8_li
                                        ; -- End function
	.set _ZL32rocblas_gemvt_warp_reduce_kernelILb1ELi1024ElPKDF16_fKPfEviiT3_lPKT2_lT1_lS7_lS8_lS4_lPT4_lS8_li.num_vgpr, 11
	.set _ZL32rocblas_gemvt_warp_reduce_kernelILb1ELi1024ElPKDF16_fKPfEviiT3_lPKT2_lT1_lS7_lS8_lS4_lPT4_lS8_li.num_agpr, 0
	.set _ZL32rocblas_gemvt_warp_reduce_kernelILb1ELi1024ElPKDF16_fKPfEviiT3_lPKT2_lT1_lS7_lS8_lS4_lPT4_lS8_li.numbered_sgpr, 28
	.set _ZL32rocblas_gemvt_warp_reduce_kernelILb1ELi1024ElPKDF16_fKPfEviiT3_lPKT2_lT1_lS7_lS8_lS4_lPT4_lS8_li.num_named_barrier, 0
	.set _ZL32rocblas_gemvt_warp_reduce_kernelILb1ELi1024ElPKDF16_fKPfEviiT3_lPKT2_lT1_lS7_lS8_lS4_lPT4_lS8_li.private_seg_size, 0
	.set _ZL32rocblas_gemvt_warp_reduce_kernelILb1ELi1024ElPKDF16_fKPfEviiT3_lPKT2_lT1_lS7_lS8_lS4_lPT4_lS8_li.uses_vcc, 1
	.set _ZL32rocblas_gemvt_warp_reduce_kernelILb1ELi1024ElPKDF16_fKPfEviiT3_lPKT2_lT1_lS7_lS8_lS4_lPT4_lS8_li.uses_flat_scratch, 0
	.set _ZL32rocblas_gemvt_warp_reduce_kernelILb1ELi1024ElPKDF16_fKPfEviiT3_lPKT2_lT1_lS7_lS8_lS4_lPT4_lS8_li.has_dyn_sized_stack, 0
	.set _ZL32rocblas_gemvt_warp_reduce_kernelILb1ELi1024ElPKDF16_fKPfEviiT3_lPKT2_lT1_lS7_lS8_lS4_lPT4_lS8_li.has_recursion, 0
	.set _ZL32rocblas_gemvt_warp_reduce_kernelILb1ELi1024ElPKDF16_fKPfEviiT3_lPKT2_lT1_lS7_lS8_lS4_lPT4_lS8_li.has_indirect_call, 0
	.section	.AMDGPU.csdata,"",@progbits
; Kernel info:
; codeLenInByte = 1496
; TotalNumSgprs: 30
; NumVgprs: 11
; ScratchSize: 0
; MemoryBound: 0
; FloatMode: 240
; IeeeMode: 1
; LDSByteSize: 128 bytes/workgroup (compile time only)
; SGPRBlocks: 0
; VGPRBlocks: 1
; NumSGPRsForWavesPerEU: 30
; NumVGPRsForWavesPerEU: 11
; Occupancy: 16
; WaveLimiterHint : 1
; COMPUTE_PGM_RSRC2:SCRATCH_EN: 0
; COMPUTE_PGM_RSRC2:USER_SGPR: 6
; COMPUTE_PGM_RSRC2:TRAP_HANDLER: 0
; COMPUTE_PGM_RSRC2:TGID_X_EN: 1
; COMPUTE_PGM_RSRC2:TGID_Y_EN: 0
; COMPUTE_PGM_RSRC2:TGID_Z_EN: 1
; COMPUTE_PGM_RSRC2:TIDIG_COMP_CNT: 0
	.section	.text._ZL34rocblas_gemvn_sm_mn_batched_kernelILi32ELi24E16rocblas_bfloat16PKfS0_EviiT2_lPKT1_lilS6_lilS3_lPT3_lili,"axG",@progbits,_ZL34rocblas_gemvn_sm_mn_batched_kernelILi32ELi24E16rocblas_bfloat16PKfS0_EviiT2_lPKT1_lilS6_lilS3_lPT3_lili,comdat
	.globl	_ZL34rocblas_gemvn_sm_mn_batched_kernelILi32ELi24E16rocblas_bfloat16PKfS0_EviiT2_lPKT1_lilS6_lilS3_lPT3_lili ; -- Begin function _ZL34rocblas_gemvn_sm_mn_batched_kernelILi32ELi24E16rocblas_bfloat16PKfS0_EviiT2_lPKT1_lilS6_lilS3_lPT3_lili
	.p2align	8
	.type	_ZL34rocblas_gemvn_sm_mn_batched_kernelILi32ELi24E16rocblas_bfloat16PKfS0_EviiT2_lPKT1_lilS6_lilS3_lPT3_lili,@function
_ZL34rocblas_gemvn_sm_mn_batched_kernelILi32ELi24E16rocblas_bfloat16PKfS0_EviiT2_lPKT1_lilS6_lilS3_lPT3_lili: ; @_ZL34rocblas_gemvn_sm_mn_batched_kernelILi32ELi24E16rocblas_bfloat16PKfS0_EviiT2_lPKT1_lilS6_lilS3_lPT3_lili
; %bb.0:
	s_endpgm
	.section	.rodata,"a",@progbits
	.p2align	6, 0x0
	.amdhsa_kernel _ZL34rocblas_gemvn_sm_mn_batched_kernelILi32ELi24E16rocblas_bfloat16PKfS0_EviiT2_lPKT1_lilS6_lilS3_lPT3_lili
		.amdhsa_group_segment_fixed_size 0
		.amdhsa_private_segment_fixed_size 0
		.amdhsa_kernarg_size 140
		.amdhsa_user_sgpr_count 6
		.amdhsa_user_sgpr_private_segment_buffer 1
		.amdhsa_user_sgpr_dispatch_ptr 0
		.amdhsa_user_sgpr_queue_ptr 0
		.amdhsa_user_sgpr_kernarg_segment_ptr 1
		.amdhsa_user_sgpr_dispatch_id 0
		.amdhsa_user_sgpr_flat_scratch_init 0
		.amdhsa_user_sgpr_private_segment_size 0
		.amdhsa_wavefront_size32 1
		.amdhsa_uses_dynamic_stack 0
		.amdhsa_system_sgpr_private_segment_wavefront_offset 0
		.amdhsa_system_sgpr_workgroup_id_x 1
		.amdhsa_system_sgpr_workgroup_id_y 0
		.amdhsa_system_sgpr_workgroup_id_z 0
		.amdhsa_system_sgpr_workgroup_info 0
		.amdhsa_system_vgpr_workitem_id 0
		.amdhsa_next_free_vgpr 1
		.amdhsa_next_free_sgpr 1
		.amdhsa_reserve_vcc 0
		.amdhsa_reserve_flat_scratch 0
		.amdhsa_float_round_mode_32 0
		.amdhsa_float_round_mode_16_64 0
		.amdhsa_float_denorm_mode_32 3
		.amdhsa_float_denorm_mode_16_64 3
		.amdhsa_dx10_clamp 1
		.amdhsa_ieee_mode 1
		.amdhsa_fp16_overflow 0
		.amdhsa_workgroup_processor_mode 1
		.amdhsa_memory_ordered 1
		.amdhsa_forward_progress 1
		.amdhsa_shared_vgpr_count 0
		.amdhsa_exception_fp_ieee_invalid_op 0
		.amdhsa_exception_fp_denorm_src 0
		.amdhsa_exception_fp_ieee_div_zero 0
		.amdhsa_exception_fp_ieee_overflow 0
		.amdhsa_exception_fp_ieee_underflow 0
		.amdhsa_exception_fp_ieee_inexact 0
		.amdhsa_exception_int_div_zero 0
	.end_amdhsa_kernel
	.section	.text._ZL34rocblas_gemvn_sm_mn_batched_kernelILi32ELi24E16rocblas_bfloat16PKfS0_EviiT2_lPKT1_lilS6_lilS3_lPT3_lili,"axG",@progbits,_ZL34rocblas_gemvn_sm_mn_batched_kernelILi32ELi24E16rocblas_bfloat16PKfS0_EviiT2_lPKT1_lilS6_lilS3_lPT3_lili,comdat
.Lfunc_end540:
	.size	_ZL34rocblas_gemvn_sm_mn_batched_kernelILi32ELi24E16rocblas_bfloat16PKfS0_EviiT2_lPKT1_lilS6_lilS3_lPT3_lili, .Lfunc_end540-_ZL34rocblas_gemvn_sm_mn_batched_kernelILi32ELi24E16rocblas_bfloat16PKfS0_EviiT2_lPKT1_lilS6_lilS3_lPT3_lili
                                        ; -- End function
	.set _ZL34rocblas_gemvn_sm_mn_batched_kernelILi32ELi24E16rocblas_bfloat16PKfS0_EviiT2_lPKT1_lilS6_lilS3_lPT3_lili.num_vgpr, 0
	.set _ZL34rocblas_gemvn_sm_mn_batched_kernelILi32ELi24E16rocblas_bfloat16PKfS0_EviiT2_lPKT1_lilS6_lilS3_lPT3_lili.num_agpr, 0
	.set _ZL34rocblas_gemvn_sm_mn_batched_kernelILi32ELi24E16rocblas_bfloat16PKfS0_EviiT2_lPKT1_lilS6_lilS3_lPT3_lili.numbered_sgpr, 0
	.set _ZL34rocblas_gemvn_sm_mn_batched_kernelILi32ELi24E16rocblas_bfloat16PKfS0_EviiT2_lPKT1_lilS6_lilS3_lPT3_lili.num_named_barrier, 0
	.set _ZL34rocblas_gemvn_sm_mn_batched_kernelILi32ELi24E16rocblas_bfloat16PKfS0_EviiT2_lPKT1_lilS6_lilS3_lPT3_lili.private_seg_size, 0
	.set _ZL34rocblas_gemvn_sm_mn_batched_kernelILi32ELi24E16rocblas_bfloat16PKfS0_EviiT2_lPKT1_lilS6_lilS3_lPT3_lili.uses_vcc, 0
	.set _ZL34rocblas_gemvn_sm_mn_batched_kernelILi32ELi24E16rocblas_bfloat16PKfS0_EviiT2_lPKT1_lilS6_lilS3_lPT3_lili.uses_flat_scratch, 0
	.set _ZL34rocblas_gemvn_sm_mn_batched_kernelILi32ELi24E16rocblas_bfloat16PKfS0_EviiT2_lPKT1_lilS6_lilS3_lPT3_lili.has_dyn_sized_stack, 0
	.set _ZL34rocblas_gemvn_sm_mn_batched_kernelILi32ELi24E16rocblas_bfloat16PKfS0_EviiT2_lPKT1_lilS6_lilS3_lPT3_lili.has_recursion, 0
	.set _ZL34rocblas_gemvn_sm_mn_batched_kernelILi32ELi24E16rocblas_bfloat16PKfS0_EviiT2_lPKT1_lilS6_lilS3_lPT3_lili.has_indirect_call, 0
	.section	.AMDGPU.csdata,"",@progbits
; Kernel info:
; codeLenInByte = 4
; TotalNumSgprs: 0
; NumVgprs: 0
; ScratchSize: 0
; MemoryBound: 0
; FloatMode: 240
; IeeeMode: 1
; LDSByteSize: 0 bytes/workgroup (compile time only)
; SGPRBlocks: 0
; VGPRBlocks: 0
; NumSGPRsForWavesPerEU: 1
; NumVGPRsForWavesPerEU: 1
; Occupancy: 16
; WaveLimiterHint : 0
; COMPUTE_PGM_RSRC2:SCRATCH_EN: 0
; COMPUTE_PGM_RSRC2:USER_SGPR: 6
; COMPUTE_PGM_RSRC2:TRAP_HANDLER: 0
; COMPUTE_PGM_RSRC2:TGID_X_EN: 1
; COMPUTE_PGM_RSRC2:TGID_Y_EN: 0
; COMPUTE_PGM_RSRC2:TGID_Z_EN: 0
; COMPUTE_PGM_RSRC2:TIDIG_COMP_CNT: 0
	.section	.text._ZL34rocblas_gemvn_sm_mn_batched_kernelILi32ELi24E16rocblas_bfloat16fS0_EviiT2_lPKT1_lilS4_lilS1_lPT3_lili,"axG",@progbits,_ZL34rocblas_gemvn_sm_mn_batched_kernelILi32ELi24E16rocblas_bfloat16fS0_EviiT2_lPKT1_lilS4_lilS1_lPT3_lili,comdat
	.globl	_ZL34rocblas_gemvn_sm_mn_batched_kernelILi32ELi24E16rocblas_bfloat16fS0_EviiT2_lPKT1_lilS4_lilS1_lPT3_lili ; -- Begin function _ZL34rocblas_gemvn_sm_mn_batched_kernelILi32ELi24E16rocblas_bfloat16fS0_EviiT2_lPKT1_lilS4_lilS1_lPT3_lili
	.p2align	8
	.type	_ZL34rocblas_gemvn_sm_mn_batched_kernelILi32ELi24E16rocblas_bfloat16fS0_EviiT2_lPKT1_lilS4_lilS1_lPT3_lili,@function
_ZL34rocblas_gemvn_sm_mn_batched_kernelILi32ELi24E16rocblas_bfloat16fS0_EviiT2_lPKT1_lilS4_lilS1_lPT3_lili: ; @_ZL34rocblas_gemvn_sm_mn_batched_kernelILi32ELi24E16rocblas_bfloat16fS0_EviiT2_lPKT1_lilS4_lilS1_lPT3_lili
; %bb.0:
	s_endpgm
	.section	.rodata,"a",@progbits
	.p2align	6, 0x0
	.amdhsa_kernel _ZL34rocblas_gemvn_sm_mn_batched_kernelILi32ELi24E16rocblas_bfloat16fS0_EviiT2_lPKT1_lilS4_lilS1_lPT3_lili
		.amdhsa_group_segment_fixed_size 0
		.amdhsa_private_segment_fixed_size 0
		.amdhsa_kernarg_size 140
		.amdhsa_user_sgpr_count 6
		.amdhsa_user_sgpr_private_segment_buffer 1
		.amdhsa_user_sgpr_dispatch_ptr 0
		.amdhsa_user_sgpr_queue_ptr 0
		.amdhsa_user_sgpr_kernarg_segment_ptr 1
		.amdhsa_user_sgpr_dispatch_id 0
		.amdhsa_user_sgpr_flat_scratch_init 0
		.amdhsa_user_sgpr_private_segment_size 0
		.amdhsa_wavefront_size32 1
		.amdhsa_uses_dynamic_stack 0
		.amdhsa_system_sgpr_private_segment_wavefront_offset 0
		.amdhsa_system_sgpr_workgroup_id_x 1
		.amdhsa_system_sgpr_workgroup_id_y 0
		.amdhsa_system_sgpr_workgroup_id_z 0
		.amdhsa_system_sgpr_workgroup_info 0
		.amdhsa_system_vgpr_workitem_id 0
		.amdhsa_next_free_vgpr 1
		.amdhsa_next_free_sgpr 1
		.amdhsa_reserve_vcc 0
		.amdhsa_reserve_flat_scratch 0
		.amdhsa_float_round_mode_32 0
		.amdhsa_float_round_mode_16_64 0
		.amdhsa_float_denorm_mode_32 3
		.amdhsa_float_denorm_mode_16_64 3
		.amdhsa_dx10_clamp 1
		.amdhsa_ieee_mode 1
		.amdhsa_fp16_overflow 0
		.amdhsa_workgroup_processor_mode 1
		.amdhsa_memory_ordered 1
		.amdhsa_forward_progress 1
		.amdhsa_shared_vgpr_count 0
		.amdhsa_exception_fp_ieee_invalid_op 0
		.amdhsa_exception_fp_denorm_src 0
		.amdhsa_exception_fp_ieee_div_zero 0
		.amdhsa_exception_fp_ieee_overflow 0
		.amdhsa_exception_fp_ieee_underflow 0
		.amdhsa_exception_fp_ieee_inexact 0
		.amdhsa_exception_int_div_zero 0
	.end_amdhsa_kernel
	.section	.text._ZL34rocblas_gemvn_sm_mn_batched_kernelILi32ELi24E16rocblas_bfloat16fS0_EviiT2_lPKT1_lilS4_lilS1_lPT3_lili,"axG",@progbits,_ZL34rocblas_gemvn_sm_mn_batched_kernelILi32ELi24E16rocblas_bfloat16fS0_EviiT2_lPKT1_lilS4_lilS1_lPT3_lili,comdat
.Lfunc_end541:
	.size	_ZL34rocblas_gemvn_sm_mn_batched_kernelILi32ELi24E16rocblas_bfloat16fS0_EviiT2_lPKT1_lilS4_lilS1_lPT3_lili, .Lfunc_end541-_ZL34rocblas_gemvn_sm_mn_batched_kernelILi32ELi24E16rocblas_bfloat16fS0_EviiT2_lPKT1_lilS4_lilS1_lPT3_lili
                                        ; -- End function
	.set _ZL34rocblas_gemvn_sm_mn_batched_kernelILi32ELi24E16rocblas_bfloat16fS0_EviiT2_lPKT1_lilS4_lilS1_lPT3_lili.num_vgpr, 0
	.set _ZL34rocblas_gemvn_sm_mn_batched_kernelILi32ELi24E16rocblas_bfloat16fS0_EviiT2_lPKT1_lilS4_lilS1_lPT3_lili.num_agpr, 0
	.set _ZL34rocblas_gemvn_sm_mn_batched_kernelILi32ELi24E16rocblas_bfloat16fS0_EviiT2_lPKT1_lilS4_lilS1_lPT3_lili.numbered_sgpr, 0
	.set _ZL34rocblas_gemvn_sm_mn_batched_kernelILi32ELi24E16rocblas_bfloat16fS0_EviiT2_lPKT1_lilS4_lilS1_lPT3_lili.num_named_barrier, 0
	.set _ZL34rocblas_gemvn_sm_mn_batched_kernelILi32ELi24E16rocblas_bfloat16fS0_EviiT2_lPKT1_lilS4_lilS1_lPT3_lili.private_seg_size, 0
	.set _ZL34rocblas_gemvn_sm_mn_batched_kernelILi32ELi24E16rocblas_bfloat16fS0_EviiT2_lPKT1_lilS4_lilS1_lPT3_lili.uses_vcc, 0
	.set _ZL34rocblas_gemvn_sm_mn_batched_kernelILi32ELi24E16rocblas_bfloat16fS0_EviiT2_lPKT1_lilS4_lilS1_lPT3_lili.uses_flat_scratch, 0
	.set _ZL34rocblas_gemvn_sm_mn_batched_kernelILi32ELi24E16rocblas_bfloat16fS0_EviiT2_lPKT1_lilS4_lilS1_lPT3_lili.has_dyn_sized_stack, 0
	.set _ZL34rocblas_gemvn_sm_mn_batched_kernelILi32ELi24E16rocblas_bfloat16fS0_EviiT2_lPKT1_lilS4_lilS1_lPT3_lili.has_recursion, 0
	.set _ZL34rocblas_gemvn_sm_mn_batched_kernelILi32ELi24E16rocblas_bfloat16fS0_EviiT2_lPKT1_lilS4_lilS1_lPT3_lili.has_indirect_call, 0
	.section	.AMDGPU.csdata,"",@progbits
; Kernel info:
; codeLenInByte = 4
; TotalNumSgprs: 0
; NumVgprs: 0
; ScratchSize: 0
; MemoryBound: 0
; FloatMode: 240
; IeeeMode: 1
; LDSByteSize: 0 bytes/workgroup (compile time only)
; SGPRBlocks: 0
; VGPRBlocks: 0
; NumSGPRsForWavesPerEU: 1
; NumVGPRsForWavesPerEU: 1
; Occupancy: 16
; WaveLimiterHint : 0
; COMPUTE_PGM_RSRC2:SCRATCH_EN: 0
; COMPUTE_PGM_RSRC2:USER_SGPR: 6
; COMPUTE_PGM_RSRC2:TRAP_HANDLER: 0
; COMPUTE_PGM_RSRC2:TGID_X_EN: 1
; COMPUTE_PGM_RSRC2:TGID_Y_EN: 0
; COMPUTE_PGM_RSRC2:TGID_Z_EN: 0
; COMPUTE_PGM_RSRC2:TIDIG_COMP_CNT: 0
	.section	.text._ZL20rocblas_gemvn_kernelILi64ELi4Ei16rocblas_bfloat16PKfS0_EviiT3_lPKT2_lT1_lS6_lS7_lS3_lPT4_lS7_li,"axG",@progbits,_ZL20rocblas_gemvn_kernelILi64ELi4Ei16rocblas_bfloat16PKfS0_EviiT3_lPKT2_lT1_lS6_lS7_lS3_lPT4_lS7_li,comdat
	.globl	_ZL20rocblas_gemvn_kernelILi64ELi4Ei16rocblas_bfloat16PKfS0_EviiT3_lPKT2_lT1_lS6_lS7_lS3_lPT4_lS7_li ; -- Begin function _ZL20rocblas_gemvn_kernelILi64ELi4Ei16rocblas_bfloat16PKfS0_EviiT3_lPKT2_lT1_lS6_lS7_lS3_lPT4_lS7_li
	.p2align	8
	.type	_ZL20rocblas_gemvn_kernelILi64ELi4Ei16rocblas_bfloat16PKfS0_EviiT3_lPKT2_lT1_lS6_lS7_lS3_lPT4_lS7_li,@function
_ZL20rocblas_gemvn_kernelILi64ELi4Ei16rocblas_bfloat16PKfS0_EviiT3_lPKT2_lT1_lS6_lS7_lS3_lPT4_lS7_li: ; @_ZL20rocblas_gemvn_kernelILi64ELi4Ei16rocblas_bfloat16PKfS0_EviiT3_lPKT2_lT1_lS6_lS7_lS3_lPT4_lS7_li
; %bb.0:
	s_load_dwordx2 s[0:1], s[4:5], 0x9c
	s_waitcnt lgkmcnt(0)
	s_lshr_b32 s2, s0, 16
	s_and_b32 s0, s0, 0xffff
	s_and_b32 s1, s1, 0xffff
	s_mul_i32 s0, s2, s0
	s_mul_i32 s0, s0, s1
	s_cmpk_lg_i32 s0, 0x100
	s_cbranch_scc1 .LBB542_69
; %bb.1:
	s_clause 0x1
	s_load_dwordx8 s[16:23], s[4:5], 0x8
	s_load_dwordx8 s[8:15], s[4:5], 0x50
	s_waitcnt lgkmcnt(0)
	s_mul_i32 s1, s19, s7
	s_mul_hi_u32 s2, s18, s7
	s_mul_i32 s0, s18, s7
	s_add_i32 s1, s2, s1
	s_mul_i32 s2, s13, s7
	s_lshl_b64 s[0:1], s[0:1], 2
	s_mul_hi_u32 s3, s12, s7
	s_add_u32 s0, s16, s0
	s_addc_u32 s1, s17, s1
	s_add_i32 s3, s3, s2
	s_mul_i32 s2, s12, s7
	s_mov_b32 s16, 0
	s_lshl_b64 s[2:3], s[2:3], 2
	s_add_u32 s2, s10, s2
	s_addc_u32 s3, s11, s3
	s_load_dword s19, s[0:1], 0x0
	s_load_dword s17, s[2:3], 0x0
	s_waitcnt lgkmcnt(0)
	v_cmp_eq_f32_e64 s0, s19, 0
	v_cmp_eq_f32_e64 s1, s17, 1.0
	s_and_b32 s0, s0, s1
	s_and_b32 vcc_lo, exec_lo, s0
	s_cbranch_vccnz .LBB542_69
; %bb.2:
	s_clause 0x3
	s_load_dwordx2 s[0:1], s[4:5], 0x80
	s_load_dwordx2 s[2:3], s[4:5], 0x70
	s_load_dword s18, s[4:5], 0x78
	s_load_dwordx2 s[10:11], s[4:5], 0x0
	v_lshlrev_b32_e32 v13, 6, v1
	v_cmp_neq_f32_e64 s24, s19, 0
	v_add_nc_u32_e32 v14, v13, v0
	s_waitcnt lgkmcnt(0)
	s_mul_i32 s1, s1, s7
	s_mul_hi_u32 s12, s0, s7
	s_mul_i32 s0, s0, s7
	s_add_i32 s1, s12, s1
	s_lshl_b64 s[0:1], s[0:1], 1
	s_add_u32 s12, s14, s0
	s_addc_u32 s13, s15, s1
	s_lshl_b64 s[0:1], s[2:3], 1
	s_add_u32 s12, s12, s0
	v_cmp_gt_u32_e64 s0, 0x100, v14
	s_addc_u32 s13, s13, s1
	s_and_b32 vcc_lo, exec_lo, s24
	s_cbranch_vccnz .LBB542_13
; %bb.3:
	s_mov_b32 s1, 0
                                        ; implicit-def: $vgpr5
                                        ; implicit-def: $vgpr2_vgpr3
	s_and_saveexec_b32 s2, s0
	s_cbranch_execz .LBB542_14
; %bb.4:
	v_lshl_or_b32 v4, s6, 8, v14
	v_mov_b32_e32 v5, 0
	s_ashr_i32 s15, s10, 31
	s_mov_b32 s14, s10
	s_mov_b32 s3, 0
	s_mov_b32 s0, exec_lo
                                        ; implicit-def: $vgpr2_vgpr3
	v_cmpx_gt_i64_e64 s[14:15], v[4:5]
	s_cbranch_execz .LBB542_12
; %bb.5:
	v_mad_u64_u32 v[2:3], null, s18, v4, 0
	s_ashr_i32 s3, s18, 31
	v_mad_u64_u32 v[3:4], null, s3, v4, v[3:4]
	v_cmp_eq_f32_e64 s3, s17, 0
	s_and_b32 vcc_lo, exec_lo, s3
	s_cbranch_vccnz .LBB542_11
; %bb.6:
	v_lshlrev_b64 v[4:5], 1, v[2:3]
	v_add_co_u32 v4, vcc_lo, s12, v4
	v_add_co_ci_u32_e64 v5, null, s13, v5, vcc_lo
	global_load_ushort v4, v[4:5], off
	s_waitcnt vmcnt(0)
	v_lshlrev_b32_e32 v4, 16, v4
	v_mul_f32_e32 v4, s17, v4
	v_and_b32_e32 v5, 0x7f800000, v4
	v_cmp_ne_u32_e32 vcc_lo, 0x7f800000, v5
                                        ; implicit-def: $vgpr5
	s_and_saveexec_b32 s3, vcc_lo
	s_xor_b32 s3, exec_lo, s3
; %bb.7:
	v_bfe_u32 v5, v4, 16, 1
	v_add3_u32 v5, v4, v5, 0x7fff
                                        ; implicit-def: $vgpr4
; %bb.8:
	s_andn2_saveexec_b32 s3, s3
; %bb.9:
	v_mov_b32_e32 v5, 0
	v_or_b32_e32 v6, 0x10000, v4
	v_cmp_eq_u32_sdwa vcc_lo, v4, v5 src0_sel:WORD_0 src1_sel:DWORD
	v_cndmask_b32_e32 v5, v6, v4, vcc_lo
; %bb.10:
	s_or_b32 exec_lo, exec_lo, s3
	v_lshrrev_b32_e32 v5, 16, v5
.LBB542_11:
	s_mov_b32 s3, exec_lo
.LBB542_12:
	s_or_b32 exec_lo, exec_lo, s0
	s_and_b32 s16, s3, exec_lo
	s_or_b32 exec_lo, exec_lo, s2
	s_and_b32 vcc_lo, exec_lo, s1
	s_cbranch_vccnz .LBB542_15
	s_branch .LBB542_67
.LBB542_13:
                                        ; implicit-def: $vgpr5
                                        ; implicit-def: $vgpr2_vgpr3
	s_cbranch_execnz .LBB542_15
	s_branch .LBB542_67
.LBB542_14:
	s_or_b32 exec_lo, exec_lo, s2
	s_and_b32 vcc_lo, exec_lo, s1
	s_cbranch_vccz .LBB542_67
.LBB542_15:
	s_clause 0x3
	s_load_dwordx4 s[0:3], s[4:5], 0x30
	s_load_dword s14, s[4:5], 0x28
	s_load_dwordx2 s[24:25], s[4:5], 0x40
	s_load_dword s4, s[4:5], 0x48
	s_mul_i32 s9, s9, s7
	v_lshlrev_b32_e32 v20, 2, v1
	v_mov_b32_e32 v15, 0
	v_mov_b32_e32 v16, 0
	;; [unrolled: 1-line block ×4, first 2 shown]
	s_waitcnt lgkmcnt(0)
	s_mul_i32 s1, s1, s7
	s_mul_hi_u32 s15, s0, s7
	s_mul_i32 s0, s0, s7
	s_add_i32 s1, s15, s1
	s_mul_hi_u32 s15, s8, s7
	s_lshl_b64 s[0:1], s[0:1], 1
	s_add_u32 s26, s20, s0
	s_addc_u32 s21, s21, s1
	s_lshl_b64 s[0:1], s[22:23], 1
	s_mul_i32 s20, s8, s7
	s_add_u32 s7, s26, s0
	s_addc_u32 s8, s21, s1
	s_add_i32 s21, s15, s9
	s_lshl_b64 s[0:1], s[20:21], 1
	s_mov_b32 s20, exec_lo
	s_add_u32 s2, s2, s0
	s_addc_u32 s3, s3, s1
	s_lshl_b64 s[0:1], s[24:25], 1
	s_add_u32 s9, s2, s0
	s_addc_u32 s15, s3, s1
	s_ashr_i32 s0, s11, 31
	s_lshl_b32 s5, s6, 8
	s_lshr_b32 s0, s0, 28
	v_or_b32_e32 v19, s5, v0
	s_add_i32 s0, s11, s0
	s_and_b32 s6, s0, -16
	v_cmpx_gt_i32_e64 s6, v20
	s_cbranch_execz .LBB542_27
; %bb.16:
	v_add_nc_u32_e32 v5, 0xc0, v19
	v_mul_lo_u32 v3, s14, v20
	v_add_nc_u32_e32 v2, 64, v19
	v_add_nc_u32_e32 v6, 2, v20
	;; [unrolled: 1-line block ×3, first 2 shown]
	v_cmp_gt_i32_e64 s2, s10, v5
	v_mul_lo_u32 v5, v1, s14
	v_add_nc_u32_e32 v7, 3, v20
	v_mul_lo_u32 v8, v1, s4
	v_cmp_gt_i32_e64 s0, s10, v2
	v_add3_u32 v21, v3, s14, v0
	v_mad_u64_u32 v[2:3], null, s14, v6, v[0:1]
	v_cmp_gt_i32_e64 s1, s10, v4
	v_mad_u64_u32 v[3:4], null, s14, v7, v[0:1]
	v_lshl_add_u32 v22, v5, 2, v0
	v_mad_u64_u32 v[4:5], null, s4, v20, s[4:5]
	v_mul_lo_u32 v23, s4, v6
	v_mul_lo_u32 v24, s4, v7
	v_lshlrev_b32_e32 v25, 2, v8
	v_mov_b32_e32 v15, 0
	v_mov_b32_e32 v16, 0
	;; [unrolled: 1-line block ×4, first 2 shown]
	s_lshl_b32 s21, s14, 4
	s_lshl_b32 s23, s4, 4
	s_mov_b32 s22, 0
	s_mov_b32 s24, 0
	v_cmp_gt_i32_e32 vcc_lo, s10, v19
	s_branch .LBB542_21
.LBB542_17:                             ;   in Loop: Header=BB542_21 Depth=1
	s_or_b32 exec_lo, exec_lo, s27
	s_waitcnt vmcnt(3)
	v_lshlrev_b32_e32 v5, 16, v41
	s_waitcnt vmcnt(2)
	v_lshlrev_b32_e32 v6, 16, v40
	v_fmac_f32_e32 v17, v33, v5
	s_waitcnt vmcnt(1)
	v_lshlrev_b32_e32 v5, 16, v39
	v_fmac_f32_e32 v17, v29, v6
	v_fmac_f32_e32 v17, v31, v5
	s_waitcnt vmcnt(0)
	v_lshlrev_b32_e32 v5, 16, v38
	v_fmac_f32_e32 v17, v27, v5
.LBB542_18:                             ;   in Loop: Header=BB542_21 Depth=1
	s_or_b32 exec_lo, exec_lo, s26
	s_waitcnt vmcnt(3)
	v_lshlrev_b32_e32 v5, 16, v37
	s_waitcnt vmcnt(2)
	v_lshlrev_b32_e32 v6, 16, v36
	v_fmac_f32_e32 v16, v33, v5
	s_waitcnt vmcnt(1)
	v_lshlrev_b32_e32 v5, 16, v35
	v_fmac_f32_e32 v16, v29, v6
	v_fmac_f32_e32 v16, v31, v5
	s_waitcnt vmcnt(0)
	v_lshlrev_b32_e32 v5, 16, v34
	v_fmac_f32_e32 v16, v27, v5
.LBB542_19:                             ;   in Loop: Header=BB542_21 Depth=1
	s_or_b32 exec_lo, exec_lo, s3
	s_waitcnt vmcnt(3)
	v_lshlrev_b32_e32 v5, 16, v32
	s_waitcnt vmcnt(2)
	v_lshlrev_b32_e32 v6, 16, v30
	v_fmac_f32_e32 v15, v33, v5
	s_waitcnt vmcnt(1)
	v_lshlrev_b32_e32 v5, 16, v28
	v_fmac_f32_e32 v15, v29, v6
	v_fmac_f32_e32 v15, v31, v5
	s_waitcnt vmcnt(0)
	v_lshlrev_b32_e32 v5, 16, v26
	v_fmac_f32_e32 v15, v27, v5
.LBB542_20:                             ;   in Loop: Header=BB542_21 Depth=1
	s_or_b32 exec_lo, exec_lo, s25
	v_add_nc_u32_e32 v20, 16, v20
	v_add_nc_u32_e32 v21, s21, v21
	;; [unrolled: 1-line block ×5, first 2 shown]
	v_cmp_le_i32_e64 s3, s6, v20
	s_add_i32 s24, s24, s23
	s_or_b32 s22, s3, s22
	s_andn2_b32 exec_lo, exec_lo, s22
	s_cbranch_execz .LBB542_26
.LBB542_21:                             ; =>This Inner Loop Header: Depth=1
	s_and_saveexec_b32 s25, vcc_lo
	s_cbranch_execz .LBB542_20
; %bb.22:                               ;   in Loop: Header=BB542_21 Depth=1
	v_add_nc_u32_e32 v5, s24, v25
	v_add_nc_u32_e32 v7, s24, v4
	;; [unrolled: 1-line block ×5, first 2 shown]
	v_ashrrev_i32_e32 v6, 31, v5
	v_ashrrev_i32_e32 v8, 31, v7
	;; [unrolled: 1-line block ×5, first 2 shown]
	v_lshlrev_b64 v[5:6], 1, v[5:6]
	v_lshlrev_b64 v[7:8], 1, v[7:8]
	;; [unrolled: 1-line block ×4, first 2 shown]
	v_add_nc_u32_e32 v28, s5, v21
	v_add_nc_u32_e32 v30, s5, v2
	v_add_co_u32 v5, s3, s9, v5
	v_add_co_ci_u32_e64 v6, null, s15, v6, s3
	v_add_co_u32 v7, s3, s9, v7
	v_add_co_ci_u32_e64 v8, null, s15, v8, s3
	;; [unrolled: 2-line block ×4, first 2 shown]
	v_lshlrev_b64 v[26:27], 1, v[26:27]
	s_clause 0x3
	global_load_ushort v33, v[5:6], off
	global_load_ushort v34, v[7:8], off
	global_load_ushort v35, v[9:10], off
	global_load_ushort v36, v[11:12], off
	v_add_nc_u32_e32 v9, s5, v3
	v_ashrrev_i32_e32 v29, 31, v28
	v_ashrrev_i32_e32 v31, 31, v30
	v_add_co_u32 v5, s3, s7, v26
	v_ashrrev_i32_e32 v10, 31, v9
	v_lshlrev_b64 v[7:8], 1, v[28:29]
	v_add_co_ci_u32_e64 v6, null, s8, v27, s3
	v_lshlrev_b64 v[26:27], 1, v[30:31]
	v_lshlrev_b64 v[9:10], 1, v[9:10]
	v_add_co_u32 v11, s3, s7, v7
	v_add_co_ci_u32_e64 v12, null, s8, v8, s3
	v_add_co_u32 v7, s3, s7, v26
	v_add_co_ci_u32_e64 v8, null, s8, v27, s3
	;; [unrolled: 2-line block ×3, first 2 shown]
	s_clause 0x3
	global_load_ushort v32, v[5:6], off
	global_load_ushort v30, v[11:12], off
	;; [unrolled: 1-line block ×4, first 2 shown]
	s_waitcnt vmcnt(7)
	v_lshlrev_b32_e32 v33, 16, v33
	s_waitcnt vmcnt(6)
	v_lshlrev_b32_e32 v29, 16, v34
	s_waitcnt vmcnt(5)
	v_lshlrev_b32_e32 v31, 16, v35
	s_waitcnt vmcnt(4)
	v_lshlrev_b32_e32 v27, 16, v36
	s_and_saveexec_b32 s3, s0
	s_cbranch_execz .LBB542_19
; %bb.23:                               ;   in Loop: Header=BB542_21 Depth=1
	s_clause 0x3
	global_load_ushort v37, v[5:6], off offset:128
	global_load_ushort v36, v[11:12], off offset:128
	global_load_ushort v35, v[7:8], off offset:128
	global_load_ushort v34, v[9:10], off offset:128
	s_and_saveexec_b32 s26, s1
	s_cbranch_execz .LBB542_18
; %bb.24:                               ;   in Loop: Header=BB542_21 Depth=1
	s_clause 0x3
	global_load_ushort v41, v[5:6], off offset:256
	global_load_ushort v40, v[11:12], off offset:256
	global_load_ushort v39, v[7:8], off offset:256
	global_load_ushort v38, v[9:10], off offset:256
	;; [unrolled: 8-line block ×3, first 2 shown]
	s_waitcnt vmcnt(3)
	v_lshlrev_b32_e32 v5, 16, v5
	s_waitcnt vmcnt(2)
	v_lshlrev_b32_e32 v6, 16, v6
	v_fmac_f32_e32 v18, v33, v5
	s_waitcnt vmcnt(1)
	v_lshlrev_b32_e32 v5, 16, v7
	v_fmac_f32_e32 v18, v29, v6
	;; [unrolled: 3-line block ×3, first 2 shown]
	v_fmac_f32_e32 v18, v27, v6
	s_branch .LBB542_17
.LBB542_26:
	s_or_b32 exec_lo, exec_lo, s22
.LBB542_27:
	s_or_b32 exec_lo, exec_lo, s20
	s_sub_i32 s0, s11, s6
	s_cmp_lt_i32 s0, 1
	s_cbranch_scc1 .LBB542_45
; %bb.28:
	v_cmp_gt_i32_e32 vcc_lo, s11, v20
	v_mov_b32_e32 v11, 0
	v_or_b32_e32 v2, 1, v20
	v_mov_b32_e32 v10, 0
	v_mov_b32_e32 v21, 0
	;; [unrolled: 1-line block ×3, first 2 shown]
	s_and_saveexec_b32 s1, vcc_lo
	s_cbranch_execz .LBB542_36
; %bb.29:
	v_mul_lo_u32 v3, v20, s4
	v_mov_b32_e32 v12, 0
	v_mov_b32_e32 v10, 0
	;; [unrolled: 1-line block ×3, first 2 shown]
	s_mov_b32 s2, exec_lo
	v_ashrrev_i32_e32 v4, 31, v3
	v_lshlrev_b64 v[3:4], 1, v[3:4]
	v_add_co_u32 v3, s0, s9, v3
	v_add_co_ci_u32_e64 v4, null, s15, v4, s0
	global_load_ushort v3, v[3:4], off
	v_cmpx_gt_i32_e64 s11, v2
	s_cbranch_execz .LBB542_35
; %bb.30:
	v_mul_lo_u32 v4, v2, s4
	v_mov_b32_e32 v10, 0
	v_mov_b32_e32 v11, 0
	s_mov_b32 s3, exec_lo
	v_ashrrev_i32_e32 v5, 31, v4
	v_lshlrev_b64 v[4:5], 1, v[4:5]
	v_add_co_u32 v4, s0, s9, v4
	v_add_co_ci_u32_e64 v5, null, s15, v5, s0
	global_load_ushort v4, v[4:5], off
	v_or_b32_e32 v5, 2, v20
	v_cmpx_gt_i32_e64 s11, v5
	s_cbranch_execz .LBB542_34
; %bb.31:
	v_mul_lo_u32 v5, v5, s4
	v_mov_b32_e32 v10, 0
	s_mov_b32 s6, exec_lo
	v_ashrrev_i32_e32 v6, 31, v5
	v_lshlrev_b64 v[5:6], 1, v[5:6]
	v_add_co_u32 v5, s0, s9, v5
	v_add_co_ci_u32_e64 v6, null, s15, v6, s0
	global_load_ushort v5, v[5:6], off
	v_or_b32_e32 v6, 3, v20
	v_cmpx_gt_i32_e64 s11, v6
	s_cbranch_execz .LBB542_33
; %bb.32:
	v_mul_lo_u32 v6, v6, s4
	v_ashrrev_i32_e32 v7, 31, v6
	v_lshlrev_b64 v[6:7], 1, v[6:7]
	v_add_co_u32 v6, s0, s9, v6
	v_add_co_ci_u32_e64 v7, null, s15, v7, s0
	global_load_ushort v6, v[6:7], off
	s_waitcnt vmcnt(0)
	v_lshlrev_b32_e32 v10, 16, v6
.LBB542_33:
	s_or_b32 exec_lo, exec_lo, s6
	s_waitcnt vmcnt(0)
	v_lshlrev_b32_e32 v11, 16, v5
.LBB542_34:
	s_or_b32 exec_lo, exec_lo, s3
	s_waitcnt vmcnt(0)
	v_lshlrev_b32_e32 v12, 16, v4
.LBB542_35:
	s_or_b32 exec_lo, exec_lo, s2
	s_waitcnt vmcnt(0)
	v_lshlrev_b32_e32 v21, 16, v3
.LBB542_36:
	s_or_b32 exec_lo, exec_lo, s1
	s_mov_b32 s1, exec_lo
	v_cmpx_gt_i32_e64 s10, v19
	s_cbranch_execz .LBB542_44
; %bb.37:
	v_mul_lo_u32 v3, v20, s14
	v_mul_lo_u32 v4, v2, s14
	v_or_b32_e32 v5, 2, v20
	v_or_b32_e32 v6, 3, v20
	s_mov_b32 s0, exec_lo
	v_mul_lo_u32 v7, v5, s14
	v_cndmask_b32_e32 v3, 0, v3, vcc_lo
	v_cmp_gt_i32_e32 vcc_lo, s11, v2
	v_mul_lo_u32 v8, v6, s14
	v_add_nc_u32_e32 v2, v3, v19
	v_cndmask_b32_e32 v4, 0, v4, vcc_lo
	v_cmp_gt_i32_e32 vcc_lo, s11, v5
	v_ashrrev_i32_e32 v3, 31, v2
	v_add_nc_u32_e32 v4, v4, v19
	v_cndmask_b32_e32 v7, 0, v7, vcc_lo
	v_cmp_gt_i32_e32 vcc_lo, s11, v6
	v_lshlrev_b64 v[2:3], 1, v[2:3]
	v_ashrrev_i32_e32 v5, 31, v4
	v_add_nc_u32_e32 v6, v7, v19
	v_cndmask_b32_e32 v8, 0, v8, vcc_lo
	v_lshlrev_b64 v[4:5], 1, v[4:5]
	v_ashrrev_i32_e32 v7, 31, v6
	v_add_nc_u32_e32 v8, v8, v19
	v_add_co_u32 v2, vcc_lo, s7, v2
	v_add_co_ci_u32_e64 v3, null, s8, v3, vcc_lo
	v_ashrrev_i32_e32 v9, 31, v8
	v_add_co_u32 v4, vcc_lo, s7, v4
	v_add_co_ci_u32_e64 v5, null, s8, v5, vcc_lo
	v_lshlrev_b64 v[6:7], 1, v[6:7]
	v_lshlrev_b64 v[8:9], 1, v[8:9]
	s_clause 0x1
	global_load_ushort v20, v[2:3], off
	global_load_ushort v22, v[4:5], off
	v_add_co_u32 v6, vcc_lo, s7, v6
	v_add_co_ci_u32_e64 v7, null, s8, v7, vcc_lo
	v_add_co_u32 v8, vcc_lo, s7, v8
	v_add_co_ci_u32_e64 v9, null, s8, v9, vcc_lo
	s_clause 0x1
	global_load_ushort v23, v[6:7], off
	global_load_ushort v24, v[8:9], off
	s_waitcnt vmcnt(3)
	v_lshlrev_b32_e32 v20, 16, v20
	s_waitcnt vmcnt(2)
	v_lshlrev_b32_e32 v22, 16, v22
	v_fmac_f32_e32 v15, v21, v20
	v_fmac_f32_e32 v15, v12, v22
	v_add_nc_u32_e32 v22, 64, v19
	s_waitcnt vmcnt(1)
	v_lshlrev_b32_e32 v23, 16, v23
	s_waitcnt vmcnt(0)
	v_lshlrev_b32_e32 v20, 16, v24
	v_fmac_f32_e32 v15, v11, v23
	v_cmpx_gt_i32_e64 s10, v22
	s_cbranch_execz .LBB542_43
; %bb.38:
	s_clause 0x3
	global_load_ushort v22, v[2:3], off offset:128
	global_load_ushort v23, v[4:5], off offset:128
	;; [unrolled: 1-line block ×4, first 2 shown]
	s_mov_b32 s2, exec_lo
	s_waitcnt vmcnt(3)
	v_lshlrev_b32_e32 v22, 16, v22
	s_waitcnt vmcnt(2)
	v_lshlrev_b32_e32 v23, 16, v23
	;; [unrolled: 2-line block ×3, first 2 shown]
	v_fmac_f32_e32 v16, v21, v22
	s_waitcnt vmcnt(0)
	v_lshlrev_b32_e32 v22, 16, v25
	v_fmac_f32_e32 v16, v12, v23
	v_add_nc_u32_e32 v23, 0x80, v19
	v_fmac_f32_e32 v16, v11, v24
	v_cmpx_gt_i32_e64 s10, v23
	s_cbranch_execz .LBB542_42
; %bb.39:
	s_clause 0x3
	global_load_ushort v23, v[2:3], off offset:256
	global_load_ushort v24, v[4:5], off offset:256
	;; [unrolled: 1-line block ×4, first 2 shown]
	s_mov_b32 s3, exec_lo
	s_waitcnt vmcnt(3)
	v_lshlrev_b32_e32 v23, 16, v23
	s_waitcnt vmcnt(2)
	v_lshlrev_b32_e32 v24, 16, v24
	v_fmac_f32_e32 v17, v21, v23
	s_waitcnt vmcnt(1)
	v_lshlrev_b32_e32 v23, 16, v25
	v_fmac_f32_e32 v17, v12, v24
	v_add_nc_u32_e32 v24, 0xc0, v19
	s_waitcnt vmcnt(0)
	v_lshlrev_b32_e32 v19, 16, v26
	v_fmac_f32_e32 v17, v11, v23
	v_cmpx_gt_i32_e64 s10, v24
	s_cbranch_execz .LBB542_41
; %bb.40:
	s_clause 0x3
	global_load_ushort v2, v[2:3], off offset:384
	global_load_ushort v3, v[4:5], off offset:384
	global_load_ushort v4, v[6:7], off offset:384
	global_load_ushort v5, v[8:9], off offset:384
	s_waitcnt vmcnt(3)
	v_lshlrev_b32_e32 v2, 16, v2
	s_waitcnt vmcnt(2)
	v_lshlrev_b32_e32 v3, 16, v3
	v_fmac_f32_e32 v18, v21, v2
	s_waitcnt vmcnt(1)
	v_lshlrev_b32_e32 v2, 16, v4
	v_fmac_f32_e32 v18, v12, v3
	;; [unrolled: 3-line block ×3, first 2 shown]
	v_fmac_f32_e32 v18, v10, v3
.LBB542_41:
	s_or_b32 exec_lo, exec_lo, s3
	v_fmac_f32_e32 v17, v10, v19
.LBB542_42:
	s_or_b32 exec_lo, exec_lo, s2
	v_fmac_f32_e32 v16, v10, v22
.LBB542_43:
	s_or_b32 exec_lo, exec_lo, s0
	v_fmac_f32_e32 v15, v10, v20
.LBB542_44:
	s_or_b32 exec_lo, exec_lo, s1
.LBB542_45:
	v_lshlrev_b32_e32 v0, 2, v0
	s_mov_b32 s0, exec_lo
                                        ; implicit-def: $vgpr5
                                        ; implicit-def: $vgpr2_vgpr3
	v_lshl_or_b32 v1, v1, 10, v0
	ds_write2st64_b32 v1, v15, v16 offset1:1
	ds_write2st64_b32 v1, v17, v18 offset0:2 offset1:3
	s_waitcnt lgkmcnt(0)
	s_barrier
	buffer_gl0_inv
	v_cmpx_gt_u32_e32 0x100, v14
	s_cbranch_execz .LBB542_66
; %bb.46:
	v_lshl_add_u32 v5, v13, 2, v0
	v_or_b32_e32 v4, s5, v14
	s_mov_b32 s2, s16
	s_mov_b32 s1, exec_lo
	ds_read2st64_b32 v[0:1], v5 offset1:4
	ds_read2st64_b32 v[2:3], v5 offset0:8 offset1:12
	s_waitcnt lgkmcnt(1)
	v_add_f32_e32 v0, v0, v1
	s_waitcnt lgkmcnt(0)
	v_add_f32_e32 v0, v2, v0
	v_add_f32_e32 v0, v3, v0
                                        ; implicit-def: $vgpr2_vgpr3
	ds_write_b32 v5, v0
                                        ; implicit-def: $vgpr5
	v_cmpx_gt_i32_e64 s10, v4
	s_cbranch_execz .LBB542_65
; %bb.47:
	v_cmp_eq_f32_e64 s2, s17, 0
	v_mul_f32_e32 v0, s19, v0
	s_and_b32 vcc_lo, exec_lo, s2
	s_cbranch_vccz .LBB542_53
; %bb.48:
	v_and_b32_e32 v1, 0x7f800000, v0
	v_cmp_ne_u32_e32 vcc_lo, 0x7f800000, v1
                                        ; implicit-def: $vgpr1
	s_and_saveexec_b32 s2, vcc_lo
	s_xor_b32 s2, exec_lo, s2
; %bb.49:
	v_bfe_u32 v1, v0, 16, 1
	v_add3_u32 v1, v0, v1, 0x7fff
; %bb.50:
	s_andn2_saveexec_b32 s2, s2
; %bb.51:
	v_mov_b32_e32 v1, 0
	v_or_b32_e32 v2, 0x10000, v0
	v_cmp_eq_u32_sdwa vcc_lo, v0, v1 src0_sel:WORD_0 src1_sel:DWORD
	v_cndmask_b32_e32 v1, v2, v0, vcc_lo
; %bb.52:
	s_or_b32 exec_lo, exec_lo, s2
	s_mov_b32 s2, 0
	s_branch .LBB542_54
.LBB542_53:
	s_mov_b32 s2, -1
                                        ; implicit-def: $vgpr1
.LBB542_54:
	v_mul_lo_u32 v2, s18, v4
	s_andn2_b32 vcc_lo, exec_lo, s2
	v_ashrrev_i32_e32 v3, 31, v2
	s_cbranch_vccnz .LBB542_64
; %bb.55:
	v_lshlrev_b64 v[4:5], 1, v[2:3]
	v_add_co_u32 v4, vcc_lo, s12, v4
	v_add_co_ci_u32_e64 v5, null, s13, v5, vcc_lo
	global_load_ushort v1, v[4:5], off
	s_waitcnt vmcnt(0)
	v_lshlrev_b32_e32 v1, 16, v1
	v_mul_f32_e32 v1, s17, v1
	v_and_b32_e32 v4, 0x7f800000, v1
	v_cmp_ne_u32_e32 vcc_lo, 0x7f800000, v4
                                        ; implicit-def: $vgpr4
	s_and_saveexec_b32 s2, vcc_lo
	s_xor_b32 s2, exec_lo, s2
; %bb.56:
	v_bfe_u32 v4, v1, 16, 1
	v_add3_u32 v4, v1, v4, 0x7fff
                                        ; implicit-def: $vgpr1
; %bb.57:
	s_andn2_saveexec_b32 s2, s2
; %bb.58:
	v_mov_b32_e32 v4, 0
	v_or_b32_e32 v5, 0x10000, v1
	v_cmp_eq_u32_sdwa vcc_lo, v1, v4 src0_sel:WORD_0 src1_sel:DWORD
	v_cndmask_b32_e32 v4, v5, v1, vcc_lo
; %bb.59:
	s_or_b32 exec_lo, exec_lo, s2
	v_and_b32_e32 v1, 0xffff0000, v4
	v_add_f32_e32 v0, v0, v1
	v_and_b32_e32 v1, 0x7f800000, v0
	v_cmp_ne_u32_e32 vcc_lo, 0x7f800000, v1
                                        ; implicit-def: $vgpr1
	s_and_saveexec_b32 s2, vcc_lo
	s_xor_b32 s2, exec_lo, s2
; %bb.60:
	v_bfe_u32 v1, v0, 16, 1
	v_add3_u32 v1, v0, v1, 0x7fff
                                        ; implicit-def: $vgpr0
; %bb.61:
	s_andn2_saveexec_b32 s2, s2
; %bb.62:
	v_mov_b32_e32 v1, 0
	v_or_b32_e32 v4, 0x10000, v0
	v_cmp_eq_u32_sdwa vcc_lo, v0, v1 src0_sel:WORD_0 src1_sel:DWORD
	v_cndmask_b32_e32 v1, v4, v0, vcc_lo
; %bb.63:
	s_or_b32 exec_lo, exec_lo, s2
.LBB542_64:
	v_lshrrev_b32_e32 v5, 16, v1
	s_or_b32 s2, s16, exec_lo
.LBB542_65:
	s_or_b32 exec_lo, exec_lo, s1
	s_andn2_b32 s1, s16, exec_lo
	s_and_b32 s2, s2, exec_lo
	s_or_b32 s16, s1, s2
.LBB542_66:
	s_or_b32 exec_lo, exec_lo, s0
.LBB542_67:
	s_and_saveexec_b32 s0, s16
	s_cbranch_execz .LBB542_69
; %bb.68:
	v_lshlrev_b64 v[0:1], 1, v[2:3]
	v_add_co_u32 v0, vcc_lo, s12, v0
	v_add_co_ci_u32_e64 v1, null, s13, v1, vcc_lo
	global_store_short v[0:1], v5, off
.LBB542_69:
	s_endpgm
	.section	.rodata,"a",@progbits
	.p2align	6, 0x0
	.amdhsa_kernel _ZL20rocblas_gemvn_kernelILi64ELi4Ei16rocblas_bfloat16PKfS0_EviiT3_lPKT2_lT1_lS6_lS7_lS3_lPT4_lS7_li
		.amdhsa_group_segment_fixed_size 4096
		.amdhsa_private_segment_fixed_size 0
		.amdhsa_kernarg_size 400
		.amdhsa_user_sgpr_count 6
		.amdhsa_user_sgpr_private_segment_buffer 1
		.amdhsa_user_sgpr_dispatch_ptr 0
		.amdhsa_user_sgpr_queue_ptr 0
		.amdhsa_user_sgpr_kernarg_segment_ptr 1
		.amdhsa_user_sgpr_dispatch_id 0
		.amdhsa_user_sgpr_flat_scratch_init 0
		.amdhsa_user_sgpr_private_segment_size 0
		.amdhsa_wavefront_size32 1
		.amdhsa_uses_dynamic_stack 0
		.amdhsa_system_sgpr_private_segment_wavefront_offset 0
		.amdhsa_system_sgpr_workgroup_id_x 1
		.amdhsa_system_sgpr_workgroup_id_y 0
		.amdhsa_system_sgpr_workgroup_id_z 1
		.amdhsa_system_sgpr_workgroup_info 0
		.amdhsa_system_vgpr_workitem_id 1
		.amdhsa_next_free_vgpr 42
		.amdhsa_next_free_sgpr 28
		.amdhsa_reserve_vcc 1
		.amdhsa_reserve_flat_scratch 0
		.amdhsa_float_round_mode_32 0
		.amdhsa_float_round_mode_16_64 0
		.amdhsa_float_denorm_mode_32 3
		.amdhsa_float_denorm_mode_16_64 3
		.amdhsa_dx10_clamp 1
		.amdhsa_ieee_mode 1
		.amdhsa_fp16_overflow 0
		.amdhsa_workgroup_processor_mode 1
		.amdhsa_memory_ordered 1
		.amdhsa_forward_progress 1
		.amdhsa_shared_vgpr_count 0
		.amdhsa_exception_fp_ieee_invalid_op 0
		.amdhsa_exception_fp_denorm_src 0
		.amdhsa_exception_fp_ieee_div_zero 0
		.amdhsa_exception_fp_ieee_overflow 0
		.amdhsa_exception_fp_ieee_underflow 0
		.amdhsa_exception_fp_ieee_inexact 0
		.amdhsa_exception_int_div_zero 0
	.end_amdhsa_kernel
	.section	.text._ZL20rocblas_gemvn_kernelILi64ELi4Ei16rocblas_bfloat16PKfS0_EviiT3_lPKT2_lT1_lS6_lS7_lS3_lPT4_lS7_li,"axG",@progbits,_ZL20rocblas_gemvn_kernelILi64ELi4Ei16rocblas_bfloat16PKfS0_EviiT3_lPKT2_lT1_lS6_lS7_lS3_lPT4_lS7_li,comdat
.Lfunc_end542:
	.size	_ZL20rocblas_gemvn_kernelILi64ELi4Ei16rocblas_bfloat16PKfS0_EviiT3_lPKT2_lT1_lS6_lS7_lS3_lPT4_lS7_li, .Lfunc_end542-_ZL20rocblas_gemvn_kernelILi64ELi4Ei16rocblas_bfloat16PKfS0_EviiT3_lPKT2_lT1_lS6_lS7_lS3_lPT4_lS7_li
                                        ; -- End function
	.set _ZL20rocblas_gemvn_kernelILi64ELi4Ei16rocblas_bfloat16PKfS0_EviiT3_lPKT2_lT1_lS6_lS7_lS3_lPT4_lS7_li.num_vgpr, 42
	.set _ZL20rocblas_gemvn_kernelILi64ELi4Ei16rocblas_bfloat16PKfS0_EviiT3_lPKT2_lT1_lS6_lS7_lS3_lPT4_lS7_li.num_agpr, 0
	.set _ZL20rocblas_gemvn_kernelILi64ELi4Ei16rocblas_bfloat16PKfS0_EviiT3_lPKT2_lT1_lS6_lS7_lS3_lPT4_lS7_li.numbered_sgpr, 28
	.set _ZL20rocblas_gemvn_kernelILi64ELi4Ei16rocblas_bfloat16PKfS0_EviiT3_lPKT2_lT1_lS6_lS7_lS3_lPT4_lS7_li.num_named_barrier, 0
	.set _ZL20rocblas_gemvn_kernelILi64ELi4Ei16rocblas_bfloat16PKfS0_EviiT3_lPKT2_lT1_lS6_lS7_lS3_lPT4_lS7_li.private_seg_size, 0
	.set _ZL20rocblas_gemvn_kernelILi64ELi4Ei16rocblas_bfloat16PKfS0_EviiT3_lPKT2_lT1_lS6_lS7_lS3_lPT4_lS7_li.uses_vcc, 1
	.set _ZL20rocblas_gemvn_kernelILi64ELi4Ei16rocblas_bfloat16PKfS0_EviiT3_lPKT2_lT1_lS6_lS7_lS3_lPT4_lS7_li.uses_flat_scratch, 0
	.set _ZL20rocblas_gemvn_kernelILi64ELi4Ei16rocblas_bfloat16PKfS0_EviiT3_lPKT2_lT1_lS6_lS7_lS3_lPT4_lS7_li.has_dyn_sized_stack, 0
	.set _ZL20rocblas_gemvn_kernelILi64ELi4Ei16rocblas_bfloat16PKfS0_EviiT3_lPKT2_lT1_lS6_lS7_lS3_lPT4_lS7_li.has_recursion, 0
	.set _ZL20rocblas_gemvn_kernelILi64ELi4Ei16rocblas_bfloat16PKfS0_EviiT3_lPKT2_lT1_lS6_lS7_lS3_lPT4_lS7_li.has_indirect_call, 0
	.section	.AMDGPU.csdata,"",@progbits
; Kernel info:
; codeLenInByte = 3204
; TotalNumSgprs: 30
; NumVgprs: 42
; ScratchSize: 0
; MemoryBound: 0
; FloatMode: 240
; IeeeMode: 1
; LDSByteSize: 4096 bytes/workgroup (compile time only)
; SGPRBlocks: 0
; VGPRBlocks: 5
; NumSGPRsForWavesPerEU: 30
; NumVGPRsForWavesPerEU: 42
; Occupancy: 16
; WaveLimiterHint : 1
; COMPUTE_PGM_RSRC2:SCRATCH_EN: 0
; COMPUTE_PGM_RSRC2:USER_SGPR: 6
; COMPUTE_PGM_RSRC2:TRAP_HANDLER: 0
; COMPUTE_PGM_RSRC2:TGID_X_EN: 1
; COMPUTE_PGM_RSRC2:TGID_Y_EN: 0
; COMPUTE_PGM_RSRC2:TGID_Z_EN: 1
; COMPUTE_PGM_RSRC2:TIDIG_COMP_CNT: 1
	.section	.text._ZL20rocblas_gemvn_kernelILi64ELi4El16rocblas_bfloat16PKfS0_EviiT3_lPKT2_lT1_lS6_lS7_lS3_lPT4_lS7_li,"axG",@progbits,_ZL20rocblas_gemvn_kernelILi64ELi4El16rocblas_bfloat16PKfS0_EviiT3_lPKT2_lT1_lS6_lS7_lS3_lPT4_lS7_li,comdat
	.globl	_ZL20rocblas_gemvn_kernelILi64ELi4El16rocblas_bfloat16PKfS0_EviiT3_lPKT2_lT1_lS6_lS7_lS3_lPT4_lS7_li ; -- Begin function _ZL20rocblas_gemvn_kernelILi64ELi4El16rocblas_bfloat16PKfS0_EviiT3_lPKT2_lT1_lS6_lS7_lS3_lPT4_lS7_li
	.p2align	8
	.type	_ZL20rocblas_gemvn_kernelILi64ELi4El16rocblas_bfloat16PKfS0_EviiT3_lPKT2_lT1_lS6_lS7_lS3_lPT4_lS7_li,@function
_ZL20rocblas_gemvn_kernelILi64ELi4El16rocblas_bfloat16PKfS0_EviiT3_lPKT2_lT1_lS6_lS7_lS3_lPT4_lS7_li: ; @_ZL20rocblas_gemvn_kernelILi64ELi4El16rocblas_bfloat16PKfS0_EviiT3_lPKT2_lT1_lS6_lS7_lS3_lPT4_lS7_li
; %bb.0:
	s_load_dwordx2 s[0:1], s[4:5], 0x9c
	s_waitcnt lgkmcnt(0)
	s_lshr_b32 s2, s0, 16
	s_and_b32 s0, s0, 0xffff
	s_and_b32 s1, s1, 0xffff
	s_mul_i32 s0, s2, s0
	s_mul_i32 s0, s0, s1
	s_cmpk_lg_i32 s0, 0x100
	s_cbranch_scc1 .LBB543_69
; %bb.1:
	s_clause 0x1
	s_load_dwordx16 s[36:51], s[4:5], 0x8
	s_load_dwordx16 s[8:23], s[4:5], 0x48
	s_mov_b32 s24, 0
	s_waitcnt lgkmcnt(0)
	s_mul_i32 s1, s39, s7
	s_mul_hi_u32 s2, s38, s7
	s_mul_i32 s0, s38, s7
	s_add_i32 s1, s2, s1
	s_mul_i32 s2, s15, s7
	s_lshl_b64 s[0:1], s[0:1], 2
	s_mul_hi_u32 s3, s14, s7
	s_add_u32 s0, s36, s0
	s_addc_u32 s1, s37, s1
	s_add_i32 s3, s3, s2
	s_mul_i32 s2, s14, s7
	s_lshl_b64 s[2:3], s[2:3], 2
	s_add_u32 s2, s12, s2
	s_addc_u32 s3, s13, s3
	s_load_dword s26, s[0:1], 0x0
	s_load_dword s25, s[2:3], 0x0
	s_waitcnt lgkmcnt(0)
	v_cmp_eq_f32_e64 s0, s26, 0
	v_cmp_eq_f32_e64 s1, s25, 1.0
	s_and_b32 s0, s0, s1
	s_and_b32 vcc_lo, exec_lo, s0
	s_cbranch_vccnz .LBB543_69
; %bb.2:
	s_load_dwordx2 s[12:13], s[4:5], 0x0
	v_lshlrev_b32_e32 v14, 6, v1
	s_mul_i32 s0, s23, s7
	s_mul_hi_u32 s1, s22, s7
	v_cmp_neq_f32_e64 s4, s26, 0
	s_add_i32 s1, s1, s0
	s_mul_i32 s0, s22, s7
	v_add_nc_u32_e32 v13, v14, v0
	s_lshl_b64 s[0:1], s[0:1], 1
	s_add_u32 s2, s16, s0
	s_addc_u32 s3, s17, s1
	s_lshl_b64 s[0:1], s[18:19], 1
	s_add_u32 s5, s2, s0
	v_cmp_gt_u32_e64 s0, 0x100, v13
	s_addc_u32 s22, s3, s1
	s_and_b32 vcc_lo, exec_lo, s4
	s_cbranch_vccnz .LBB543_13
; %bb.3:
	s_mov_b32 s1, 0
                                        ; implicit-def: $vgpr5
                                        ; implicit-def: $vgpr2_vgpr3
	s_and_saveexec_b32 s2, s0
	s_cbranch_execz .LBB543_14
; %bb.4:
	v_lshl_or_b32 v4, s6, 8, v13
	v_mov_b32_e32 v5, 0
	s_waitcnt lgkmcnt(0)
	s_ashr_i32 s15, s12, 31
	s_mov_b32 s14, s12
	s_mov_b32 s3, 0
	s_mov_b32 s0, exec_lo
                                        ; implicit-def: $vgpr2_vgpr3
	v_cmpx_gt_i64_e64 s[14:15], v[4:5]
	s_cbranch_execz .LBB543_12
; %bb.5:
	v_mad_u64_u32 v[2:3], null, s20, v4, 0
	v_cmp_eq_f32_e64 s3, s25, 0
	s_and_b32 vcc_lo, exec_lo, s3
	v_mad_u64_u32 v[3:4], null, s21, v4, v[3:4]
	s_cbranch_vccnz .LBB543_11
; %bb.6:
	v_lshlrev_b64 v[4:5], 1, v[2:3]
	v_add_co_u32 v4, vcc_lo, s5, v4
	v_add_co_ci_u32_e64 v5, null, s22, v5, vcc_lo
	global_load_ushort v4, v[4:5], off
	s_waitcnt vmcnt(0)
	v_lshlrev_b32_e32 v4, 16, v4
	v_mul_f32_e32 v4, s25, v4
	v_and_b32_e32 v5, 0x7f800000, v4
	v_cmp_ne_u32_e32 vcc_lo, 0x7f800000, v5
                                        ; implicit-def: $vgpr5
	s_and_saveexec_b32 s3, vcc_lo
	s_xor_b32 s3, exec_lo, s3
; %bb.7:
	v_bfe_u32 v5, v4, 16, 1
	v_add3_u32 v5, v4, v5, 0x7fff
                                        ; implicit-def: $vgpr4
; %bb.8:
	s_andn2_saveexec_b32 s3, s3
; %bb.9:
	v_mov_b32_e32 v5, 0
	v_or_b32_e32 v6, 0x10000, v4
	v_cmp_eq_u32_sdwa vcc_lo, v4, v5 src0_sel:WORD_0 src1_sel:DWORD
	v_cndmask_b32_e32 v5, v6, v4, vcc_lo
; %bb.10:
	s_or_b32 exec_lo, exec_lo, s3
	v_lshrrev_b32_e32 v5, 16, v5
.LBB543_11:
	s_mov_b32 s3, exec_lo
.LBB543_12:
	s_or_b32 exec_lo, exec_lo, s0
	s_and_b32 s24, s3, exec_lo
	s_or_b32 exec_lo, exec_lo, s2
	s_and_b32 vcc_lo, exec_lo, s1
	s_cbranch_vccnz .LBB543_15
	s_branch .LBB543_67
.LBB543_13:
                                        ; implicit-def: $vgpr5
                                        ; implicit-def: $vgpr2_vgpr3
	s_cbranch_execnz .LBB543_15
	s_branch .LBB543_67
.LBB543_14:
	s_or_b32 exec_lo, exec_lo, s2
	s_and_b32 vcc_lo, exec_lo, s1
	s_cbranch_vccz .LBB543_67
.LBB543_15:
	s_mul_i32 s0, s47, s7
	s_mul_hi_u32 s1, s46, s7
	s_lshl_b32 s23, s6, 8
	s_add_i32 s15, s1, s0
	s_waitcnt lgkmcnt(0)
	s_ashr_i32 s1, s13, 31
	v_lshlrev_b32_e32 v19, 2, v1
	s_lshr_b32 s1, s1, 28
	v_or_b32_e32 v2, s23, v0
	v_mov_b32_e32 v15, 0
	v_mov_b32_e32 v16, 0
	v_mov_b32_e32 v17, 0
	v_mov_b32_e32 v18, 0
	s_mul_i32 s0, s11, s7
	s_mul_hi_u32 s2, s10, s7
	s_add_i32 s1, s13, s1
	s_mul_i32 s14, s46, s7
	s_and_b32 s27, s1, -16
	s_add_i32 s11, s2, s0
	s_mul_i32 s10, s10, s7
	s_mov_b32 s28, exec_lo
	v_cmpx_gt_i32_e64 s27, v19
	s_cbranch_execz .LBB543_27
; %bb.16:
	v_lshlrev_b32_e32 v30, 2, v1
	v_mad_u64_u32 v[4:5], null, s8, v1, 0
	v_add_nc_u32_e32 v11, 64, v2
	v_add_nc_u32_e32 v12, 0x80, v2
	v_or_b32_e32 v15, 3, v30
	s_lshl_b64 s[0:1], s[10:11], 1
	s_lshl_b64 s[6:7], s[50:51], 1
	s_add_u32 s4, s48, s0
	s_addc_u32 s29, s49, s1
	v_mad_u64_u32 v[6:7], null, s44, v15, 0
	v_cmp_gt_i32_e64 s0, s12, v11
	v_cmp_gt_i32_e64 s1, s12, v12
	v_add_nc_u32_e32 v16, 0xc0, v2
	v_or_b32_e32 v24, 2, v30
	s_lshl_b64 s[18:19], s[42:43], 1
	s_lshl_b64 s[16:17], s[8:9], 5
	v_mad_u64_u32 v[8:9], null, s9, v1, v[5:6]
	v_mad_u64_u32 v[9:10], null, s8, v15, 0
	v_cmp_gt_i32_e64 s2, s12, v16
	s_lshl_b64 s[30:31], s[14:15], 1
	v_mad_u64_u32 v[28:29], null, s8, v24, 0
	v_mov_b32_e32 v5, v8
	v_mad_u64_u32 v[7:8], null, s45, v15, v[7:8]
	v_mad_u64_u32 v[32:33], null, s44, v30, s[44:45]
	v_lshlrev_b64 v[11:12], 3, v[4:5]
	v_mov_b32_e32 v5, v10
	v_mov_b32_e32 v8, v29
	v_ashrrev_i32_e32 v3, 31, v2
	v_lshlrev_b64 v[6:7], 1, v[6:7]
	v_cmp_gt_i32_e32 vcc_lo, s12, v2
	v_add_co_u32 v20, s3, s4, v11
	v_add_co_ci_u32_e64 v21, null, s29, v12, s3
	v_mad_u64_u32 v[15:16], null, s9, v15, v[5:6]
	v_mad_u64_u32 v[11:12], null, s44, v1, 0
	s_add_u32 s3, s40, s18
	s_addc_u32 s18, s41, s19
	s_add_u32 s19, s3, s30
	s_addc_u32 s18, s18, s31
	v_mov_b32_e32 v10, v15
	v_mad_u64_u32 v[15:16], null, s44, v24, 0
	v_mov_b32_e32 v5, v12
	v_add_co_u32 v22, s3, s19, v6
	v_add_co_ci_u32_e64 v23, null, s18, v7, s3
	v_mad_u64_u32 v[17:18], null, s45, v1, v[5:6]
	v_lshlrev_b64 v[6:7], 1, v[9:10]
	v_mov_b32_e32 v5, v16
	v_lshlrev_b64 v[3:4], 1, v[2:3]
	v_mad_u64_u32 v[9:10], null, s45, v24, v[5:6]
	v_mov_b32_e32 v12, v17
	v_mad_u64_u32 v[17:18], null, s8, v30, s[8:9]
	v_mad_u64_u32 v[26:27], null, s9, v24, v[8:9]
	v_add_co_u32 v24, s3, s4, v6
	v_add_co_ci_u32_e64 v25, null, s29, v7, s3
	v_lshlrev_b64 v[6:7], 3, v[11:12]
	v_mov_b32_e32 v5, v18
	v_mov_b32_e32 v16, v9
	;; [unrolled: 1-line block ×3, first 2 shown]
	v_add_co_u32 v26, s3, s19, v6
	v_mad_u64_u32 v[8:9], null, s9, v30, v[5:6]
	v_add_co_ci_u32_e64 v27, null, s18, v7, s3
	v_lshlrev_b64 v[6:7], 1, v[15:16]
	v_mov_b32_e32 v5, v33
	v_mov_b32_e32 v15, 0
	;; [unrolled: 1-line block ×4, first 2 shown]
	v_mad_u64_u32 v[9:10], null, s45, v30, v[5:6]
	v_lshlrev_b64 v[10:11], 1, v[28:29]
	v_add_co_u32 v28, s3, s19, v6
	v_lshlrev_b64 v[5:6], 1, v[17:18]
	v_add_co_ci_u32_e64 v29, null, s18, v7, s3
	v_mov_b32_e32 v33, v9
	v_add_co_u32 v30, s3, s4, v10
	v_add_co_ci_u32_e64 v31, null, s29, v11, s3
	v_lshlrev_b64 v[7:8], 1, v[32:33]
	v_add_co_u32 v32, s3, s4, v5
	v_add_co_ci_u32_e64 v33, null, s29, v6, s3
	v_mov_b32_e32 v17, 0
	v_add_co_u32 v34, s3, s19, v7
	v_add_co_ci_u32_e64 v35, null, s18, v8, s3
	v_mov_b32_e32 v18, 0
	s_lshl_b64 s[18:19], s[44:45], 5
	s_mov_b32 s29, 0
	s_branch .LBB543_21
.LBB543_17:                             ;   in Loop: Header=BB543_21 Depth=1
	s_or_b32 exec_lo, exec_lo, s31
	s_waitcnt vmcnt(3)
	v_lshlrev_b32_e32 v5, 16, v51
	s_waitcnt vmcnt(2)
	v_lshlrev_b32_e32 v6, 16, v50
	v_fmac_f32_e32 v17, v43, v5
	s_waitcnt vmcnt(1)
	v_lshlrev_b32_e32 v5, 16, v49
	v_fmac_f32_e32 v17, v39, v6
	v_fmac_f32_e32 v17, v41, v5
	s_waitcnt vmcnt(0)
	v_lshlrev_b32_e32 v5, 16, v48
	v_fmac_f32_e32 v17, v37, v5
.LBB543_18:                             ;   in Loop: Header=BB543_21 Depth=1
	s_or_b32 exec_lo, exec_lo, s30
	s_waitcnt vmcnt(3)
	v_lshlrev_b32_e32 v5, 16, v47
	s_waitcnt vmcnt(2)
	v_lshlrev_b32_e32 v6, 16, v46
	v_fmac_f32_e32 v16, v43, v5
	s_waitcnt vmcnt(1)
	v_lshlrev_b32_e32 v5, 16, v45
	v_fmac_f32_e32 v16, v39, v6
	v_fmac_f32_e32 v16, v41, v5
	s_waitcnt vmcnt(0)
	v_lshlrev_b32_e32 v5, 16, v44
	v_fmac_f32_e32 v16, v37, v5
.LBB543_19:                             ;   in Loop: Header=BB543_21 Depth=1
	s_or_b32 exec_lo, exec_lo, s3
	s_waitcnt vmcnt(3)
	v_lshlrev_b32_e32 v5, 16, v42
	s_waitcnt vmcnt(2)
	v_lshlrev_b32_e32 v6, 16, v40
	v_fmac_f32_e32 v15, v43, v5
	s_waitcnt vmcnt(1)
	v_lshlrev_b32_e32 v5, 16, v38
	v_fmac_f32_e32 v15, v39, v6
	v_fmac_f32_e32 v15, v41, v5
	s_waitcnt vmcnt(0)
	v_lshlrev_b32_e32 v5, 16, v36
	v_fmac_f32_e32 v15, v37, v5
.LBB543_20:                             ;   in Loop: Header=BB543_21 Depth=1
	s_or_b32 exec_lo, exec_lo, s4
	v_add_co_u32 v20, s3, v20, s16
	v_add_co_ci_u32_e64 v21, null, s17, v21, s3
	v_add_co_u32 v22, s3, v22, s18
	v_add_co_ci_u32_e64 v23, null, s19, v23, s3
	;; [unrolled: 2-line block ×4, first 2 shown]
	v_add_co_u32 v28, s3, v28, s18
	v_add_nc_u32_e32 v19, 16, v19
	v_add_co_ci_u32_e64 v29, null, s19, v29, s3
	v_add_co_u32 v30, s3, v30, s16
	v_add_co_ci_u32_e64 v31, null, s17, v31, s3
	v_add_co_u32 v32, s3, v32, s16
	v_add_co_ci_u32_e64 v33, null, s17, v33, s3
	v_cmp_le_i32_e64 s3, s27, v19
	v_add_co_u32 v34, s4, v34, s18
	v_add_co_ci_u32_e64 v35, null, s19, v35, s4
	s_or_b32 s29, s3, s29
	s_andn2_b32 exec_lo, exec_lo, s29
	s_cbranch_execz .LBB543_26
.LBB543_21:                             ; =>This Inner Loop Header: Depth=1
	s_and_saveexec_b32 s4, vcc_lo
	s_cbranch_execz .LBB543_20
; %bb.22:                               ;   in Loop: Header=BB543_21 Depth=1
	v_add_co_u32 v5, s3, v20, s6
	v_add_co_ci_u32_e64 v6, null, s7, v21, s3
	v_add_co_u32 v7, s3, v32, s6
	v_add_co_ci_u32_e64 v8, null, s7, v33, s3
	;; [unrolled: 2-line block ×4, first 2 shown]
	global_load_ushort v37, v[5:6], off
	global_load_ushort v39, v[7:8], off
	;; [unrolled: 1-line block ×4, first 2 shown]
	v_add_co_u32 v5, s3, v26, v3
	v_add_co_ci_u32_e64 v6, null, v27, v4, s3
	v_add_co_u32 v9, s3, v34, v3
	v_add_co_ci_u32_e64 v10, null, v35, v4, s3
	;; [unrolled: 2-line block ×4, first 2 shown]
	global_load_ushort v42, v[5:6], off
	global_load_ushort v40, v[9:10], off
	;; [unrolled: 1-line block ×4, first 2 shown]
	s_waitcnt vmcnt(7)
	v_lshlrev_b32_e32 v43, 16, v37
	s_waitcnt vmcnt(6)
	v_lshlrev_b32_e32 v39, 16, v39
	;; [unrolled: 2-line block ×4, first 2 shown]
	s_and_saveexec_b32 s3, s0
	s_cbranch_execz .LBB543_19
; %bb.23:                               ;   in Loop: Header=BB543_21 Depth=1
	global_load_ushort v47, v[5:6], off offset:128
	global_load_ushort v46, v[9:10], off offset:128
	global_load_ushort v45, v[7:8], off offset:128
	global_load_ushort v44, v[11:12], off offset:128
	s_and_saveexec_b32 s30, s1
	s_cbranch_execz .LBB543_18
; %bb.24:                               ;   in Loop: Header=BB543_21 Depth=1
	global_load_ushort v51, v[5:6], off offset:256
	global_load_ushort v50, v[9:10], off offset:256
	global_load_ushort v49, v[7:8], off offset:256
	global_load_ushort v48, v[11:12], off offset:256
	;; [unrolled: 7-line block ×3, first 2 shown]
	s_waitcnt vmcnt(3)
	v_lshlrev_b32_e32 v5, 16, v5
	s_waitcnt vmcnt(2)
	v_lshlrev_b32_e32 v6, 16, v6
	v_fmac_f32_e32 v18, v43, v5
	s_waitcnt vmcnt(1)
	v_lshlrev_b32_e32 v5, 16, v7
	v_fmac_f32_e32 v18, v39, v6
	;; [unrolled: 3-line block ×3, first 2 shown]
	v_fmac_f32_e32 v18, v37, v6
	s_branch .LBB543_17
.LBB543_26:
	s_or_b32 exec_lo, exec_lo, s29
.LBB543_27:
	s_or_b32 exec_lo, exec_lo, s28
	s_sub_i32 s0, s13, s27
	s_cmp_lt_i32 s0, 1
	s_cbranch_scc1 .LBB543_45
; %bb.28:
	v_cmp_gt_i32_e32 vcc_lo, s13, v19
	v_mov_b32_e32 v12, 0
	v_or_b32_e32 v4, 1, v19
	v_mov_b32_e32 v11, 0
	v_mov_b32_e32 v21, 0
	;; [unrolled: 1-line block ×3, first 2 shown]
	s_and_saveexec_b32 s1, vcc_lo
	s_cbranch_execz .LBB543_36
; %bb.29:
	v_mad_u64_u32 v[5:6], null, s8, v19, 0
	s_lshl_b64 s[2:3], s[10:11], 1
	v_mov_b32_e32 v20, 0
	s_add_u32 s0, s48, s2
	s_addc_u32 s2, s49, s3
	s_lshl_b64 s[6:7], s[50:51], 1
	v_mov_b32_e32 v11, 0
	v_mov_b32_e32 v3, v6
	s_add_u32 s3, s0, s6
	s_addc_u32 s4, s2, s7
	v_mov_b32_e32 v12, 0
	s_mov_b32 s2, exec_lo
	v_mad_u64_u32 v[6:7], null, s9, v19, v[3:4]
	v_lshlrev_b64 v[5:6], 1, v[5:6]
	v_add_co_u32 v5, s0, s3, v5
	v_add_co_ci_u32_e64 v6, null, s4, v6, s0
	global_load_ushort v3, v[5:6], off
	v_cmpx_gt_i32_e64 s13, v4
	s_cbranch_execz .LBB543_35
; %bb.30:
	v_mad_u64_u32 v[5:6], null, s8, v4, 0
	v_mov_b32_e32 v11, 0
	v_mov_b32_e32 v12, 0
	s_mov_b32 s6, exec_lo
	v_mad_u64_u32 v[6:7], null, s9, v4, v[6:7]
	v_lshlrev_b64 v[5:6], 1, v[5:6]
	v_add_co_u32 v5, s0, s3, v5
	v_add_co_ci_u32_e64 v6, null, s4, v6, s0
	global_load_ushort v5, v[5:6], off
	v_or_b32_e32 v6, 2, v19
	v_cmpx_gt_i32_e64 s13, v6
	s_cbranch_execz .LBB543_34
; %bb.31:
	v_mad_u64_u32 v[7:8], null, s8, v6, 0
	v_mov_b32_e32 v11, 0
	s_mov_b32 s7, exec_lo
	v_mad_u64_u32 v[8:9], null, s9, v6, v[8:9]
	v_lshlrev_b64 v[6:7], 1, v[7:8]
	v_add_co_u32 v6, s0, s3, v6
	v_add_co_ci_u32_e64 v7, null, s4, v7, s0
	global_load_ushort v6, v[6:7], off
	v_or_b32_e32 v7, 3, v19
	v_cmpx_gt_i32_e64 s13, v7
	s_cbranch_execz .LBB543_33
; %bb.32:
	v_mad_u64_u32 v[8:9], null, s8, v7, 0
	v_mad_u64_u32 v[9:10], null, s9, v7, v[9:10]
	v_lshlrev_b64 v[7:8], 1, v[8:9]
	v_add_co_u32 v7, s0, s3, v7
	v_add_co_ci_u32_e64 v8, null, s4, v8, s0
	global_load_ushort v7, v[7:8], off
	s_waitcnt vmcnt(0)
	v_lshlrev_b32_e32 v11, 16, v7
.LBB543_33:
	s_or_b32 exec_lo, exec_lo, s7
	s_waitcnt vmcnt(0)
	v_lshlrev_b32_e32 v12, 16, v6
.LBB543_34:
	s_or_b32 exec_lo, exec_lo, s6
	s_waitcnt vmcnt(0)
	v_lshlrev_b32_e32 v20, 16, v5
.LBB543_35:
	s_or_b32 exec_lo, exec_lo, s2
	s_waitcnt vmcnt(0)
	v_lshlrev_b32_e32 v21, 16, v3
.LBB543_36:
	s_or_b32 exec_lo, exec_lo, s1
	s_mov_b32 s1, exec_lo
	v_cmpx_gt_i32_e64 s12, v2
	s_cbranch_execz .LBB543_44
; %bb.37:
	v_mad_u64_u32 v[5:6], null, s44, v19, 0
	v_mad_u64_u32 v[7:8], null, s44, v4, 0
	v_ashrrev_i32_e32 v3, 31, v2
	v_or_b32_e32 v29, 2, v19
	s_lshl_b64 s[2:3], s[14:15], 1
	s_add_u32 s0, s40, s2
	v_cndmask_b32_e32 v5, 0, v5, vcc_lo
	v_mad_u64_u32 v[9:10], null, s45, v19, v[6:7]
	v_or_b32_e32 v19, 3, v19
	v_lshlrev_b64 v[22:23], 1, v[2:3]
	v_mad_u64_u32 v[24:25], null, s44, v29, 0
	v_mov_b32_e32 v3, v8
	s_addc_u32 s4, s41, s3
	v_cndmask_b32_e32 v6, 0, v9, vcc_lo
	v_cmp_gt_i32_e32 vcc_lo, s13, v4
	s_lshl_b64 s[2:3], s[42:43], 1
	v_mad_u64_u32 v[8:9], null, s44, v19, 0
	v_lshlrev_b64 v[5:6], 1, v[5:6]
	v_mad_u64_u32 v[26:27], null, s45, v4, v[3:4]
	s_add_u32 s2, s0, s2
	v_cndmask_b32_e32 v27, 0, v7, vcc_lo
	v_mov_b32_e32 v7, v25
	s_addc_u32 s3, s4, s3
	v_add_co_u32 v3, s0, s2, v5
	v_add_co_ci_u32_e64 v4, null, s3, v6, s0
	v_cndmask_b32_e32 v28, 0, v26, vcc_lo
	v_mad_u64_u32 v[25:26], null, s45, v29, v[7:8]
	v_mov_b32_e32 v7, v9
	v_add_co_u32 v3, vcc_lo, v3, v22
	v_add_co_ci_u32_e64 v4, null, v4, v23, vcc_lo
	v_cmp_gt_i32_e32 vcc_lo, s13, v29
	v_lshlrev_b64 v[5:6], 1, v[27:28]
	v_mad_u64_u32 v[26:27], null, s45, v19, v[7:8]
	v_cndmask_b32_e32 v9, 0, v24, vcc_lo
	v_cndmask_b32_e32 v10, 0, v25, vcc_lo
	v_cmp_gt_i32_e32 vcc_lo, s13, v19
	v_add_co_u32 v5, s0, s2, v5
	v_add_co_ci_u32_e64 v6, null, s3, v6, s0
	v_cndmask_b32_e32 v7, 0, v8, vcc_lo
	v_cndmask_b32_e32 v8, 0, v26, vcc_lo
	v_lshlrev_b64 v[9:10], 1, v[9:10]
	v_add_co_u32 v5, s0, v5, v22
	v_add_co_ci_u32_e64 v6, null, v6, v23, s0
	v_lshlrev_b64 v[7:8], 1, v[7:8]
	v_add_co_u32 v9, vcc_lo, s2, v9
	v_add_co_ci_u32_e64 v10, null, s3, v10, vcc_lo
	s_clause 0x1
	global_load_ushort v19, v[3:4], off
	global_load_ushort v24, v[5:6], off
	v_add_co_u32 v25, vcc_lo, s2, v7
	v_add_co_ci_u32_e64 v26, null, s3, v8, vcc_lo
	v_add_co_u32 v7, vcc_lo, v9, v22
	v_add_co_ci_u32_e64 v8, null, v10, v23, vcc_lo
	;; [unrolled: 2-line block ×3, first 2 shown]
	s_clause 0x1
	global_load_ushort v22, v[7:8], off
	global_load_ushort v23, v[9:10], off
	s_mov_b32 s0, exec_lo
	s_waitcnt vmcnt(3)
	v_lshlrev_b32_e32 v19, 16, v19
	s_waitcnt vmcnt(2)
	v_lshlrev_b32_e32 v24, 16, v24
	v_fmac_f32_e32 v15, v21, v19
	v_fmac_f32_e32 v15, v20, v24
	v_add_nc_u32_e32 v24, 64, v2
	s_waitcnt vmcnt(1)
	v_lshlrev_b32_e32 v22, 16, v22
	s_waitcnt vmcnt(0)
	v_lshlrev_b32_e32 v19, 16, v23
	v_fmac_f32_e32 v15, v12, v22
	v_cmpx_gt_i32_e64 s12, v24
	s_cbranch_execz .LBB543_43
; %bb.38:
	s_clause 0x3
	global_load_ushort v22, v[3:4], off offset:128
	global_load_ushort v23, v[5:6], off offset:128
	;; [unrolled: 1-line block ×4, first 2 shown]
	s_mov_b32 s2, exec_lo
	s_waitcnt vmcnt(3)
	v_lshlrev_b32_e32 v22, 16, v22
	s_waitcnt vmcnt(2)
	v_lshlrev_b32_e32 v23, 16, v23
	;; [unrolled: 2-line block ×3, first 2 shown]
	v_fmac_f32_e32 v16, v21, v22
	s_waitcnt vmcnt(0)
	v_lshlrev_b32_e32 v22, 16, v25
	v_fmac_f32_e32 v16, v20, v23
	v_add_nc_u32_e32 v23, 0x80, v2
	v_fmac_f32_e32 v16, v12, v24
	v_cmpx_gt_i32_e64 s12, v23
	s_cbranch_execz .LBB543_42
; %bb.39:
	s_clause 0x3
	global_load_ushort v23, v[3:4], off offset:256
	global_load_ushort v24, v[5:6], off offset:256
	;; [unrolled: 1-line block ×4, first 2 shown]
	s_mov_b32 s3, exec_lo
	s_waitcnt vmcnt(3)
	v_lshlrev_b32_e32 v23, 16, v23
	s_waitcnt vmcnt(2)
	v_lshlrev_b32_e32 v24, 16, v24
	v_fmac_f32_e32 v17, v21, v23
	s_waitcnt vmcnt(1)
	v_lshlrev_b32_e32 v23, 16, v25
	v_fmac_f32_e32 v17, v20, v24
	v_add_nc_u32_e32 v24, 0xc0, v2
	s_waitcnt vmcnt(0)
	v_lshlrev_b32_e32 v2, 16, v26
	v_fmac_f32_e32 v17, v12, v23
	v_cmpx_gt_i32_e64 s12, v24
	s_cbranch_execz .LBB543_41
; %bb.40:
	s_clause 0x3
	global_load_ushort v3, v[3:4], off offset:384
	global_load_ushort v4, v[5:6], off offset:384
	;; [unrolled: 1-line block ×4, first 2 shown]
	s_waitcnt vmcnt(3)
	v_lshlrev_b32_e32 v3, 16, v3
	s_waitcnt vmcnt(2)
	v_lshlrev_b32_e32 v4, 16, v4
	v_fmac_f32_e32 v18, v21, v3
	s_waitcnt vmcnt(1)
	v_lshlrev_b32_e32 v3, 16, v5
	v_fmac_f32_e32 v18, v20, v4
	;; [unrolled: 3-line block ×3, first 2 shown]
	v_fmac_f32_e32 v18, v11, v4
.LBB543_41:
	s_or_b32 exec_lo, exec_lo, s3
	v_fmac_f32_e32 v17, v11, v2
.LBB543_42:
	s_or_b32 exec_lo, exec_lo, s2
	v_fmac_f32_e32 v16, v11, v22
.LBB543_43:
	s_or_b32 exec_lo, exec_lo, s0
	v_fmac_f32_e32 v15, v11, v19
.LBB543_44:
	s_or_b32 exec_lo, exec_lo, s1
.LBB543_45:
	v_lshlrev_b32_e32 v0, 2, v0
	s_mov_b32 s0, exec_lo
                                        ; implicit-def: $vgpr5
                                        ; implicit-def: $vgpr2_vgpr3
	v_lshl_or_b32 v1, v1, 10, v0
	ds_write2st64_b32 v1, v15, v16 offset1:1
	ds_write2st64_b32 v1, v17, v18 offset0:2 offset1:3
	s_waitcnt lgkmcnt(0)
	s_barrier
	buffer_gl0_inv
	v_cmpx_gt_u32_e32 0x100, v13
	s_cbranch_execz .LBB543_66
; %bb.46:
	v_lshl_add_u32 v4, v14, 2, v0
	s_mov_b32 s2, s24
	s_mov_b32 s1, exec_lo
                                        ; implicit-def: $vgpr5
	ds_read2st64_b32 v[0:1], v4 offset1:4
	ds_read2st64_b32 v[2:3], v4 offset0:8 offset1:12
	s_waitcnt lgkmcnt(1)
	v_add_f32_e32 v0, v0, v1
	s_waitcnt lgkmcnt(0)
	v_add_f32_e32 v1, v2, v0
	v_or_b32_e32 v0, s23, v13
	v_add_f32_e32 v1, v3, v1
                                        ; implicit-def: $vgpr2_vgpr3
	ds_write_b32 v4, v1
	v_cmpx_gt_i32_e64 s12, v0
	s_cbranch_execz .LBB543_65
; %bb.47:
	v_cmp_eq_f32_e64 s2, s25, 0
	v_mul_f32_e32 v1, s26, v1
	s_and_b32 vcc_lo, exec_lo, s2
	s_cbranch_vccz .LBB543_53
; %bb.48:
	v_and_b32_e32 v2, 0x7f800000, v1
	s_mov_b32 s2, exec_lo
                                        ; implicit-def: $vgpr5
	v_cmpx_ne_u32_e32 0x7f800000, v2
	s_xor_b32 s2, exec_lo, s2
; %bb.49:
	v_bfe_u32 v2, v1, 16, 1
	v_add3_u32 v5, v1, v2, 0x7fff
; %bb.50:
	s_andn2_saveexec_b32 s2, s2
; %bb.51:
	v_mov_b32_e32 v2, 0
	v_or_b32_e32 v3, 0x10000, v1
	v_cmp_eq_u32_sdwa vcc_lo, v1, v2 src0_sel:WORD_0 src1_sel:DWORD
	v_cndmask_b32_e32 v5, v3, v1, vcc_lo
; %bb.52:
	s_or_b32 exec_lo, exec_lo, s2
	s_mov_b32 s2, 0
	s_branch .LBB543_54
.LBB543_53:
	s_mov_b32 s2, -1
                                        ; implicit-def: $vgpr5
.LBB543_54:
	v_ashrrev_i32_e32 v2, 31, v0
	v_mul_lo_u32 v4, s21, v0
	s_andn2_b32 vcc_lo, exec_lo, s2
	v_mul_lo_u32 v6, s20, v2
	s_cbranch_vccnz .LBB543_64
; %bb.55:
	v_mad_u64_u32 v[2:3], null, s20, v0, 0
	v_add3_u32 v3, v3, v6, v4
	v_lshlrev_b64 v[2:3], 1, v[2:3]
	v_add_co_u32 v2, vcc_lo, s5, v2
	v_add_co_ci_u32_e64 v3, null, s22, v3, vcc_lo
	global_load_ushort v2, v[2:3], off
	s_waitcnt vmcnt(0)
	v_lshlrev_b32_e32 v2, 16, v2
	v_mul_f32_e32 v2, s25, v2
	v_and_b32_e32 v3, 0x7f800000, v2
	v_cmp_ne_u32_e32 vcc_lo, 0x7f800000, v3
                                        ; implicit-def: $vgpr3
	s_and_saveexec_b32 s2, vcc_lo
	s_xor_b32 s2, exec_lo, s2
; %bb.56:
	v_bfe_u32 v3, v2, 16, 1
	v_add3_u32 v3, v2, v3, 0x7fff
                                        ; implicit-def: $vgpr2
; %bb.57:
	s_andn2_saveexec_b32 s2, s2
; %bb.58:
	v_mov_b32_e32 v3, 0
	v_or_b32_e32 v5, 0x10000, v2
	v_cmp_eq_u32_sdwa vcc_lo, v2, v3 src0_sel:WORD_0 src1_sel:DWORD
	v_cndmask_b32_e32 v3, v5, v2, vcc_lo
; %bb.59:
	s_or_b32 exec_lo, exec_lo, s2
	v_and_b32_e32 v2, 0xffff0000, v3
	s_mov_b32 s2, exec_lo
                                        ; implicit-def: $vgpr5
	v_add_f32_e32 v1, v1, v2
	v_and_b32_e32 v2, 0x7f800000, v1
	v_cmpx_ne_u32_e32 0x7f800000, v2
	s_xor_b32 s2, exec_lo, s2
; %bb.60:
	v_bfe_u32 v2, v1, 16, 1
	v_add3_u32 v5, v1, v2, 0x7fff
                                        ; implicit-def: $vgpr1
; %bb.61:
	s_andn2_saveexec_b32 s2, s2
; %bb.62:
	v_mov_b32_e32 v2, 0
	v_or_b32_e32 v3, 0x10000, v1
	v_cmp_eq_u32_sdwa vcc_lo, v1, v2 src0_sel:WORD_0 src1_sel:DWORD
	v_cndmask_b32_e32 v5, v3, v1, vcc_lo
; %bb.63:
	s_or_b32 exec_lo, exec_lo, s2
.LBB543_64:
	v_mad_u64_u32 v[2:3], null, s20, v0, 0
	v_lshrrev_b32_e32 v5, 16, v5
	s_or_b32 s2, s24, exec_lo
	v_add3_u32 v3, v3, v6, v4
.LBB543_65:
	s_or_b32 exec_lo, exec_lo, s1
	s_andn2_b32 s1, s24, exec_lo
	s_and_b32 s2, s2, exec_lo
	s_or_b32 s24, s1, s2
.LBB543_66:
	s_or_b32 exec_lo, exec_lo, s0
.LBB543_67:
	s_and_saveexec_b32 s0, s24
	s_cbranch_execz .LBB543_69
; %bb.68:
	v_lshlrev_b64 v[0:1], 1, v[2:3]
	v_add_co_u32 v0, vcc_lo, s5, v0
	v_add_co_ci_u32_e64 v1, null, s22, v1, vcc_lo
	global_store_short v[0:1], v5, off
.LBB543_69:
	s_endpgm
	.section	.rodata,"a",@progbits
	.p2align	6, 0x0
	.amdhsa_kernel _ZL20rocblas_gemvn_kernelILi64ELi4El16rocblas_bfloat16PKfS0_EviiT3_lPKT2_lT1_lS6_lS7_lS3_lPT4_lS7_li
		.amdhsa_group_segment_fixed_size 4096
		.amdhsa_private_segment_fixed_size 0
		.amdhsa_kernarg_size 400
		.amdhsa_user_sgpr_count 6
		.amdhsa_user_sgpr_private_segment_buffer 1
		.amdhsa_user_sgpr_dispatch_ptr 0
		.amdhsa_user_sgpr_queue_ptr 0
		.amdhsa_user_sgpr_kernarg_segment_ptr 1
		.amdhsa_user_sgpr_dispatch_id 0
		.amdhsa_user_sgpr_flat_scratch_init 0
		.amdhsa_user_sgpr_private_segment_size 0
		.amdhsa_wavefront_size32 1
		.amdhsa_uses_dynamic_stack 0
		.amdhsa_system_sgpr_private_segment_wavefront_offset 0
		.amdhsa_system_sgpr_workgroup_id_x 1
		.amdhsa_system_sgpr_workgroup_id_y 0
		.amdhsa_system_sgpr_workgroup_id_z 1
		.amdhsa_system_sgpr_workgroup_info 0
		.amdhsa_system_vgpr_workitem_id 1
		.amdhsa_next_free_vgpr 52
		.amdhsa_next_free_sgpr 52
		.amdhsa_reserve_vcc 1
		.amdhsa_reserve_flat_scratch 0
		.amdhsa_float_round_mode_32 0
		.amdhsa_float_round_mode_16_64 0
		.amdhsa_float_denorm_mode_32 3
		.amdhsa_float_denorm_mode_16_64 3
		.amdhsa_dx10_clamp 1
		.amdhsa_ieee_mode 1
		.amdhsa_fp16_overflow 0
		.amdhsa_workgroup_processor_mode 1
		.amdhsa_memory_ordered 1
		.amdhsa_forward_progress 1
		.amdhsa_shared_vgpr_count 0
		.amdhsa_exception_fp_ieee_invalid_op 0
		.amdhsa_exception_fp_denorm_src 0
		.amdhsa_exception_fp_ieee_div_zero 0
		.amdhsa_exception_fp_ieee_overflow 0
		.amdhsa_exception_fp_ieee_underflow 0
		.amdhsa_exception_fp_ieee_inexact 0
		.amdhsa_exception_int_div_zero 0
	.end_amdhsa_kernel
	.section	.text._ZL20rocblas_gemvn_kernelILi64ELi4El16rocblas_bfloat16PKfS0_EviiT3_lPKT2_lT1_lS6_lS7_lS3_lPT4_lS7_li,"axG",@progbits,_ZL20rocblas_gemvn_kernelILi64ELi4El16rocblas_bfloat16PKfS0_EviiT3_lPKT2_lT1_lS6_lS7_lS3_lPT4_lS7_li,comdat
.Lfunc_end543:
	.size	_ZL20rocblas_gemvn_kernelILi64ELi4El16rocblas_bfloat16PKfS0_EviiT3_lPKT2_lT1_lS6_lS7_lS3_lPT4_lS7_li, .Lfunc_end543-_ZL20rocblas_gemvn_kernelILi64ELi4El16rocblas_bfloat16PKfS0_EviiT3_lPKT2_lT1_lS6_lS7_lS3_lPT4_lS7_li
                                        ; -- End function
	.set _ZL20rocblas_gemvn_kernelILi64ELi4El16rocblas_bfloat16PKfS0_EviiT3_lPKT2_lT1_lS6_lS7_lS3_lPT4_lS7_li.num_vgpr, 52
	.set _ZL20rocblas_gemvn_kernelILi64ELi4El16rocblas_bfloat16PKfS0_EviiT3_lPKT2_lT1_lS6_lS7_lS3_lPT4_lS7_li.num_agpr, 0
	.set _ZL20rocblas_gemvn_kernelILi64ELi4El16rocblas_bfloat16PKfS0_EviiT3_lPKT2_lT1_lS6_lS7_lS3_lPT4_lS7_li.numbered_sgpr, 52
	.set _ZL20rocblas_gemvn_kernelILi64ELi4El16rocblas_bfloat16PKfS0_EviiT3_lPKT2_lT1_lS6_lS7_lS3_lPT4_lS7_li.num_named_barrier, 0
	.set _ZL20rocblas_gemvn_kernelILi64ELi4El16rocblas_bfloat16PKfS0_EviiT3_lPKT2_lT1_lS6_lS7_lS3_lPT4_lS7_li.private_seg_size, 0
	.set _ZL20rocblas_gemvn_kernelILi64ELi4El16rocblas_bfloat16PKfS0_EviiT3_lPKT2_lT1_lS6_lS7_lS3_lPT4_lS7_li.uses_vcc, 1
	.set _ZL20rocblas_gemvn_kernelILi64ELi4El16rocblas_bfloat16PKfS0_EviiT3_lPKT2_lT1_lS6_lS7_lS3_lPT4_lS7_li.uses_flat_scratch, 0
	.set _ZL20rocblas_gemvn_kernelILi64ELi4El16rocblas_bfloat16PKfS0_EviiT3_lPKT2_lT1_lS6_lS7_lS3_lPT4_lS7_li.has_dyn_sized_stack, 0
	.set _ZL20rocblas_gemvn_kernelILi64ELi4El16rocblas_bfloat16PKfS0_EviiT3_lPKT2_lT1_lS6_lS7_lS3_lPT4_lS7_li.has_recursion, 0
	.set _ZL20rocblas_gemvn_kernelILi64ELi4El16rocblas_bfloat16PKfS0_EviiT3_lPKT2_lT1_lS6_lS7_lS3_lPT4_lS7_li.has_indirect_call, 0
	.section	.AMDGPU.csdata,"",@progbits
; Kernel info:
; codeLenInByte = 3600
; TotalNumSgprs: 54
; NumVgprs: 52
; ScratchSize: 0
; MemoryBound: 0
; FloatMode: 240
; IeeeMode: 1
; LDSByteSize: 4096 bytes/workgroup (compile time only)
; SGPRBlocks: 0
; VGPRBlocks: 6
; NumSGPRsForWavesPerEU: 54
; NumVGPRsForWavesPerEU: 52
; Occupancy: 16
; WaveLimiterHint : 0
; COMPUTE_PGM_RSRC2:SCRATCH_EN: 0
; COMPUTE_PGM_RSRC2:USER_SGPR: 6
; COMPUTE_PGM_RSRC2:TRAP_HANDLER: 0
; COMPUTE_PGM_RSRC2:TGID_X_EN: 1
; COMPUTE_PGM_RSRC2:TGID_Y_EN: 0
; COMPUTE_PGM_RSRC2:TGID_Z_EN: 1
; COMPUTE_PGM_RSRC2:TIDIG_COMP_CNT: 1
	.section	.text._ZL20rocblas_gemvn_kernelILi64ELi4Ei16rocblas_bfloat16fS0_EviiT3_lPKT2_lT1_lS4_lS5_lS1_lPT4_lS5_li,"axG",@progbits,_ZL20rocblas_gemvn_kernelILi64ELi4Ei16rocblas_bfloat16fS0_EviiT3_lPKT2_lT1_lS4_lS5_lS1_lPT4_lS5_li,comdat
	.globl	_ZL20rocblas_gemvn_kernelILi64ELi4Ei16rocblas_bfloat16fS0_EviiT3_lPKT2_lT1_lS4_lS5_lS1_lPT4_lS5_li ; -- Begin function _ZL20rocblas_gemvn_kernelILi64ELi4Ei16rocblas_bfloat16fS0_EviiT3_lPKT2_lT1_lS4_lS5_lS1_lPT4_lS5_li
	.p2align	8
	.type	_ZL20rocblas_gemvn_kernelILi64ELi4Ei16rocblas_bfloat16fS0_EviiT3_lPKT2_lT1_lS4_lS5_lS1_lPT4_lS5_li,@function
_ZL20rocblas_gemvn_kernelILi64ELi4Ei16rocblas_bfloat16fS0_EviiT3_lPKT2_lT1_lS4_lS5_lS1_lPT4_lS5_li: ; @_ZL20rocblas_gemvn_kernelILi64ELi4Ei16rocblas_bfloat16fS0_EviiT3_lPKT2_lT1_lS4_lS5_lS1_lPT4_lS5_li
; %bb.0:
	s_load_dwordx2 s[0:1], s[4:5], 0x9c
	s_waitcnt lgkmcnt(0)
	s_lshr_b32 s2, s0, 16
	s_and_b32 s0, s0, 0xffff
	s_and_b32 s1, s1, 0xffff
	s_mul_i32 s0, s2, s0
	s_mul_i32 s0, s0, s1
	s_cmpk_lg_i32 s0, 0x100
	s_cbranch_scc1 .LBB544_69
; %bb.1:
	s_clause 0x1
	s_load_dwordx4 s[8:11], s[4:5], 0x0
	s_load_dword s14, s[4:5], 0x58
	s_mov_b32 s13, 0
	s_waitcnt lgkmcnt(0)
	v_cmp_eq_f32_e64 s0, s10, 0
	v_cmp_eq_f32_e64 s1, s14, 1.0
	s_and_b32 s0, s0, s1
	s_and_b32 vcc_lo, exec_lo, s0
	s_cbranch_vccnz .LBB544_69
; %bb.2:
	s_clause 0x2
	s_load_dwordx2 s[16:17], s[4:5], 0x80
	s_load_dwordx4 s[0:3], s[4:5], 0x68
	s_load_dword s15, s[4:5], 0x78
	v_lshlrev_b32_e32 v13, 6, v1
	v_cmp_neq_f32_e64 s18, s10, 0
	v_add_nc_u32_e32 v14, v13, v0
	s_waitcnt lgkmcnt(0)
	s_mul_i32 s11, s17, s7
	s_mul_hi_u32 s12, s16, s7
	s_mul_i32 s16, s16, s7
	s_add_i32 s17, s12, s11
	s_lshl_b64 s[16:17], s[16:17], 1
	s_add_u32 s11, s0, s16
	s_addc_u32 s12, s1, s17
	s_lshl_b64 s[0:1], s[2:3], 1
	s_add_u32 s11, s11, s0
	v_cmp_gt_u32_e64 s0, 0x100, v14
	s_addc_u32 s12, s12, s1
	s_and_b32 vcc_lo, exec_lo, s18
	s_cbranch_vccnz .LBB544_13
; %bb.3:
	s_mov_b32 s1, 0
                                        ; implicit-def: $vgpr5
                                        ; implicit-def: $vgpr2_vgpr3
	s_and_saveexec_b32 s2, s0
	s_cbranch_execz .LBB544_14
; %bb.4:
	v_lshl_or_b32 v4, s6, 8, v14
	v_mov_b32_e32 v5, 0
	s_ashr_i32 s17, s8, 31
	s_mov_b32 s16, s8
	s_mov_b32 s3, 0
	s_mov_b32 s0, exec_lo
                                        ; implicit-def: $vgpr2_vgpr3
	v_cmpx_gt_i64_e64 s[16:17], v[4:5]
	s_cbranch_execz .LBB544_12
; %bb.5:
	v_mad_u64_u32 v[2:3], null, s15, v4, 0
	s_ashr_i32 s3, s15, 31
	v_mad_u64_u32 v[3:4], null, s3, v4, v[3:4]
	v_cmp_eq_f32_e64 s3, s14, 0
	s_and_b32 vcc_lo, exec_lo, s3
	s_cbranch_vccnz .LBB544_11
; %bb.6:
	v_lshlrev_b64 v[4:5], 1, v[2:3]
	v_add_co_u32 v4, vcc_lo, s11, v4
	v_add_co_ci_u32_e64 v5, null, s12, v5, vcc_lo
	global_load_ushort v4, v[4:5], off
	s_waitcnt vmcnt(0)
	v_lshlrev_b32_e32 v4, 16, v4
	v_mul_f32_e32 v4, s14, v4
	v_and_b32_e32 v5, 0x7f800000, v4
	v_cmp_ne_u32_e32 vcc_lo, 0x7f800000, v5
                                        ; implicit-def: $vgpr5
	s_and_saveexec_b32 s3, vcc_lo
	s_xor_b32 s3, exec_lo, s3
; %bb.7:
	v_bfe_u32 v5, v4, 16, 1
	v_add3_u32 v5, v4, v5, 0x7fff
                                        ; implicit-def: $vgpr4
; %bb.8:
	s_andn2_saveexec_b32 s3, s3
; %bb.9:
	v_mov_b32_e32 v5, 0
	v_or_b32_e32 v6, 0x10000, v4
	v_cmp_eq_u32_sdwa vcc_lo, v4, v5 src0_sel:WORD_0 src1_sel:DWORD
	v_cndmask_b32_e32 v5, v6, v4, vcc_lo
; %bb.10:
	s_or_b32 exec_lo, exec_lo, s3
	v_lshrrev_b32_e32 v5, 16, v5
.LBB544_11:
	s_mov_b32 s3, exec_lo
.LBB544_12:
	s_or_b32 exec_lo, exec_lo, s0
	s_and_b32 s13, s3, exec_lo
	s_or_b32 exec_lo, exec_lo, s2
	s_and_b32 vcc_lo, exec_lo, s1
	s_cbranch_vccnz .LBB544_15
	s_branch .LBB544_67
.LBB544_13:
                                        ; implicit-def: $vgpr5
                                        ; implicit-def: $vgpr2_vgpr3
	s_cbranch_execnz .LBB544_15
	s_branch .LBB544_67
.LBB544_14:
	s_or_b32 exec_lo, exec_lo, s2
	s_and_b32 vcc_lo, exec_lo, s1
	s_cbranch_vccz .LBB544_67
.LBB544_15:
	s_clause 0x5
	s_load_dwordx4 s[0:3], s[4:5], 0x30
	s_load_dwordx2 s[18:19], s[4:5], 0x50
	s_load_dwordx4 s[20:23], s[4:5], 0x18
	s_load_dword s16, s[4:5], 0x28
	s_load_dwordx2 s[24:25], s[4:5], 0x40
	s_load_dword s4, s[4:5], 0x48
	v_lshlrev_b32_e32 v20, 2, v1
	v_mov_b32_e32 v15, 0
	v_mov_b32_e32 v16, 0
	;; [unrolled: 1-line block ×4, first 2 shown]
	s_waitcnt lgkmcnt(0)
	s_mul_i32 s1, s1, s7
	s_mul_hi_u32 s17, s0, s7
	s_mul_i32 s0, s0, s7
	s_add_i32 s1, s17, s1
	s_mul_i32 s19, s19, s7
	s_lshl_b64 s[0:1], s[0:1], 1
	s_mul_hi_u32 s26, s18, s7
	s_add_u32 s17, s20, s0
	s_addc_u32 s20, s21, s1
	s_lshl_b64 s[0:1], s[22:23], 1
	s_mul_i32 s18, s18, s7
	s_add_u32 s7, s17, s0
	s_addc_u32 s17, s20, s1
	s_add_i32 s19, s26, s19
	s_mov_b32 s20, exec_lo
	s_lshl_b64 s[0:1], s[18:19], 1
	s_add_u32 s2, s2, s0
	s_addc_u32 s3, s3, s1
	s_lshl_b64 s[0:1], s[24:25], 1
	s_add_u32 s18, s2, s0
	s_addc_u32 s19, s3, s1
	s_ashr_i32 s0, s9, 31
	s_lshl_b32 s5, s6, 8
	s_lshr_b32 s0, s0, 28
	v_or_b32_e32 v19, s5, v0
	s_add_i32 s0, s9, s0
	s_and_b32 s6, s0, -16
	v_cmpx_gt_i32_e64 s6, v20
	s_cbranch_execz .LBB544_27
; %bb.16:
	v_add_nc_u32_e32 v5, 0xc0, v19
	v_mul_lo_u32 v3, s16, v20
	v_add_nc_u32_e32 v2, 64, v19
	v_add_nc_u32_e32 v6, 2, v20
	;; [unrolled: 1-line block ×3, first 2 shown]
	v_cmp_gt_i32_e64 s2, s8, v5
	v_mul_lo_u32 v5, v1, s16
	v_add_nc_u32_e32 v7, 3, v20
	v_mul_lo_u32 v8, v1, s4
	v_cmp_gt_i32_e64 s0, s8, v2
	v_add3_u32 v21, v3, s16, v0
	v_mad_u64_u32 v[2:3], null, s16, v6, v[0:1]
	v_cmp_gt_i32_e64 s1, s8, v4
	v_mad_u64_u32 v[3:4], null, s16, v7, v[0:1]
	v_lshl_add_u32 v22, v5, 2, v0
	v_mad_u64_u32 v[4:5], null, s4, v20, s[4:5]
	v_mul_lo_u32 v23, s4, v6
	v_mul_lo_u32 v24, s4, v7
	v_lshlrev_b32_e32 v25, 2, v8
	v_mov_b32_e32 v15, 0
	v_mov_b32_e32 v16, 0
	;; [unrolled: 1-line block ×4, first 2 shown]
	s_lshl_b32 s21, s16, 4
	s_lshl_b32 s23, s4, 4
	s_mov_b32 s22, 0
	s_mov_b32 s24, 0
	v_cmp_gt_i32_e32 vcc_lo, s8, v19
	s_branch .LBB544_21
.LBB544_17:                             ;   in Loop: Header=BB544_21 Depth=1
	s_or_b32 exec_lo, exec_lo, s27
	s_waitcnt vmcnt(3)
	v_lshlrev_b32_e32 v5, 16, v41
	s_waitcnt vmcnt(2)
	v_lshlrev_b32_e32 v6, 16, v40
	v_fmac_f32_e32 v17, v33, v5
	s_waitcnt vmcnt(1)
	v_lshlrev_b32_e32 v5, 16, v39
	v_fmac_f32_e32 v17, v29, v6
	v_fmac_f32_e32 v17, v31, v5
	s_waitcnt vmcnt(0)
	v_lshlrev_b32_e32 v5, 16, v38
	v_fmac_f32_e32 v17, v27, v5
.LBB544_18:                             ;   in Loop: Header=BB544_21 Depth=1
	s_or_b32 exec_lo, exec_lo, s26
	s_waitcnt vmcnt(3)
	v_lshlrev_b32_e32 v5, 16, v37
	s_waitcnt vmcnt(2)
	v_lshlrev_b32_e32 v6, 16, v36
	v_fmac_f32_e32 v16, v33, v5
	s_waitcnt vmcnt(1)
	v_lshlrev_b32_e32 v5, 16, v35
	v_fmac_f32_e32 v16, v29, v6
	v_fmac_f32_e32 v16, v31, v5
	s_waitcnt vmcnt(0)
	v_lshlrev_b32_e32 v5, 16, v34
	v_fmac_f32_e32 v16, v27, v5
.LBB544_19:                             ;   in Loop: Header=BB544_21 Depth=1
	s_or_b32 exec_lo, exec_lo, s3
	s_waitcnt vmcnt(3)
	v_lshlrev_b32_e32 v5, 16, v32
	s_waitcnt vmcnt(2)
	v_lshlrev_b32_e32 v6, 16, v30
	v_fmac_f32_e32 v15, v33, v5
	s_waitcnt vmcnt(1)
	v_lshlrev_b32_e32 v5, 16, v28
	v_fmac_f32_e32 v15, v29, v6
	v_fmac_f32_e32 v15, v31, v5
	s_waitcnt vmcnt(0)
	v_lshlrev_b32_e32 v5, 16, v26
	v_fmac_f32_e32 v15, v27, v5
.LBB544_20:                             ;   in Loop: Header=BB544_21 Depth=1
	s_or_b32 exec_lo, exec_lo, s25
	v_add_nc_u32_e32 v20, 16, v20
	v_add_nc_u32_e32 v21, s21, v21
	;; [unrolled: 1-line block ×5, first 2 shown]
	v_cmp_le_i32_e64 s3, s6, v20
	s_add_i32 s24, s24, s23
	s_or_b32 s22, s3, s22
	s_andn2_b32 exec_lo, exec_lo, s22
	s_cbranch_execz .LBB544_26
.LBB544_21:                             ; =>This Inner Loop Header: Depth=1
	s_and_saveexec_b32 s25, vcc_lo
	s_cbranch_execz .LBB544_20
; %bb.22:                               ;   in Loop: Header=BB544_21 Depth=1
	v_add_nc_u32_e32 v5, s24, v25
	v_add_nc_u32_e32 v7, s24, v4
	;; [unrolled: 1-line block ×5, first 2 shown]
	v_ashrrev_i32_e32 v6, 31, v5
	v_ashrrev_i32_e32 v8, 31, v7
	;; [unrolled: 1-line block ×5, first 2 shown]
	v_lshlrev_b64 v[5:6], 1, v[5:6]
	v_lshlrev_b64 v[7:8], 1, v[7:8]
	;; [unrolled: 1-line block ×4, first 2 shown]
	v_add_nc_u32_e32 v28, s5, v21
	v_add_nc_u32_e32 v30, s5, v2
	v_add_co_u32 v5, s3, s18, v5
	v_add_co_ci_u32_e64 v6, null, s19, v6, s3
	v_add_co_u32 v7, s3, s18, v7
	v_add_co_ci_u32_e64 v8, null, s19, v8, s3
	;; [unrolled: 2-line block ×4, first 2 shown]
	v_lshlrev_b64 v[26:27], 1, v[26:27]
	s_clause 0x3
	global_load_ushort v33, v[5:6], off
	global_load_ushort v34, v[7:8], off
	;; [unrolled: 1-line block ×4, first 2 shown]
	v_add_nc_u32_e32 v9, s5, v3
	v_ashrrev_i32_e32 v29, 31, v28
	v_ashrrev_i32_e32 v31, 31, v30
	v_add_co_u32 v5, s3, s7, v26
	v_ashrrev_i32_e32 v10, 31, v9
	v_lshlrev_b64 v[7:8], 1, v[28:29]
	v_add_co_ci_u32_e64 v6, null, s17, v27, s3
	v_lshlrev_b64 v[26:27], 1, v[30:31]
	v_lshlrev_b64 v[9:10], 1, v[9:10]
	v_add_co_u32 v11, s3, s7, v7
	v_add_co_ci_u32_e64 v12, null, s17, v8, s3
	v_add_co_u32 v7, s3, s7, v26
	v_add_co_ci_u32_e64 v8, null, s17, v27, s3
	;; [unrolled: 2-line block ×3, first 2 shown]
	s_clause 0x3
	global_load_ushort v32, v[5:6], off
	global_load_ushort v30, v[11:12], off
	;; [unrolled: 1-line block ×4, first 2 shown]
	s_waitcnt vmcnt(7)
	v_lshlrev_b32_e32 v33, 16, v33
	s_waitcnt vmcnt(6)
	v_lshlrev_b32_e32 v29, 16, v34
	;; [unrolled: 2-line block ×4, first 2 shown]
	s_and_saveexec_b32 s3, s0
	s_cbranch_execz .LBB544_19
; %bb.23:                               ;   in Loop: Header=BB544_21 Depth=1
	s_clause 0x3
	global_load_ushort v37, v[5:6], off offset:128
	global_load_ushort v36, v[11:12], off offset:128
	global_load_ushort v35, v[7:8], off offset:128
	global_load_ushort v34, v[9:10], off offset:128
	s_and_saveexec_b32 s26, s1
	s_cbranch_execz .LBB544_18
; %bb.24:                               ;   in Loop: Header=BB544_21 Depth=1
	s_clause 0x3
	global_load_ushort v41, v[5:6], off offset:256
	global_load_ushort v40, v[11:12], off offset:256
	global_load_ushort v39, v[7:8], off offset:256
	global_load_ushort v38, v[9:10], off offset:256
	;; [unrolled: 8-line block ×3, first 2 shown]
	s_waitcnt vmcnt(3)
	v_lshlrev_b32_e32 v5, 16, v5
	s_waitcnt vmcnt(2)
	v_lshlrev_b32_e32 v6, 16, v6
	v_fmac_f32_e32 v18, v33, v5
	s_waitcnt vmcnt(1)
	v_lshlrev_b32_e32 v5, 16, v7
	v_fmac_f32_e32 v18, v29, v6
	s_waitcnt vmcnt(0)
	v_lshlrev_b32_e32 v6, 16, v8
	v_fmac_f32_e32 v18, v31, v5
	v_fmac_f32_e32 v18, v27, v6
	s_branch .LBB544_17
.LBB544_26:
	s_or_b32 exec_lo, exec_lo, s22
.LBB544_27:
	s_or_b32 exec_lo, exec_lo, s20
	s_sub_i32 s0, s9, s6
	s_cmp_lt_i32 s0, 1
	s_cbranch_scc1 .LBB544_45
; %bb.28:
	v_cmp_gt_i32_e32 vcc_lo, s9, v20
	v_mov_b32_e32 v11, 0
	v_or_b32_e32 v2, 1, v20
	v_mov_b32_e32 v10, 0
	v_mov_b32_e32 v21, 0
	;; [unrolled: 1-line block ×3, first 2 shown]
	s_and_saveexec_b32 s1, vcc_lo
	s_cbranch_execz .LBB544_36
; %bb.29:
	v_mul_lo_u32 v3, v20, s4
	v_mov_b32_e32 v12, 0
	v_mov_b32_e32 v10, 0
	v_mov_b32_e32 v11, 0
	s_mov_b32 s2, exec_lo
	v_ashrrev_i32_e32 v4, 31, v3
	v_lshlrev_b64 v[3:4], 1, v[3:4]
	v_add_co_u32 v3, s0, s18, v3
	v_add_co_ci_u32_e64 v4, null, s19, v4, s0
	global_load_ushort v3, v[3:4], off
	v_cmpx_gt_i32_e64 s9, v2
	s_cbranch_execz .LBB544_35
; %bb.30:
	v_mul_lo_u32 v4, v2, s4
	v_mov_b32_e32 v10, 0
	v_mov_b32_e32 v11, 0
	s_mov_b32 s3, exec_lo
	v_ashrrev_i32_e32 v5, 31, v4
	v_lshlrev_b64 v[4:5], 1, v[4:5]
	v_add_co_u32 v4, s0, s18, v4
	v_add_co_ci_u32_e64 v5, null, s19, v5, s0
	global_load_ushort v4, v[4:5], off
	v_or_b32_e32 v5, 2, v20
	v_cmpx_gt_i32_e64 s9, v5
	s_cbranch_execz .LBB544_34
; %bb.31:
	v_mul_lo_u32 v5, v5, s4
	v_mov_b32_e32 v10, 0
	s_mov_b32 s6, exec_lo
	v_ashrrev_i32_e32 v6, 31, v5
	v_lshlrev_b64 v[5:6], 1, v[5:6]
	v_add_co_u32 v5, s0, s18, v5
	v_add_co_ci_u32_e64 v6, null, s19, v6, s0
	global_load_ushort v5, v[5:6], off
	v_or_b32_e32 v6, 3, v20
	v_cmpx_gt_i32_e64 s9, v6
	s_cbranch_execz .LBB544_33
; %bb.32:
	v_mul_lo_u32 v6, v6, s4
	v_ashrrev_i32_e32 v7, 31, v6
	v_lshlrev_b64 v[6:7], 1, v[6:7]
	v_add_co_u32 v6, s0, s18, v6
	v_add_co_ci_u32_e64 v7, null, s19, v7, s0
	global_load_ushort v6, v[6:7], off
	s_waitcnt vmcnt(0)
	v_lshlrev_b32_e32 v10, 16, v6
.LBB544_33:
	s_or_b32 exec_lo, exec_lo, s6
	s_waitcnt vmcnt(0)
	v_lshlrev_b32_e32 v11, 16, v5
.LBB544_34:
	s_or_b32 exec_lo, exec_lo, s3
	s_waitcnt vmcnt(0)
	v_lshlrev_b32_e32 v12, 16, v4
.LBB544_35:
	s_or_b32 exec_lo, exec_lo, s2
	s_waitcnt vmcnt(0)
	v_lshlrev_b32_e32 v21, 16, v3
.LBB544_36:
	s_or_b32 exec_lo, exec_lo, s1
	s_mov_b32 s1, exec_lo
	v_cmpx_gt_i32_e64 s8, v19
	s_cbranch_execz .LBB544_44
; %bb.37:
	v_mul_lo_u32 v3, v20, s16
	v_mul_lo_u32 v4, v2, s16
	v_or_b32_e32 v5, 2, v20
	v_or_b32_e32 v6, 3, v20
	s_mov_b32 s0, exec_lo
	v_mul_lo_u32 v7, v5, s16
	v_cndmask_b32_e32 v3, 0, v3, vcc_lo
	v_cmp_gt_i32_e32 vcc_lo, s9, v2
	v_mul_lo_u32 v8, v6, s16
	v_add_nc_u32_e32 v2, v3, v19
	v_cndmask_b32_e32 v4, 0, v4, vcc_lo
	v_cmp_gt_i32_e32 vcc_lo, s9, v5
	v_ashrrev_i32_e32 v3, 31, v2
	v_add_nc_u32_e32 v4, v4, v19
	v_cndmask_b32_e32 v7, 0, v7, vcc_lo
	v_cmp_gt_i32_e32 vcc_lo, s9, v6
	v_lshlrev_b64 v[2:3], 1, v[2:3]
	v_ashrrev_i32_e32 v5, 31, v4
	v_add_nc_u32_e32 v6, v7, v19
	v_cndmask_b32_e32 v8, 0, v8, vcc_lo
	v_lshlrev_b64 v[4:5], 1, v[4:5]
	v_ashrrev_i32_e32 v7, 31, v6
	v_add_nc_u32_e32 v8, v8, v19
	v_add_co_u32 v2, vcc_lo, s7, v2
	v_add_co_ci_u32_e64 v3, null, s17, v3, vcc_lo
	v_ashrrev_i32_e32 v9, 31, v8
	v_add_co_u32 v4, vcc_lo, s7, v4
	v_add_co_ci_u32_e64 v5, null, s17, v5, vcc_lo
	v_lshlrev_b64 v[6:7], 1, v[6:7]
	v_lshlrev_b64 v[8:9], 1, v[8:9]
	s_clause 0x1
	global_load_ushort v20, v[2:3], off
	global_load_ushort v22, v[4:5], off
	v_add_co_u32 v6, vcc_lo, s7, v6
	v_add_co_ci_u32_e64 v7, null, s17, v7, vcc_lo
	v_add_co_u32 v8, vcc_lo, s7, v8
	v_add_co_ci_u32_e64 v9, null, s17, v9, vcc_lo
	s_clause 0x1
	global_load_ushort v23, v[6:7], off
	global_load_ushort v24, v[8:9], off
	s_waitcnt vmcnt(3)
	v_lshlrev_b32_e32 v20, 16, v20
	s_waitcnt vmcnt(2)
	v_lshlrev_b32_e32 v22, 16, v22
	v_fmac_f32_e32 v15, v21, v20
	v_fmac_f32_e32 v15, v12, v22
	v_add_nc_u32_e32 v22, 64, v19
	s_waitcnt vmcnt(1)
	v_lshlrev_b32_e32 v23, 16, v23
	s_waitcnt vmcnt(0)
	v_lshlrev_b32_e32 v20, 16, v24
	v_fmac_f32_e32 v15, v11, v23
	v_cmpx_gt_i32_e64 s8, v22
	s_cbranch_execz .LBB544_43
; %bb.38:
	s_clause 0x3
	global_load_ushort v22, v[2:3], off offset:128
	global_load_ushort v23, v[4:5], off offset:128
	;; [unrolled: 1-line block ×4, first 2 shown]
	s_mov_b32 s2, exec_lo
	s_waitcnt vmcnt(3)
	v_lshlrev_b32_e32 v22, 16, v22
	s_waitcnt vmcnt(2)
	v_lshlrev_b32_e32 v23, 16, v23
	;; [unrolled: 2-line block ×3, first 2 shown]
	v_fmac_f32_e32 v16, v21, v22
	s_waitcnt vmcnt(0)
	v_lshlrev_b32_e32 v22, 16, v25
	v_fmac_f32_e32 v16, v12, v23
	v_add_nc_u32_e32 v23, 0x80, v19
	v_fmac_f32_e32 v16, v11, v24
	v_cmpx_gt_i32_e64 s8, v23
	s_cbranch_execz .LBB544_42
; %bb.39:
	s_clause 0x3
	global_load_ushort v23, v[2:3], off offset:256
	global_load_ushort v24, v[4:5], off offset:256
	;; [unrolled: 1-line block ×4, first 2 shown]
	s_mov_b32 s3, exec_lo
	s_waitcnt vmcnt(3)
	v_lshlrev_b32_e32 v23, 16, v23
	s_waitcnt vmcnt(2)
	v_lshlrev_b32_e32 v24, 16, v24
	v_fmac_f32_e32 v17, v21, v23
	s_waitcnt vmcnt(1)
	v_lshlrev_b32_e32 v23, 16, v25
	v_fmac_f32_e32 v17, v12, v24
	v_add_nc_u32_e32 v24, 0xc0, v19
	s_waitcnt vmcnt(0)
	v_lshlrev_b32_e32 v19, 16, v26
	v_fmac_f32_e32 v17, v11, v23
	v_cmpx_gt_i32_e64 s8, v24
	s_cbranch_execz .LBB544_41
; %bb.40:
	s_clause 0x3
	global_load_ushort v2, v[2:3], off offset:384
	global_load_ushort v3, v[4:5], off offset:384
	;; [unrolled: 1-line block ×4, first 2 shown]
	s_waitcnt vmcnt(3)
	v_lshlrev_b32_e32 v2, 16, v2
	s_waitcnt vmcnt(2)
	v_lshlrev_b32_e32 v3, 16, v3
	v_fmac_f32_e32 v18, v21, v2
	s_waitcnt vmcnt(1)
	v_lshlrev_b32_e32 v2, 16, v4
	v_fmac_f32_e32 v18, v12, v3
	;; [unrolled: 3-line block ×3, first 2 shown]
	v_fmac_f32_e32 v18, v10, v3
.LBB544_41:
	s_or_b32 exec_lo, exec_lo, s3
	v_fmac_f32_e32 v17, v10, v19
.LBB544_42:
	s_or_b32 exec_lo, exec_lo, s2
	v_fmac_f32_e32 v16, v10, v22
.LBB544_43:
	s_or_b32 exec_lo, exec_lo, s0
	v_fmac_f32_e32 v15, v10, v20
.LBB544_44:
	s_or_b32 exec_lo, exec_lo, s1
.LBB544_45:
	v_lshlrev_b32_e32 v0, 2, v0
	s_mov_b32 s0, exec_lo
                                        ; implicit-def: $vgpr5
                                        ; implicit-def: $vgpr2_vgpr3
	v_lshl_or_b32 v1, v1, 10, v0
	ds_write2st64_b32 v1, v15, v16 offset1:1
	ds_write2st64_b32 v1, v17, v18 offset0:2 offset1:3
	s_waitcnt lgkmcnt(0)
	s_barrier
	buffer_gl0_inv
	v_cmpx_gt_u32_e32 0x100, v14
	s_cbranch_execz .LBB544_66
; %bb.46:
	v_lshl_add_u32 v5, v13, 2, v0
	v_or_b32_e32 v4, s5, v14
	s_mov_b32 s2, s13
	s_mov_b32 s1, exec_lo
	ds_read2st64_b32 v[0:1], v5 offset1:4
	ds_read2st64_b32 v[2:3], v5 offset0:8 offset1:12
	s_waitcnt lgkmcnt(1)
	v_add_f32_e32 v0, v0, v1
	s_waitcnt lgkmcnt(0)
	v_add_f32_e32 v0, v2, v0
	v_add_f32_e32 v0, v3, v0
                                        ; implicit-def: $vgpr2_vgpr3
	ds_write_b32 v5, v0
                                        ; implicit-def: $vgpr5
	v_cmpx_gt_i32_e64 s8, v4
	s_cbranch_execz .LBB544_65
; %bb.47:
	v_cmp_eq_f32_e64 s2, s14, 0
	v_mul_f32_e32 v0, s10, v0
	s_and_b32 vcc_lo, exec_lo, s2
	s_cbranch_vccz .LBB544_53
; %bb.48:
	v_and_b32_e32 v1, 0x7f800000, v0
	v_cmp_ne_u32_e32 vcc_lo, 0x7f800000, v1
                                        ; implicit-def: $vgpr1
	s_and_saveexec_b32 s2, vcc_lo
	s_xor_b32 s2, exec_lo, s2
; %bb.49:
	v_bfe_u32 v1, v0, 16, 1
	v_add3_u32 v1, v0, v1, 0x7fff
; %bb.50:
	s_andn2_saveexec_b32 s2, s2
; %bb.51:
	v_mov_b32_e32 v1, 0
	v_or_b32_e32 v2, 0x10000, v0
	v_cmp_eq_u32_sdwa vcc_lo, v0, v1 src0_sel:WORD_0 src1_sel:DWORD
	v_cndmask_b32_e32 v1, v2, v0, vcc_lo
; %bb.52:
	s_or_b32 exec_lo, exec_lo, s2
	s_mov_b32 s2, 0
	s_branch .LBB544_54
.LBB544_53:
	s_mov_b32 s2, -1
                                        ; implicit-def: $vgpr1
.LBB544_54:
	v_mul_lo_u32 v2, s15, v4
	s_andn2_b32 vcc_lo, exec_lo, s2
	v_ashrrev_i32_e32 v3, 31, v2
	s_cbranch_vccnz .LBB544_64
; %bb.55:
	v_lshlrev_b64 v[4:5], 1, v[2:3]
	v_add_co_u32 v4, vcc_lo, s11, v4
	v_add_co_ci_u32_e64 v5, null, s12, v5, vcc_lo
	global_load_ushort v1, v[4:5], off
	s_waitcnt vmcnt(0)
	v_lshlrev_b32_e32 v1, 16, v1
	v_mul_f32_e32 v1, s14, v1
	v_and_b32_e32 v4, 0x7f800000, v1
	v_cmp_ne_u32_e32 vcc_lo, 0x7f800000, v4
                                        ; implicit-def: $vgpr4
	s_and_saveexec_b32 s2, vcc_lo
	s_xor_b32 s2, exec_lo, s2
; %bb.56:
	v_bfe_u32 v4, v1, 16, 1
	v_add3_u32 v4, v1, v4, 0x7fff
                                        ; implicit-def: $vgpr1
; %bb.57:
	s_andn2_saveexec_b32 s2, s2
; %bb.58:
	v_mov_b32_e32 v4, 0
	v_or_b32_e32 v5, 0x10000, v1
	v_cmp_eq_u32_sdwa vcc_lo, v1, v4 src0_sel:WORD_0 src1_sel:DWORD
	v_cndmask_b32_e32 v4, v5, v1, vcc_lo
; %bb.59:
	s_or_b32 exec_lo, exec_lo, s2
	v_and_b32_e32 v1, 0xffff0000, v4
	v_add_f32_e32 v0, v0, v1
	v_and_b32_e32 v1, 0x7f800000, v0
	v_cmp_ne_u32_e32 vcc_lo, 0x7f800000, v1
                                        ; implicit-def: $vgpr1
	s_and_saveexec_b32 s2, vcc_lo
	s_xor_b32 s2, exec_lo, s2
; %bb.60:
	v_bfe_u32 v1, v0, 16, 1
	v_add3_u32 v1, v0, v1, 0x7fff
                                        ; implicit-def: $vgpr0
; %bb.61:
	s_andn2_saveexec_b32 s2, s2
; %bb.62:
	v_mov_b32_e32 v1, 0
	v_or_b32_e32 v4, 0x10000, v0
	v_cmp_eq_u32_sdwa vcc_lo, v0, v1 src0_sel:WORD_0 src1_sel:DWORD
	v_cndmask_b32_e32 v1, v4, v0, vcc_lo
; %bb.63:
	s_or_b32 exec_lo, exec_lo, s2
.LBB544_64:
	v_lshrrev_b32_e32 v5, 16, v1
	s_or_b32 s2, s13, exec_lo
.LBB544_65:
	s_or_b32 exec_lo, exec_lo, s1
	s_andn2_b32 s1, s13, exec_lo
	s_and_b32 s2, s2, exec_lo
	s_or_b32 s13, s1, s2
.LBB544_66:
	s_or_b32 exec_lo, exec_lo, s0
.LBB544_67:
	s_and_saveexec_b32 s0, s13
	s_cbranch_execz .LBB544_69
; %bb.68:
	v_lshlrev_b64 v[0:1], 1, v[2:3]
	v_add_co_u32 v0, vcc_lo, s11, v0
	v_add_co_ci_u32_e64 v1, null, s12, v1, vcc_lo
	global_store_short v[0:1], v5, off
.LBB544_69:
	s_endpgm
	.section	.rodata,"a",@progbits
	.p2align	6, 0x0
	.amdhsa_kernel _ZL20rocblas_gemvn_kernelILi64ELi4Ei16rocblas_bfloat16fS0_EviiT3_lPKT2_lT1_lS4_lS5_lS1_lPT4_lS5_li
		.amdhsa_group_segment_fixed_size 4096
		.amdhsa_private_segment_fixed_size 0
		.amdhsa_kernarg_size 400
		.amdhsa_user_sgpr_count 6
		.amdhsa_user_sgpr_private_segment_buffer 1
		.amdhsa_user_sgpr_dispatch_ptr 0
		.amdhsa_user_sgpr_queue_ptr 0
		.amdhsa_user_sgpr_kernarg_segment_ptr 1
		.amdhsa_user_sgpr_dispatch_id 0
		.amdhsa_user_sgpr_flat_scratch_init 0
		.amdhsa_user_sgpr_private_segment_size 0
		.amdhsa_wavefront_size32 1
		.amdhsa_uses_dynamic_stack 0
		.amdhsa_system_sgpr_private_segment_wavefront_offset 0
		.amdhsa_system_sgpr_workgroup_id_x 1
		.amdhsa_system_sgpr_workgroup_id_y 0
		.amdhsa_system_sgpr_workgroup_id_z 1
		.amdhsa_system_sgpr_workgroup_info 0
		.amdhsa_system_vgpr_workitem_id 1
		.amdhsa_next_free_vgpr 42
		.amdhsa_next_free_sgpr 28
		.amdhsa_reserve_vcc 1
		.amdhsa_reserve_flat_scratch 0
		.amdhsa_float_round_mode_32 0
		.amdhsa_float_round_mode_16_64 0
		.amdhsa_float_denorm_mode_32 3
		.amdhsa_float_denorm_mode_16_64 3
		.amdhsa_dx10_clamp 1
		.amdhsa_ieee_mode 1
		.amdhsa_fp16_overflow 0
		.amdhsa_workgroup_processor_mode 1
		.amdhsa_memory_ordered 1
		.amdhsa_forward_progress 1
		.amdhsa_shared_vgpr_count 0
		.amdhsa_exception_fp_ieee_invalid_op 0
		.amdhsa_exception_fp_denorm_src 0
		.amdhsa_exception_fp_ieee_div_zero 0
		.amdhsa_exception_fp_ieee_overflow 0
		.amdhsa_exception_fp_ieee_underflow 0
		.amdhsa_exception_fp_ieee_inexact 0
		.amdhsa_exception_int_div_zero 0
	.end_amdhsa_kernel
	.section	.text._ZL20rocblas_gemvn_kernelILi64ELi4Ei16rocblas_bfloat16fS0_EviiT3_lPKT2_lT1_lS4_lS5_lS1_lPT4_lS5_li,"axG",@progbits,_ZL20rocblas_gemvn_kernelILi64ELi4Ei16rocblas_bfloat16fS0_EviiT3_lPKT2_lT1_lS4_lS5_lS1_lPT4_lS5_li,comdat
.Lfunc_end544:
	.size	_ZL20rocblas_gemvn_kernelILi64ELi4Ei16rocblas_bfloat16fS0_EviiT3_lPKT2_lT1_lS4_lS5_lS1_lPT4_lS5_li, .Lfunc_end544-_ZL20rocblas_gemvn_kernelILi64ELi4Ei16rocblas_bfloat16fS0_EviiT3_lPKT2_lT1_lS4_lS5_lS1_lPT4_lS5_li
                                        ; -- End function
	.set _ZL20rocblas_gemvn_kernelILi64ELi4Ei16rocblas_bfloat16fS0_EviiT3_lPKT2_lT1_lS4_lS5_lS1_lPT4_lS5_li.num_vgpr, 42
	.set _ZL20rocblas_gemvn_kernelILi64ELi4Ei16rocblas_bfloat16fS0_EviiT3_lPKT2_lT1_lS4_lS5_lS1_lPT4_lS5_li.num_agpr, 0
	.set _ZL20rocblas_gemvn_kernelILi64ELi4Ei16rocblas_bfloat16fS0_EviiT3_lPKT2_lT1_lS4_lS5_lS1_lPT4_lS5_li.numbered_sgpr, 28
	.set _ZL20rocblas_gemvn_kernelILi64ELi4Ei16rocblas_bfloat16fS0_EviiT3_lPKT2_lT1_lS4_lS5_lS1_lPT4_lS5_li.num_named_barrier, 0
	.set _ZL20rocblas_gemvn_kernelILi64ELi4Ei16rocblas_bfloat16fS0_EviiT3_lPKT2_lT1_lS4_lS5_lS1_lPT4_lS5_li.private_seg_size, 0
	.set _ZL20rocblas_gemvn_kernelILi64ELi4Ei16rocblas_bfloat16fS0_EviiT3_lPKT2_lT1_lS4_lS5_lS1_lPT4_lS5_li.uses_vcc, 1
	.set _ZL20rocblas_gemvn_kernelILi64ELi4Ei16rocblas_bfloat16fS0_EviiT3_lPKT2_lT1_lS4_lS5_lS1_lPT4_lS5_li.uses_flat_scratch, 0
	.set _ZL20rocblas_gemvn_kernelILi64ELi4Ei16rocblas_bfloat16fS0_EviiT3_lPKT2_lT1_lS4_lS5_lS1_lPT4_lS5_li.has_dyn_sized_stack, 0
	.set _ZL20rocblas_gemvn_kernelILi64ELi4Ei16rocblas_bfloat16fS0_EviiT3_lPKT2_lT1_lS4_lS5_lS1_lPT4_lS5_li.has_recursion, 0
	.set _ZL20rocblas_gemvn_kernelILi64ELi4Ei16rocblas_bfloat16fS0_EviiT3_lPKT2_lT1_lS4_lS5_lS1_lPT4_lS5_li.has_indirect_call, 0
	.section	.AMDGPU.csdata,"",@progbits
; Kernel info:
; codeLenInByte = 3136
; TotalNumSgprs: 30
; NumVgprs: 42
; ScratchSize: 0
; MemoryBound: 0
; FloatMode: 240
; IeeeMode: 1
; LDSByteSize: 4096 bytes/workgroup (compile time only)
; SGPRBlocks: 0
; VGPRBlocks: 5
; NumSGPRsForWavesPerEU: 30
; NumVGPRsForWavesPerEU: 42
; Occupancy: 16
; WaveLimiterHint : 1
; COMPUTE_PGM_RSRC2:SCRATCH_EN: 0
; COMPUTE_PGM_RSRC2:USER_SGPR: 6
; COMPUTE_PGM_RSRC2:TRAP_HANDLER: 0
; COMPUTE_PGM_RSRC2:TGID_X_EN: 1
; COMPUTE_PGM_RSRC2:TGID_Y_EN: 0
; COMPUTE_PGM_RSRC2:TGID_Z_EN: 1
; COMPUTE_PGM_RSRC2:TIDIG_COMP_CNT: 1
	.section	.text._ZL20rocblas_gemvn_kernelILi64ELi4El16rocblas_bfloat16fS0_EviiT3_lPKT2_lT1_lS4_lS5_lS1_lPT4_lS5_li,"axG",@progbits,_ZL20rocblas_gemvn_kernelILi64ELi4El16rocblas_bfloat16fS0_EviiT3_lPKT2_lT1_lS4_lS5_lS1_lPT4_lS5_li,comdat
	.globl	_ZL20rocblas_gemvn_kernelILi64ELi4El16rocblas_bfloat16fS0_EviiT3_lPKT2_lT1_lS4_lS5_lS1_lPT4_lS5_li ; -- Begin function _ZL20rocblas_gemvn_kernelILi64ELi4El16rocblas_bfloat16fS0_EviiT3_lPKT2_lT1_lS4_lS5_lS1_lPT4_lS5_li
	.p2align	8
	.type	_ZL20rocblas_gemvn_kernelILi64ELi4El16rocblas_bfloat16fS0_EviiT3_lPKT2_lT1_lS4_lS5_lS1_lPT4_lS5_li,@function
_ZL20rocblas_gemvn_kernelILi64ELi4El16rocblas_bfloat16fS0_EviiT3_lPKT2_lT1_lS4_lS5_lS1_lPT4_lS5_li: ; @_ZL20rocblas_gemvn_kernelILi64ELi4El16rocblas_bfloat16fS0_EviiT3_lPKT2_lT1_lS4_lS5_lS1_lPT4_lS5_li
; %bb.0:
	s_load_dwordx2 s[0:1], s[4:5], 0x9c
	s_waitcnt lgkmcnt(0)
	s_lshr_b32 s2, s0, 16
	s_and_b32 s0, s0, 0xffff
	s_and_b32 s1, s1, 0xffff
	s_mul_i32 s0, s2, s0
	s_mul_i32 s0, s0, s1
	s_cmpk_lg_i32 s0, 0x100
	s_cbranch_scc1 .LBB545_69
; %bb.1:
	s_clause 0x1
	s_load_dwordx4 s[28:31], s[4:5], 0x0
	s_load_dword s37, s[4:5], 0x58
	s_mov_b32 s36, 0
	s_waitcnt lgkmcnt(0)
	v_cmp_eq_f32_e64 s0, s30, 0
	v_cmp_eq_f32_e64 s1, s37, 1.0
	s_and_b32 s0, s0, s1
	s_and_b32 vcc_lo, exec_lo, s0
	s_cbranch_vccnz .LBB545_69
; %bb.2:
	s_load_dwordx8 s[20:27], s[4:5], 0x68
	v_lshlrev_b32_e32 v13, 6, v1
	v_add_nc_u32_e32 v14, v13, v0
	s_waitcnt lgkmcnt(0)
	s_mul_i32 s1, s27, s7
	s_mul_hi_u32 s2, s26, s7
	s_mul_i32 s0, s26, s7
	s_add_i32 s1, s2, s1
	v_cmp_neq_f32_e64 s2, s30, 0
	s_lshl_b64 s[0:1], s[0:1], 1
	s_add_u32 s3, s20, s0
	s_addc_u32 s8, s21, s1
	s_lshl_b64 s[0:1], s[22:23], 1
	s_add_u32 s31, s3, s0
	v_cmp_gt_u32_e64 s0, 0x100, v14
	s_addc_u32 s33, s8, s1
	s_and_b32 vcc_lo, exec_lo, s2
	s_cbranch_vccnz .LBB545_13
; %bb.3:
	s_mov_b32 s1, 0
                                        ; implicit-def: $vgpr5
                                        ; implicit-def: $vgpr2_vgpr3
	s_and_saveexec_b32 s2, s0
	s_cbranch_execz .LBB545_14
; %bb.4:
	v_lshl_or_b32 v4, s6, 8, v14
	v_mov_b32_e32 v5, 0
	s_ashr_i32 s9, s28, 31
	s_mov_b32 s8, s28
	s_mov_b32 s3, 0
	s_mov_b32 s0, exec_lo
                                        ; implicit-def: $vgpr2_vgpr3
	v_cmpx_gt_i64_e64 s[8:9], v[4:5]
	s_cbranch_execz .LBB545_12
; %bb.5:
	v_mad_u64_u32 v[2:3], null, s24, v4, 0
	v_cmp_eq_f32_e64 s3, s37, 0
	s_and_b32 vcc_lo, exec_lo, s3
	v_mad_u64_u32 v[3:4], null, s25, v4, v[3:4]
	s_cbranch_vccnz .LBB545_11
; %bb.6:
	v_lshlrev_b64 v[4:5], 1, v[2:3]
	v_add_co_u32 v4, vcc_lo, s31, v4
	v_add_co_ci_u32_e64 v5, null, s33, v5, vcc_lo
	global_load_ushort v4, v[4:5], off
	s_waitcnt vmcnt(0)
	v_lshlrev_b32_e32 v4, 16, v4
	v_mul_f32_e32 v4, s37, v4
	v_and_b32_e32 v5, 0x7f800000, v4
	v_cmp_ne_u32_e32 vcc_lo, 0x7f800000, v5
                                        ; implicit-def: $vgpr5
	s_and_saveexec_b32 s3, vcc_lo
	s_xor_b32 s3, exec_lo, s3
; %bb.7:
	v_bfe_u32 v5, v4, 16, 1
	v_add3_u32 v5, v4, v5, 0x7fff
                                        ; implicit-def: $vgpr4
; %bb.8:
	s_andn2_saveexec_b32 s3, s3
; %bb.9:
	v_mov_b32_e32 v5, 0
	v_or_b32_e32 v6, 0x10000, v4
	v_cmp_eq_u32_sdwa vcc_lo, v4, v5 src0_sel:WORD_0 src1_sel:DWORD
	v_cndmask_b32_e32 v5, v6, v4, vcc_lo
; %bb.10:
	s_or_b32 exec_lo, exec_lo, s3
	v_lshrrev_b32_e32 v5, 16, v5
.LBB545_11:
	s_mov_b32 s3, exec_lo
.LBB545_12:
	s_or_b32 exec_lo, exec_lo, s0
	s_and_b32 s36, s3, exec_lo
	s_or_b32 exec_lo, exec_lo, s2
	s_and_b32 vcc_lo, exec_lo, s1
	s_cbranch_vccnz .LBB545_15
	s_branch .LBB545_67
.LBB545_13:
                                        ; implicit-def: $vgpr5
                                        ; implicit-def: $vgpr2_vgpr3
	s_cbranch_execnz .LBB545_15
	s_branch .LBB545_67
.LBB545_14:
	s_or_b32 exec_lo, exec_lo, s2
	s_and_b32 vcc_lo, exec_lo, s1
	s_cbranch_vccz .LBB545_67
.LBB545_15:
	s_load_dwordx16 s[8:23], s[4:5], 0x18
	s_ashr_i32 s0, s29, 31
	s_lshl_b32 s5, s6, 8
	s_lshr_b32 s0, s0, 28
	v_lshlrev_b32_e32 v19, 2, v1
	s_add_i32 s0, s29, s0
	v_mov_b32_e32 v15, 0
	v_mov_b32_e32 v16, 0
	v_mov_b32_e32 v17, 0
	v_mov_b32_e32 v18, 0
	v_or_b32_e32 v2, s5, v0
	s_and_b32 s38, s0, -16
	s_mov_b32 s39, exec_lo
	s_waitcnt lgkmcnt(0)
	s_mul_i32 s0, s15, s7
	s_mul_hi_u32 s1, s14, s7
	s_mul_i32 s2, s23, s7
	s_mul_hi_u32 s3, s22, s7
	s_mul_i32 s14, s14, s7
	s_add_i32 s15, s1, s0
	s_add_i32 s23, s3, s2
	s_mul_i32 s22, s22, s7
	v_cmpx_gt_i32_e64 s38, v19
	s_cbranch_execz .LBB545_27
; %bb.16:
	v_lshlrev_b32_e32 v30, 2, v1
	v_mad_u64_u32 v[4:5], null, s20, v1, 0
	v_add_nc_u32_e32 v11, 64, v2
	v_add_nc_u32_e32 v12, 0x80, v2
	v_or_b32_e32 v15, 3, v30
	s_lshl_b64 s[0:1], s[22:23], 1
	s_lshl_b64 s[6:7], s[18:19], 1
	s_add_u32 s4, s16, s0
	s_addc_u32 s42, s17, s1
	v_mad_u64_u32 v[6:7], null, s12, v15, 0
	v_cmp_gt_i32_e64 s0, s28, v11
	v_cmp_gt_i32_e64 s1, s28, v12
	v_add_nc_u32_e32 v16, 0xc0, v2
	v_or_b32_e32 v24, 2, v30
	s_lshl_b64 s[34:35], s[10:11], 1
	s_lshl_b64 s[26:27], s[20:21], 5
	v_mad_u64_u32 v[8:9], null, s21, v1, v[5:6]
	v_mad_u64_u32 v[9:10], null, s20, v15, 0
	v_cmp_gt_i32_e64 s2, s28, v16
	s_lshl_b64 s[40:41], s[14:15], 1
	v_mad_u64_u32 v[28:29], null, s20, v24, 0
	v_mov_b32_e32 v5, v8
	v_mad_u64_u32 v[7:8], null, s13, v15, v[7:8]
	v_mad_u64_u32 v[32:33], null, s12, v30, s[12:13]
	v_lshlrev_b64 v[11:12], 3, v[4:5]
	v_mov_b32_e32 v5, v10
	v_mov_b32_e32 v8, v29
	v_ashrrev_i32_e32 v3, 31, v2
	v_lshlrev_b64 v[6:7], 1, v[6:7]
	v_cmp_gt_i32_e32 vcc_lo, s28, v2
	v_add_co_u32 v20, s3, s4, v11
	v_add_co_ci_u32_e64 v21, null, s42, v12, s3
	v_mad_u64_u32 v[15:16], null, s21, v15, v[5:6]
	v_mad_u64_u32 v[11:12], null, s12, v1, 0
	s_add_u32 s3, s8, s34
	s_addc_u32 s34, s9, s35
	s_add_u32 s35, s3, s40
	s_addc_u32 s34, s34, s41
	v_mov_b32_e32 v10, v15
	v_mad_u64_u32 v[15:16], null, s12, v24, 0
	v_mov_b32_e32 v5, v12
	v_add_co_u32 v22, s3, s35, v6
	v_add_co_ci_u32_e64 v23, null, s34, v7, s3
	v_mad_u64_u32 v[17:18], null, s13, v1, v[5:6]
	v_lshlrev_b64 v[6:7], 1, v[9:10]
	v_mov_b32_e32 v5, v16
	v_lshlrev_b64 v[3:4], 1, v[2:3]
	s_mov_b32 s40, 0
	v_mad_u64_u32 v[9:10], null, s13, v24, v[5:6]
	v_mov_b32_e32 v12, v17
	v_mad_u64_u32 v[17:18], null, s20, v30, s[20:21]
	v_mad_u64_u32 v[26:27], null, s21, v24, v[8:9]
	v_add_co_u32 v24, s3, s4, v6
	v_add_co_ci_u32_e64 v25, null, s42, v7, s3
	v_lshlrev_b64 v[6:7], 3, v[11:12]
	v_mov_b32_e32 v5, v18
	v_mov_b32_e32 v16, v9
	;; [unrolled: 1-line block ×3, first 2 shown]
	v_add_co_u32 v26, s3, s35, v6
	v_mad_u64_u32 v[8:9], null, s21, v30, v[5:6]
	v_add_co_ci_u32_e64 v27, null, s34, v7, s3
	v_lshlrev_b64 v[6:7], 1, v[15:16]
	v_mov_b32_e32 v5, v33
	v_mov_b32_e32 v15, 0
	;; [unrolled: 1-line block ×4, first 2 shown]
	v_mad_u64_u32 v[9:10], null, s13, v30, v[5:6]
	v_lshlrev_b64 v[10:11], 1, v[28:29]
	v_add_co_u32 v28, s3, s35, v6
	v_lshlrev_b64 v[5:6], 1, v[17:18]
	v_add_co_ci_u32_e64 v29, null, s34, v7, s3
	v_mov_b32_e32 v33, v9
	v_add_co_u32 v30, s3, s4, v10
	v_add_co_ci_u32_e64 v31, null, s42, v11, s3
	v_lshlrev_b64 v[7:8], 1, v[32:33]
	v_add_co_u32 v32, s3, s4, v5
	v_add_co_ci_u32_e64 v33, null, s42, v6, s3
	v_mov_b32_e32 v17, 0
	v_add_co_u32 v34, s3, s35, v7
	v_add_co_ci_u32_e64 v35, null, s34, v8, s3
	v_mov_b32_e32 v18, 0
	s_lshl_b64 s[34:35], s[12:13], 5
	s_branch .LBB545_21
.LBB545_17:                             ;   in Loop: Header=BB545_21 Depth=1
	s_or_b32 exec_lo, exec_lo, s42
	s_waitcnt vmcnt(3)
	v_lshlrev_b32_e32 v5, 16, v51
	s_waitcnt vmcnt(2)
	v_lshlrev_b32_e32 v6, 16, v50
	v_fmac_f32_e32 v17, v43, v5
	s_waitcnt vmcnt(1)
	v_lshlrev_b32_e32 v5, 16, v49
	v_fmac_f32_e32 v17, v39, v6
	v_fmac_f32_e32 v17, v41, v5
	s_waitcnt vmcnt(0)
	v_lshlrev_b32_e32 v5, 16, v48
	v_fmac_f32_e32 v17, v37, v5
.LBB545_18:                             ;   in Loop: Header=BB545_21 Depth=1
	s_or_b32 exec_lo, exec_lo, s41
	s_waitcnt vmcnt(3)
	v_lshlrev_b32_e32 v5, 16, v47
	s_waitcnt vmcnt(2)
	v_lshlrev_b32_e32 v6, 16, v46
	v_fmac_f32_e32 v16, v43, v5
	s_waitcnt vmcnt(1)
	v_lshlrev_b32_e32 v5, 16, v45
	v_fmac_f32_e32 v16, v39, v6
	v_fmac_f32_e32 v16, v41, v5
	s_waitcnt vmcnt(0)
	v_lshlrev_b32_e32 v5, 16, v44
	v_fmac_f32_e32 v16, v37, v5
.LBB545_19:                             ;   in Loop: Header=BB545_21 Depth=1
	s_or_b32 exec_lo, exec_lo, s3
	s_waitcnt vmcnt(3)
	v_lshlrev_b32_e32 v5, 16, v42
	s_waitcnt vmcnt(2)
	v_lshlrev_b32_e32 v6, 16, v40
	v_fmac_f32_e32 v15, v43, v5
	s_waitcnt vmcnt(1)
	v_lshlrev_b32_e32 v5, 16, v38
	v_fmac_f32_e32 v15, v39, v6
	v_fmac_f32_e32 v15, v41, v5
	s_waitcnt vmcnt(0)
	v_lshlrev_b32_e32 v5, 16, v36
	v_fmac_f32_e32 v15, v37, v5
.LBB545_20:                             ;   in Loop: Header=BB545_21 Depth=1
	s_or_b32 exec_lo, exec_lo, s4
	v_add_co_u32 v20, s3, v20, s26
	v_add_co_ci_u32_e64 v21, null, s27, v21, s3
	v_add_co_u32 v22, s3, v22, s34
	v_add_co_ci_u32_e64 v23, null, s35, v23, s3
	;; [unrolled: 2-line block ×4, first 2 shown]
	v_add_co_u32 v28, s3, v28, s34
	v_add_nc_u32_e32 v19, 16, v19
	v_add_co_ci_u32_e64 v29, null, s35, v29, s3
	v_add_co_u32 v30, s3, v30, s26
	v_add_co_ci_u32_e64 v31, null, s27, v31, s3
	v_add_co_u32 v32, s3, v32, s26
	v_add_co_ci_u32_e64 v33, null, s27, v33, s3
	v_cmp_le_i32_e64 s3, s38, v19
	v_add_co_u32 v34, s4, v34, s34
	v_add_co_ci_u32_e64 v35, null, s35, v35, s4
	s_or_b32 s40, s3, s40
	s_andn2_b32 exec_lo, exec_lo, s40
	s_cbranch_execz .LBB545_26
.LBB545_21:                             ; =>This Inner Loop Header: Depth=1
	s_and_saveexec_b32 s4, vcc_lo
	s_cbranch_execz .LBB545_20
; %bb.22:                               ;   in Loop: Header=BB545_21 Depth=1
	v_add_co_u32 v5, s3, v20, s6
	v_add_co_ci_u32_e64 v6, null, s7, v21, s3
	v_add_co_u32 v7, s3, v32, s6
	v_add_co_ci_u32_e64 v8, null, s7, v33, s3
	;; [unrolled: 2-line block ×4, first 2 shown]
	global_load_ushort v37, v[5:6], off
	global_load_ushort v39, v[7:8], off
	;; [unrolled: 1-line block ×4, first 2 shown]
	v_add_co_u32 v5, s3, v26, v3
	v_add_co_ci_u32_e64 v6, null, v27, v4, s3
	v_add_co_u32 v9, s3, v34, v3
	v_add_co_ci_u32_e64 v10, null, v35, v4, s3
	;; [unrolled: 2-line block ×4, first 2 shown]
	global_load_ushort v42, v[5:6], off
	global_load_ushort v40, v[9:10], off
	;; [unrolled: 1-line block ×4, first 2 shown]
	s_waitcnt vmcnt(7)
	v_lshlrev_b32_e32 v43, 16, v37
	s_waitcnt vmcnt(6)
	v_lshlrev_b32_e32 v39, 16, v39
	;; [unrolled: 2-line block ×4, first 2 shown]
	s_and_saveexec_b32 s3, s0
	s_cbranch_execz .LBB545_19
; %bb.23:                               ;   in Loop: Header=BB545_21 Depth=1
	global_load_ushort v47, v[5:6], off offset:128
	global_load_ushort v46, v[9:10], off offset:128
	global_load_ushort v45, v[7:8], off offset:128
	global_load_ushort v44, v[11:12], off offset:128
	s_and_saveexec_b32 s41, s1
	s_cbranch_execz .LBB545_18
; %bb.24:                               ;   in Loop: Header=BB545_21 Depth=1
	global_load_ushort v51, v[5:6], off offset:256
	global_load_ushort v50, v[9:10], off offset:256
	global_load_ushort v49, v[7:8], off offset:256
	global_load_ushort v48, v[11:12], off offset:256
	;; [unrolled: 7-line block ×3, first 2 shown]
	s_waitcnt vmcnt(3)
	v_lshlrev_b32_e32 v5, 16, v5
	s_waitcnt vmcnt(2)
	v_lshlrev_b32_e32 v6, 16, v6
	v_fmac_f32_e32 v18, v43, v5
	s_waitcnt vmcnt(1)
	v_lshlrev_b32_e32 v5, 16, v7
	v_fmac_f32_e32 v18, v39, v6
	;; [unrolled: 3-line block ×3, first 2 shown]
	v_fmac_f32_e32 v18, v37, v6
	s_branch .LBB545_17
.LBB545_26:
	s_or_b32 exec_lo, exec_lo, s40
.LBB545_27:
	s_or_b32 exec_lo, exec_lo, s39
	s_sub_i32 s0, s29, s38
	s_cmp_lt_i32 s0, 1
	s_cbranch_scc1 .LBB545_45
; %bb.28:
	v_cmp_gt_i32_e32 vcc_lo, s29, v19
	v_mov_b32_e32 v12, 0
	v_or_b32_e32 v4, 1, v19
	v_mov_b32_e32 v11, 0
	v_mov_b32_e32 v21, 0
	;; [unrolled: 1-line block ×3, first 2 shown]
	s_and_saveexec_b32 s1, vcc_lo
	s_cbranch_execz .LBB545_36
; %bb.29:
	v_mad_u64_u32 v[5:6], null, s20, v19, 0
	s_lshl_b64 s[2:3], s[22:23], 1
	v_mov_b32_e32 v20, 0
	s_add_u32 s0, s16, s2
	s_addc_u32 s2, s17, s3
	s_lshl_b64 s[6:7], s[18:19], 1
	v_mov_b32_e32 v11, 0
	v_mov_b32_e32 v3, v6
	s_add_u32 s3, s0, s6
	s_addc_u32 s4, s2, s7
	v_mov_b32_e32 v12, 0
	s_mov_b32 s2, exec_lo
	v_mad_u64_u32 v[6:7], null, s21, v19, v[3:4]
	v_lshlrev_b64 v[5:6], 1, v[5:6]
	v_add_co_u32 v5, s0, s3, v5
	v_add_co_ci_u32_e64 v6, null, s4, v6, s0
	global_load_ushort v3, v[5:6], off
	v_cmpx_gt_i32_e64 s29, v4
	s_cbranch_execz .LBB545_35
; %bb.30:
	v_mad_u64_u32 v[5:6], null, s20, v4, 0
	v_mov_b32_e32 v11, 0
	v_mov_b32_e32 v12, 0
	s_mov_b32 s6, exec_lo
	v_mad_u64_u32 v[6:7], null, s21, v4, v[6:7]
	v_lshlrev_b64 v[5:6], 1, v[5:6]
	v_add_co_u32 v5, s0, s3, v5
	v_add_co_ci_u32_e64 v6, null, s4, v6, s0
	global_load_ushort v5, v[5:6], off
	v_or_b32_e32 v6, 2, v19
	v_cmpx_gt_i32_e64 s29, v6
	s_cbranch_execz .LBB545_34
; %bb.31:
	v_mad_u64_u32 v[7:8], null, s20, v6, 0
	v_mov_b32_e32 v11, 0
	s_mov_b32 s7, exec_lo
	v_mad_u64_u32 v[8:9], null, s21, v6, v[8:9]
	v_lshlrev_b64 v[6:7], 1, v[7:8]
	v_add_co_u32 v6, s0, s3, v6
	v_add_co_ci_u32_e64 v7, null, s4, v7, s0
	global_load_ushort v6, v[6:7], off
	v_or_b32_e32 v7, 3, v19
	v_cmpx_gt_i32_e64 s29, v7
	s_cbranch_execz .LBB545_33
; %bb.32:
	v_mad_u64_u32 v[8:9], null, s20, v7, 0
	v_mad_u64_u32 v[9:10], null, s21, v7, v[9:10]
	v_lshlrev_b64 v[7:8], 1, v[8:9]
	v_add_co_u32 v7, s0, s3, v7
	v_add_co_ci_u32_e64 v8, null, s4, v8, s0
	global_load_ushort v7, v[7:8], off
	s_waitcnt vmcnt(0)
	v_lshlrev_b32_e32 v11, 16, v7
.LBB545_33:
	s_or_b32 exec_lo, exec_lo, s7
	s_waitcnt vmcnt(0)
	v_lshlrev_b32_e32 v12, 16, v6
.LBB545_34:
	s_or_b32 exec_lo, exec_lo, s6
	s_waitcnt vmcnt(0)
	v_lshlrev_b32_e32 v20, 16, v5
.LBB545_35:
	s_or_b32 exec_lo, exec_lo, s2
	s_waitcnt vmcnt(0)
	v_lshlrev_b32_e32 v21, 16, v3
.LBB545_36:
	s_or_b32 exec_lo, exec_lo, s1
	s_mov_b32 s1, exec_lo
	v_cmpx_gt_i32_e64 s28, v2
	s_cbranch_execz .LBB545_44
; %bb.37:
	v_mad_u64_u32 v[5:6], null, s12, v19, 0
	v_mad_u64_u32 v[7:8], null, s12, v4, 0
	v_ashrrev_i32_e32 v3, 31, v2
	v_or_b32_e32 v29, 2, v19
	s_lshl_b64 s[2:3], s[14:15], 1
	s_add_u32 s0, s8, s2
	v_cndmask_b32_e32 v5, 0, v5, vcc_lo
	v_mad_u64_u32 v[9:10], null, s13, v19, v[6:7]
	v_or_b32_e32 v19, 3, v19
	v_lshlrev_b64 v[22:23], 1, v[2:3]
	v_mad_u64_u32 v[24:25], null, s12, v29, 0
	v_mov_b32_e32 v3, v8
	s_addc_u32 s4, s9, s3
	v_cndmask_b32_e32 v6, 0, v9, vcc_lo
	v_cmp_gt_i32_e32 vcc_lo, s29, v4
	s_lshl_b64 s[2:3], s[10:11], 1
	v_mad_u64_u32 v[8:9], null, s12, v19, 0
	v_lshlrev_b64 v[5:6], 1, v[5:6]
	v_mad_u64_u32 v[26:27], null, s13, v4, v[3:4]
	s_add_u32 s2, s0, s2
	v_cndmask_b32_e32 v27, 0, v7, vcc_lo
	v_mov_b32_e32 v7, v25
	s_addc_u32 s3, s4, s3
	v_add_co_u32 v3, s0, s2, v5
	v_add_co_ci_u32_e64 v4, null, s3, v6, s0
	v_cndmask_b32_e32 v28, 0, v26, vcc_lo
	v_mad_u64_u32 v[25:26], null, s13, v29, v[7:8]
	v_mov_b32_e32 v7, v9
	v_add_co_u32 v3, vcc_lo, v3, v22
	v_add_co_ci_u32_e64 v4, null, v4, v23, vcc_lo
	v_cmp_gt_i32_e32 vcc_lo, s29, v29
	v_lshlrev_b64 v[5:6], 1, v[27:28]
	v_mad_u64_u32 v[26:27], null, s13, v19, v[7:8]
	v_cndmask_b32_e32 v9, 0, v24, vcc_lo
	v_cndmask_b32_e32 v10, 0, v25, vcc_lo
	v_cmp_gt_i32_e32 vcc_lo, s29, v19
	v_add_co_u32 v5, s0, s2, v5
	v_add_co_ci_u32_e64 v6, null, s3, v6, s0
	v_cndmask_b32_e32 v7, 0, v8, vcc_lo
	v_cndmask_b32_e32 v8, 0, v26, vcc_lo
	v_lshlrev_b64 v[9:10], 1, v[9:10]
	v_add_co_u32 v5, s0, v5, v22
	v_add_co_ci_u32_e64 v6, null, v6, v23, s0
	v_lshlrev_b64 v[7:8], 1, v[7:8]
	v_add_co_u32 v9, vcc_lo, s2, v9
	v_add_co_ci_u32_e64 v10, null, s3, v10, vcc_lo
	s_clause 0x1
	global_load_ushort v19, v[3:4], off
	global_load_ushort v24, v[5:6], off
	v_add_co_u32 v25, vcc_lo, s2, v7
	v_add_co_ci_u32_e64 v26, null, s3, v8, vcc_lo
	v_add_co_u32 v7, vcc_lo, v9, v22
	v_add_co_ci_u32_e64 v8, null, v10, v23, vcc_lo
	;; [unrolled: 2-line block ×3, first 2 shown]
	s_clause 0x1
	global_load_ushort v22, v[7:8], off
	global_load_ushort v23, v[9:10], off
	s_mov_b32 s0, exec_lo
	s_waitcnt vmcnt(3)
	v_lshlrev_b32_e32 v19, 16, v19
	s_waitcnt vmcnt(2)
	v_lshlrev_b32_e32 v24, 16, v24
	v_fmac_f32_e32 v15, v21, v19
	v_fmac_f32_e32 v15, v20, v24
	v_add_nc_u32_e32 v24, 64, v2
	s_waitcnt vmcnt(1)
	v_lshlrev_b32_e32 v22, 16, v22
	s_waitcnt vmcnt(0)
	v_lshlrev_b32_e32 v19, 16, v23
	v_fmac_f32_e32 v15, v12, v22
	v_cmpx_gt_i32_e64 s28, v24
	s_cbranch_execz .LBB545_43
; %bb.38:
	s_clause 0x3
	global_load_ushort v22, v[3:4], off offset:128
	global_load_ushort v23, v[5:6], off offset:128
	;; [unrolled: 1-line block ×4, first 2 shown]
	s_mov_b32 s2, exec_lo
	s_waitcnt vmcnt(3)
	v_lshlrev_b32_e32 v22, 16, v22
	s_waitcnt vmcnt(2)
	v_lshlrev_b32_e32 v23, 16, v23
	;; [unrolled: 2-line block ×3, first 2 shown]
	v_fmac_f32_e32 v16, v21, v22
	s_waitcnt vmcnt(0)
	v_lshlrev_b32_e32 v22, 16, v25
	v_fmac_f32_e32 v16, v20, v23
	v_add_nc_u32_e32 v23, 0x80, v2
	v_fmac_f32_e32 v16, v12, v24
	v_cmpx_gt_i32_e64 s28, v23
	s_cbranch_execz .LBB545_42
; %bb.39:
	s_clause 0x3
	global_load_ushort v23, v[3:4], off offset:256
	global_load_ushort v24, v[5:6], off offset:256
	;; [unrolled: 1-line block ×4, first 2 shown]
	s_mov_b32 s3, exec_lo
	s_waitcnt vmcnt(3)
	v_lshlrev_b32_e32 v23, 16, v23
	s_waitcnt vmcnt(2)
	v_lshlrev_b32_e32 v24, 16, v24
	v_fmac_f32_e32 v17, v21, v23
	s_waitcnt vmcnt(1)
	v_lshlrev_b32_e32 v23, 16, v25
	v_fmac_f32_e32 v17, v20, v24
	v_add_nc_u32_e32 v24, 0xc0, v2
	s_waitcnt vmcnt(0)
	v_lshlrev_b32_e32 v2, 16, v26
	v_fmac_f32_e32 v17, v12, v23
	v_cmpx_gt_i32_e64 s28, v24
	s_cbranch_execz .LBB545_41
; %bb.40:
	s_clause 0x3
	global_load_ushort v3, v[3:4], off offset:384
	global_load_ushort v4, v[5:6], off offset:384
	;; [unrolled: 1-line block ×4, first 2 shown]
	s_waitcnt vmcnt(3)
	v_lshlrev_b32_e32 v3, 16, v3
	s_waitcnt vmcnt(2)
	v_lshlrev_b32_e32 v4, 16, v4
	v_fmac_f32_e32 v18, v21, v3
	s_waitcnt vmcnt(1)
	v_lshlrev_b32_e32 v3, 16, v5
	v_fmac_f32_e32 v18, v20, v4
	;; [unrolled: 3-line block ×3, first 2 shown]
	v_fmac_f32_e32 v18, v11, v4
.LBB545_41:
	s_or_b32 exec_lo, exec_lo, s3
	v_fmac_f32_e32 v17, v11, v2
.LBB545_42:
	s_or_b32 exec_lo, exec_lo, s2
	v_fmac_f32_e32 v16, v11, v22
.LBB545_43:
	s_or_b32 exec_lo, exec_lo, s0
	v_fmac_f32_e32 v15, v11, v19
.LBB545_44:
	s_or_b32 exec_lo, exec_lo, s1
.LBB545_45:
	v_lshlrev_b32_e32 v0, 2, v0
	s_mov_b32 s0, exec_lo
                                        ; implicit-def: $vgpr5
                                        ; implicit-def: $vgpr2_vgpr3
	v_lshl_or_b32 v1, v1, 10, v0
	ds_write2st64_b32 v1, v15, v16 offset1:1
	ds_write2st64_b32 v1, v17, v18 offset0:2 offset1:3
	s_waitcnt lgkmcnt(0)
	s_barrier
	buffer_gl0_inv
	v_cmpx_gt_u32_e32 0x100, v14
	s_cbranch_execz .LBB545_66
; %bb.46:
	v_lshl_add_u32 v4, v13, 2, v0
	s_mov_b32 s2, s36
	s_mov_b32 s1, exec_lo
                                        ; implicit-def: $vgpr5
	ds_read2st64_b32 v[0:1], v4 offset1:4
	ds_read2st64_b32 v[2:3], v4 offset0:8 offset1:12
	s_waitcnt lgkmcnt(1)
	v_add_f32_e32 v0, v0, v1
	s_waitcnt lgkmcnt(0)
	v_add_f32_e32 v1, v2, v0
	v_or_b32_e32 v0, s5, v14
	v_add_f32_e32 v1, v3, v1
                                        ; implicit-def: $vgpr2_vgpr3
	ds_write_b32 v4, v1
	v_cmpx_gt_i32_e64 s28, v0
	s_cbranch_execz .LBB545_65
; %bb.47:
	v_cmp_eq_f32_e64 s2, s37, 0
	v_mul_f32_e32 v1, s30, v1
	s_and_b32 vcc_lo, exec_lo, s2
	s_cbranch_vccz .LBB545_53
; %bb.48:
	v_and_b32_e32 v2, 0x7f800000, v1
	s_mov_b32 s2, exec_lo
                                        ; implicit-def: $vgpr5
	v_cmpx_ne_u32_e32 0x7f800000, v2
	s_xor_b32 s2, exec_lo, s2
; %bb.49:
	v_bfe_u32 v2, v1, 16, 1
	v_add3_u32 v5, v1, v2, 0x7fff
; %bb.50:
	s_andn2_saveexec_b32 s2, s2
; %bb.51:
	v_mov_b32_e32 v2, 0
	v_or_b32_e32 v3, 0x10000, v1
	v_cmp_eq_u32_sdwa vcc_lo, v1, v2 src0_sel:WORD_0 src1_sel:DWORD
	v_cndmask_b32_e32 v5, v3, v1, vcc_lo
; %bb.52:
	s_or_b32 exec_lo, exec_lo, s2
	s_mov_b32 s2, 0
	s_branch .LBB545_54
.LBB545_53:
	s_mov_b32 s2, -1
                                        ; implicit-def: $vgpr5
.LBB545_54:
	v_ashrrev_i32_e32 v2, 31, v0
	v_mul_lo_u32 v4, s25, v0
	s_andn2_b32 vcc_lo, exec_lo, s2
	v_mul_lo_u32 v6, s24, v2
	s_cbranch_vccnz .LBB545_64
; %bb.55:
	v_mad_u64_u32 v[2:3], null, s24, v0, 0
	v_add3_u32 v3, v3, v6, v4
	v_lshlrev_b64 v[2:3], 1, v[2:3]
	v_add_co_u32 v2, vcc_lo, s31, v2
	v_add_co_ci_u32_e64 v3, null, s33, v3, vcc_lo
	global_load_ushort v2, v[2:3], off
	s_waitcnt vmcnt(0)
	v_lshlrev_b32_e32 v2, 16, v2
	v_mul_f32_e32 v2, s37, v2
	v_and_b32_e32 v3, 0x7f800000, v2
	v_cmp_ne_u32_e32 vcc_lo, 0x7f800000, v3
                                        ; implicit-def: $vgpr3
	s_and_saveexec_b32 s2, vcc_lo
	s_xor_b32 s2, exec_lo, s2
; %bb.56:
	v_bfe_u32 v3, v2, 16, 1
	v_add3_u32 v3, v2, v3, 0x7fff
                                        ; implicit-def: $vgpr2
; %bb.57:
	s_andn2_saveexec_b32 s2, s2
; %bb.58:
	v_mov_b32_e32 v3, 0
	v_or_b32_e32 v5, 0x10000, v2
	v_cmp_eq_u32_sdwa vcc_lo, v2, v3 src0_sel:WORD_0 src1_sel:DWORD
	v_cndmask_b32_e32 v3, v5, v2, vcc_lo
; %bb.59:
	s_or_b32 exec_lo, exec_lo, s2
	v_and_b32_e32 v2, 0xffff0000, v3
	s_mov_b32 s2, exec_lo
                                        ; implicit-def: $vgpr5
	v_add_f32_e32 v1, v1, v2
	v_and_b32_e32 v2, 0x7f800000, v1
	v_cmpx_ne_u32_e32 0x7f800000, v2
	s_xor_b32 s2, exec_lo, s2
; %bb.60:
	v_bfe_u32 v2, v1, 16, 1
	v_add3_u32 v5, v1, v2, 0x7fff
                                        ; implicit-def: $vgpr1
; %bb.61:
	s_andn2_saveexec_b32 s2, s2
; %bb.62:
	v_mov_b32_e32 v2, 0
	v_or_b32_e32 v3, 0x10000, v1
	v_cmp_eq_u32_sdwa vcc_lo, v1, v2 src0_sel:WORD_0 src1_sel:DWORD
	v_cndmask_b32_e32 v5, v3, v1, vcc_lo
; %bb.63:
	s_or_b32 exec_lo, exec_lo, s2
.LBB545_64:
	v_mad_u64_u32 v[2:3], null, s24, v0, 0
	v_lshrrev_b32_e32 v5, 16, v5
	s_or_b32 s2, s36, exec_lo
	v_add3_u32 v3, v3, v6, v4
.LBB545_65:
	s_or_b32 exec_lo, exec_lo, s1
	s_andn2_b32 s1, s36, exec_lo
	s_and_b32 s2, s2, exec_lo
	s_or_b32 s36, s1, s2
.LBB545_66:
	s_or_b32 exec_lo, exec_lo, s0
.LBB545_67:
	s_and_saveexec_b32 s0, s36
	s_cbranch_execz .LBB545_69
; %bb.68:
	v_lshlrev_b64 v[0:1], 1, v[2:3]
	v_add_co_u32 v0, vcc_lo, s31, v0
	v_add_co_ci_u32_e64 v1, null, s33, v1, vcc_lo
	global_store_short v[0:1], v5, off
.LBB545_69:
	s_endpgm
	.section	.rodata,"a",@progbits
	.p2align	6, 0x0
	.amdhsa_kernel _ZL20rocblas_gemvn_kernelILi64ELi4El16rocblas_bfloat16fS0_EviiT3_lPKT2_lT1_lS4_lS5_lS1_lPT4_lS5_li
		.amdhsa_group_segment_fixed_size 4096
		.amdhsa_private_segment_fixed_size 0
		.amdhsa_kernarg_size 400
		.amdhsa_user_sgpr_count 6
		.amdhsa_user_sgpr_private_segment_buffer 1
		.amdhsa_user_sgpr_dispatch_ptr 0
		.amdhsa_user_sgpr_queue_ptr 0
		.amdhsa_user_sgpr_kernarg_segment_ptr 1
		.amdhsa_user_sgpr_dispatch_id 0
		.amdhsa_user_sgpr_flat_scratch_init 0
		.amdhsa_user_sgpr_private_segment_size 0
		.amdhsa_wavefront_size32 1
		.amdhsa_uses_dynamic_stack 0
		.amdhsa_system_sgpr_private_segment_wavefront_offset 0
		.amdhsa_system_sgpr_workgroup_id_x 1
		.amdhsa_system_sgpr_workgroup_id_y 0
		.amdhsa_system_sgpr_workgroup_id_z 1
		.amdhsa_system_sgpr_workgroup_info 0
		.amdhsa_system_vgpr_workitem_id 1
		.amdhsa_next_free_vgpr 52
		.amdhsa_next_free_sgpr 43
		.amdhsa_reserve_vcc 1
		.amdhsa_reserve_flat_scratch 0
		.amdhsa_float_round_mode_32 0
		.amdhsa_float_round_mode_16_64 0
		.amdhsa_float_denorm_mode_32 3
		.amdhsa_float_denorm_mode_16_64 3
		.amdhsa_dx10_clamp 1
		.amdhsa_ieee_mode 1
		.amdhsa_fp16_overflow 0
		.amdhsa_workgroup_processor_mode 1
		.amdhsa_memory_ordered 1
		.amdhsa_forward_progress 1
		.amdhsa_shared_vgpr_count 0
		.amdhsa_exception_fp_ieee_invalid_op 0
		.amdhsa_exception_fp_denorm_src 0
		.amdhsa_exception_fp_ieee_div_zero 0
		.amdhsa_exception_fp_ieee_overflow 0
		.amdhsa_exception_fp_ieee_underflow 0
		.amdhsa_exception_fp_ieee_inexact 0
		.amdhsa_exception_int_div_zero 0
	.end_amdhsa_kernel
	.section	.text._ZL20rocblas_gemvn_kernelILi64ELi4El16rocblas_bfloat16fS0_EviiT3_lPKT2_lT1_lS4_lS5_lS1_lPT4_lS5_li,"axG",@progbits,_ZL20rocblas_gemvn_kernelILi64ELi4El16rocblas_bfloat16fS0_EviiT3_lPKT2_lT1_lS4_lS5_lS1_lPT4_lS5_li,comdat
.Lfunc_end545:
	.size	_ZL20rocblas_gemvn_kernelILi64ELi4El16rocblas_bfloat16fS0_EviiT3_lPKT2_lT1_lS4_lS5_lS1_lPT4_lS5_li, .Lfunc_end545-_ZL20rocblas_gemvn_kernelILi64ELi4El16rocblas_bfloat16fS0_EviiT3_lPKT2_lT1_lS4_lS5_lS1_lPT4_lS5_li
                                        ; -- End function
	.set _ZL20rocblas_gemvn_kernelILi64ELi4El16rocblas_bfloat16fS0_EviiT3_lPKT2_lT1_lS4_lS5_lS1_lPT4_lS5_li.num_vgpr, 52
	.set _ZL20rocblas_gemvn_kernelILi64ELi4El16rocblas_bfloat16fS0_EviiT3_lPKT2_lT1_lS4_lS5_lS1_lPT4_lS5_li.num_agpr, 0
	.set _ZL20rocblas_gemvn_kernelILi64ELi4El16rocblas_bfloat16fS0_EviiT3_lPKT2_lT1_lS4_lS5_lS1_lPT4_lS5_li.numbered_sgpr, 43
	.set _ZL20rocblas_gemvn_kernelILi64ELi4El16rocblas_bfloat16fS0_EviiT3_lPKT2_lT1_lS4_lS5_lS1_lPT4_lS5_li.num_named_barrier, 0
	.set _ZL20rocblas_gemvn_kernelILi64ELi4El16rocblas_bfloat16fS0_EviiT3_lPKT2_lT1_lS4_lS5_lS1_lPT4_lS5_li.private_seg_size, 0
	.set _ZL20rocblas_gemvn_kernelILi64ELi4El16rocblas_bfloat16fS0_EviiT3_lPKT2_lT1_lS4_lS5_lS1_lPT4_lS5_li.uses_vcc, 1
	.set _ZL20rocblas_gemvn_kernelILi64ELi4El16rocblas_bfloat16fS0_EviiT3_lPKT2_lT1_lS4_lS5_lS1_lPT4_lS5_li.uses_flat_scratch, 0
	.set _ZL20rocblas_gemvn_kernelILi64ELi4El16rocblas_bfloat16fS0_EviiT3_lPKT2_lT1_lS4_lS5_lS1_lPT4_lS5_li.has_dyn_sized_stack, 0
	.set _ZL20rocblas_gemvn_kernelILi64ELi4El16rocblas_bfloat16fS0_EviiT3_lPKT2_lT1_lS4_lS5_lS1_lPT4_lS5_li.has_recursion, 0
	.set _ZL20rocblas_gemvn_kernelILi64ELi4El16rocblas_bfloat16fS0_EviiT3_lPKT2_lT1_lS4_lS5_lS1_lPT4_lS5_li.has_indirect_call, 0
	.section	.AMDGPU.csdata,"",@progbits
; Kernel info:
; codeLenInByte = 3532
; TotalNumSgprs: 45
; NumVgprs: 52
; ScratchSize: 0
; MemoryBound: 0
; FloatMode: 240
; IeeeMode: 1
; LDSByteSize: 4096 bytes/workgroup (compile time only)
; SGPRBlocks: 0
; VGPRBlocks: 6
; NumSGPRsForWavesPerEU: 45
; NumVGPRsForWavesPerEU: 52
; Occupancy: 16
; WaveLimiterHint : 1
; COMPUTE_PGM_RSRC2:SCRATCH_EN: 0
; COMPUTE_PGM_RSRC2:USER_SGPR: 6
; COMPUTE_PGM_RSRC2:TRAP_HANDLER: 0
; COMPUTE_PGM_RSRC2:TGID_X_EN: 1
; COMPUTE_PGM_RSRC2:TGID_Y_EN: 0
; COMPUTE_PGM_RSRC2:TGID_Z_EN: 1
; COMPUTE_PGM_RSRC2:TIDIG_COMP_CNT: 1
	.section	.text._ZL20rocblas_gemvn_kernelILi32ELi16Ei16rocblas_bfloat16PKfS0_EviiT3_lPKT2_lT1_lS6_lS7_lS3_lPT4_lS7_li,"axG",@progbits,_ZL20rocblas_gemvn_kernelILi32ELi16Ei16rocblas_bfloat16PKfS0_EviiT3_lPKT2_lT1_lS6_lS7_lS3_lPT4_lS7_li,comdat
	.globl	_ZL20rocblas_gemvn_kernelILi32ELi16Ei16rocblas_bfloat16PKfS0_EviiT3_lPKT2_lT1_lS6_lS7_lS3_lPT4_lS7_li ; -- Begin function _ZL20rocblas_gemvn_kernelILi32ELi16Ei16rocblas_bfloat16PKfS0_EviiT3_lPKT2_lT1_lS6_lS7_lS3_lPT4_lS7_li
	.p2align	8
	.type	_ZL20rocblas_gemvn_kernelILi32ELi16Ei16rocblas_bfloat16PKfS0_EviiT3_lPKT2_lT1_lS6_lS7_lS3_lPT4_lS7_li,@function
_ZL20rocblas_gemvn_kernelILi32ELi16Ei16rocblas_bfloat16PKfS0_EviiT3_lPKT2_lT1_lS6_lS7_lS3_lPT4_lS7_li: ; @_ZL20rocblas_gemvn_kernelILi32ELi16Ei16rocblas_bfloat16PKfS0_EviiT3_lPKT2_lT1_lS6_lS7_lS3_lPT4_lS7_li
; %bb.0:
	s_load_dwordx2 s[0:1], s[4:5], 0x9c
	s_waitcnt lgkmcnt(0)
	s_lshr_b32 s2, s0, 16
	s_and_b32 s0, s0, 0xffff
	s_and_b32 s1, s1, 0xffff
	s_mul_i32 s0, s2, s0
	s_mul_i32 s0, s0, s1
	s_cmpk_lg_i32 s0, 0x200
	s_cbranch_scc1 .LBB546_69
; %bb.1:
	s_clause 0x1
	s_load_dwordx8 s[16:23], s[4:5], 0x8
	s_load_dwordx8 s[8:15], s[4:5], 0x50
	s_waitcnt lgkmcnt(0)
	s_mul_i32 s1, s19, s7
	s_mul_hi_u32 s2, s18, s7
	s_mul_i32 s0, s18, s7
	s_add_i32 s1, s2, s1
	s_mul_i32 s2, s13, s7
	s_lshl_b64 s[0:1], s[0:1], 2
	s_mul_hi_u32 s3, s12, s7
	s_add_u32 s0, s16, s0
	s_addc_u32 s1, s17, s1
	s_add_i32 s3, s3, s2
	s_mul_i32 s2, s12, s7
	s_mov_b32 s16, 0
	s_lshl_b64 s[2:3], s[2:3], 2
	s_add_u32 s2, s10, s2
	s_addc_u32 s3, s11, s3
	s_load_dword s19, s[0:1], 0x0
	s_load_dword s17, s[2:3], 0x0
	s_waitcnt lgkmcnt(0)
	v_cmp_eq_f32_e64 s0, s19, 0
	v_cmp_eq_f32_e64 s1, s17, 1.0
	s_and_b32 s0, s0, s1
	s_and_b32 vcc_lo, exec_lo, s0
	s_cbranch_vccnz .LBB546_69
; %bb.2:
	s_clause 0x3
	s_load_dwordx2 s[0:1], s[4:5], 0x80
	s_load_dwordx2 s[2:3], s[4:5], 0x70
	s_load_dword s18, s[4:5], 0x78
	s_load_dwordx2 s[10:11], s[4:5], 0x0
	v_lshlrev_b32_e32 v14, 5, v1
	v_cmp_neq_f32_e64 s24, s19, 0
	v_add_nc_u32_e32 v13, v14, v0
	s_waitcnt lgkmcnt(0)
	s_mul_i32 s1, s1, s7
	s_mul_hi_u32 s12, s0, s7
	s_mul_i32 s0, s0, s7
	s_add_i32 s1, s12, s1
	s_lshl_b64 s[0:1], s[0:1], 1
	s_add_u32 s12, s14, s0
	s_addc_u32 s13, s15, s1
	s_lshl_b64 s[0:1], s[2:3], 1
	s_add_u32 s12, s12, s0
	v_cmp_gt_u32_e64 s0, 0x80, v13
	s_addc_u32 s13, s13, s1
	s_and_b32 vcc_lo, exec_lo, s24
	s_cbranch_vccnz .LBB546_13
; %bb.3:
	s_mov_b32 s1, 0
                                        ; implicit-def: $vgpr5
                                        ; implicit-def: $vgpr2_vgpr3
	s_and_saveexec_b32 s2, s0
	s_cbranch_execz .LBB546_14
; %bb.4:
	v_lshl_or_b32 v4, s6, 7, v13
	v_mov_b32_e32 v5, 0
	s_ashr_i32 s15, s10, 31
	s_mov_b32 s14, s10
	s_mov_b32 s3, 0
	s_mov_b32 s0, exec_lo
                                        ; implicit-def: $vgpr2_vgpr3
	v_cmpx_gt_i64_e64 s[14:15], v[4:5]
	s_cbranch_execz .LBB546_12
; %bb.5:
	v_mad_u64_u32 v[2:3], null, s18, v4, 0
	s_ashr_i32 s3, s18, 31
	v_mad_u64_u32 v[3:4], null, s3, v4, v[3:4]
	v_cmp_eq_f32_e64 s3, s17, 0
	s_and_b32 vcc_lo, exec_lo, s3
	s_cbranch_vccnz .LBB546_11
; %bb.6:
	v_lshlrev_b64 v[4:5], 1, v[2:3]
	v_add_co_u32 v4, vcc_lo, s12, v4
	v_add_co_ci_u32_e64 v5, null, s13, v5, vcc_lo
	global_load_ushort v4, v[4:5], off
	s_waitcnt vmcnt(0)
	v_lshlrev_b32_e32 v4, 16, v4
	v_mul_f32_e32 v4, s17, v4
	v_and_b32_e32 v5, 0x7f800000, v4
	v_cmp_ne_u32_e32 vcc_lo, 0x7f800000, v5
                                        ; implicit-def: $vgpr5
	s_and_saveexec_b32 s3, vcc_lo
	s_xor_b32 s3, exec_lo, s3
; %bb.7:
	v_bfe_u32 v5, v4, 16, 1
	v_add3_u32 v5, v4, v5, 0x7fff
                                        ; implicit-def: $vgpr4
; %bb.8:
	s_andn2_saveexec_b32 s3, s3
; %bb.9:
	v_mov_b32_e32 v5, 0
	v_or_b32_e32 v6, 0x10000, v4
	v_cmp_eq_u32_sdwa vcc_lo, v4, v5 src0_sel:WORD_0 src1_sel:DWORD
	v_cndmask_b32_e32 v5, v6, v4, vcc_lo
; %bb.10:
	s_or_b32 exec_lo, exec_lo, s3
	v_lshrrev_b32_e32 v5, 16, v5
.LBB546_11:
	s_mov_b32 s3, exec_lo
.LBB546_12:
	s_or_b32 exec_lo, exec_lo, s0
	s_and_b32 s16, s3, exec_lo
	s_or_b32 exec_lo, exec_lo, s2
	s_and_b32 vcc_lo, exec_lo, s1
	s_cbranch_vccnz .LBB546_15
	s_branch .LBB546_67
.LBB546_13:
                                        ; implicit-def: $vgpr5
                                        ; implicit-def: $vgpr2_vgpr3
	s_cbranch_execnz .LBB546_15
	s_branch .LBB546_67
.LBB546_14:
	s_or_b32 exec_lo, exec_lo, s2
	s_and_b32 vcc_lo, exec_lo, s1
	s_cbranch_vccz .LBB546_67
.LBB546_15:
	s_clause 0x3
	s_load_dwordx4 s[0:3], s[4:5], 0x30
	s_load_dword s14, s[4:5], 0x28
	s_load_dwordx2 s[24:25], s[4:5], 0x40
	s_load_dword s4, s[4:5], 0x48
	s_mul_i32 s9, s9, s7
	v_lshlrev_b32_e32 v20, 2, v1
	v_mov_b32_e32 v15, 0
	v_mov_b32_e32 v16, 0
	;; [unrolled: 1-line block ×4, first 2 shown]
	s_waitcnt lgkmcnt(0)
	s_mul_i32 s1, s1, s7
	s_mul_hi_u32 s15, s0, s7
	s_mul_i32 s0, s0, s7
	s_add_i32 s1, s15, s1
	s_mul_hi_u32 s15, s8, s7
	s_lshl_b64 s[0:1], s[0:1], 1
	s_add_u32 s26, s20, s0
	s_addc_u32 s21, s21, s1
	s_lshl_b64 s[0:1], s[22:23], 1
	s_mul_i32 s20, s8, s7
	s_add_u32 s7, s26, s0
	s_addc_u32 s8, s21, s1
	s_add_i32 s21, s15, s9
	s_lshl_b64 s[0:1], s[20:21], 1
	s_mov_b32 s20, exec_lo
	s_add_u32 s2, s2, s0
	s_addc_u32 s3, s3, s1
	s_lshl_b64 s[0:1], s[24:25], 1
	s_add_u32 s9, s2, s0
	s_addc_u32 s15, s3, s1
	s_ashr_i32 s0, s11, 31
	s_lshl_b32 s5, s6, 7
	s_lshr_b32 s0, s0, 26
	v_add_nc_u32_e32 v19, s5, v0
	s_add_i32 s0, s11, s0
	s_and_b32 s6, s0, 0xffffffc0
	v_cmpx_gt_i32_e64 s6, v20
	s_cbranch_execz .LBB546_27
; %bb.16:
	v_add_nc_u32_e32 v5, 0x60, v19
	v_mul_lo_u32 v3, s14, v20
	v_add_nc_u32_e32 v2, 32, v19
	v_add_nc_u32_e32 v6, 2, v20
	;; [unrolled: 1-line block ×3, first 2 shown]
	v_cmp_gt_i32_e64 s2, s10, v5
	v_mul_lo_u32 v5, v1, s14
	v_add_nc_u32_e32 v7, 3, v20
	v_mul_lo_u32 v8, v1, s4
	v_cmp_gt_i32_e64 s0, s10, v2
	v_add3_u32 v21, v3, s14, v0
	v_mad_u64_u32 v[2:3], null, s14, v6, v[0:1]
	v_cmp_gt_i32_e64 s1, s10, v4
	v_mad_u64_u32 v[3:4], null, s14, v7, v[0:1]
	v_lshl_add_u32 v22, v5, 2, v0
	v_mad_u64_u32 v[4:5], null, s4, v20, s[4:5]
	v_mul_lo_u32 v23, s4, v6
	v_mul_lo_u32 v24, s4, v7
	v_lshlrev_b32_e32 v25, 2, v8
	v_mov_b32_e32 v15, 0
	v_mov_b32_e32 v16, 0
	;; [unrolled: 1-line block ×4, first 2 shown]
	s_lshl_b32 s21, s14, 6
	s_lshl_b32 s23, s4, 6
	s_mov_b32 s22, 0
	s_mov_b32 s24, 0
	v_cmp_gt_i32_e32 vcc_lo, s10, v19
	s_branch .LBB546_21
.LBB546_17:                             ;   in Loop: Header=BB546_21 Depth=1
	s_or_b32 exec_lo, exec_lo, s27
	s_waitcnt vmcnt(3)
	v_lshlrev_b32_e32 v5, 16, v41
	s_waitcnt vmcnt(2)
	v_lshlrev_b32_e32 v6, 16, v40
	v_fmac_f32_e32 v17, v33, v5
	s_waitcnt vmcnt(1)
	v_lshlrev_b32_e32 v5, 16, v39
	v_fmac_f32_e32 v17, v29, v6
	v_fmac_f32_e32 v17, v31, v5
	s_waitcnt vmcnt(0)
	v_lshlrev_b32_e32 v5, 16, v38
	v_fmac_f32_e32 v17, v27, v5
.LBB546_18:                             ;   in Loop: Header=BB546_21 Depth=1
	s_or_b32 exec_lo, exec_lo, s26
	s_waitcnt vmcnt(3)
	v_lshlrev_b32_e32 v5, 16, v37
	s_waitcnt vmcnt(2)
	v_lshlrev_b32_e32 v6, 16, v36
	v_fmac_f32_e32 v16, v33, v5
	s_waitcnt vmcnt(1)
	v_lshlrev_b32_e32 v5, 16, v35
	v_fmac_f32_e32 v16, v29, v6
	v_fmac_f32_e32 v16, v31, v5
	s_waitcnt vmcnt(0)
	v_lshlrev_b32_e32 v5, 16, v34
	v_fmac_f32_e32 v16, v27, v5
.LBB546_19:                             ;   in Loop: Header=BB546_21 Depth=1
	s_or_b32 exec_lo, exec_lo, s3
	s_waitcnt vmcnt(3)
	v_lshlrev_b32_e32 v5, 16, v32
	s_waitcnt vmcnt(2)
	v_lshlrev_b32_e32 v6, 16, v30
	v_fmac_f32_e32 v15, v33, v5
	s_waitcnt vmcnt(1)
	v_lshlrev_b32_e32 v5, 16, v28
	v_fmac_f32_e32 v15, v29, v6
	v_fmac_f32_e32 v15, v31, v5
	s_waitcnt vmcnt(0)
	v_lshlrev_b32_e32 v5, 16, v26
	v_fmac_f32_e32 v15, v27, v5
.LBB546_20:                             ;   in Loop: Header=BB546_21 Depth=1
	s_or_b32 exec_lo, exec_lo, s25
	v_add_nc_u32_e32 v20, 64, v20
	v_add_nc_u32_e32 v21, s21, v21
	;; [unrolled: 1-line block ×5, first 2 shown]
	v_cmp_le_i32_e64 s3, s6, v20
	s_add_i32 s24, s24, s23
	s_or_b32 s22, s3, s22
	s_andn2_b32 exec_lo, exec_lo, s22
	s_cbranch_execz .LBB546_26
.LBB546_21:                             ; =>This Inner Loop Header: Depth=1
	s_and_saveexec_b32 s25, vcc_lo
	s_cbranch_execz .LBB546_20
; %bb.22:                               ;   in Loop: Header=BB546_21 Depth=1
	v_add_nc_u32_e32 v5, s24, v25
	v_add_nc_u32_e32 v7, s24, v4
	;; [unrolled: 1-line block ×5, first 2 shown]
	v_ashrrev_i32_e32 v6, 31, v5
	v_ashrrev_i32_e32 v8, 31, v7
	;; [unrolled: 1-line block ×5, first 2 shown]
	v_lshlrev_b64 v[5:6], 1, v[5:6]
	v_lshlrev_b64 v[7:8], 1, v[7:8]
	;; [unrolled: 1-line block ×4, first 2 shown]
	v_add_nc_u32_e32 v28, s5, v21
	v_add_nc_u32_e32 v30, s5, v2
	v_add_co_u32 v5, s3, s9, v5
	v_add_co_ci_u32_e64 v6, null, s15, v6, s3
	v_add_co_u32 v7, s3, s9, v7
	v_add_co_ci_u32_e64 v8, null, s15, v8, s3
	v_add_co_u32 v9, s3, s9, v9
	v_add_co_ci_u32_e64 v10, null, s15, v10, s3
	v_add_co_u32 v11, s3, s9, v11
	v_add_co_ci_u32_e64 v12, null, s15, v12, s3
	v_lshlrev_b64 v[26:27], 1, v[26:27]
	s_clause 0x3
	global_load_ushort v33, v[5:6], off
	global_load_ushort v34, v[7:8], off
	;; [unrolled: 1-line block ×4, first 2 shown]
	v_add_nc_u32_e32 v9, s5, v3
	v_ashrrev_i32_e32 v29, 31, v28
	v_ashrrev_i32_e32 v31, 31, v30
	v_add_co_u32 v5, s3, s7, v26
	v_ashrrev_i32_e32 v10, 31, v9
	v_lshlrev_b64 v[7:8], 1, v[28:29]
	v_add_co_ci_u32_e64 v6, null, s8, v27, s3
	v_lshlrev_b64 v[26:27], 1, v[30:31]
	v_lshlrev_b64 v[9:10], 1, v[9:10]
	v_add_co_u32 v11, s3, s7, v7
	v_add_co_ci_u32_e64 v12, null, s8, v8, s3
	v_add_co_u32 v7, s3, s7, v26
	v_add_co_ci_u32_e64 v8, null, s8, v27, s3
	;; [unrolled: 2-line block ×3, first 2 shown]
	s_clause 0x3
	global_load_ushort v32, v[5:6], off
	global_load_ushort v30, v[11:12], off
	;; [unrolled: 1-line block ×4, first 2 shown]
	s_waitcnt vmcnt(7)
	v_lshlrev_b32_e32 v33, 16, v33
	s_waitcnt vmcnt(6)
	v_lshlrev_b32_e32 v29, 16, v34
	;; [unrolled: 2-line block ×4, first 2 shown]
	s_and_saveexec_b32 s3, s0
	s_cbranch_execz .LBB546_19
; %bb.23:                               ;   in Loop: Header=BB546_21 Depth=1
	s_clause 0x3
	global_load_ushort v37, v[5:6], off offset:64
	global_load_ushort v36, v[11:12], off offset:64
	global_load_ushort v35, v[7:8], off offset:64
	global_load_ushort v34, v[9:10], off offset:64
	s_and_saveexec_b32 s26, s1
	s_cbranch_execz .LBB546_18
; %bb.24:                               ;   in Loop: Header=BB546_21 Depth=1
	s_clause 0x3
	global_load_ushort v41, v[5:6], off offset:128
	global_load_ushort v40, v[11:12], off offset:128
	global_load_ushort v39, v[7:8], off offset:128
	global_load_ushort v38, v[9:10], off offset:128
	s_and_saveexec_b32 s27, s2
	s_cbranch_execz .LBB546_17
; %bb.25:                               ;   in Loop: Header=BB546_21 Depth=1
	s_clause 0x3
	global_load_ushort v5, v[5:6], off offset:192
	global_load_ushort v6, v[11:12], off offset:192
	global_load_ushort v7, v[7:8], off offset:192
	global_load_ushort v8, v[9:10], off offset:192
	s_waitcnt vmcnt(3)
	v_lshlrev_b32_e32 v5, 16, v5
	s_waitcnt vmcnt(2)
	v_lshlrev_b32_e32 v6, 16, v6
	v_fmac_f32_e32 v18, v33, v5
	s_waitcnt vmcnt(1)
	v_lshlrev_b32_e32 v5, 16, v7
	v_fmac_f32_e32 v18, v29, v6
	;; [unrolled: 3-line block ×3, first 2 shown]
	v_fmac_f32_e32 v18, v27, v6
	s_branch .LBB546_17
.LBB546_26:
	s_or_b32 exec_lo, exec_lo, s22
.LBB546_27:
	s_or_b32 exec_lo, exec_lo, s20
	s_sub_i32 s0, s11, s6
	s_cmp_lt_i32 s0, 1
	s_cbranch_scc1 .LBB546_45
; %bb.28:
	v_cmp_gt_i32_e32 vcc_lo, s11, v20
	v_mov_b32_e32 v11, 0
	v_or_b32_e32 v2, 1, v20
	v_mov_b32_e32 v10, 0
	v_mov_b32_e32 v21, 0
	;; [unrolled: 1-line block ×3, first 2 shown]
	s_and_saveexec_b32 s1, vcc_lo
	s_cbranch_execz .LBB546_36
; %bb.29:
	v_mul_lo_u32 v3, v20, s4
	v_mov_b32_e32 v12, 0
	v_mov_b32_e32 v10, 0
	;; [unrolled: 1-line block ×3, first 2 shown]
	s_mov_b32 s2, exec_lo
	v_ashrrev_i32_e32 v4, 31, v3
	v_lshlrev_b64 v[3:4], 1, v[3:4]
	v_add_co_u32 v3, s0, s9, v3
	v_add_co_ci_u32_e64 v4, null, s15, v4, s0
	global_load_ushort v3, v[3:4], off
	v_cmpx_gt_i32_e64 s11, v2
	s_cbranch_execz .LBB546_35
; %bb.30:
	v_mul_lo_u32 v4, v2, s4
	v_mov_b32_e32 v10, 0
	v_mov_b32_e32 v11, 0
	s_mov_b32 s3, exec_lo
	v_ashrrev_i32_e32 v5, 31, v4
	v_lshlrev_b64 v[4:5], 1, v[4:5]
	v_add_co_u32 v4, s0, s9, v4
	v_add_co_ci_u32_e64 v5, null, s15, v5, s0
	global_load_ushort v4, v[4:5], off
	v_or_b32_e32 v5, 2, v20
	v_cmpx_gt_i32_e64 s11, v5
	s_cbranch_execz .LBB546_34
; %bb.31:
	v_mul_lo_u32 v5, v5, s4
	v_mov_b32_e32 v10, 0
	s_mov_b32 s6, exec_lo
	v_ashrrev_i32_e32 v6, 31, v5
	v_lshlrev_b64 v[5:6], 1, v[5:6]
	v_add_co_u32 v5, s0, s9, v5
	v_add_co_ci_u32_e64 v6, null, s15, v6, s0
	global_load_ushort v5, v[5:6], off
	v_or_b32_e32 v6, 3, v20
	v_cmpx_gt_i32_e64 s11, v6
	s_cbranch_execz .LBB546_33
; %bb.32:
	v_mul_lo_u32 v6, v6, s4
	v_ashrrev_i32_e32 v7, 31, v6
	v_lshlrev_b64 v[6:7], 1, v[6:7]
	v_add_co_u32 v6, s0, s9, v6
	v_add_co_ci_u32_e64 v7, null, s15, v7, s0
	global_load_ushort v6, v[6:7], off
	s_waitcnt vmcnt(0)
	v_lshlrev_b32_e32 v10, 16, v6
.LBB546_33:
	s_or_b32 exec_lo, exec_lo, s6
	s_waitcnt vmcnt(0)
	v_lshlrev_b32_e32 v11, 16, v5
.LBB546_34:
	s_or_b32 exec_lo, exec_lo, s3
	s_waitcnt vmcnt(0)
	v_lshlrev_b32_e32 v12, 16, v4
.LBB546_35:
	s_or_b32 exec_lo, exec_lo, s2
	s_waitcnt vmcnt(0)
	v_lshlrev_b32_e32 v21, 16, v3
.LBB546_36:
	s_or_b32 exec_lo, exec_lo, s1
	s_mov_b32 s1, exec_lo
	v_cmpx_gt_i32_e64 s10, v19
	s_cbranch_execz .LBB546_44
; %bb.37:
	v_mul_lo_u32 v3, v20, s14
	v_mul_lo_u32 v4, v2, s14
	v_or_b32_e32 v5, 2, v20
	v_or_b32_e32 v6, 3, v20
	s_mov_b32 s0, exec_lo
	v_mul_lo_u32 v7, v5, s14
	v_cndmask_b32_e32 v3, 0, v3, vcc_lo
	v_cmp_gt_i32_e32 vcc_lo, s11, v2
	v_mul_lo_u32 v8, v6, s14
	v_add_nc_u32_e32 v2, v3, v19
	v_cndmask_b32_e32 v4, 0, v4, vcc_lo
	v_cmp_gt_i32_e32 vcc_lo, s11, v5
	v_ashrrev_i32_e32 v3, 31, v2
	v_add_nc_u32_e32 v4, v4, v19
	v_cndmask_b32_e32 v7, 0, v7, vcc_lo
	v_cmp_gt_i32_e32 vcc_lo, s11, v6
	v_lshlrev_b64 v[2:3], 1, v[2:3]
	v_ashrrev_i32_e32 v5, 31, v4
	v_add_nc_u32_e32 v6, v7, v19
	v_cndmask_b32_e32 v8, 0, v8, vcc_lo
	v_lshlrev_b64 v[4:5], 1, v[4:5]
	v_ashrrev_i32_e32 v7, 31, v6
	v_add_nc_u32_e32 v8, v8, v19
	v_add_co_u32 v2, vcc_lo, s7, v2
	v_add_co_ci_u32_e64 v3, null, s8, v3, vcc_lo
	v_ashrrev_i32_e32 v9, 31, v8
	v_add_co_u32 v4, vcc_lo, s7, v4
	v_add_co_ci_u32_e64 v5, null, s8, v5, vcc_lo
	v_lshlrev_b64 v[6:7], 1, v[6:7]
	v_lshlrev_b64 v[8:9], 1, v[8:9]
	s_clause 0x1
	global_load_ushort v20, v[2:3], off
	global_load_ushort v22, v[4:5], off
	v_add_co_u32 v6, vcc_lo, s7, v6
	v_add_co_ci_u32_e64 v7, null, s8, v7, vcc_lo
	v_add_co_u32 v8, vcc_lo, s7, v8
	v_add_co_ci_u32_e64 v9, null, s8, v9, vcc_lo
	s_clause 0x1
	global_load_ushort v23, v[6:7], off
	global_load_ushort v24, v[8:9], off
	s_waitcnt vmcnt(3)
	v_lshlrev_b32_e32 v20, 16, v20
	s_waitcnt vmcnt(2)
	v_lshlrev_b32_e32 v22, 16, v22
	v_fmac_f32_e32 v15, v21, v20
	v_fmac_f32_e32 v15, v12, v22
	v_add_nc_u32_e32 v22, 32, v19
	s_waitcnt vmcnt(1)
	v_lshlrev_b32_e32 v23, 16, v23
	s_waitcnt vmcnt(0)
	v_lshlrev_b32_e32 v20, 16, v24
	v_fmac_f32_e32 v15, v11, v23
	v_cmpx_gt_i32_e64 s10, v22
	s_cbranch_execz .LBB546_43
; %bb.38:
	s_clause 0x3
	global_load_ushort v22, v[2:3], off offset:64
	global_load_ushort v23, v[4:5], off offset:64
	global_load_ushort v24, v[6:7], off offset:64
	global_load_ushort v25, v[8:9], off offset:64
	s_mov_b32 s2, exec_lo
	s_waitcnt vmcnt(3)
	v_lshlrev_b32_e32 v22, 16, v22
	s_waitcnt vmcnt(2)
	v_lshlrev_b32_e32 v23, 16, v23
	;; [unrolled: 2-line block ×3, first 2 shown]
	v_fmac_f32_e32 v16, v21, v22
	s_waitcnt vmcnt(0)
	v_lshlrev_b32_e32 v22, 16, v25
	v_fmac_f32_e32 v16, v12, v23
	v_add_nc_u32_e32 v23, 64, v19
	v_fmac_f32_e32 v16, v11, v24
	v_cmpx_gt_i32_e64 s10, v23
	s_cbranch_execz .LBB546_42
; %bb.39:
	s_clause 0x3
	global_load_ushort v23, v[2:3], off offset:128
	global_load_ushort v24, v[4:5], off offset:128
	;; [unrolled: 1-line block ×4, first 2 shown]
	s_mov_b32 s3, exec_lo
	s_waitcnt vmcnt(3)
	v_lshlrev_b32_e32 v23, 16, v23
	s_waitcnt vmcnt(2)
	v_lshlrev_b32_e32 v24, 16, v24
	v_fmac_f32_e32 v17, v21, v23
	s_waitcnt vmcnt(1)
	v_lshlrev_b32_e32 v23, 16, v25
	v_fmac_f32_e32 v17, v12, v24
	v_add_nc_u32_e32 v24, 0x60, v19
	s_waitcnt vmcnt(0)
	v_lshlrev_b32_e32 v19, 16, v26
	v_fmac_f32_e32 v17, v11, v23
	v_cmpx_gt_i32_e64 s10, v24
	s_cbranch_execz .LBB546_41
; %bb.40:
	s_clause 0x3
	global_load_ushort v2, v[2:3], off offset:192
	global_load_ushort v3, v[4:5], off offset:192
	;; [unrolled: 1-line block ×4, first 2 shown]
	s_waitcnt vmcnt(3)
	v_lshlrev_b32_e32 v2, 16, v2
	s_waitcnt vmcnt(2)
	v_lshlrev_b32_e32 v3, 16, v3
	v_fmac_f32_e32 v18, v21, v2
	s_waitcnt vmcnt(1)
	v_lshlrev_b32_e32 v2, 16, v4
	v_fmac_f32_e32 v18, v12, v3
	;; [unrolled: 3-line block ×3, first 2 shown]
	v_fmac_f32_e32 v18, v10, v3
.LBB546_41:
	s_or_b32 exec_lo, exec_lo, s3
	v_fmac_f32_e32 v17, v10, v19
.LBB546_42:
	s_or_b32 exec_lo, exec_lo, s2
	v_fmac_f32_e32 v16, v10, v22
.LBB546_43:
	s_or_b32 exec_lo, exec_lo, s0
	v_fmac_f32_e32 v15, v10, v20
.LBB546_44:
	s_or_b32 exec_lo, exec_lo, s1
.LBB546_45:
	v_lshlrev_b32_e32 v0, 2, v0
	s_mov_b32 s0, exec_lo
                                        ; implicit-def: $vgpr5
                                        ; implicit-def: $vgpr2_vgpr3
	v_lshl_add_u32 v1, v1, 9, v0
	ds_write2_b32 v1, v15, v16 offset1:32
	ds_write2_b32 v1, v17, v18 offset0:64 offset1:96
	s_waitcnt lgkmcnt(0)
	s_barrier
	buffer_gl0_inv
	v_cmpx_gt_u32_e32 0x80, v13
	s_cbranch_execz .LBB546_66
; %bb.46:
	v_lshl_add_u32 v6, v14, 2, v0
	s_mov_b32 s2, s16
	s_mov_b32 s1, exec_lo
	ds_read2st64_b32 v[0:1], v6 offset1:2
	ds_read2st64_b32 v[2:3], v6 offset0:4 offset1:6
	ds_read2st64_b32 v[4:5], v6 offset0:8 offset1:10
	s_waitcnt lgkmcnt(2)
	v_add_f32_e32 v7, v0, v1
	ds_read2st64_b32 v[0:1], v6 offset0:12 offset1:14
	s_waitcnt lgkmcnt(2)
	v_add_f32_e32 v2, v2, v7
	v_add_f32_e32 v7, v3, v2
	ds_read2st64_b32 v[2:3], v6 offset0:16 offset1:18
	s_waitcnt lgkmcnt(2)
	v_add_f32_e32 v4, v4, v7
	;; [unrolled: 4-line block ×3, first 2 shown]
	v_add_f32_e32 v0, v1, v0
	s_waitcnt lgkmcnt(1)
	v_add_f32_e32 v2, v2, v0
	ds_read2st64_b32 v[0:1], v6 offset0:24 offset1:26
	v_add_f32_e32 v2, v3, v2
	s_waitcnt lgkmcnt(1)
	v_add_f32_e32 v4, v4, v2
	ds_read2st64_b32 v[2:3], v6 offset0:28 offset1:30
	v_add_f32_e32 v4, v5, v4
                                        ; implicit-def: $vgpr5
	s_waitcnt lgkmcnt(1)
	v_add_f32_e32 v0, v0, v4
	v_or_b32_e32 v4, s5, v13
	v_add_f32_e32 v0, v1, v0
	s_waitcnt lgkmcnt(0)
	v_add_f32_e32 v0, v2, v0
	v_add_f32_e32 v0, v3, v0
                                        ; implicit-def: $vgpr2_vgpr3
	ds_write_b32 v6, v0
	v_cmpx_gt_i32_e64 s10, v4
	s_cbranch_execz .LBB546_65
; %bb.47:
	v_cmp_eq_f32_e64 s2, s17, 0
	v_mul_f32_e32 v0, s19, v0
	s_and_b32 vcc_lo, exec_lo, s2
	s_cbranch_vccz .LBB546_53
; %bb.48:
	v_and_b32_e32 v1, 0x7f800000, v0
	v_cmp_ne_u32_e32 vcc_lo, 0x7f800000, v1
                                        ; implicit-def: $vgpr1
	s_and_saveexec_b32 s2, vcc_lo
	s_xor_b32 s2, exec_lo, s2
; %bb.49:
	v_bfe_u32 v1, v0, 16, 1
	v_add3_u32 v1, v0, v1, 0x7fff
; %bb.50:
	s_andn2_saveexec_b32 s2, s2
; %bb.51:
	v_mov_b32_e32 v1, 0
	v_or_b32_e32 v2, 0x10000, v0
	v_cmp_eq_u32_sdwa vcc_lo, v0, v1 src0_sel:WORD_0 src1_sel:DWORD
	v_cndmask_b32_e32 v1, v2, v0, vcc_lo
; %bb.52:
	s_or_b32 exec_lo, exec_lo, s2
	s_mov_b32 s2, 0
	s_branch .LBB546_54
.LBB546_53:
	s_mov_b32 s2, -1
                                        ; implicit-def: $vgpr1
.LBB546_54:
	v_mul_lo_u32 v2, s18, v4
	s_andn2_b32 vcc_lo, exec_lo, s2
	v_ashrrev_i32_e32 v3, 31, v2
	s_cbranch_vccnz .LBB546_64
; %bb.55:
	v_lshlrev_b64 v[4:5], 1, v[2:3]
	v_add_co_u32 v4, vcc_lo, s12, v4
	v_add_co_ci_u32_e64 v5, null, s13, v5, vcc_lo
	global_load_ushort v1, v[4:5], off
	s_waitcnt vmcnt(0)
	v_lshlrev_b32_e32 v1, 16, v1
	v_mul_f32_e32 v1, s17, v1
	v_and_b32_e32 v4, 0x7f800000, v1
	v_cmp_ne_u32_e32 vcc_lo, 0x7f800000, v4
                                        ; implicit-def: $vgpr4
	s_and_saveexec_b32 s2, vcc_lo
	s_xor_b32 s2, exec_lo, s2
; %bb.56:
	v_bfe_u32 v4, v1, 16, 1
	v_add3_u32 v4, v1, v4, 0x7fff
                                        ; implicit-def: $vgpr1
; %bb.57:
	s_andn2_saveexec_b32 s2, s2
; %bb.58:
	v_mov_b32_e32 v4, 0
	v_or_b32_e32 v5, 0x10000, v1
	v_cmp_eq_u32_sdwa vcc_lo, v1, v4 src0_sel:WORD_0 src1_sel:DWORD
	v_cndmask_b32_e32 v4, v5, v1, vcc_lo
; %bb.59:
	s_or_b32 exec_lo, exec_lo, s2
	v_and_b32_e32 v1, 0xffff0000, v4
	v_add_f32_e32 v0, v0, v1
	v_and_b32_e32 v1, 0x7f800000, v0
	v_cmp_ne_u32_e32 vcc_lo, 0x7f800000, v1
                                        ; implicit-def: $vgpr1
	s_and_saveexec_b32 s2, vcc_lo
	s_xor_b32 s2, exec_lo, s2
; %bb.60:
	v_bfe_u32 v1, v0, 16, 1
	v_add3_u32 v1, v0, v1, 0x7fff
                                        ; implicit-def: $vgpr0
; %bb.61:
	s_andn2_saveexec_b32 s2, s2
; %bb.62:
	v_mov_b32_e32 v1, 0
	v_or_b32_e32 v4, 0x10000, v0
	v_cmp_eq_u32_sdwa vcc_lo, v0, v1 src0_sel:WORD_0 src1_sel:DWORD
	v_cndmask_b32_e32 v1, v4, v0, vcc_lo
; %bb.63:
	s_or_b32 exec_lo, exec_lo, s2
.LBB546_64:
	v_lshrrev_b32_e32 v5, 16, v1
	s_or_b32 s2, s16, exec_lo
.LBB546_65:
	s_or_b32 exec_lo, exec_lo, s1
	s_andn2_b32 s1, s16, exec_lo
	s_and_b32 s2, s2, exec_lo
	s_or_b32 s16, s1, s2
.LBB546_66:
	s_or_b32 exec_lo, exec_lo, s0
.LBB546_67:
	s_and_saveexec_b32 s0, s16
	s_cbranch_execz .LBB546_69
; %bb.68:
	v_lshlrev_b64 v[0:1], 1, v[2:3]
	v_add_co_u32 v0, vcc_lo, s12, v0
	v_add_co_ci_u32_e64 v1, null, s13, v1, vcc_lo
	global_store_short v[0:1], v5, off
.LBB546_69:
	s_endpgm
	.section	.rodata,"a",@progbits
	.p2align	6, 0x0
	.amdhsa_kernel _ZL20rocblas_gemvn_kernelILi32ELi16Ei16rocblas_bfloat16PKfS0_EviiT3_lPKT2_lT1_lS6_lS7_lS3_lPT4_lS7_li
		.amdhsa_group_segment_fixed_size 8192
		.amdhsa_private_segment_fixed_size 0
		.amdhsa_kernarg_size 400
		.amdhsa_user_sgpr_count 6
		.amdhsa_user_sgpr_private_segment_buffer 1
		.amdhsa_user_sgpr_dispatch_ptr 0
		.amdhsa_user_sgpr_queue_ptr 0
		.amdhsa_user_sgpr_kernarg_segment_ptr 1
		.amdhsa_user_sgpr_dispatch_id 0
		.amdhsa_user_sgpr_flat_scratch_init 0
		.amdhsa_user_sgpr_private_segment_size 0
		.amdhsa_wavefront_size32 1
		.amdhsa_uses_dynamic_stack 0
		.amdhsa_system_sgpr_private_segment_wavefront_offset 0
		.amdhsa_system_sgpr_workgroup_id_x 1
		.amdhsa_system_sgpr_workgroup_id_y 0
		.amdhsa_system_sgpr_workgroup_id_z 1
		.amdhsa_system_sgpr_workgroup_info 0
		.amdhsa_system_vgpr_workitem_id 1
		.amdhsa_next_free_vgpr 42
		.amdhsa_next_free_sgpr 28
		.amdhsa_reserve_vcc 1
		.amdhsa_reserve_flat_scratch 0
		.amdhsa_float_round_mode_32 0
		.amdhsa_float_round_mode_16_64 0
		.amdhsa_float_denorm_mode_32 3
		.amdhsa_float_denorm_mode_16_64 3
		.amdhsa_dx10_clamp 1
		.amdhsa_ieee_mode 1
		.amdhsa_fp16_overflow 0
		.amdhsa_workgroup_processor_mode 1
		.amdhsa_memory_ordered 1
		.amdhsa_forward_progress 1
		.amdhsa_shared_vgpr_count 0
		.amdhsa_exception_fp_ieee_invalid_op 0
		.amdhsa_exception_fp_denorm_src 0
		.amdhsa_exception_fp_ieee_div_zero 0
		.amdhsa_exception_fp_ieee_overflow 0
		.amdhsa_exception_fp_ieee_underflow 0
		.amdhsa_exception_fp_ieee_inexact 0
		.amdhsa_exception_int_div_zero 0
	.end_amdhsa_kernel
	.section	.text._ZL20rocblas_gemvn_kernelILi32ELi16Ei16rocblas_bfloat16PKfS0_EviiT3_lPKT2_lT1_lS6_lS7_lS3_lPT4_lS7_li,"axG",@progbits,_ZL20rocblas_gemvn_kernelILi32ELi16Ei16rocblas_bfloat16PKfS0_EviiT3_lPKT2_lT1_lS6_lS7_lS3_lPT4_lS7_li,comdat
.Lfunc_end546:
	.size	_ZL20rocblas_gemvn_kernelILi32ELi16Ei16rocblas_bfloat16PKfS0_EviiT3_lPKT2_lT1_lS6_lS7_lS3_lPT4_lS7_li, .Lfunc_end546-_ZL20rocblas_gemvn_kernelILi32ELi16Ei16rocblas_bfloat16PKfS0_EviiT3_lPKT2_lT1_lS6_lS7_lS3_lPT4_lS7_li
                                        ; -- End function
	.set _ZL20rocblas_gemvn_kernelILi32ELi16Ei16rocblas_bfloat16PKfS0_EviiT3_lPKT2_lT1_lS6_lS7_lS3_lPT4_lS7_li.num_vgpr, 42
	.set _ZL20rocblas_gemvn_kernelILi32ELi16Ei16rocblas_bfloat16PKfS0_EviiT3_lPKT2_lT1_lS6_lS7_lS3_lPT4_lS7_li.num_agpr, 0
	.set _ZL20rocblas_gemvn_kernelILi32ELi16Ei16rocblas_bfloat16PKfS0_EviiT3_lPKT2_lT1_lS6_lS7_lS3_lPT4_lS7_li.numbered_sgpr, 28
	.set _ZL20rocblas_gemvn_kernelILi32ELi16Ei16rocblas_bfloat16PKfS0_EviiT3_lPKT2_lT1_lS6_lS7_lS3_lPT4_lS7_li.num_named_barrier, 0
	.set _ZL20rocblas_gemvn_kernelILi32ELi16Ei16rocblas_bfloat16PKfS0_EviiT3_lPKT2_lT1_lS6_lS7_lS3_lPT4_lS7_li.private_seg_size, 0
	.set _ZL20rocblas_gemvn_kernelILi32ELi16Ei16rocblas_bfloat16PKfS0_EviiT3_lPKT2_lT1_lS6_lS7_lS3_lPT4_lS7_li.uses_vcc, 1
	.set _ZL20rocblas_gemvn_kernelILi32ELi16Ei16rocblas_bfloat16PKfS0_EviiT3_lPKT2_lT1_lS6_lS7_lS3_lPT4_lS7_li.uses_flat_scratch, 0
	.set _ZL20rocblas_gemvn_kernelILi32ELi16Ei16rocblas_bfloat16PKfS0_EviiT3_lPKT2_lT1_lS6_lS7_lS3_lPT4_lS7_li.has_dyn_sized_stack, 0
	.set _ZL20rocblas_gemvn_kernelILi32ELi16Ei16rocblas_bfloat16PKfS0_EviiT3_lPKT2_lT1_lS6_lS7_lS3_lPT4_lS7_li.has_recursion, 0
	.set _ZL20rocblas_gemvn_kernelILi32ELi16Ei16rocblas_bfloat16PKfS0_EviiT3_lPKT2_lT1_lS6_lS7_lS3_lPT4_lS7_li.has_indirect_call, 0
	.section	.AMDGPU.csdata,"",@progbits
; Kernel info:
; codeLenInByte = 3320
; TotalNumSgprs: 30
; NumVgprs: 42
; ScratchSize: 0
; MemoryBound: 0
; FloatMode: 240
; IeeeMode: 1
; LDSByteSize: 8192 bytes/workgroup (compile time only)
; SGPRBlocks: 0
; VGPRBlocks: 5
; NumSGPRsForWavesPerEU: 30
; NumVGPRsForWavesPerEU: 42
; Occupancy: 16
; WaveLimiterHint : 1
; COMPUTE_PGM_RSRC2:SCRATCH_EN: 0
; COMPUTE_PGM_RSRC2:USER_SGPR: 6
; COMPUTE_PGM_RSRC2:TRAP_HANDLER: 0
; COMPUTE_PGM_RSRC2:TGID_X_EN: 1
; COMPUTE_PGM_RSRC2:TGID_Y_EN: 0
; COMPUTE_PGM_RSRC2:TGID_Z_EN: 1
; COMPUTE_PGM_RSRC2:TIDIG_COMP_CNT: 1
	.section	.text._ZL20rocblas_gemvn_kernelILi32ELi16El16rocblas_bfloat16PKfS0_EviiT3_lPKT2_lT1_lS6_lS7_lS3_lPT4_lS7_li,"axG",@progbits,_ZL20rocblas_gemvn_kernelILi32ELi16El16rocblas_bfloat16PKfS0_EviiT3_lPKT2_lT1_lS6_lS7_lS3_lPT4_lS7_li,comdat
	.globl	_ZL20rocblas_gemvn_kernelILi32ELi16El16rocblas_bfloat16PKfS0_EviiT3_lPKT2_lT1_lS6_lS7_lS3_lPT4_lS7_li ; -- Begin function _ZL20rocblas_gemvn_kernelILi32ELi16El16rocblas_bfloat16PKfS0_EviiT3_lPKT2_lT1_lS6_lS7_lS3_lPT4_lS7_li
	.p2align	8
	.type	_ZL20rocblas_gemvn_kernelILi32ELi16El16rocblas_bfloat16PKfS0_EviiT3_lPKT2_lT1_lS6_lS7_lS3_lPT4_lS7_li,@function
_ZL20rocblas_gemvn_kernelILi32ELi16El16rocblas_bfloat16PKfS0_EviiT3_lPKT2_lT1_lS6_lS7_lS3_lPT4_lS7_li: ; @_ZL20rocblas_gemvn_kernelILi32ELi16El16rocblas_bfloat16PKfS0_EviiT3_lPKT2_lT1_lS6_lS7_lS3_lPT4_lS7_li
; %bb.0:
	s_load_dwordx2 s[0:1], s[4:5], 0x9c
	s_waitcnt lgkmcnt(0)
	s_lshr_b32 s2, s0, 16
	s_and_b32 s0, s0, 0xffff
	s_and_b32 s1, s1, 0xffff
	s_mul_i32 s0, s2, s0
	s_mul_i32 s0, s0, s1
	s_cmpk_lg_i32 s0, 0x200
	s_cbranch_scc1 .LBB547_69
; %bb.1:
	s_clause 0x1
	s_load_dwordx16 s[36:51], s[4:5], 0x8
	s_load_dwordx16 s[8:23], s[4:5], 0x48
	s_mov_b32 s24, 0
	s_waitcnt lgkmcnt(0)
	s_mul_i32 s1, s39, s7
	s_mul_hi_u32 s2, s38, s7
	s_mul_i32 s0, s38, s7
	s_add_i32 s1, s2, s1
	s_mul_i32 s2, s15, s7
	s_lshl_b64 s[0:1], s[0:1], 2
	s_mul_hi_u32 s3, s14, s7
	s_add_u32 s0, s36, s0
	s_addc_u32 s1, s37, s1
	s_add_i32 s3, s3, s2
	s_mul_i32 s2, s14, s7
	s_lshl_b64 s[2:3], s[2:3], 2
	s_add_u32 s2, s12, s2
	s_addc_u32 s3, s13, s3
	s_load_dword s26, s[0:1], 0x0
	s_load_dword s25, s[2:3], 0x0
	s_waitcnt lgkmcnt(0)
	v_cmp_eq_f32_e64 s0, s26, 0
	v_cmp_eq_f32_e64 s1, s25, 1.0
	s_and_b32 s0, s0, s1
	s_and_b32 vcc_lo, exec_lo, s0
	s_cbranch_vccnz .LBB547_69
; %bb.2:
	s_load_dwordx2 s[12:13], s[4:5], 0x0
	v_lshlrev_b32_e32 v14, 5, v1
	s_mul_i32 s0, s23, s7
	s_mul_hi_u32 s1, s22, s7
	v_cmp_neq_f32_e64 s4, s26, 0
	s_add_i32 s1, s1, s0
	s_mul_i32 s0, s22, s7
	v_add_nc_u32_e32 v13, v14, v0
	s_lshl_b64 s[0:1], s[0:1], 1
	s_add_u32 s2, s16, s0
	s_addc_u32 s3, s17, s1
	s_lshl_b64 s[0:1], s[18:19], 1
	s_add_u32 s5, s2, s0
	v_cmp_gt_u32_e64 s0, 0x80, v13
	s_addc_u32 s22, s3, s1
	s_and_b32 vcc_lo, exec_lo, s4
	s_cbranch_vccnz .LBB547_13
; %bb.3:
	s_mov_b32 s1, 0
                                        ; implicit-def: $vgpr5
                                        ; implicit-def: $vgpr2_vgpr3
	s_and_saveexec_b32 s2, s0
	s_cbranch_execz .LBB547_14
; %bb.4:
	v_lshl_or_b32 v4, s6, 7, v13
	v_mov_b32_e32 v5, 0
	s_waitcnt lgkmcnt(0)
	s_ashr_i32 s15, s12, 31
	s_mov_b32 s14, s12
	s_mov_b32 s3, 0
	s_mov_b32 s0, exec_lo
                                        ; implicit-def: $vgpr2_vgpr3
	v_cmpx_gt_i64_e64 s[14:15], v[4:5]
	s_cbranch_execz .LBB547_12
; %bb.5:
	v_mad_u64_u32 v[2:3], null, s20, v4, 0
	v_cmp_eq_f32_e64 s3, s25, 0
	s_and_b32 vcc_lo, exec_lo, s3
	v_mad_u64_u32 v[3:4], null, s21, v4, v[3:4]
	s_cbranch_vccnz .LBB547_11
; %bb.6:
	v_lshlrev_b64 v[4:5], 1, v[2:3]
	v_add_co_u32 v4, vcc_lo, s5, v4
	v_add_co_ci_u32_e64 v5, null, s22, v5, vcc_lo
	global_load_ushort v4, v[4:5], off
	s_waitcnt vmcnt(0)
	v_lshlrev_b32_e32 v4, 16, v4
	v_mul_f32_e32 v4, s25, v4
	v_and_b32_e32 v5, 0x7f800000, v4
	v_cmp_ne_u32_e32 vcc_lo, 0x7f800000, v5
                                        ; implicit-def: $vgpr5
	s_and_saveexec_b32 s3, vcc_lo
	s_xor_b32 s3, exec_lo, s3
; %bb.7:
	v_bfe_u32 v5, v4, 16, 1
	v_add3_u32 v5, v4, v5, 0x7fff
                                        ; implicit-def: $vgpr4
; %bb.8:
	s_andn2_saveexec_b32 s3, s3
; %bb.9:
	v_mov_b32_e32 v5, 0
	v_or_b32_e32 v6, 0x10000, v4
	v_cmp_eq_u32_sdwa vcc_lo, v4, v5 src0_sel:WORD_0 src1_sel:DWORD
	v_cndmask_b32_e32 v5, v6, v4, vcc_lo
; %bb.10:
	s_or_b32 exec_lo, exec_lo, s3
	v_lshrrev_b32_e32 v5, 16, v5
.LBB547_11:
	s_mov_b32 s3, exec_lo
.LBB547_12:
	s_or_b32 exec_lo, exec_lo, s0
	s_and_b32 s24, s3, exec_lo
	s_or_b32 exec_lo, exec_lo, s2
	s_and_b32 vcc_lo, exec_lo, s1
	s_cbranch_vccnz .LBB547_15
	s_branch .LBB547_67
.LBB547_13:
                                        ; implicit-def: $vgpr5
                                        ; implicit-def: $vgpr2_vgpr3
	s_cbranch_execnz .LBB547_15
	s_branch .LBB547_67
.LBB547_14:
	s_or_b32 exec_lo, exec_lo, s2
	s_and_b32 vcc_lo, exec_lo, s1
	s_cbranch_vccz .LBB547_67
.LBB547_15:
	s_mul_i32 s0, s47, s7
	s_mul_hi_u32 s1, s46, s7
	s_lshl_b32 s23, s6, 7
	s_add_i32 s15, s1, s0
	s_waitcnt lgkmcnt(0)
	s_ashr_i32 s1, s13, 31
	v_lshlrev_b32_e32 v19, 2, v1
	s_lshr_b32 s1, s1, 26
	v_add_nc_u32_e32 v2, s23, v0
	v_mov_b32_e32 v15, 0
	v_mov_b32_e32 v16, 0
	;; [unrolled: 1-line block ×4, first 2 shown]
	s_mul_i32 s0, s11, s7
	s_mul_hi_u32 s2, s10, s7
	s_add_i32 s27, s13, s1
	s_mul_i32 s14, s46, s7
	s_andn2_b32 s27, s27, 63
	s_add_i32 s11, s2, s0
	s_mul_i32 s10, s10, s7
	s_mov_b32 s28, exec_lo
	v_cmpx_gt_i32_e64 s27, v19
	s_cbranch_execz .LBB547_27
; %bb.16:
	v_lshlrev_b32_e32 v30, 2, v1
	v_mad_u64_u32 v[4:5], null, s8, v1, 0
	v_add_nc_u32_e32 v11, 32, v2
	v_add_nc_u32_e32 v12, 64, v2
	v_or_b32_e32 v15, 3, v30
	s_lshl_b64 s[0:1], s[10:11], 1
	s_lshl_b64 s[6:7], s[50:51], 1
	s_add_u32 s4, s48, s0
	s_addc_u32 s29, s49, s1
	v_mad_u64_u32 v[6:7], null, s44, v15, 0
	v_cmp_gt_i32_e64 s0, s12, v11
	v_cmp_gt_i32_e64 s1, s12, v12
	v_add_nc_u32_e32 v16, 0x60, v2
	v_or_b32_e32 v24, 2, v30
	s_lshl_b64 s[18:19], s[42:43], 1
	s_lshl_b64 s[16:17], s[8:9], 7
	v_mad_u64_u32 v[8:9], null, s9, v1, v[5:6]
	v_mad_u64_u32 v[9:10], null, s8, v15, 0
	v_cmp_gt_i32_e64 s2, s12, v16
	s_lshl_b64 s[30:31], s[14:15], 1
	v_mad_u64_u32 v[28:29], null, s8, v24, 0
	v_mov_b32_e32 v5, v8
	v_mad_u64_u32 v[7:8], null, s45, v15, v[7:8]
	v_mad_u64_u32 v[32:33], null, s44, v30, s[44:45]
	v_lshlrev_b64 v[11:12], 3, v[4:5]
	v_mov_b32_e32 v5, v10
	v_mov_b32_e32 v8, v29
	v_ashrrev_i32_e32 v3, 31, v2
	v_lshlrev_b64 v[6:7], 1, v[6:7]
	v_cmp_gt_i32_e32 vcc_lo, s12, v2
	v_add_co_u32 v20, s3, s4, v11
	v_add_co_ci_u32_e64 v21, null, s29, v12, s3
	v_mad_u64_u32 v[15:16], null, s9, v15, v[5:6]
	v_mad_u64_u32 v[11:12], null, s44, v1, 0
	s_add_u32 s3, s40, s18
	s_addc_u32 s18, s41, s19
	s_add_u32 s19, s3, s30
	s_addc_u32 s18, s18, s31
	v_mov_b32_e32 v10, v15
	v_mad_u64_u32 v[15:16], null, s44, v24, 0
	v_mov_b32_e32 v5, v12
	v_add_co_u32 v22, s3, s19, v6
	v_add_co_ci_u32_e64 v23, null, s18, v7, s3
	v_mad_u64_u32 v[17:18], null, s45, v1, v[5:6]
	v_lshlrev_b64 v[6:7], 1, v[9:10]
	v_mov_b32_e32 v5, v16
	v_lshlrev_b64 v[3:4], 1, v[2:3]
	v_mad_u64_u32 v[9:10], null, s45, v24, v[5:6]
	v_mov_b32_e32 v12, v17
	v_mad_u64_u32 v[17:18], null, s8, v30, s[8:9]
	v_mad_u64_u32 v[26:27], null, s9, v24, v[8:9]
	v_add_co_u32 v24, s3, s4, v6
	v_add_co_ci_u32_e64 v25, null, s29, v7, s3
	v_lshlrev_b64 v[6:7], 3, v[11:12]
	v_mov_b32_e32 v5, v18
	v_mov_b32_e32 v16, v9
	;; [unrolled: 1-line block ×3, first 2 shown]
	v_add_co_u32 v26, s3, s19, v6
	v_mad_u64_u32 v[8:9], null, s9, v30, v[5:6]
	v_add_co_ci_u32_e64 v27, null, s18, v7, s3
	v_lshlrev_b64 v[6:7], 1, v[15:16]
	v_mov_b32_e32 v5, v33
	v_mov_b32_e32 v15, 0
	;; [unrolled: 1-line block ×4, first 2 shown]
	v_mad_u64_u32 v[9:10], null, s45, v30, v[5:6]
	v_lshlrev_b64 v[10:11], 1, v[28:29]
	v_add_co_u32 v28, s3, s19, v6
	v_lshlrev_b64 v[5:6], 1, v[17:18]
	v_add_co_ci_u32_e64 v29, null, s18, v7, s3
	v_mov_b32_e32 v33, v9
	v_add_co_u32 v30, s3, s4, v10
	v_add_co_ci_u32_e64 v31, null, s29, v11, s3
	v_lshlrev_b64 v[7:8], 1, v[32:33]
	v_add_co_u32 v32, s3, s4, v5
	v_add_co_ci_u32_e64 v33, null, s29, v6, s3
	v_mov_b32_e32 v17, 0
	v_add_co_u32 v34, s3, s19, v7
	v_add_co_ci_u32_e64 v35, null, s18, v8, s3
	v_mov_b32_e32 v18, 0
	s_lshl_b64 s[18:19], s[44:45], 7
	s_mov_b32 s29, 0
	s_branch .LBB547_21
.LBB547_17:                             ;   in Loop: Header=BB547_21 Depth=1
	s_or_b32 exec_lo, exec_lo, s31
	s_waitcnt vmcnt(3)
	v_lshlrev_b32_e32 v5, 16, v51
	s_waitcnt vmcnt(2)
	v_lshlrev_b32_e32 v6, 16, v50
	v_fmac_f32_e32 v17, v43, v5
	s_waitcnt vmcnt(1)
	v_lshlrev_b32_e32 v5, 16, v49
	v_fmac_f32_e32 v17, v39, v6
	v_fmac_f32_e32 v17, v41, v5
	s_waitcnt vmcnt(0)
	v_lshlrev_b32_e32 v5, 16, v48
	v_fmac_f32_e32 v17, v37, v5
.LBB547_18:                             ;   in Loop: Header=BB547_21 Depth=1
	s_or_b32 exec_lo, exec_lo, s30
	s_waitcnt vmcnt(3)
	v_lshlrev_b32_e32 v5, 16, v47
	s_waitcnt vmcnt(2)
	v_lshlrev_b32_e32 v6, 16, v46
	v_fmac_f32_e32 v16, v43, v5
	s_waitcnt vmcnt(1)
	v_lshlrev_b32_e32 v5, 16, v45
	v_fmac_f32_e32 v16, v39, v6
	v_fmac_f32_e32 v16, v41, v5
	s_waitcnt vmcnt(0)
	v_lshlrev_b32_e32 v5, 16, v44
	v_fmac_f32_e32 v16, v37, v5
.LBB547_19:                             ;   in Loop: Header=BB547_21 Depth=1
	s_or_b32 exec_lo, exec_lo, s3
	s_waitcnt vmcnt(3)
	v_lshlrev_b32_e32 v5, 16, v42
	s_waitcnt vmcnt(2)
	v_lshlrev_b32_e32 v6, 16, v40
	v_fmac_f32_e32 v15, v43, v5
	s_waitcnt vmcnt(1)
	v_lshlrev_b32_e32 v5, 16, v38
	v_fmac_f32_e32 v15, v39, v6
	v_fmac_f32_e32 v15, v41, v5
	s_waitcnt vmcnt(0)
	v_lshlrev_b32_e32 v5, 16, v36
	v_fmac_f32_e32 v15, v37, v5
.LBB547_20:                             ;   in Loop: Header=BB547_21 Depth=1
	s_or_b32 exec_lo, exec_lo, s4
	v_add_co_u32 v20, s3, v20, s16
	v_add_co_ci_u32_e64 v21, null, s17, v21, s3
	v_add_co_u32 v22, s3, v22, s18
	v_add_co_ci_u32_e64 v23, null, s19, v23, s3
	;; [unrolled: 2-line block ×4, first 2 shown]
	v_add_co_u32 v28, s3, v28, s18
	v_add_nc_u32_e32 v19, 64, v19
	v_add_co_ci_u32_e64 v29, null, s19, v29, s3
	v_add_co_u32 v30, s3, v30, s16
	v_add_co_ci_u32_e64 v31, null, s17, v31, s3
	v_add_co_u32 v32, s3, v32, s16
	v_add_co_ci_u32_e64 v33, null, s17, v33, s3
	v_cmp_le_i32_e64 s3, s27, v19
	v_add_co_u32 v34, s4, v34, s18
	v_add_co_ci_u32_e64 v35, null, s19, v35, s4
	s_or_b32 s29, s3, s29
	s_andn2_b32 exec_lo, exec_lo, s29
	s_cbranch_execz .LBB547_26
.LBB547_21:                             ; =>This Inner Loop Header: Depth=1
	s_and_saveexec_b32 s4, vcc_lo
	s_cbranch_execz .LBB547_20
; %bb.22:                               ;   in Loop: Header=BB547_21 Depth=1
	v_add_co_u32 v5, s3, v20, s6
	v_add_co_ci_u32_e64 v6, null, s7, v21, s3
	v_add_co_u32 v7, s3, v32, s6
	v_add_co_ci_u32_e64 v8, null, s7, v33, s3
	;; [unrolled: 2-line block ×4, first 2 shown]
	global_load_ushort v37, v[5:6], off
	global_load_ushort v39, v[7:8], off
	;; [unrolled: 1-line block ×4, first 2 shown]
	v_add_co_u32 v5, s3, v26, v3
	v_add_co_ci_u32_e64 v6, null, v27, v4, s3
	v_add_co_u32 v9, s3, v34, v3
	v_add_co_ci_u32_e64 v10, null, v35, v4, s3
	;; [unrolled: 2-line block ×4, first 2 shown]
	global_load_ushort v42, v[5:6], off
	global_load_ushort v40, v[9:10], off
	;; [unrolled: 1-line block ×4, first 2 shown]
	s_waitcnt vmcnt(7)
	v_lshlrev_b32_e32 v43, 16, v37
	s_waitcnt vmcnt(6)
	v_lshlrev_b32_e32 v39, 16, v39
	;; [unrolled: 2-line block ×4, first 2 shown]
	s_and_saveexec_b32 s3, s0
	s_cbranch_execz .LBB547_19
; %bb.23:                               ;   in Loop: Header=BB547_21 Depth=1
	global_load_ushort v47, v[5:6], off offset:64
	global_load_ushort v46, v[9:10], off offset:64
	global_load_ushort v45, v[7:8], off offset:64
	global_load_ushort v44, v[11:12], off offset:64
	s_and_saveexec_b32 s30, s1
	s_cbranch_execz .LBB547_18
; %bb.24:                               ;   in Loop: Header=BB547_21 Depth=1
	global_load_ushort v51, v[5:6], off offset:128
	global_load_ushort v50, v[9:10], off offset:128
	global_load_ushort v49, v[7:8], off offset:128
	global_load_ushort v48, v[11:12], off offset:128
	;; [unrolled: 7-line block ×3, first 2 shown]
	s_waitcnt vmcnt(3)
	v_lshlrev_b32_e32 v5, 16, v5
	s_waitcnt vmcnt(2)
	v_lshlrev_b32_e32 v6, 16, v6
	v_fmac_f32_e32 v18, v43, v5
	s_waitcnt vmcnt(1)
	v_lshlrev_b32_e32 v5, 16, v7
	v_fmac_f32_e32 v18, v39, v6
	;; [unrolled: 3-line block ×3, first 2 shown]
	v_fmac_f32_e32 v18, v37, v6
	s_branch .LBB547_17
.LBB547_26:
	s_or_b32 exec_lo, exec_lo, s29
.LBB547_27:
	s_or_b32 exec_lo, exec_lo, s28
	s_sub_i32 s0, s13, s27
	s_cmp_lt_i32 s0, 1
	s_cbranch_scc1 .LBB547_45
; %bb.28:
	v_cmp_gt_i32_e32 vcc_lo, s13, v19
	v_mov_b32_e32 v12, 0
	v_or_b32_e32 v4, 1, v19
	v_mov_b32_e32 v11, 0
	v_mov_b32_e32 v21, 0
	;; [unrolled: 1-line block ×3, first 2 shown]
	s_and_saveexec_b32 s1, vcc_lo
	s_cbranch_execz .LBB547_36
; %bb.29:
	v_mad_u64_u32 v[5:6], null, s8, v19, 0
	s_lshl_b64 s[2:3], s[10:11], 1
	v_mov_b32_e32 v20, 0
	s_add_u32 s0, s48, s2
	s_addc_u32 s2, s49, s3
	s_lshl_b64 s[6:7], s[50:51], 1
	v_mov_b32_e32 v11, 0
	v_mov_b32_e32 v3, v6
	s_add_u32 s3, s0, s6
	s_addc_u32 s4, s2, s7
	v_mov_b32_e32 v12, 0
	s_mov_b32 s2, exec_lo
	v_mad_u64_u32 v[6:7], null, s9, v19, v[3:4]
	v_lshlrev_b64 v[5:6], 1, v[5:6]
	v_add_co_u32 v5, s0, s3, v5
	v_add_co_ci_u32_e64 v6, null, s4, v6, s0
	global_load_ushort v3, v[5:6], off
	v_cmpx_gt_i32_e64 s13, v4
	s_cbranch_execz .LBB547_35
; %bb.30:
	v_mad_u64_u32 v[5:6], null, s8, v4, 0
	v_mov_b32_e32 v11, 0
	v_mov_b32_e32 v12, 0
	s_mov_b32 s6, exec_lo
	v_mad_u64_u32 v[6:7], null, s9, v4, v[6:7]
	v_lshlrev_b64 v[5:6], 1, v[5:6]
	v_add_co_u32 v5, s0, s3, v5
	v_add_co_ci_u32_e64 v6, null, s4, v6, s0
	global_load_ushort v5, v[5:6], off
	v_or_b32_e32 v6, 2, v19
	v_cmpx_gt_i32_e64 s13, v6
	s_cbranch_execz .LBB547_34
; %bb.31:
	v_mad_u64_u32 v[7:8], null, s8, v6, 0
	v_mov_b32_e32 v11, 0
	s_mov_b32 s7, exec_lo
	v_mad_u64_u32 v[8:9], null, s9, v6, v[8:9]
	v_lshlrev_b64 v[6:7], 1, v[7:8]
	v_add_co_u32 v6, s0, s3, v6
	v_add_co_ci_u32_e64 v7, null, s4, v7, s0
	global_load_ushort v6, v[6:7], off
	v_or_b32_e32 v7, 3, v19
	v_cmpx_gt_i32_e64 s13, v7
	s_cbranch_execz .LBB547_33
; %bb.32:
	v_mad_u64_u32 v[8:9], null, s8, v7, 0
	v_mad_u64_u32 v[9:10], null, s9, v7, v[9:10]
	v_lshlrev_b64 v[7:8], 1, v[8:9]
	v_add_co_u32 v7, s0, s3, v7
	v_add_co_ci_u32_e64 v8, null, s4, v8, s0
	global_load_ushort v7, v[7:8], off
	s_waitcnt vmcnt(0)
	v_lshlrev_b32_e32 v11, 16, v7
.LBB547_33:
	s_or_b32 exec_lo, exec_lo, s7
	s_waitcnt vmcnt(0)
	v_lshlrev_b32_e32 v12, 16, v6
.LBB547_34:
	s_or_b32 exec_lo, exec_lo, s6
	s_waitcnt vmcnt(0)
	v_lshlrev_b32_e32 v20, 16, v5
.LBB547_35:
	s_or_b32 exec_lo, exec_lo, s2
	s_waitcnt vmcnt(0)
	v_lshlrev_b32_e32 v21, 16, v3
.LBB547_36:
	s_or_b32 exec_lo, exec_lo, s1
	s_mov_b32 s1, exec_lo
	v_cmpx_gt_i32_e64 s12, v2
	s_cbranch_execz .LBB547_44
; %bb.37:
	v_mad_u64_u32 v[5:6], null, s44, v19, 0
	v_mad_u64_u32 v[7:8], null, s44, v4, 0
	v_ashrrev_i32_e32 v3, 31, v2
	v_or_b32_e32 v29, 2, v19
	s_lshl_b64 s[2:3], s[14:15], 1
	s_add_u32 s0, s40, s2
	v_cndmask_b32_e32 v5, 0, v5, vcc_lo
	v_mad_u64_u32 v[9:10], null, s45, v19, v[6:7]
	v_or_b32_e32 v19, 3, v19
	v_lshlrev_b64 v[22:23], 1, v[2:3]
	v_mad_u64_u32 v[24:25], null, s44, v29, 0
	v_mov_b32_e32 v3, v8
	s_addc_u32 s4, s41, s3
	v_cndmask_b32_e32 v6, 0, v9, vcc_lo
	v_cmp_gt_i32_e32 vcc_lo, s13, v4
	s_lshl_b64 s[2:3], s[42:43], 1
	v_mad_u64_u32 v[8:9], null, s44, v19, 0
	v_lshlrev_b64 v[5:6], 1, v[5:6]
	v_mad_u64_u32 v[26:27], null, s45, v4, v[3:4]
	s_add_u32 s2, s0, s2
	v_cndmask_b32_e32 v27, 0, v7, vcc_lo
	v_mov_b32_e32 v7, v25
	s_addc_u32 s3, s4, s3
	v_add_co_u32 v3, s0, s2, v5
	v_add_co_ci_u32_e64 v4, null, s3, v6, s0
	v_cndmask_b32_e32 v28, 0, v26, vcc_lo
	v_mad_u64_u32 v[25:26], null, s45, v29, v[7:8]
	v_mov_b32_e32 v7, v9
	v_add_co_u32 v3, vcc_lo, v3, v22
	v_add_co_ci_u32_e64 v4, null, v4, v23, vcc_lo
	v_cmp_gt_i32_e32 vcc_lo, s13, v29
	v_lshlrev_b64 v[5:6], 1, v[27:28]
	v_mad_u64_u32 v[26:27], null, s45, v19, v[7:8]
	v_cndmask_b32_e32 v9, 0, v24, vcc_lo
	v_cndmask_b32_e32 v10, 0, v25, vcc_lo
	v_cmp_gt_i32_e32 vcc_lo, s13, v19
	v_add_co_u32 v5, s0, s2, v5
	v_add_co_ci_u32_e64 v6, null, s3, v6, s0
	v_cndmask_b32_e32 v7, 0, v8, vcc_lo
	v_cndmask_b32_e32 v8, 0, v26, vcc_lo
	v_lshlrev_b64 v[9:10], 1, v[9:10]
	v_add_co_u32 v5, s0, v5, v22
	v_add_co_ci_u32_e64 v6, null, v6, v23, s0
	v_lshlrev_b64 v[7:8], 1, v[7:8]
	v_add_co_u32 v9, vcc_lo, s2, v9
	v_add_co_ci_u32_e64 v10, null, s3, v10, vcc_lo
	s_clause 0x1
	global_load_ushort v19, v[3:4], off
	global_load_ushort v24, v[5:6], off
	v_add_co_u32 v25, vcc_lo, s2, v7
	v_add_co_ci_u32_e64 v26, null, s3, v8, vcc_lo
	v_add_co_u32 v7, vcc_lo, v9, v22
	v_add_co_ci_u32_e64 v8, null, v10, v23, vcc_lo
	;; [unrolled: 2-line block ×3, first 2 shown]
	s_clause 0x1
	global_load_ushort v22, v[7:8], off
	global_load_ushort v23, v[9:10], off
	s_mov_b32 s0, exec_lo
	s_waitcnt vmcnt(3)
	v_lshlrev_b32_e32 v19, 16, v19
	s_waitcnt vmcnt(2)
	v_lshlrev_b32_e32 v24, 16, v24
	v_fmac_f32_e32 v15, v21, v19
	v_fmac_f32_e32 v15, v20, v24
	v_add_nc_u32_e32 v24, 32, v2
	s_waitcnt vmcnt(1)
	v_lshlrev_b32_e32 v22, 16, v22
	s_waitcnt vmcnt(0)
	v_lshlrev_b32_e32 v19, 16, v23
	v_fmac_f32_e32 v15, v12, v22
	v_cmpx_gt_i32_e64 s12, v24
	s_cbranch_execz .LBB547_43
; %bb.38:
	s_clause 0x3
	global_load_ushort v22, v[3:4], off offset:64
	global_load_ushort v23, v[5:6], off offset:64
	;; [unrolled: 1-line block ×4, first 2 shown]
	s_mov_b32 s2, exec_lo
	s_waitcnt vmcnt(3)
	v_lshlrev_b32_e32 v22, 16, v22
	s_waitcnt vmcnt(2)
	v_lshlrev_b32_e32 v23, 16, v23
	;; [unrolled: 2-line block ×3, first 2 shown]
	v_fmac_f32_e32 v16, v21, v22
	s_waitcnt vmcnt(0)
	v_lshlrev_b32_e32 v22, 16, v25
	v_fmac_f32_e32 v16, v20, v23
	v_add_nc_u32_e32 v23, 64, v2
	v_fmac_f32_e32 v16, v12, v24
	v_cmpx_gt_i32_e64 s12, v23
	s_cbranch_execz .LBB547_42
; %bb.39:
	s_clause 0x3
	global_load_ushort v23, v[3:4], off offset:128
	global_load_ushort v24, v[5:6], off offset:128
	;; [unrolled: 1-line block ×4, first 2 shown]
	s_mov_b32 s3, exec_lo
	s_waitcnt vmcnt(3)
	v_lshlrev_b32_e32 v23, 16, v23
	s_waitcnt vmcnt(2)
	v_lshlrev_b32_e32 v24, 16, v24
	v_fmac_f32_e32 v17, v21, v23
	s_waitcnt vmcnt(1)
	v_lshlrev_b32_e32 v23, 16, v25
	v_fmac_f32_e32 v17, v20, v24
	v_add_nc_u32_e32 v24, 0x60, v2
	s_waitcnt vmcnt(0)
	v_lshlrev_b32_e32 v2, 16, v26
	v_fmac_f32_e32 v17, v12, v23
	v_cmpx_gt_i32_e64 s12, v24
	s_cbranch_execz .LBB547_41
; %bb.40:
	s_clause 0x3
	global_load_ushort v3, v[3:4], off offset:192
	global_load_ushort v4, v[5:6], off offset:192
	;; [unrolled: 1-line block ×4, first 2 shown]
	s_waitcnt vmcnt(3)
	v_lshlrev_b32_e32 v3, 16, v3
	s_waitcnt vmcnt(2)
	v_lshlrev_b32_e32 v4, 16, v4
	v_fmac_f32_e32 v18, v21, v3
	s_waitcnt vmcnt(1)
	v_lshlrev_b32_e32 v3, 16, v5
	v_fmac_f32_e32 v18, v20, v4
	;; [unrolled: 3-line block ×3, first 2 shown]
	v_fmac_f32_e32 v18, v11, v4
.LBB547_41:
	s_or_b32 exec_lo, exec_lo, s3
	v_fmac_f32_e32 v17, v11, v2
.LBB547_42:
	s_or_b32 exec_lo, exec_lo, s2
	v_fmac_f32_e32 v16, v11, v22
.LBB547_43:
	s_or_b32 exec_lo, exec_lo, s0
	v_fmac_f32_e32 v15, v11, v19
.LBB547_44:
	s_or_b32 exec_lo, exec_lo, s1
.LBB547_45:
	v_lshlrev_b32_e32 v0, 2, v0
	s_mov_b32 s0, exec_lo
                                        ; implicit-def: $vgpr5
                                        ; implicit-def: $vgpr2_vgpr3
	v_lshl_add_u32 v1, v1, 9, v0
	ds_write2_b32 v1, v15, v16 offset1:32
	ds_write2_b32 v1, v17, v18 offset0:64 offset1:96
	s_waitcnt lgkmcnt(0)
	s_barrier
	buffer_gl0_inv
	v_cmpx_gt_u32_e32 0x80, v13
	s_cbranch_execz .LBB547_66
; %bb.46:
	v_lshl_add_u32 v6, v14, 2, v0
	s_mov_b32 s2, s24
	s_mov_b32 s1, exec_lo
	ds_read2st64_b32 v[0:1], v6 offset1:2
	ds_read2st64_b32 v[2:3], v6 offset0:4 offset1:6
	ds_read2st64_b32 v[4:5], v6 offset0:8 offset1:10
	s_waitcnt lgkmcnt(2)
	v_add_f32_e32 v7, v0, v1
	ds_read2st64_b32 v[0:1], v6 offset0:12 offset1:14
	s_waitcnt lgkmcnt(2)
	v_add_f32_e32 v2, v2, v7
	v_add_f32_e32 v7, v3, v2
	ds_read2st64_b32 v[2:3], v6 offset0:16 offset1:18
	s_waitcnt lgkmcnt(2)
	v_add_f32_e32 v4, v4, v7
	;; [unrolled: 4-line block ×3, first 2 shown]
	v_add_f32_e32 v0, v1, v0
	s_waitcnt lgkmcnt(1)
	v_add_f32_e32 v2, v2, v0
	ds_read2st64_b32 v[0:1], v6 offset0:24 offset1:26
	v_add_f32_e32 v2, v3, v2
	s_waitcnt lgkmcnt(1)
	v_add_f32_e32 v4, v4, v2
	ds_read2st64_b32 v[2:3], v6 offset0:28 offset1:30
	v_add_f32_e32 v4, v5, v4
                                        ; implicit-def: $vgpr5
	s_waitcnt lgkmcnt(1)
	v_add_f32_e32 v0, v0, v4
	v_add_f32_e32 v0, v1, v0
	s_waitcnt lgkmcnt(0)
	v_add_f32_e32 v1, v2, v0
	v_or_b32_e32 v0, s23, v13
	v_add_f32_e32 v1, v3, v1
                                        ; implicit-def: $vgpr2_vgpr3
	ds_write_b32 v6, v1
	v_cmpx_gt_i32_e64 s12, v0
	s_cbranch_execz .LBB547_65
; %bb.47:
	v_cmp_eq_f32_e64 s2, s25, 0
	v_mul_f32_e32 v1, s26, v1
	s_and_b32 vcc_lo, exec_lo, s2
	s_cbranch_vccz .LBB547_53
; %bb.48:
	v_and_b32_e32 v2, 0x7f800000, v1
	s_mov_b32 s2, exec_lo
                                        ; implicit-def: $vgpr5
	v_cmpx_ne_u32_e32 0x7f800000, v2
	s_xor_b32 s2, exec_lo, s2
; %bb.49:
	v_bfe_u32 v2, v1, 16, 1
	v_add3_u32 v5, v1, v2, 0x7fff
; %bb.50:
	s_andn2_saveexec_b32 s2, s2
; %bb.51:
	v_mov_b32_e32 v2, 0
	v_or_b32_e32 v3, 0x10000, v1
	v_cmp_eq_u32_sdwa vcc_lo, v1, v2 src0_sel:WORD_0 src1_sel:DWORD
	v_cndmask_b32_e32 v5, v3, v1, vcc_lo
; %bb.52:
	s_or_b32 exec_lo, exec_lo, s2
	s_mov_b32 s2, 0
	s_branch .LBB547_54
.LBB547_53:
	s_mov_b32 s2, -1
                                        ; implicit-def: $vgpr5
.LBB547_54:
	v_ashrrev_i32_e32 v2, 31, v0
	v_mul_lo_u32 v4, s21, v0
	s_andn2_b32 vcc_lo, exec_lo, s2
	v_mul_lo_u32 v6, s20, v2
	s_cbranch_vccnz .LBB547_64
; %bb.55:
	v_mad_u64_u32 v[2:3], null, s20, v0, 0
	v_add3_u32 v3, v3, v6, v4
	v_lshlrev_b64 v[2:3], 1, v[2:3]
	v_add_co_u32 v2, vcc_lo, s5, v2
	v_add_co_ci_u32_e64 v3, null, s22, v3, vcc_lo
	global_load_ushort v2, v[2:3], off
	s_waitcnt vmcnt(0)
	v_lshlrev_b32_e32 v2, 16, v2
	v_mul_f32_e32 v2, s25, v2
	v_and_b32_e32 v3, 0x7f800000, v2
	v_cmp_ne_u32_e32 vcc_lo, 0x7f800000, v3
                                        ; implicit-def: $vgpr3
	s_and_saveexec_b32 s2, vcc_lo
	s_xor_b32 s2, exec_lo, s2
; %bb.56:
	v_bfe_u32 v3, v2, 16, 1
	v_add3_u32 v3, v2, v3, 0x7fff
                                        ; implicit-def: $vgpr2
; %bb.57:
	s_andn2_saveexec_b32 s2, s2
; %bb.58:
	v_mov_b32_e32 v3, 0
	v_or_b32_e32 v5, 0x10000, v2
	v_cmp_eq_u32_sdwa vcc_lo, v2, v3 src0_sel:WORD_0 src1_sel:DWORD
	v_cndmask_b32_e32 v3, v5, v2, vcc_lo
; %bb.59:
	s_or_b32 exec_lo, exec_lo, s2
	v_and_b32_e32 v2, 0xffff0000, v3
	s_mov_b32 s2, exec_lo
                                        ; implicit-def: $vgpr5
	v_add_f32_e32 v1, v1, v2
	v_and_b32_e32 v2, 0x7f800000, v1
	v_cmpx_ne_u32_e32 0x7f800000, v2
	s_xor_b32 s2, exec_lo, s2
; %bb.60:
	v_bfe_u32 v2, v1, 16, 1
	v_add3_u32 v5, v1, v2, 0x7fff
                                        ; implicit-def: $vgpr1
; %bb.61:
	s_andn2_saveexec_b32 s2, s2
; %bb.62:
	v_mov_b32_e32 v2, 0
	v_or_b32_e32 v3, 0x10000, v1
	v_cmp_eq_u32_sdwa vcc_lo, v1, v2 src0_sel:WORD_0 src1_sel:DWORD
	v_cndmask_b32_e32 v5, v3, v1, vcc_lo
; %bb.63:
	s_or_b32 exec_lo, exec_lo, s2
.LBB547_64:
	v_mad_u64_u32 v[2:3], null, s20, v0, 0
	v_lshrrev_b32_e32 v5, 16, v5
	s_or_b32 s2, s24, exec_lo
	v_add3_u32 v3, v3, v6, v4
.LBB547_65:
	s_or_b32 exec_lo, exec_lo, s1
	s_andn2_b32 s1, s24, exec_lo
	s_and_b32 s2, s2, exec_lo
	s_or_b32 s24, s1, s2
.LBB547_66:
	s_or_b32 exec_lo, exec_lo, s0
.LBB547_67:
	s_and_saveexec_b32 s0, s24
	s_cbranch_execz .LBB547_69
; %bb.68:
	v_lshlrev_b64 v[0:1], 1, v[2:3]
	v_add_co_u32 v0, vcc_lo, s5, v0
	v_add_co_ci_u32_e64 v1, null, s22, v1, vcc_lo
	global_store_short v[0:1], v5, off
.LBB547_69:
	s_endpgm
	.section	.rodata,"a",@progbits
	.p2align	6, 0x0
	.amdhsa_kernel _ZL20rocblas_gemvn_kernelILi32ELi16El16rocblas_bfloat16PKfS0_EviiT3_lPKT2_lT1_lS6_lS7_lS3_lPT4_lS7_li
		.amdhsa_group_segment_fixed_size 8192
		.amdhsa_private_segment_fixed_size 0
		.amdhsa_kernarg_size 400
		.amdhsa_user_sgpr_count 6
		.amdhsa_user_sgpr_private_segment_buffer 1
		.amdhsa_user_sgpr_dispatch_ptr 0
		.amdhsa_user_sgpr_queue_ptr 0
		.amdhsa_user_sgpr_kernarg_segment_ptr 1
		.amdhsa_user_sgpr_dispatch_id 0
		.amdhsa_user_sgpr_flat_scratch_init 0
		.amdhsa_user_sgpr_private_segment_size 0
		.amdhsa_wavefront_size32 1
		.amdhsa_uses_dynamic_stack 0
		.amdhsa_system_sgpr_private_segment_wavefront_offset 0
		.amdhsa_system_sgpr_workgroup_id_x 1
		.amdhsa_system_sgpr_workgroup_id_y 0
		.amdhsa_system_sgpr_workgroup_id_z 1
		.amdhsa_system_sgpr_workgroup_info 0
		.amdhsa_system_vgpr_workitem_id 1
		.amdhsa_next_free_vgpr 52
		.amdhsa_next_free_sgpr 52
		.amdhsa_reserve_vcc 1
		.amdhsa_reserve_flat_scratch 0
		.amdhsa_float_round_mode_32 0
		.amdhsa_float_round_mode_16_64 0
		.amdhsa_float_denorm_mode_32 3
		.amdhsa_float_denorm_mode_16_64 3
		.amdhsa_dx10_clamp 1
		.amdhsa_ieee_mode 1
		.amdhsa_fp16_overflow 0
		.amdhsa_workgroup_processor_mode 1
		.amdhsa_memory_ordered 1
		.amdhsa_forward_progress 1
		.amdhsa_shared_vgpr_count 0
		.amdhsa_exception_fp_ieee_invalid_op 0
		.amdhsa_exception_fp_denorm_src 0
		.amdhsa_exception_fp_ieee_div_zero 0
		.amdhsa_exception_fp_ieee_overflow 0
		.amdhsa_exception_fp_ieee_underflow 0
		.amdhsa_exception_fp_ieee_inexact 0
		.amdhsa_exception_int_div_zero 0
	.end_amdhsa_kernel
	.section	.text._ZL20rocblas_gemvn_kernelILi32ELi16El16rocblas_bfloat16PKfS0_EviiT3_lPKT2_lT1_lS6_lS7_lS3_lPT4_lS7_li,"axG",@progbits,_ZL20rocblas_gemvn_kernelILi32ELi16El16rocblas_bfloat16PKfS0_EviiT3_lPKT2_lT1_lS6_lS7_lS3_lPT4_lS7_li,comdat
.Lfunc_end547:
	.size	_ZL20rocblas_gemvn_kernelILi32ELi16El16rocblas_bfloat16PKfS0_EviiT3_lPKT2_lT1_lS6_lS7_lS3_lPT4_lS7_li, .Lfunc_end547-_ZL20rocblas_gemvn_kernelILi32ELi16El16rocblas_bfloat16PKfS0_EviiT3_lPKT2_lT1_lS6_lS7_lS3_lPT4_lS7_li
                                        ; -- End function
	.set _ZL20rocblas_gemvn_kernelILi32ELi16El16rocblas_bfloat16PKfS0_EviiT3_lPKT2_lT1_lS6_lS7_lS3_lPT4_lS7_li.num_vgpr, 52
	.set _ZL20rocblas_gemvn_kernelILi32ELi16El16rocblas_bfloat16PKfS0_EviiT3_lPKT2_lT1_lS6_lS7_lS3_lPT4_lS7_li.num_agpr, 0
	.set _ZL20rocblas_gemvn_kernelILi32ELi16El16rocblas_bfloat16PKfS0_EviiT3_lPKT2_lT1_lS6_lS7_lS3_lPT4_lS7_li.numbered_sgpr, 52
	.set _ZL20rocblas_gemvn_kernelILi32ELi16El16rocblas_bfloat16PKfS0_EviiT3_lPKT2_lT1_lS6_lS7_lS3_lPT4_lS7_li.num_named_barrier, 0
	.set _ZL20rocblas_gemvn_kernelILi32ELi16El16rocblas_bfloat16PKfS0_EviiT3_lPKT2_lT1_lS6_lS7_lS3_lPT4_lS7_li.private_seg_size, 0
	.set _ZL20rocblas_gemvn_kernelILi32ELi16El16rocblas_bfloat16PKfS0_EviiT3_lPKT2_lT1_lS6_lS7_lS3_lPT4_lS7_li.uses_vcc, 1
	.set _ZL20rocblas_gemvn_kernelILi32ELi16El16rocblas_bfloat16PKfS0_EviiT3_lPKT2_lT1_lS6_lS7_lS3_lPT4_lS7_li.uses_flat_scratch, 0
	.set _ZL20rocblas_gemvn_kernelILi32ELi16El16rocblas_bfloat16PKfS0_EviiT3_lPKT2_lT1_lS6_lS7_lS3_lPT4_lS7_li.has_dyn_sized_stack, 0
	.set _ZL20rocblas_gemvn_kernelILi32ELi16El16rocblas_bfloat16PKfS0_EviiT3_lPKT2_lT1_lS6_lS7_lS3_lPT4_lS7_li.has_recursion, 0
	.set _ZL20rocblas_gemvn_kernelILi32ELi16El16rocblas_bfloat16PKfS0_EviiT3_lPKT2_lT1_lS6_lS7_lS3_lPT4_lS7_li.has_indirect_call, 0
	.section	.AMDGPU.csdata,"",@progbits
; Kernel info:
; codeLenInByte = 3712
; TotalNumSgprs: 54
; NumVgprs: 52
; ScratchSize: 0
; MemoryBound: 0
; FloatMode: 240
; IeeeMode: 1
; LDSByteSize: 8192 bytes/workgroup (compile time only)
; SGPRBlocks: 0
; VGPRBlocks: 6
; NumSGPRsForWavesPerEU: 54
; NumVGPRsForWavesPerEU: 52
; Occupancy: 16
; WaveLimiterHint : 0
; COMPUTE_PGM_RSRC2:SCRATCH_EN: 0
; COMPUTE_PGM_RSRC2:USER_SGPR: 6
; COMPUTE_PGM_RSRC2:TRAP_HANDLER: 0
; COMPUTE_PGM_RSRC2:TGID_X_EN: 1
; COMPUTE_PGM_RSRC2:TGID_Y_EN: 0
; COMPUTE_PGM_RSRC2:TGID_Z_EN: 1
; COMPUTE_PGM_RSRC2:TIDIG_COMP_CNT: 1
	.section	.text._ZL20rocblas_gemvn_kernelILi32ELi16Ei16rocblas_bfloat16fS0_EviiT3_lPKT2_lT1_lS4_lS5_lS1_lPT4_lS5_li,"axG",@progbits,_ZL20rocblas_gemvn_kernelILi32ELi16Ei16rocblas_bfloat16fS0_EviiT3_lPKT2_lT1_lS4_lS5_lS1_lPT4_lS5_li,comdat
	.globl	_ZL20rocblas_gemvn_kernelILi32ELi16Ei16rocblas_bfloat16fS0_EviiT3_lPKT2_lT1_lS4_lS5_lS1_lPT4_lS5_li ; -- Begin function _ZL20rocblas_gemvn_kernelILi32ELi16Ei16rocblas_bfloat16fS0_EviiT3_lPKT2_lT1_lS4_lS5_lS1_lPT4_lS5_li
	.p2align	8
	.type	_ZL20rocblas_gemvn_kernelILi32ELi16Ei16rocblas_bfloat16fS0_EviiT3_lPKT2_lT1_lS4_lS5_lS1_lPT4_lS5_li,@function
_ZL20rocblas_gemvn_kernelILi32ELi16Ei16rocblas_bfloat16fS0_EviiT3_lPKT2_lT1_lS4_lS5_lS1_lPT4_lS5_li: ; @_ZL20rocblas_gemvn_kernelILi32ELi16Ei16rocblas_bfloat16fS0_EviiT3_lPKT2_lT1_lS4_lS5_lS1_lPT4_lS5_li
; %bb.0:
	s_load_dwordx2 s[0:1], s[4:5], 0x9c
	s_waitcnt lgkmcnt(0)
	s_lshr_b32 s2, s0, 16
	s_and_b32 s0, s0, 0xffff
	s_and_b32 s1, s1, 0xffff
	s_mul_i32 s0, s2, s0
	s_mul_i32 s0, s0, s1
	s_cmpk_lg_i32 s0, 0x200
	s_cbranch_scc1 .LBB548_69
; %bb.1:
	s_clause 0x1
	s_load_dwordx4 s[8:11], s[4:5], 0x0
	s_load_dword s14, s[4:5], 0x58
	s_mov_b32 s13, 0
	s_waitcnt lgkmcnt(0)
	v_cmp_eq_f32_e64 s0, s10, 0
	v_cmp_eq_f32_e64 s1, s14, 1.0
	s_and_b32 s0, s0, s1
	s_and_b32 vcc_lo, exec_lo, s0
	s_cbranch_vccnz .LBB548_69
; %bb.2:
	s_clause 0x2
	s_load_dwordx2 s[16:17], s[4:5], 0x80
	s_load_dwordx4 s[0:3], s[4:5], 0x68
	s_load_dword s15, s[4:5], 0x78
	v_lshlrev_b32_e32 v14, 5, v1
	v_cmp_neq_f32_e64 s18, s10, 0
	v_add_nc_u32_e32 v13, v14, v0
	s_waitcnt lgkmcnt(0)
	s_mul_i32 s11, s17, s7
	s_mul_hi_u32 s12, s16, s7
	s_mul_i32 s16, s16, s7
	s_add_i32 s17, s12, s11
	s_lshl_b64 s[16:17], s[16:17], 1
	s_add_u32 s11, s0, s16
	s_addc_u32 s12, s1, s17
	s_lshl_b64 s[0:1], s[2:3], 1
	s_add_u32 s11, s11, s0
	v_cmp_gt_u32_e64 s0, 0x80, v13
	s_addc_u32 s12, s12, s1
	s_and_b32 vcc_lo, exec_lo, s18
	s_cbranch_vccnz .LBB548_13
; %bb.3:
	s_mov_b32 s1, 0
                                        ; implicit-def: $vgpr5
                                        ; implicit-def: $vgpr2_vgpr3
	s_and_saveexec_b32 s2, s0
	s_cbranch_execz .LBB548_14
; %bb.4:
	v_lshl_or_b32 v4, s6, 7, v13
	v_mov_b32_e32 v5, 0
	s_ashr_i32 s17, s8, 31
	s_mov_b32 s16, s8
	s_mov_b32 s3, 0
	s_mov_b32 s0, exec_lo
                                        ; implicit-def: $vgpr2_vgpr3
	v_cmpx_gt_i64_e64 s[16:17], v[4:5]
	s_cbranch_execz .LBB548_12
; %bb.5:
	v_mad_u64_u32 v[2:3], null, s15, v4, 0
	s_ashr_i32 s3, s15, 31
	v_mad_u64_u32 v[3:4], null, s3, v4, v[3:4]
	v_cmp_eq_f32_e64 s3, s14, 0
	s_and_b32 vcc_lo, exec_lo, s3
	s_cbranch_vccnz .LBB548_11
; %bb.6:
	v_lshlrev_b64 v[4:5], 1, v[2:3]
	v_add_co_u32 v4, vcc_lo, s11, v4
	v_add_co_ci_u32_e64 v5, null, s12, v5, vcc_lo
	global_load_ushort v4, v[4:5], off
	s_waitcnt vmcnt(0)
	v_lshlrev_b32_e32 v4, 16, v4
	v_mul_f32_e32 v4, s14, v4
	v_and_b32_e32 v5, 0x7f800000, v4
	v_cmp_ne_u32_e32 vcc_lo, 0x7f800000, v5
                                        ; implicit-def: $vgpr5
	s_and_saveexec_b32 s3, vcc_lo
	s_xor_b32 s3, exec_lo, s3
; %bb.7:
	v_bfe_u32 v5, v4, 16, 1
	v_add3_u32 v5, v4, v5, 0x7fff
                                        ; implicit-def: $vgpr4
; %bb.8:
	s_andn2_saveexec_b32 s3, s3
; %bb.9:
	v_mov_b32_e32 v5, 0
	v_or_b32_e32 v6, 0x10000, v4
	v_cmp_eq_u32_sdwa vcc_lo, v4, v5 src0_sel:WORD_0 src1_sel:DWORD
	v_cndmask_b32_e32 v5, v6, v4, vcc_lo
; %bb.10:
	s_or_b32 exec_lo, exec_lo, s3
	v_lshrrev_b32_e32 v5, 16, v5
.LBB548_11:
	s_mov_b32 s3, exec_lo
.LBB548_12:
	s_or_b32 exec_lo, exec_lo, s0
	s_and_b32 s13, s3, exec_lo
	s_or_b32 exec_lo, exec_lo, s2
	s_and_b32 vcc_lo, exec_lo, s1
	s_cbranch_vccnz .LBB548_15
	s_branch .LBB548_67
.LBB548_13:
                                        ; implicit-def: $vgpr5
                                        ; implicit-def: $vgpr2_vgpr3
	s_cbranch_execnz .LBB548_15
	s_branch .LBB548_67
.LBB548_14:
	s_or_b32 exec_lo, exec_lo, s2
	s_and_b32 vcc_lo, exec_lo, s1
	s_cbranch_vccz .LBB548_67
.LBB548_15:
	s_clause 0x5
	s_load_dwordx4 s[0:3], s[4:5], 0x30
	s_load_dwordx2 s[18:19], s[4:5], 0x50
	s_load_dwordx4 s[20:23], s[4:5], 0x18
	s_load_dword s16, s[4:5], 0x28
	s_load_dwordx2 s[24:25], s[4:5], 0x40
	s_load_dword s4, s[4:5], 0x48
	v_lshlrev_b32_e32 v20, 2, v1
	v_mov_b32_e32 v15, 0
	v_mov_b32_e32 v16, 0
	;; [unrolled: 1-line block ×4, first 2 shown]
	s_waitcnt lgkmcnt(0)
	s_mul_i32 s1, s1, s7
	s_mul_hi_u32 s17, s0, s7
	s_mul_i32 s0, s0, s7
	s_add_i32 s1, s17, s1
	s_mul_i32 s19, s19, s7
	s_lshl_b64 s[0:1], s[0:1], 1
	s_mul_hi_u32 s26, s18, s7
	s_add_u32 s17, s20, s0
	s_addc_u32 s20, s21, s1
	s_lshl_b64 s[0:1], s[22:23], 1
	s_mul_i32 s18, s18, s7
	s_add_u32 s7, s17, s0
	s_addc_u32 s17, s20, s1
	s_add_i32 s19, s26, s19
	s_mov_b32 s20, exec_lo
	s_lshl_b64 s[0:1], s[18:19], 1
	s_add_u32 s2, s2, s0
	s_addc_u32 s3, s3, s1
	s_lshl_b64 s[0:1], s[24:25], 1
	s_add_u32 s18, s2, s0
	s_addc_u32 s19, s3, s1
	s_ashr_i32 s0, s9, 31
	s_lshl_b32 s5, s6, 7
	s_lshr_b32 s0, s0, 26
	v_add_nc_u32_e32 v19, s5, v0
	s_add_i32 s0, s9, s0
	s_and_b32 s6, s0, 0xffffffc0
	v_cmpx_gt_i32_e64 s6, v20
	s_cbranch_execz .LBB548_27
; %bb.16:
	v_add_nc_u32_e32 v5, 0x60, v19
	v_mul_lo_u32 v3, s16, v20
	v_add_nc_u32_e32 v2, 32, v19
	v_add_nc_u32_e32 v6, 2, v20
	;; [unrolled: 1-line block ×3, first 2 shown]
	v_cmp_gt_i32_e64 s2, s8, v5
	v_mul_lo_u32 v5, v1, s16
	v_add_nc_u32_e32 v7, 3, v20
	v_mul_lo_u32 v8, v1, s4
	v_cmp_gt_i32_e64 s0, s8, v2
	v_add3_u32 v21, v3, s16, v0
	v_mad_u64_u32 v[2:3], null, s16, v6, v[0:1]
	v_cmp_gt_i32_e64 s1, s8, v4
	v_mad_u64_u32 v[3:4], null, s16, v7, v[0:1]
	v_lshl_add_u32 v22, v5, 2, v0
	v_mad_u64_u32 v[4:5], null, s4, v20, s[4:5]
	v_mul_lo_u32 v23, s4, v6
	v_mul_lo_u32 v24, s4, v7
	v_lshlrev_b32_e32 v25, 2, v8
	v_mov_b32_e32 v15, 0
	v_mov_b32_e32 v16, 0
	;; [unrolled: 1-line block ×4, first 2 shown]
	s_lshl_b32 s21, s16, 6
	s_lshl_b32 s23, s4, 6
	s_mov_b32 s22, 0
	s_mov_b32 s24, 0
	v_cmp_gt_i32_e32 vcc_lo, s8, v19
	s_branch .LBB548_21
.LBB548_17:                             ;   in Loop: Header=BB548_21 Depth=1
	s_or_b32 exec_lo, exec_lo, s27
	s_waitcnt vmcnt(3)
	v_lshlrev_b32_e32 v5, 16, v41
	s_waitcnt vmcnt(2)
	v_lshlrev_b32_e32 v6, 16, v40
	v_fmac_f32_e32 v17, v33, v5
	s_waitcnt vmcnt(1)
	v_lshlrev_b32_e32 v5, 16, v39
	v_fmac_f32_e32 v17, v29, v6
	v_fmac_f32_e32 v17, v31, v5
	s_waitcnt vmcnt(0)
	v_lshlrev_b32_e32 v5, 16, v38
	v_fmac_f32_e32 v17, v27, v5
.LBB548_18:                             ;   in Loop: Header=BB548_21 Depth=1
	s_or_b32 exec_lo, exec_lo, s26
	s_waitcnt vmcnt(3)
	v_lshlrev_b32_e32 v5, 16, v37
	s_waitcnt vmcnt(2)
	v_lshlrev_b32_e32 v6, 16, v36
	v_fmac_f32_e32 v16, v33, v5
	s_waitcnt vmcnt(1)
	v_lshlrev_b32_e32 v5, 16, v35
	v_fmac_f32_e32 v16, v29, v6
	v_fmac_f32_e32 v16, v31, v5
	s_waitcnt vmcnt(0)
	v_lshlrev_b32_e32 v5, 16, v34
	v_fmac_f32_e32 v16, v27, v5
.LBB548_19:                             ;   in Loop: Header=BB548_21 Depth=1
	s_or_b32 exec_lo, exec_lo, s3
	s_waitcnt vmcnt(3)
	v_lshlrev_b32_e32 v5, 16, v32
	s_waitcnt vmcnt(2)
	v_lshlrev_b32_e32 v6, 16, v30
	v_fmac_f32_e32 v15, v33, v5
	s_waitcnt vmcnt(1)
	v_lshlrev_b32_e32 v5, 16, v28
	v_fmac_f32_e32 v15, v29, v6
	v_fmac_f32_e32 v15, v31, v5
	s_waitcnt vmcnt(0)
	v_lshlrev_b32_e32 v5, 16, v26
	v_fmac_f32_e32 v15, v27, v5
.LBB548_20:                             ;   in Loop: Header=BB548_21 Depth=1
	s_or_b32 exec_lo, exec_lo, s25
	v_add_nc_u32_e32 v20, 64, v20
	v_add_nc_u32_e32 v21, s21, v21
	;; [unrolled: 1-line block ×5, first 2 shown]
	v_cmp_le_i32_e64 s3, s6, v20
	s_add_i32 s24, s24, s23
	s_or_b32 s22, s3, s22
	s_andn2_b32 exec_lo, exec_lo, s22
	s_cbranch_execz .LBB548_26
.LBB548_21:                             ; =>This Inner Loop Header: Depth=1
	s_and_saveexec_b32 s25, vcc_lo
	s_cbranch_execz .LBB548_20
; %bb.22:                               ;   in Loop: Header=BB548_21 Depth=1
	v_add_nc_u32_e32 v5, s24, v25
	v_add_nc_u32_e32 v7, s24, v4
	;; [unrolled: 1-line block ×5, first 2 shown]
	v_ashrrev_i32_e32 v6, 31, v5
	v_ashrrev_i32_e32 v8, 31, v7
	;; [unrolled: 1-line block ×5, first 2 shown]
	v_lshlrev_b64 v[5:6], 1, v[5:6]
	v_lshlrev_b64 v[7:8], 1, v[7:8]
	;; [unrolled: 1-line block ×4, first 2 shown]
	v_add_nc_u32_e32 v28, s5, v21
	v_add_nc_u32_e32 v30, s5, v2
	v_add_co_u32 v5, s3, s18, v5
	v_add_co_ci_u32_e64 v6, null, s19, v6, s3
	v_add_co_u32 v7, s3, s18, v7
	v_add_co_ci_u32_e64 v8, null, s19, v8, s3
	;; [unrolled: 2-line block ×4, first 2 shown]
	v_lshlrev_b64 v[26:27], 1, v[26:27]
	s_clause 0x3
	global_load_ushort v33, v[5:6], off
	global_load_ushort v34, v[7:8], off
	;; [unrolled: 1-line block ×4, first 2 shown]
	v_add_nc_u32_e32 v9, s5, v3
	v_ashrrev_i32_e32 v29, 31, v28
	v_ashrrev_i32_e32 v31, 31, v30
	v_add_co_u32 v5, s3, s7, v26
	v_ashrrev_i32_e32 v10, 31, v9
	v_lshlrev_b64 v[7:8], 1, v[28:29]
	v_add_co_ci_u32_e64 v6, null, s17, v27, s3
	v_lshlrev_b64 v[26:27], 1, v[30:31]
	v_lshlrev_b64 v[9:10], 1, v[9:10]
	v_add_co_u32 v11, s3, s7, v7
	v_add_co_ci_u32_e64 v12, null, s17, v8, s3
	v_add_co_u32 v7, s3, s7, v26
	v_add_co_ci_u32_e64 v8, null, s17, v27, s3
	;; [unrolled: 2-line block ×3, first 2 shown]
	s_clause 0x3
	global_load_ushort v32, v[5:6], off
	global_load_ushort v30, v[11:12], off
	;; [unrolled: 1-line block ×4, first 2 shown]
	s_waitcnt vmcnt(7)
	v_lshlrev_b32_e32 v33, 16, v33
	s_waitcnt vmcnt(6)
	v_lshlrev_b32_e32 v29, 16, v34
	;; [unrolled: 2-line block ×4, first 2 shown]
	s_and_saveexec_b32 s3, s0
	s_cbranch_execz .LBB548_19
; %bb.23:                               ;   in Loop: Header=BB548_21 Depth=1
	s_clause 0x3
	global_load_ushort v37, v[5:6], off offset:64
	global_load_ushort v36, v[11:12], off offset:64
	global_load_ushort v35, v[7:8], off offset:64
	global_load_ushort v34, v[9:10], off offset:64
	s_and_saveexec_b32 s26, s1
	s_cbranch_execz .LBB548_18
; %bb.24:                               ;   in Loop: Header=BB548_21 Depth=1
	s_clause 0x3
	global_load_ushort v41, v[5:6], off offset:128
	global_load_ushort v40, v[11:12], off offset:128
	global_load_ushort v39, v[7:8], off offset:128
	global_load_ushort v38, v[9:10], off offset:128
	;; [unrolled: 8-line block ×3, first 2 shown]
	s_waitcnt vmcnt(3)
	v_lshlrev_b32_e32 v5, 16, v5
	s_waitcnt vmcnt(2)
	v_lshlrev_b32_e32 v6, 16, v6
	v_fmac_f32_e32 v18, v33, v5
	s_waitcnt vmcnt(1)
	v_lshlrev_b32_e32 v5, 16, v7
	v_fmac_f32_e32 v18, v29, v6
	;; [unrolled: 3-line block ×3, first 2 shown]
	v_fmac_f32_e32 v18, v27, v6
	s_branch .LBB548_17
.LBB548_26:
	s_or_b32 exec_lo, exec_lo, s22
.LBB548_27:
	s_or_b32 exec_lo, exec_lo, s20
	s_sub_i32 s0, s9, s6
	s_cmp_lt_i32 s0, 1
	s_cbranch_scc1 .LBB548_45
; %bb.28:
	v_cmp_gt_i32_e32 vcc_lo, s9, v20
	v_mov_b32_e32 v11, 0
	v_or_b32_e32 v2, 1, v20
	v_mov_b32_e32 v10, 0
	v_mov_b32_e32 v21, 0
	;; [unrolled: 1-line block ×3, first 2 shown]
	s_and_saveexec_b32 s1, vcc_lo
	s_cbranch_execz .LBB548_36
; %bb.29:
	v_mul_lo_u32 v3, v20, s4
	v_mov_b32_e32 v12, 0
	v_mov_b32_e32 v10, 0
	;; [unrolled: 1-line block ×3, first 2 shown]
	s_mov_b32 s2, exec_lo
	v_ashrrev_i32_e32 v4, 31, v3
	v_lshlrev_b64 v[3:4], 1, v[3:4]
	v_add_co_u32 v3, s0, s18, v3
	v_add_co_ci_u32_e64 v4, null, s19, v4, s0
	global_load_ushort v3, v[3:4], off
	v_cmpx_gt_i32_e64 s9, v2
	s_cbranch_execz .LBB548_35
; %bb.30:
	v_mul_lo_u32 v4, v2, s4
	v_mov_b32_e32 v10, 0
	v_mov_b32_e32 v11, 0
	s_mov_b32 s3, exec_lo
	v_ashrrev_i32_e32 v5, 31, v4
	v_lshlrev_b64 v[4:5], 1, v[4:5]
	v_add_co_u32 v4, s0, s18, v4
	v_add_co_ci_u32_e64 v5, null, s19, v5, s0
	global_load_ushort v4, v[4:5], off
	v_or_b32_e32 v5, 2, v20
	v_cmpx_gt_i32_e64 s9, v5
	s_cbranch_execz .LBB548_34
; %bb.31:
	v_mul_lo_u32 v5, v5, s4
	v_mov_b32_e32 v10, 0
	s_mov_b32 s6, exec_lo
	v_ashrrev_i32_e32 v6, 31, v5
	v_lshlrev_b64 v[5:6], 1, v[5:6]
	v_add_co_u32 v5, s0, s18, v5
	v_add_co_ci_u32_e64 v6, null, s19, v6, s0
	global_load_ushort v5, v[5:6], off
	v_or_b32_e32 v6, 3, v20
	v_cmpx_gt_i32_e64 s9, v6
	s_cbranch_execz .LBB548_33
; %bb.32:
	v_mul_lo_u32 v6, v6, s4
	v_ashrrev_i32_e32 v7, 31, v6
	v_lshlrev_b64 v[6:7], 1, v[6:7]
	v_add_co_u32 v6, s0, s18, v6
	v_add_co_ci_u32_e64 v7, null, s19, v7, s0
	global_load_ushort v6, v[6:7], off
	s_waitcnt vmcnt(0)
	v_lshlrev_b32_e32 v10, 16, v6
.LBB548_33:
	s_or_b32 exec_lo, exec_lo, s6
	s_waitcnt vmcnt(0)
	v_lshlrev_b32_e32 v11, 16, v5
.LBB548_34:
	s_or_b32 exec_lo, exec_lo, s3
	s_waitcnt vmcnt(0)
	v_lshlrev_b32_e32 v12, 16, v4
.LBB548_35:
	s_or_b32 exec_lo, exec_lo, s2
	s_waitcnt vmcnt(0)
	v_lshlrev_b32_e32 v21, 16, v3
.LBB548_36:
	s_or_b32 exec_lo, exec_lo, s1
	s_mov_b32 s1, exec_lo
	v_cmpx_gt_i32_e64 s8, v19
	s_cbranch_execz .LBB548_44
; %bb.37:
	v_mul_lo_u32 v3, v20, s16
	v_mul_lo_u32 v4, v2, s16
	v_or_b32_e32 v5, 2, v20
	v_or_b32_e32 v6, 3, v20
	s_mov_b32 s0, exec_lo
	v_mul_lo_u32 v7, v5, s16
	v_cndmask_b32_e32 v3, 0, v3, vcc_lo
	v_cmp_gt_i32_e32 vcc_lo, s9, v2
	v_mul_lo_u32 v8, v6, s16
	v_add_nc_u32_e32 v2, v3, v19
	v_cndmask_b32_e32 v4, 0, v4, vcc_lo
	v_cmp_gt_i32_e32 vcc_lo, s9, v5
	v_ashrrev_i32_e32 v3, 31, v2
	v_add_nc_u32_e32 v4, v4, v19
	v_cndmask_b32_e32 v7, 0, v7, vcc_lo
	v_cmp_gt_i32_e32 vcc_lo, s9, v6
	v_lshlrev_b64 v[2:3], 1, v[2:3]
	v_ashrrev_i32_e32 v5, 31, v4
	v_add_nc_u32_e32 v6, v7, v19
	v_cndmask_b32_e32 v8, 0, v8, vcc_lo
	v_lshlrev_b64 v[4:5], 1, v[4:5]
	v_ashrrev_i32_e32 v7, 31, v6
	v_add_nc_u32_e32 v8, v8, v19
	v_add_co_u32 v2, vcc_lo, s7, v2
	v_add_co_ci_u32_e64 v3, null, s17, v3, vcc_lo
	v_ashrrev_i32_e32 v9, 31, v8
	v_add_co_u32 v4, vcc_lo, s7, v4
	v_add_co_ci_u32_e64 v5, null, s17, v5, vcc_lo
	v_lshlrev_b64 v[6:7], 1, v[6:7]
	v_lshlrev_b64 v[8:9], 1, v[8:9]
	s_clause 0x1
	global_load_ushort v20, v[2:3], off
	global_load_ushort v22, v[4:5], off
	v_add_co_u32 v6, vcc_lo, s7, v6
	v_add_co_ci_u32_e64 v7, null, s17, v7, vcc_lo
	v_add_co_u32 v8, vcc_lo, s7, v8
	v_add_co_ci_u32_e64 v9, null, s17, v9, vcc_lo
	s_clause 0x1
	global_load_ushort v23, v[6:7], off
	global_load_ushort v24, v[8:9], off
	s_waitcnt vmcnt(3)
	v_lshlrev_b32_e32 v20, 16, v20
	s_waitcnt vmcnt(2)
	v_lshlrev_b32_e32 v22, 16, v22
	v_fmac_f32_e32 v15, v21, v20
	v_fmac_f32_e32 v15, v12, v22
	v_add_nc_u32_e32 v22, 32, v19
	s_waitcnt vmcnt(1)
	v_lshlrev_b32_e32 v23, 16, v23
	s_waitcnt vmcnt(0)
	v_lshlrev_b32_e32 v20, 16, v24
	v_fmac_f32_e32 v15, v11, v23
	v_cmpx_gt_i32_e64 s8, v22
	s_cbranch_execz .LBB548_43
; %bb.38:
	s_clause 0x3
	global_load_ushort v22, v[2:3], off offset:64
	global_load_ushort v23, v[4:5], off offset:64
	global_load_ushort v24, v[6:7], off offset:64
	global_load_ushort v25, v[8:9], off offset:64
	s_mov_b32 s2, exec_lo
	s_waitcnt vmcnt(3)
	v_lshlrev_b32_e32 v22, 16, v22
	s_waitcnt vmcnt(2)
	v_lshlrev_b32_e32 v23, 16, v23
	;; [unrolled: 2-line block ×3, first 2 shown]
	v_fmac_f32_e32 v16, v21, v22
	s_waitcnt vmcnt(0)
	v_lshlrev_b32_e32 v22, 16, v25
	v_fmac_f32_e32 v16, v12, v23
	v_add_nc_u32_e32 v23, 64, v19
	v_fmac_f32_e32 v16, v11, v24
	v_cmpx_gt_i32_e64 s8, v23
	s_cbranch_execz .LBB548_42
; %bb.39:
	s_clause 0x3
	global_load_ushort v23, v[2:3], off offset:128
	global_load_ushort v24, v[4:5], off offset:128
	;; [unrolled: 1-line block ×4, first 2 shown]
	s_mov_b32 s3, exec_lo
	s_waitcnt vmcnt(3)
	v_lshlrev_b32_e32 v23, 16, v23
	s_waitcnt vmcnt(2)
	v_lshlrev_b32_e32 v24, 16, v24
	v_fmac_f32_e32 v17, v21, v23
	s_waitcnt vmcnt(1)
	v_lshlrev_b32_e32 v23, 16, v25
	v_fmac_f32_e32 v17, v12, v24
	v_add_nc_u32_e32 v24, 0x60, v19
	s_waitcnt vmcnt(0)
	v_lshlrev_b32_e32 v19, 16, v26
	v_fmac_f32_e32 v17, v11, v23
	v_cmpx_gt_i32_e64 s8, v24
	s_cbranch_execz .LBB548_41
; %bb.40:
	s_clause 0x3
	global_load_ushort v2, v[2:3], off offset:192
	global_load_ushort v3, v[4:5], off offset:192
	;; [unrolled: 1-line block ×4, first 2 shown]
	s_waitcnt vmcnt(3)
	v_lshlrev_b32_e32 v2, 16, v2
	s_waitcnt vmcnt(2)
	v_lshlrev_b32_e32 v3, 16, v3
	v_fmac_f32_e32 v18, v21, v2
	s_waitcnt vmcnt(1)
	v_lshlrev_b32_e32 v2, 16, v4
	v_fmac_f32_e32 v18, v12, v3
	;; [unrolled: 3-line block ×3, first 2 shown]
	v_fmac_f32_e32 v18, v10, v3
.LBB548_41:
	s_or_b32 exec_lo, exec_lo, s3
	v_fmac_f32_e32 v17, v10, v19
.LBB548_42:
	s_or_b32 exec_lo, exec_lo, s2
	v_fmac_f32_e32 v16, v10, v22
.LBB548_43:
	s_or_b32 exec_lo, exec_lo, s0
	v_fmac_f32_e32 v15, v10, v20
.LBB548_44:
	s_or_b32 exec_lo, exec_lo, s1
.LBB548_45:
	v_lshlrev_b32_e32 v0, 2, v0
	s_mov_b32 s0, exec_lo
                                        ; implicit-def: $vgpr5
                                        ; implicit-def: $vgpr2_vgpr3
	v_lshl_add_u32 v1, v1, 9, v0
	ds_write2_b32 v1, v15, v16 offset1:32
	ds_write2_b32 v1, v17, v18 offset0:64 offset1:96
	s_waitcnt lgkmcnt(0)
	s_barrier
	buffer_gl0_inv
	v_cmpx_gt_u32_e32 0x80, v13
	s_cbranch_execz .LBB548_66
; %bb.46:
	v_lshl_add_u32 v6, v14, 2, v0
	s_mov_b32 s2, s13
	s_mov_b32 s1, exec_lo
	ds_read2st64_b32 v[0:1], v6 offset1:2
	ds_read2st64_b32 v[2:3], v6 offset0:4 offset1:6
	ds_read2st64_b32 v[4:5], v6 offset0:8 offset1:10
	s_waitcnt lgkmcnt(2)
	v_add_f32_e32 v7, v0, v1
	ds_read2st64_b32 v[0:1], v6 offset0:12 offset1:14
	s_waitcnt lgkmcnt(2)
	v_add_f32_e32 v2, v2, v7
	v_add_f32_e32 v7, v3, v2
	ds_read2st64_b32 v[2:3], v6 offset0:16 offset1:18
	s_waitcnt lgkmcnt(2)
	v_add_f32_e32 v4, v4, v7
	;; [unrolled: 4-line block ×3, first 2 shown]
	v_add_f32_e32 v0, v1, v0
	s_waitcnt lgkmcnt(1)
	v_add_f32_e32 v2, v2, v0
	ds_read2st64_b32 v[0:1], v6 offset0:24 offset1:26
	v_add_f32_e32 v2, v3, v2
	s_waitcnt lgkmcnt(1)
	v_add_f32_e32 v4, v4, v2
	ds_read2st64_b32 v[2:3], v6 offset0:28 offset1:30
	v_add_f32_e32 v4, v5, v4
                                        ; implicit-def: $vgpr5
	s_waitcnt lgkmcnt(1)
	v_add_f32_e32 v0, v0, v4
	v_or_b32_e32 v4, s5, v13
	v_add_f32_e32 v0, v1, v0
	s_waitcnt lgkmcnt(0)
	v_add_f32_e32 v0, v2, v0
	v_add_f32_e32 v0, v3, v0
                                        ; implicit-def: $vgpr2_vgpr3
	ds_write_b32 v6, v0
	v_cmpx_gt_i32_e64 s8, v4
	s_cbranch_execz .LBB548_65
; %bb.47:
	v_cmp_eq_f32_e64 s2, s14, 0
	v_mul_f32_e32 v0, s10, v0
	s_and_b32 vcc_lo, exec_lo, s2
	s_cbranch_vccz .LBB548_53
; %bb.48:
	v_and_b32_e32 v1, 0x7f800000, v0
	v_cmp_ne_u32_e32 vcc_lo, 0x7f800000, v1
                                        ; implicit-def: $vgpr1
	s_and_saveexec_b32 s2, vcc_lo
	s_xor_b32 s2, exec_lo, s2
; %bb.49:
	v_bfe_u32 v1, v0, 16, 1
	v_add3_u32 v1, v0, v1, 0x7fff
; %bb.50:
	s_andn2_saveexec_b32 s2, s2
; %bb.51:
	v_mov_b32_e32 v1, 0
	v_or_b32_e32 v2, 0x10000, v0
	v_cmp_eq_u32_sdwa vcc_lo, v0, v1 src0_sel:WORD_0 src1_sel:DWORD
	v_cndmask_b32_e32 v1, v2, v0, vcc_lo
; %bb.52:
	s_or_b32 exec_lo, exec_lo, s2
	s_mov_b32 s2, 0
	s_branch .LBB548_54
.LBB548_53:
	s_mov_b32 s2, -1
                                        ; implicit-def: $vgpr1
.LBB548_54:
	v_mul_lo_u32 v2, s15, v4
	s_andn2_b32 vcc_lo, exec_lo, s2
	v_ashrrev_i32_e32 v3, 31, v2
	s_cbranch_vccnz .LBB548_64
; %bb.55:
	v_lshlrev_b64 v[4:5], 1, v[2:3]
	v_add_co_u32 v4, vcc_lo, s11, v4
	v_add_co_ci_u32_e64 v5, null, s12, v5, vcc_lo
	global_load_ushort v1, v[4:5], off
	s_waitcnt vmcnt(0)
	v_lshlrev_b32_e32 v1, 16, v1
	v_mul_f32_e32 v1, s14, v1
	v_and_b32_e32 v4, 0x7f800000, v1
	v_cmp_ne_u32_e32 vcc_lo, 0x7f800000, v4
                                        ; implicit-def: $vgpr4
	s_and_saveexec_b32 s2, vcc_lo
	s_xor_b32 s2, exec_lo, s2
; %bb.56:
	v_bfe_u32 v4, v1, 16, 1
	v_add3_u32 v4, v1, v4, 0x7fff
                                        ; implicit-def: $vgpr1
; %bb.57:
	s_andn2_saveexec_b32 s2, s2
; %bb.58:
	v_mov_b32_e32 v4, 0
	v_or_b32_e32 v5, 0x10000, v1
	v_cmp_eq_u32_sdwa vcc_lo, v1, v4 src0_sel:WORD_0 src1_sel:DWORD
	v_cndmask_b32_e32 v4, v5, v1, vcc_lo
; %bb.59:
	s_or_b32 exec_lo, exec_lo, s2
	v_and_b32_e32 v1, 0xffff0000, v4
	v_add_f32_e32 v0, v0, v1
	v_and_b32_e32 v1, 0x7f800000, v0
	v_cmp_ne_u32_e32 vcc_lo, 0x7f800000, v1
                                        ; implicit-def: $vgpr1
	s_and_saveexec_b32 s2, vcc_lo
	s_xor_b32 s2, exec_lo, s2
; %bb.60:
	v_bfe_u32 v1, v0, 16, 1
	v_add3_u32 v1, v0, v1, 0x7fff
                                        ; implicit-def: $vgpr0
; %bb.61:
	s_andn2_saveexec_b32 s2, s2
; %bb.62:
	v_mov_b32_e32 v1, 0
	v_or_b32_e32 v4, 0x10000, v0
	v_cmp_eq_u32_sdwa vcc_lo, v0, v1 src0_sel:WORD_0 src1_sel:DWORD
	v_cndmask_b32_e32 v1, v4, v0, vcc_lo
; %bb.63:
	s_or_b32 exec_lo, exec_lo, s2
.LBB548_64:
	v_lshrrev_b32_e32 v5, 16, v1
	s_or_b32 s2, s13, exec_lo
.LBB548_65:
	s_or_b32 exec_lo, exec_lo, s1
	s_andn2_b32 s1, s13, exec_lo
	s_and_b32 s2, s2, exec_lo
	s_or_b32 s13, s1, s2
.LBB548_66:
	s_or_b32 exec_lo, exec_lo, s0
.LBB548_67:
	s_and_saveexec_b32 s0, s13
	s_cbranch_execz .LBB548_69
; %bb.68:
	v_lshlrev_b64 v[0:1], 1, v[2:3]
	v_add_co_u32 v0, vcc_lo, s11, v0
	v_add_co_ci_u32_e64 v1, null, s12, v1, vcc_lo
	global_store_short v[0:1], v5, off
.LBB548_69:
	s_endpgm
	.section	.rodata,"a",@progbits
	.p2align	6, 0x0
	.amdhsa_kernel _ZL20rocblas_gemvn_kernelILi32ELi16Ei16rocblas_bfloat16fS0_EviiT3_lPKT2_lT1_lS4_lS5_lS1_lPT4_lS5_li
		.amdhsa_group_segment_fixed_size 8192
		.amdhsa_private_segment_fixed_size 0
		.amdhsa_kernarg_size 400
		.amdhsa_user_sgpr_count 6
		.amdhsa_user_sgpr_private_segment_buffer 1
		.amdhsa_user_sgpr_dispatch_ptr 0
		.amdhsa_user_sgpr_queue_ptr 0
		.amdhsa_user_sgpr_kernarg_segment_ptr 1
		.amdhsa_user_sgpr_dispatch_id 0
		.amdhsa_user_sgpr_flat_scratch_init 0
		.amdhsa_user_sgpr_private_segment_size 0
		.amdhsa_wavefront_size32 1
		.amdhsa_uses_dynamic_stack 0
		.amdhsa_system_sgpr_private_segment_wavefront_offset 0
		.amdhsa_system_sgpr_workgroup_id_x 1
		.amdhsa_system_sgpr_workgroup_id_y 0
		.amdhsa_system_sgpr_workgroup_id_z 1
		.amdhsa_system_sgpr_workgroup_info 0
		.amdhsa_system_vgpr_workitem_id 1
		.amdhsa_next_free_vgpr 42
		.amdhsa_next_free_sgpr 28
		.amdhsa_reserve_vcc 1
		.amdhsa_reserve_flat_scratch 0
		.amdhsa_float_round_mode_32 0
		.amdhsa_float_round_mode_16_64 0
		.amdhsa_float_denorm_mode_32 3
		.amdhsa_float_denorm_mode_16_64 3
		.amdhsa_dx10_clamp 1
		.amdhsa_ieee_mode 1
		.amdhsa_fp16_overflow 0
		.amdhsa_workgroup_processor_mode 1
		.amdhsa_memory_ordered 1
		.amdhsa_forward_progress 1
		.amdhsa_shared_vgpr_count 0
		.amdhsa_exception_fp_ieee_invalid_op 0
		.amdhsa_exception_fp_denorm_src 0
		.amdhsa_exception_fp_ieee_div_zero 0
		.amdhsa_exception_fp_ieee_overflow 0
		.amdhsa_exception_fp_ieee_underflow 0
		.amdhsa_exception_fp_ieee_inexact 0
		.amdhsa_exception_int_div_zero 0
	.end_amdhsa_kernel
	.section	.text._ZL20rocblas_gemvn_kernelILi32ELi16Ei16rocblas_bfloat16fS0_EviiT3_lPKT2_lT1_lS4_lS5_lS1_lPT4_lS5_li,"axG",@progbits,_ZL20rocblas_gemvn_kernelILi32ELi16Ei16rocblas_bfloat16fS0_EviiT3_lPKT2_lT1_lS4_lS5_lS1_lPT4_lS5_li,comdat
.Lfunc_end548:
	.size	_ZL20rocblas_gemvn_kernelILi32ELi16Ei16rocblas_bfloat16fS0_EviiT3_lPKT2_lT1_lS4_lS5_lS1_lPT4_lS5_li, .Lfunc_end548-_ZL20rocblas_gemvn_kernelILi32ELi16Ei16rocblas_bfloat16fS0_EviiT3_lPKT2_lT1_lS4_lS5_lS1_lPT4_lS5_li
                                        ; -- End function
	.set _ZL20rocblas_gemvn_kernelILi32ELi16Ei16rocblas_bfloat16fS0_EviiT3_lPKT2_lT1_lS4_lS5_lS1_lPT4_lS5_li.num_vgpr, 42
	.set _ZL20rocblas_gemvn_kernelILi32ELi16Ei16rocblas_bfloat16fS0_EviiT3_lPKT2_lT1_lS4_lS5_lS1_lPT4_lS5_li.num_agpr, 0
	.set _ZL20rocblas_gemvn_kernelILi32ELi16Ei16rocblas_bfloat16fS0_EviiT3_lPKT2_lT1_lS4_lS5_lS1_lPT4_lS5_li.numbered_sgpr, 28
	.set _ZL20rocblas_gemvn_kernelILi32ELi16Ei16rocblas_bfloat16fS0_EviiT3_lPKT2_lT1_lS4_lS5_lS1_lPT4_lS5_li.num_named_barrier, 0
	.set _ZL20rocblas_gemvn_kernelILi32ELi16Ei16rocblas_bfloat16fS0_EviiT3_lPKT2_lT1_lS4_lS5_lS1_lPT4_lS5_li.private_seg_size, 0
	.set _ZL20rocblas_gemvn_kernelILi32ELi16Ei16rocblas_bfloat16fS0_EviiT3_lPKT2_lT1_lS4_lS5_lS1_lPT4_lS5_li.uses_vcc, 1
	.set _ZL20rocblas_gemvn_kernelILi32ELi16Ei16rocblas_bfloat16fS0_EviiT3_lPKT2_lT1_lS4_lS5_lS1_lPT4_lS5_li.uses_flat_scratch, 0
	.set _ZL20rocblas_gemvn_kernelILi32ELi16Ei16rocblas_bfloat16fS0_EviiT3_lPKT2_lT1_lS4_lS5_lS1_lPT4_lS5_li.has_dyn_sized_stack, 0
	.set _ZL20rocblas_gemvn_kernelILi32ELi16Ei16rocblas_bfloat16fS0_EviiT3_lPKT2_lT1_lS4_lS5_lS1_lPT4_lS5_li.has_recursion, 0
	.set _ZL20rocblas_gemvn_kernelILi32ELi16Ei16rocblas_bfloat16fS0_EviiT3_lPKT2_lT1_lS4_lS5_lS1_lPT4_lS5_li.has_indirect_call, 0
	.section	.AMDGPU.csdata,"",@progbits
; Kernel info:
; codeLenInByte = 3252
; TotalNumSgprs: 30
; NumVgprs: 42
; ScratchSize: 0
; MemoryBound: 0
; FloatMode: 240
; IeeeMode: 1
; LDSByteSize: 8192 bytes/workgroup (compile time only)
; SGPRBlocks: 0
; VGPRBlocks: 5
; NumSGPRsForWavesPerEU: 30
; NumVGPRsForWavesPerEU: 42
; Occupancy: 16
; WaveLimiterHint : 1
; COMPUTE_PGM_RSRC2:SCRATCH_EN: 0
; COMPUTE_PGM_RSRC2:USER_SGPR: 6
; COMPUTE_PGM_RSRC2:TRAP_HANDLER: 0
; COMPUTE_PGM_RSRC2:TGID_X_EN: 1
; COMPUTE_PGM_RSRC2:TGID_Y_EN: 0
; COMPUTE_PGM_RSRC2:TGID_Z_EN: 1
; COMPUTE_PGM_RSRC2:TIDIG_COMP_CNT: 1
	.section	.text._ZL20rocblas_gemvn_kernelILi32ELi16El16rocblas_bfloat16fS0_EviiT3_lPKT2_lT1_lS4_lS5_lS1_lPT4_lS5_li,"axG",@progbits,_ZL20rocblas_gemvn_kernelILi32ELi16El16rocblas_bfloat16fS0_EviiT3_lPKT2_lT1_lS4_lS5_lS1_lPT4_lS5_li,comdat
	.globl	_ZL20rocblas_gemvn_kernelILi32ELi16El16rocblas_bfloat16fS0_EviiT3_lPKT2_lT1_lS4_lS5_lS1_lPT4_lS5_li ; -- Begin function _ZL20rocblas_gemvn_kernelILi32ELi16El16rocblas_bfloat16fS0_EviiT3_lPKT2_lT1_lS4_lS5_lS1_lPT4_lS5_li
	.p2align	8
	.type	_ZL20rocblas_gemvn_kernelILi32ELi16El16rocblas_bfloat16fS0_EviiT3_lPKT2_lT1_lS4_lS5_lS1_lPT4_lS5_li,@function
_ZL20rocblas_gemvn_kernelILi32ELi16El16rocblas_bfloat16fS0_EviiT3_lPKT2_lT1_lS4_lS5_lS1_lPT4_lS5_li: ; @_ZL20rocblas_gemvn_kernelILi32ELi16El16rocblas_bfloat16fS0_EviiT3_lPKT2_lT1_lS4_lS5_lS1_lPT4_lS5_li
; %bb.0:
	s_load_dwordx2 s[0:1], s[4:5], 0x9c
	s_waitcnt lgkmcnt(0)
	s_lshr_b32 s2, s0, 16
	s_and_b32 s0, s0, 0xffff
	s_and_b32 s1, s1, 0xffff
	s_mul_i32 s0, s2, s0
	s_mul_i32 s0, s0, s1
	s_cmpk_lg_i32 s0, 0x200
	s_cbranch_scc1 .LBB549_69
; %bb.1:
	s_clause 0x1
	s_load_dwordx4 s[28:31], s[4:5], 0x0
	s_load_dword s37, s[4:5], 0x58
	s_mov_b32 s36, 0
	s_waitcnt lgkmcnt(0)
	v_cmp_eq_f32_e64 s0, s30, 0
	v_cmp_eq_f32_e64 s1, s37, 1.0
	s_and_b32 s0, s0, s1
	s_and_b32 vcc_lo, exec_lo, s0
	s_cbranch_vccnz .LBB549_69
; %bb.2:
	s_load_dwordx8 s[20:27], s[4:5], 0x68
	v_lshlrev_b32_e32 v14, 5, v1
	v_add_nc_u32_e32 v13, v14, v0
	s_waitcnt lgkmcnt(0)
	s_mul_i32 s1, s27, s7
	s_mul_hi_u32 s2, s26, s7
	s_mul_i32 s0, s26, s7
	s_add_i32 s1, s2, s1
	v_cmp_neq_f32_e64 s2, s30, 0
	s_lshl_b64 s[0:1], s[0:1], 1
	s_add_u32 s3, s20, s0
	s_addc_u32 s8, s21, s1
	s_lshl_b64 s[0:1], s[22:23], 1
	s_add_u32 s31, s3, s0
	v_cmp_gt_u32_e64 s0, 0x80, v13
	s_addc_u32 s33, s8, s1
	s_and_b32 vcc_lo, exec_lo, s2
	s_cbranch_vccnz .LBB549_13
; %bb.3:
	s_mov_b32 s1, 0
                                        ; implicit-def: $vgpr5
                                        ; implicit-def: $vgpr2_vgpr3
	s_and_saveexec_b32 s2, s0
	s_cbranch_execz .LBB549_14
; %bb.4:
	v_lshl_or_b32 v4, s6, 7, v13
	v_mov_b32_e32 v5, 0
	s_ashr_i32 s9, s28, 31
	s_mov_b32 s8, s28
	s_mov_b32 s3, 0
	s_mov_b32 s0, exec_lo
                                        ; implicit-def: $vgpr2_vgpr3
	v_cmpx_gt_i64_e64 s[8:9], v[4:5]
	s_cbranch_execz .LBB549_12
; %bb.5:
	v_mad_u64_u32 v[2:3], null, s24, v4, 0
	v_cmp_eq_f32_e64 s3, s37, 0
	s_and_b32 vcc_lo, exec_lo, s3
	v_mad_u64_u32 v[3:4], null, s25, v4, v[3:4]
	s_cbranch_vccnz .LBB549_11
; %bb.6:
	v_lshlrev_b64 v[4:5], 1, v[2:3]
	v_add_co_u32 v4, vcc_lo, s31, v4
	v_add_co_ci_u32_e64 v5, null, s33, v5, vcc_lo
	global_load_ushort v4, v[4:5], off
	s_waitcnt vmcnt(0)
	v_lshlrev_b32_e32 v4, 16, v4
	v_mul_f32_e32 v4, s37, v4
	v_and_b32_e32 v5, 0x7f800000, v4
	v_cmp_ne_u32_e32 vcc_lo, 0x7f800000, v5
                                        ; implicit-def: $vgpr5
	s_and_saveexec_b32 s3, vcc_lo
	s_xor_b32 s3, exec_lo, s3
; %bb.7:
	v_bfe_u32 v5, v4, 16, 1
	v_add3_u32 v5, v4, v5, 0x7fff
                                        ; implicit-def: $vgpr4
; %bb.8:
	s_andn2_saveexec_b32 s3, s3
; %bb.9:
	v_mov_b32_e32 v5, 0
	v_or_b32_e32 v6, 0x10000, v4
	v_cmp_eq_u32_sdwa vcc_lo, v4, v5 src0_sel:WORD_0 src1_sel:DWORD
	v_cndmask_b32_e32 v5, v6, v4, vcc_lo
; %bb.10:
	s_or_b32 exec_lo, exec_lo, s3
	v_lshrrev_b32_e32 v5, 16, v5
.LBB549_11:
	s_mov_b32 s3, exec_lo
.LBB549_12:
	s_or_b32 exec_lo, exec_lo, s0
	s_and_b32 s36, s3, exec_lo
	s_or_b32 exec_lo, exec_lo, s2
	s_and_b32 vcc_lo, exec_lo, s1
	s_cbranch_vccnz .LBB549_15
	s_branch .LBB549_67
.LBB549_13:
                                        ; implicit-def: $vgpr5
                                        ; implicit-def: $vgpr2_vgpr3
	s_cbranch_execnz .LBB549_15
	s_branch .LBB549_67
.LBB549_14:
	s_or_b32 exec_lo, exec_lo, s2
	s_and_b32 vcc_lo, exec_lo, s1
	s_cbranch_vccz .LBB549_67
.LBB549_15:
	s_load_dwordx16 s[8:23], s[4:5], 0x18
	s_ashr_i32 s0, s29, 31
	s_lshl_b32 s5, s6, 7
	s_lshr_b32 s0, s0, 26
	v_lshlrev_b32_e32 v19, 2, v1
	v_mov_b32_e32 v15, 0
	v_mov_b32_e32 v16, 0
	;; [unrolled: 1-line block ×4, first 2 shown]
	v_add_nc_u32_e32 v2, s5, v0
	s_add_i32 s38, s29, s0
	s_mov_b32 s39, exec_lo
	s_andn2_b32 s38, s38, 63
	s_waitcnt lgkmcnt(0)
	s_mul_i32 s0, s15, s7
	s_mul_hi_u32 s1, s14, s7
	s_mul_i32 s2, s23, s7
	s_mul_hi_u32 s3, s22, s7
	s_mul_i32 s14, s14, s7
	s_add_i32 s15, s1, s0
	s_add_i32 s23, s3, s2
	s_mul_i32 s22, s22, s7
	v_cmpx_gt_i32_e64 s38, v19
	s_cbranch_execz .LBB549_27
; %bb.16:
	v_lshlrev_b32_e32 v30, 2, v1
	v_mad_u64_u32 v[4:5], null, s20, v1, 0
	v_add_nc_u32_e32 v11, 32, v2
	v_add_nc_u32_e32 v12, 64, v2
	v_or_b32_e32 v15, 3, v30
	s_lshl_b64 s[0:1], s[22:23], 1
	s_lshl_b64 s[6:7], s[18:19], 1
	s_add_u32 s4, s16, s0
	s_addc_u32 s42, s17, s1
	v_mad_u64_u32 v[6:7], null, s12, v15, 0
	v_cmp_gt_i32_e64 s0, s28, v11
	v_cmp_gt_i32_e64 s1, s28, v12
	v_add_nc_u32_e32 v16, 0x60, v2
	v_or_b32_e32 v24, 2, v30
	s_lshl_b64 s[34:35], s[10:11], 1
	s_lshl_b64 s[26:27], s[20:21], 7
	v_mad_u64_u32 v[8:9], null, s21, v1, v[5:6]
	v_mad_u64_u32 v[9:10], null, s20, v15, 0
	v_cmp_gt_i32_e64 s2, s28, v16
	s_lshl_b64 s[40:41], s[14:15], 1
	v_mad_u64_u32 v[28:29], null, s20, v24, 0
	v_mov_b32_e32 v5, v8
	v_mad_u64_u32 v[7:8], null, s13, v15, v[7:8]
	v_mad_u64_u32 v[32:33], null, s12, v30, s[12:13]
	v_lshlrev_b64 v[11:12], 3, v[4:5]
	v_mov_b32_e32 v5, v10
	v_mov_b32_e32 v8, v29
	v_ashrrev_i32_e32 v3, 31, v2
	v_lshlrev_b64 v[6:7], 1, v[6:7]
	v_cmp_gt_i32_e32 vcc_lo, s28, v2
	v_add_co_u32 v20, s3, s4, v11
	v_add_co_ci_u32_e64 v21, null, s42, v12, s3
	v_mad_u64_u32 v[15:16], null, s21, v15, v[5:6]
	v_mad_u64_u32 v[11:12], null, s12, v1, 0
	s_add_u32 s3, s8, s34
	s_addc_u32 s34, s9, s35
	s_add_u32 s35, s3, s40
	s_addc_u32 s34, s34, s41
	v_mov_b32_e32 v10, v15
	v_mad_u64_u32 v[15:16], null, s12, v24, 0
	v_mov_b32_e32 v5, v12
	v_add_co_u32 v22, s3, s35, v6
	v_add_co_ci_u32_e64 v23, null, s34, v7, s3
	v_mad_u64_u32 v[17:18], null, s13, v1, v[5:6]
	v_lshlrev_b64 v[6:7], 1, v[9:10]
	v_mov_b32_e32 v5, v16
	v_lshlrev_b64 v[3:4], 1, v[2:3]
	s_mov_b32 s40, 0
	v_mad_u64_u32 v[9:10], null, s13, v24, v[5:6]
	v_mov_b32_e32 v12, v17
	v_mad_u64_u32 v[17:18], null, s20, v30, s[20:21]
	v_mad_u64_u32 v[26:27], null, s21, v24, v[8:9]
	v_add_co_u32 v24, s3, s4, v6
	v_add_co_ci_u32_e64 v25, null, s42, v7, s3
	v_lshlrev_b64 v[6:7], 3, v[11:12]
	v_mov_b32_e32 v5, v18
	v_mov_b32_e32 v16, v9
	;; [unrolled: 1-line block ×3, first 2 shown]
	v_add_co_u32 v26, s3, s35, v6
	v_mad_u64_u32 v[8:9], null, s21, v30, v[5:6]
	v_add_co_ci_u32_e64 v27, null, s34, v7, s3
	v_lshlrev_b64 v[6:7], 1, v[15:16]
	v_mov_b32_e32 v5, v33
	v_mov_b32_e32 v15, 0
	;; [unrolled: 1-line block ×4, first 2 shown]
	v_mad_u64_u32 v[9:10], null, s13, v30, v[5:6]
	v_lshlrev_b64 v[10:11], 1, v[28:29]
	v_add_co_u32 v28, s3, s35, v6
	v_lshlrev_b64 v[5:6], 1, v[17:18]
	v_add_co_ci_u32_e64 v29, null, s34, v7, s3
	v_mov_b32_e32 v33, v9
	v_add_co_u32 v30, s3, s4, v10
	v_add_co_ci_u32_e64 v31, null, s42, v11, s3
	v_lshlrev_b64 v[7:8], 1, v[32:33]
	v_add_co_u32 v32, s3, s4, v5
	v_add_co_ci_u32_e64 v33, null, s42, v6, s3
	v_mov_b32_e32 v17, 0
	v_add_co_u32 v34, s3, s35, v7
	v_add_co_ci_u32_e64 v35, null, s34, v8, s3
	v_mov_b32_e32 v18, 0
	s_lshl_b64 s[34:35], s[12:13], 7
	s_branch .LBB549_21
.LBB549_17:                             ;   in Loop: Header=BB549_21 Depth=1
	s_or_b32 exec_lo, exec_lo, s42
	s_waitcnt vmcnt(3)
	v_lshlrev_b32_e32 v5, 16, v51
	s_waitcnt vmcnt(2)
	v_lshlrev_b32_e32 v6, 16, v50
	v_fmac_f32_e32 v17, v43, v5
	s_waitcnt vmcnt(1)
	v_lshlrev_b32_e32 v5, 16, v49
	v_fmac_f32_e32 v17, v39, v6
	v_fmac_f32_e32 v17, v41, v5
	s_waitcnt vmcnt(0)
	v_lshlrev_b32_e32 v5, 16, v48
	v_fmac_f32_e32 v17, v37, v5
.LBB549_18:                             ;   in Loop: Header=BB549_21 Depth=1
	s_or_b32 exec_lo, exec_lo, s41
	s_waitcnt vmcnt(3)
	v_lshlrev_b32_e32 v5, 16, v47
	s_waitcnt vmcnt(2)
	v_lshlrev_b32_e32 v6, 16, v46
	v_fmac_f32_e32 v16, v43, v5
	s_waitcnt vmcnt(1)
	v_lshlrev_b32_e32 v5, 16, v45
	v_fmac_f32_e32 v16, v39, v6
	v_fmac_f32_e32 v16, v41, v5
	s_waitcnt vmcnt(0)
	v_lshlrev_b32_e32 v5, 16, v44
	v_fmac_f32_e32 v16, v37, v5
.LBB549_19:                             ;   in Loop: Header=BB549_21 Depth=1
	s_or_b32 exec_lo, exec_lo, s3
	s_waitcnt vmcnt(3)
	v_lshlrev_b32_e32 v5, 16, v42
	s_waitcnt vmcnt(2)
	v_lshlrev_b32_e32 v6, 16, v40
	v_fmac_f32_e32 v15, v43, v5
	s_waitcnt vmcnt(1)
	v_lshlrev_b32_e32 v5, 16, v38
	v_fmac_f32_e32 v15, v39, v6
	v_fmac_f32_e32 v15, v41, v5
	s_waitcnt vmcnt(0)
	v_lshlrev_b32_e32 v5, 16, v36
	v_fmac_f32_e32 v15, v37, v5
.LBB549_20:                             ;   in Loop: Header=BB549_21 Depth=1
	s_or_b32 exec_lo, exec_lo, s4
	v_add_co_u32 v20, s3, v20, s26
	v_add_co_ci_u32_e64 v21, null, s27, v21, s3
	v_add_co_u32 v22, s3, v22, s34
	v_add_co_ci_u32_e64 v23, null, s35, v23, s3
	;; [unrolled: 2-line block ×4, first 2 shown]
	v_add_co_u32 v28, s3, v28, s34
	v_add_nc_u32_e32 v19, 64, v19
	v_add_co_ci_u32_e64 v29, null, s35, v29, s3
	v_add_co_u32 v30, s3, v30, s26
	v_add_co_ci_u32_e64 v31, null, s27, v31, s3
	v_add_co_u32 v32, s3, v32, s26
	v_add_co_ci_u32_e64 v33, null, s27, v33, s3
	v_cmp_le_i32_e64 s3, s38, v19
	v_add_co_u32 v34, s4, v34, s34
	v_add_co_ci_u32_e64 v35, null, s35, v35, s4
	s_or_b32 s40, s3, s40
	s_andn2_b32 exec_lo, exec_lo, s40
	s_cbranch_execz .LBB549_26
.LBB549_21:                             ; =>This Inner Loop Header: Depth=1
	s_and_saveexec_b32 s4, vcc_lo
	s_cbranch_execz .LBB549_20
; %bb.22:                               ;   in Loop: Header=BB549_21 Depth=1
	v_add_co_u32 v5, s3, v20, s6
	v_add_co_ci_u32_e64 v6, null, s7, v21, s3
	v_add_co_u32 v7, s3, v32, s6
	v_add_co_ci_u32_e64 v8, null, s7, v33, s3
	;; [unrolled: 2-line block ×4, first 2 shown]
	global_load_ushort v37, v[5:6], off
	global_load_ushort v39, v[7:8], off
	global_load_ushort v41, v[9:10], off
	global_load_ushort v44, v[11:12], off
	v_add_co_u32 v5, s3, v26, v3
	v_add_co_ci_u32_e64 v6, null, v27, v4, s3
	v_add_co_u32 v9, s3, v34, v3
	v_add_co_ci_u32_e64 v10, null, v35, v4, s3
	;; [unrolled: 2-line block ×4, first 2 shown]
	global_load_ushort v42, v[5:6], off
	global_load_ushort v40, v[9:10], off
	;; [unrolled: 1-line block ×4, first 2 shown]
	s_waitcnt vmcnt(7)
	v_lshlrev_b32_e32 v43, 16, v37
	s_waitcnt vmcnt(6)
	v_lshlrev_b32_e32 v39, 16, v39
	;; [unrolled: 2-line block ×4, first 2 shown]
	s_and_saveexec_b32 s3, s0
	s_cbranch_execz .LBB549_19
; %bb.23:                               ;   in Loop: Header=BB549_21 Depth=1
	global_load_ushort v47, v[5:6], off offset:64
	global_load_ushort v46, v[9:10], off offset:64
	global_load_ushort v45, v[7:8], off offset:64
	global_load_ushort v44, v[11:12], off offset:64
	s_and_saveexec_b32 s41, s1
	s_cbranch_execz .LBB549_18
; %bb.24:                               ;   in Loop: Header=BB549_21 Depth=1
	global_load_ushort v51, v[5:6], off offset:128
	global_load_ushort v50, v[9:10], off offset:128
	global_load_ushort v49, v[7:8], off offset:128
	global_load_ushort v48, v[11:12], off offset:128
	;; [unrolled: 7-line block ×3, first 2 shown]
	s_waitcnt vmcnt(3)
	v_lshlrev_b32_e32 v5, 16, v5
	s_waitcnt vmcnt(2)
	v_lshlrev_b32_e32 v6, 16, v6
	v_fmac_f32_e32 v18, v43, v5
	s_waitcnt vmcnt(1)
	v_lshlrev_b32_e32 v5, 16, v7
	v_fmac_f32_e32 v18, v39, v6
	;; [unrolled: 3-line block ×3, first 2 shown]
	v_fmac_f32_e32 v18, v37, v6
	s_branch .LBB549_17
.LBB549_26:
	s_or_b32 exec_lo, exec_lo, s40
.LBB549_27:
	s_or_b32 exec_lo, exec_lo, s39
	s_sub_i32 s0, s29, s38
	s_cmp_lt_i32 s0, 1
	s_cbranch_scc1 .LBB549_45
; %bb.28:
	v_cmp_gt_i32_e32 vcc_lo, s29, v19
	v_mov_b32_e32 v12, 0
	v_or_b32_e32 v4, 1, v19
	v_mov_b32_e32 v11, 0
	v_mov_b32_e32 v21, 0
	;; [unrolled: 1-line block ×3, first 2 shown]
	s_and_saveexec_b32 s1, vcc_lo
	s_cbranch_execz .LBB549_36
; %bb.29:
	v_mad_u64_u32 v[5:6], null, s20, v19, 0
	s_lshl_b64 s[2:3], s[22:23], 1
	v_mov_b32_e32 v20, 0
	s_add_u32 s0, s16, s2
	s_addc_u32 s2, s17, s3
	s_lshl_b64 s[6:7], s[18:19], 1
	v_mov_b32_e32 v11, 0
	v_mov_b32_e32 v3, v6
	s_add_u32 s3, s0, s6
	s_addc_u32 s4, s2, s7
	v_mov_b32_e32 v12, 0
	s_mov_b32 s2, exec_lo
	v_mad_u64_u32 v[6:7], null, s21, v19, v[3:4]
	v_lshlrev_b64 v[5:6], 1, v[5:6]
	v_add_co_u32 v5, s0, s3, v5
	v_add_co_ci_u32_e64 v6, null, s4, v6, s0
	global_load_ushort v3, v[5:6], off
	v_cmpx_gt_i32_e64 s29, v4
	s_cbranch_execz .LBB549_35
; %bb.30:
	v_mad_u64_u32 v[5:6], null, s20, v4, 0
	v_mov_b32_e32 v11, 0
	v_mov_b32_e32 v12, 0
	s_mov_b32 s6, exec_lo
	v_mad_u64_u32 v[6:7], null, s21, v4, v[6:7]
	v_lshlrev_b64 v[5:6], 1, v[5:6]
	v_add_co_u32 v5, s0, s3, v5
	v_add_co_ci_u32_e64 v6, null, s4, v6, s0
	global_load_ushort v5, v[5:6], off
	v_or_b32_e32 v6, 2, v19
	v_cmpx_gt_i32_e64 s29, v6
	s_cbranch_execz .LBB549_34
; %bb.31:
	v_mad_u64_u32 v[7:8], null, s20, v6, 0
	v_mov_b32_e32 v11, 0
	s_mov_b32 s7, exec_lo
	v_mad_u64_u32 v[8:9], null, s21, v6, v[8:9]
	v_lshlrev_b64 v[6:7], 1, v[7:8]
	v_add_co_u32 v6, s0, s3, v6
	v_add_co_ci_u32_e64 v7, null, s4, v7, s0
	global_load_ushort v6, v[6:7], off
	v_or_b32_e32 v7, 3, v19
	v_cmpx_gt_i32_e64 s29, v7
	s_cbranch_execz .LBB549_33
; %bb.32:
	v_mad_u64_u32 v[8:9], null, s20, v7, 0
	v_mad_u64_u32 v[9:10], null, s21, v7, v[9:10]
	v_lshlrev_b64 v[7:8], 1, v[8:9]
	v_add_co_u32 v7, s0, s3, v7
	v_add_co_ci_u32_e64 v8, null, s4, v8, s0
	global_load_ushort v7, v[7:8], off
	s_waitcnt vmcnt(0)
	v_lshlrev_b32_e32 v11, 16, v7
.LBB549_33:
	s_or_b32 exec_lo, exec_lo, s7
	s_waitcnt vmcnt(0)
	v_lshlrev_b32_e32 v12, 16, v6
.LBB549_34:
	s_or_b32 exec_lo, exec_lo, s6
	s_waitcnt vmcnt(0)
	v_lshlrev_b32_e32 v20, 16, v5
.LBB549_35:
	s_or_b32 exec_lo, exec_lo, s2
	s_waitcnt vmcnt(0)
	v_lshlrev_b32_e32 v21, 16, v3
.LBB549_36:
	s_or_b32 exec_lo, exec_lo, s1
	s_mov_b32 s1, exec_lo
	v_cmpx_gt_i32_e64 s28, v2
	s_cbranch_execz .LBB549_44
; %bb.37:
	v_mad_u64_u32 v[5:6], null, s12, v19, 0
	v_mad_u64_u32 v[7:8], null, s12, v4, 0
	v_ashrrev_i32_e32 v3, 31, v2
	v_or_b32_e32 v29, 2, v19
	s_lshl_b64 s[2:3], s[14:15], 1
	s_add_u32 s0, s8, s2
	v_cndmask_b32_e32 v5, 0, v5, vcc_lo
	v_mad_u64_u32 v[9:10], null, s13, v19, v[6:7]
	v_or_b32_e32 v19, 3, v19
	v_lshlrev_b64 v[22:23], 1, v[2:3]
	v_mad_u64_u32 v[24:25], null, s12, v29, 0
	v_mov_b32_e32 v3, v8
	s_addc_u32 s4, s9, s3
	v_cndmask_b32_e32 v6, 0, v9, vcc_lo
	v_cmp_gt_i32_e32 vcc_lo, s29, v4
	s_lshl_b64 s[2:3], s[10:11], 1
	v_mad_u64_u32 v[8:9], null, s12, v19, 0
	v_lshlrev_b64 v[5:6], 1, v[5:6]
	v_mad_u64_u32 v[26:27], null, s13, v4, v[3:4]
	s_add_u32 s2, s0, s2
	v_cndmask_b32_e32 v27, 0, v7, vcc_lo
	v_mov_b32_e32 v7, v25
	s_addc_u32 s3, s4, s3
	v_add_co_u32 v3, s0, s2, v5
	v_add_co_ci_u32_e64 v4, null, s3, v6, s0
	v_cndmask_b32_e32 v28, 0, v26, vcc_lo
	v_mad_u64_u32 v[25:26], null, s13, v29, v[7:8]
	v_mov_b32_e32 v7, v9
	v_add_co_u32 v3, vcc_lo, v3, v22
	v_add_co_ci_u32_e64 v4, null, v4, v23, vcc_lo
	v_cmp_gt_i32_e32 vcc_lo, s29, v29
	v_lshlrev_b64 v[5:6], 1, v[27:28]
	v_mad_u64_u32 v[26:27], null, s13, v19, v[7:8]
	v_cndmask_b32_e32 v9, 0, v24, vcc_lo
	v_cndmask_b32_e32 v10, 0, v25, vcc_lo
	v_cmp_gt_i32_e32 vcc_lo, s29, v19
	v_add_co_u32 v5, s0, s2, v5
	v_add_co_ci_u32_e64 v6, null, s3, v6, s0
	v_cndmask_b32_e32 v7, 0, v8, vcc_lo
	v_cndmask_b32_e32 v8, 0, v26, vcc_lo
	v_lshlrev_b64 v[9:10], 1, v[9:10]
	v_add_co_u32 v5, s0, v5, v22
	v_add_co_ci_u32_e64 v6, null, v6, v23, s0
	v_lshlrev_b64 v[7:8], 1, v[7:8]
	v_add_co_u32 v9, vcc_lo, s2, v9
	v_add_co_ci_u32_e64 v10, null, s3, v10, vcc_lo
	s_clause 0x1
	global_load_ushort v19, v[3:4], off
	global_load_ushort v24, v[5:6], off
	v_add_co_u32 v25, vcc_lo, s2, v7
	v_add_co_ci_u32_e64 v26, null, s3, v8, vcc_lo
	v_add_co_u32 v7, vcc_lo, v9, v22
	v_add_co_ci_u32_e64 v8, null, v10, v23, vcc_lo
	;; [unrolled: 2-line block ×3, first 2 shown]
	s_clause 0x1
	global_load_ushort v22, v[7:8], off
	global_load_ushort v23, v[9:10], off
	s_mov_b32 s0, exec_lo
	s_waitcnt vmcnt(3)
	v_lshlrev_b32_e32 v19, 16, v19
	s_waitcnt vmcnt(2)
	v_lshlrev_b32_e32 v24, 16, v24
	v_fmac_f32_e32 v15, v21, v19
	v_fmac_f32_e32 v15, v20, v24
	v_add_nc_u32_e32 v24, 32, v2
	s_waitcnt vmcnt(1)
	v_lshlrev_b32_e32 v22, 16, v22
	s_waitcnt vmcnt(0)
	v_lshlrev_b32_e32 v19, 16, v23
	v_fmac_f32_e32 v15, v12, v22
	v_cmpx_gt_i32_e64 s28, v24
	s_cbranch_execz .LBB549_43
; %bb.38:
	s_clause 0x3
	global_load_ushort v22, v[3:4], off offset:64
	global_load_ushort v23, v[5:6], off offset:64
	;; [unrolled: 1-line block ×4, first 2 shown]
	s_mov_b32 s2, exec_lo
	s_waitcnt vmcnt(3)
	v_lshlrev_b32_e32 v22, 16, v22
	s_waitcnt vmcnt(2)
	v_lshlrev_b32_e32 v23, 16, v23
	s_waitcnt vmcnt(1)
	v_lshlrev_b32_e32 v24, 16, v24
	v_fmac_f32_e32 v16, v21, v22
	s_waitcnt vmcnt(0)
	v_lshlrev_b32_e32 v22, 16, v25
	v_fmac_f32_e32 v16, v20, v23
	v_add_nc_u32_e32 v23, 64, v2
	v_fmac_f32_e32 v16, v12, v24
	v_cmpx_gt_i32_e64 s28, v23
	s_cbranch_execz .LBB549_42
; %bb.39:
	s_clause 0x3
	global_load_ushort v23, v[3:4], off offset:128
	global_load_ushort v24, v[5:6], off offset:128
	;; [unrolled: 1-line block ×4, first 2 shown]
	s_mov_b32 s3, exec_lo
	s_waitcnt vmcnt(3)
	v_lshlrev_b32_e32 v23, 16, v23
	s_waitcnt vmcnt(2)
	v_lshlrev_b32_e32 v24, 16, v24
	v_fmac_f32_e32 v17, v21, v23
	s_waitcnt vmcnt(1)
	v_lshlrev_b32_e32 v23, 16, v25
	v_fmac_f32_e32 v17, v20, v24
	v_add_nc_u32_e32 v24, 0x60, v2
	s_waitcnt vmcnt(0)
	v_lshlrev_b32_e32 v2, 16, v26
	v_fmac_f32_e32 v17, v12, v23
	v_cmpx_gt_i32_e64 s28, v24
	s_cbranch_execz .LBB549_41
; %bb.40:
	s_clause 0x3
	global_load_ushort v3, v[3:4], off offset:192
	global_load_ushort v4, v[5:6], off offset:192
	;; [unrolled: 1-line block ×4, first 2 shown]
	s_waitcnt vmcnt(3)
	v_lshlrev_b32_e32 v3, 16, v3
	s_waitcnt vmcnt(2)
	v_lshlrev_b32_e32 v4, 16, v4
	v_fmac_f32_e32 v18, v21, v3
	s_waitcnt vmcnt(1)
	v_lshlrev_b32_e32 v3, 16, v5
	v_fmac_f32_e32 v18, v20, v4
	;; [unrolled: 3-line block ×3, first 2 shown]
	v_fmac_f32_e32 v18, v11, v4
.LBB549_41:
	s_or_b32 exec_lo, exec_lo, s3
	v_fmac_f32_e32 v17, v11, v2
.LBB549_42:
	s_or_b32 exec_lo, exec_lo, s2
	v_fmac_f32_e32 v16, v11, v22
.LBB549_43:
	s_or_b32 exec_lo, exec_lo, s0
	v_fmac_f32_e32 v15, v11, v19
.LBB549_44:
	s_or_b32 exec_lo, exec_lo, s1
.LBB549_45:
	v_lshlrev_b32_e32 v0, 2, v0
	s_mov_b32 s0, exec_lo
                                        ; implicit-def: $vgpr5
                                        ; implicit-def: $vgpr2_vgpr3
	v_lshl_add_u32 v1, v1, 9, v0
	ds_write2_b32 v1, v15, v16 offset1:32
	ds_write2_b32 v1, v17, v18 offset0:64 offset1:96
	s_waitcnt lgkmcnt(0)
	s_barrier
	buffer_gl0_inv
	v_cmpx_gt_u32_e32 0x80, v13
	s_cbranch_execz .LBB549_66
; %bb.46:
	v_lshl_add_u32 v6, v14, 2, v0
	s_mov_b32 s2, s36
	s_mov_b32 s1, exec_lo
	ds_read2st64_b32 v[0:1], v6 offset1:2
	ds_read2st64_b32 v[2:3], v6 offset0:4 offset1:6
	ds_read2st64_b32 v[4:5], v6 offset0:8 offset1:10
	s_waitcnt lgkmcnt(2)
	v_add_f32_e32 v7, v0, v1
	ds_read2st64_b32 v[0:1], v6 offset0:12 offset1:14
	s_waitcnt lgkmcnt(2)
	v_add_f32_e32 v2, v2, v7
	v_add_f32_e32 v7, v3, v2
	ds_read2st64_b32 v[2:3], v6 offset0:16 offset1:18
	s_waitcnt lgkmcnt(2)
	v_add_f32_e32 v4, v4, v7
	;; [unrolled: 4-line block ×3, first 2 shown]
	v_add_f32_e32 v0, v1, v0
	s_waitcnt lgkmcnt(1)
	v_add_f32_e32 v2, v2, v0
	ds_read2st64_b32 v[0:1], v6 offset0:24 offset1:26
	v_add_f32_e32 v2, v3, v2
	s_waitcnt lgkmcnt(1)
	v_add_f32_e32 v4, v4, v2
	ds_read2st64_b32 v[2:3], v6 offset0:28 offset1:30
	v_add_f32_e32 v4, v5, v4
                                        ; implicit-def: $vgpr5
	s_waitcnt lgkmcnt(1)
	v_add_f32_e32 v0, v0, v4
	v_add_f32_e32 v0, v1, v0
	s_waitcnt lgkmcnt(0)
	v_add_f32_e32 v1, v2, v0
	v_or_b32_e32 v0, s5, v13
	v_add_f32_e32 v1, v3, v1
                                        ; implicit-def: $vgpr2_vgpr3
	ds_write_b32 v6, v1
	v_cmpx_gt_i32_e64 s28, v0
	s_cbranch_execz .LBB549_65
; %bb.47:
	v_cmp_eq_f32_e64 s2, s37, 0
	v_mul_f32_e32 v1, s30, v1
	s_and_b32 vcc_lo, exec_lo, s2
	s_cbranch_vccz .LBB549_53
; %bb.48:
	v_and_b32_e32 v2, 0x7f800000, v1
	s_mov_b32 s2, exec_lo
                                        ; implicit-def: $vgpr5
	v_cmpx_ne_u32_e32 0x7f800000, v2
	s_xor_b32 s2, exec_lo, s2
; %bb.49:
	v_bfe_u32 v2, v1, 16, 1
	v_add3_u32 v5, v1, v2, 0x7fff
; %bb.50:
	s_andn2_saveexec_b32 s2, s2
; %bb.51:
	v_mov_b32_e32 v2, 0
	v_or_b32_e32 v3, 0x10000, v1
	v_cmp_eq_u32_sdwa vcc_lo, v1, v2 src0_sel:WORD_0 src1_sel:DWORD
	v_cndmask_b32_e32 v5, v3, v1, vcc_lo
; %bb.52:
	s_or_b32 exec_lo, exec_lo, s2
	s_mov_b32 s2, 0
	s_branch .LBB549_54
.LBB549_53:
	s_mov_b32 s2, -1
                                        ; implicit-def: $vgpr5
.LBB549_54:
	v_ashrrev_i32_e32 v2, 31, v0
	v_mul_lo_u32 v4, s25, v0
	s_andn2_b32 vcc_lo, exec_lo, s2
	v_mul_lo_u32 v6, s24, v2
	s_cbranch_vccnz .LBB549_64
; %bb.55:
	v_mad_u64_u32 v[2:3], null, s24, v0, 0
	v_add3_u32 v3, v3, v6, v4
	v_lshlrev_b64 v[2:3], 1, v[2:3]
	v_add_co_u32 v2, vcc_lo, s31, v2
	v_add_co_ci_u32_e64 v3, null, s33, v3, vcc_lo
	global_load_ushort v2, v[2:3], off
	s_waitcnt vmcnt(0)
	v_lshlrev_b32_e32 v2, 16, v2
	v_mul_f32_e32 v2, s37, v2
	v_and_b32_e32 v3, 0x7f800000, v2
	v_cmp_ne_u32_e32 vcc_lo, 0x7f800000, v3
                                        ; implicit-def: $vgpr3
	s_and_saveexec_b32 s2, vcc_lo
	s_xor_b32 s2, exec_lo, s2
; %bb.56:
	v_bfe_u32 v3, v2, 16, 1
	v_add3_u32 v3, v2, v3, 0x7fff
                                        ; implicit-def: $vgpr2
; %bb.57:
	s_andn2_saveexec_b32 s2, s2
; %bb.58:
	v_mov_b32_e32 v3, 0
	v_or_b32_e32 v5, 0x10000, v2
	v_cmp_eq_u32_sdwa vcc_lo, v2, v3 src0_sel:WORD_0 src1_sel:DWORD
	v_cndmask_b32_e32 v3, v5, v2, vcc_lo
; %bb.59:
	s_or_b32 exec_lo, exec_lo, s2
	v_and_b32_e32 v2, 0xffff0000, v3
	s_mov_b32 s2, exec_lo
                                        ; implicit-def: $vgpr5
	v_add_f32_e32 v1, v1, v2
	v_and_b32_e32 v2, 0x7f800000, v1
	v_cmpx_ne_u32_e32 0x7f800000, v2
	s_xor_b32 s2, exec_lo, s2
; %bb.60:
	v_bfe_u32 v2, v1, 16, 1
	v_add3_u32 v5, v1, v2, 0x7fff
                                        ; implicit-def: $vgpr1
; %bb.61:
	s_andn2_saveexec_b32 s2, s2
; %bb.62:
	v_mov_b32_e32 v2, 0
	v_or_b32_e32 v3, 0x10000, v1
	v_cmp_eq_u32_sdwa vcc_lo, v1, v2 src0_sel:WORD_0 src1_sel:DWORD
	v_cndmask_b32_e32 v5, v3, v1, vcc_lo
; %bb.63:
	s_or_b32 exec_lo, exec_lo, s2
.LBB549_64:
	v_mad_u64_u32 v[2:3], null, s24, v0, 0
	v_lshrrev_b32_e32 v5, 16, v5
	s_or_b32 s2, s36, exec_lo
	v_add3_u32 v3, v3, v6, v4
.LBB549_65:
	s_or_b32 exec_lo, exec_lo, s1
	s_andn2_b32 s1, s36, exec_lo
	s_and_b32 s2, s2, exec_lo
	s_or_b32 s36, s1, s2
.LBB549_66:
	s_or_b32 exec_lo, exec_lo, s0
.LBB549_67:
	s_and_saveexec_b32 s0, s36
	s_cbranch_execz .LBB549_69
; %bb.68:
	v_lshlrev_b64 v[0:1], 1, v[2:3]
	v_add_co_u32 v0, vcc_lo, s31, v0
	v_add_co_ci_u32_e64 v1, null, s33, v1, vcc_lo
	global_store_short v[0:1], v5, off
.LBB549_69:
	s_endpgm
	.section	.rodata,"a",@progbits
	.p2align	6, 0x0
	.amdhsa_kernel _ZL20rocblas_gemvn_kernelILi32ELi16El16rocblas_bfloat16fS0_EviiT3_lPKT2_lT1_lS4_lS5_lS1_lPT4_lS5_li
		.amdhsa_group_segment_fixed_size 8192
		.amdhsa_private_segment_fixed_size 0
		.amdhsa_kernarg_size 400
		.amdhsa_user_sgpr_count 6
		.amdhsa_user_sgpr_private_segment_buffer 1
		.amdhsa_user_sgpr_dispatch_ptr 0
		.amdhsa_user_sgpr_queue_ptr 0
		.amdhsa_user_sgpr_kernarg_segment_ptr 1
		.amdhsa_user_sgpr_dispatch_id 0
		.amdhsa_user_sgpr_flat_scratch_init 0
		.amdhsa_user_sgpr_private_segment_size 0
		.amdhsa_wavefront_size32 1
		.amdhsa_uses_dynamic_stack 0
		.amdhsa_system_sgpr_private_segment_wavefront_offset 0
		.amdhsa_system_sgpr_workgroup_id_x 1
		.amdhsa_system_sgpr_workgroup_id_y 0
		.amdhsa_system_sgpr_workgroup_id_z 1
		.amdhsa_system_sgpr_workgroup_info 0
		.amdhsa_system_vgpr_workitem_id 1
		.amdhsa_next_free_vgpr 52
		.amdhsa_next_free_sgpr 43
		.amdhsa_reserve_vcc 1
		.amdhsa_reserve_flat_scratch 0
		.amdhsa_float_round_mode_32 0
		.amdhsa_float_round_mode_16_64 0
		.amdhsa_float_denorm_mode_32 3
		.amdhsa_float_denorm_mode_16_64 3
		.amdhsa_dx10_clamp 1
		.amdhsa_ieee_mode 1
		.amdhsa_fp16_overflow 0
		.amdhsa_workgroup_processor_mode 1
		.amdhsa_memory_ordered 1
		.amdhsa_forward_progress 1
		.amdhsa_shared_vgpr_count 0
		.amdhsa_exception_fp_ieee_invalid_op 0
		.amdhsa_exception_fp_denorm_src 0
		.amdhsa_exception_fp_ieee_div_zero 0
		.amdhsa_exception_fp_ieee_overflow 0
		.amdhsa_exception_fp_ieee_underflow 0
		.amdhsa_exception_fp_ieee_inexact 0
		.amdhsa_exception_int_div_zero 0
	.end_amdhsa_kernel
	.section	.text._ZL20rocblas_gemvn_kernelILi32ELi16El16rocblas_bfloat16fS0_EviiT3_lPKT2_lT1_lS4_lS5_lS1_lPT4_lS5_li,"axG",@progbits,_ZL20rocblas_gemvn_kernelILi32ELi16El16rocblas_bfloat16fS0_EviiT3_lPKT2_lT1_lS4_lS5_lS1_lPT4_lS5_li,comdat
.Lfunc_end549:
	.size	_ZL20rocblas_gemvn_kernelILi32ELi16El16rocblas_bfloat16fS0_EviiT3_lPKT2_lT1_lS4_lS5_lS1_lPT4_lS5_li, .Lfunc_end549-_ZL20rocblas_gemvn_kernelILi32ELi16El16rocblas_bfloat16fS0_EviiT3_lPKT2_lT1_lS4_lS5_lS1_lPT4_lS5_li
                                        ; -- End function
	.set _ZL20rocblas_gemvn_kernelILi32ELi16El16rocblas_bfloat16fS0_EviiT3_lPKT2_lT1_lS4_lS5_lS1_lPT4_lS5_li.num_vgpr, 52
	.set _ZL20rocblas_gemvn_kernelILi32ELi16El16rocblas_bfloat16fS0_EviiT3_lPKT2_lT1_lS4_lS5_lS1_lPT4_lS5_li.num_agpr, 0
	.set _ZL20rocblas_gemvn_kernelILi32ELi16El16rocblas_bfloat16fS0_EviiT3_lPKT2_lT1_lS4_lS5_lS1_lPT4_lS5_li.numbered_sgpr, 43
	.set _ZL20rocblas_gemvn_kernelILi32ELi16El16rocblas_bfloat16fS0_EviiT3_lPKT2_lT1_lS4_lS5_lS1_lPT4_lS5_li.num_named_barrier, 0
	.set _ZL20rocblas_gemvn_kernelILi32ELi16El16rocblas_bfloat16fS0_EviiT3_lPKT2_lT1_lS4_lS5_lS1_lPT4_lS5_li.private_seg_size, 0
	.set _ZL20rocblas_gemvn_kernelILi32ELi16El16rocblas_bfloat16fS0_EviiT3_lPKT2_lT1_lS4_lS5_lS1_lPT4_lS5_li.uses_vcc, 1
	.set _ZL20rocblas_gemvn_kernelILi32ELi16El16rocblas_bfloat16fS0_EviiT3_lPKT2_lT1_lS4_lS5_lS1_lPT4_lS5_li.uses_flat_scratch, 0
	.set _ZL20rocblas_gemvn_kernelILi32ELi16El16rocblas_bfloat16fS0_EviiT3_lPKT2_lT1_lS4_lS5_lS1_lPT4_lS5_li.has_dyn_sized_stack, 0
	.set _ZL20rocblas_gemvn_kernelILi32ELi16El16rocblas_bfloat16fS0_EviiT3_lPKT2_lT1_lS4_lS5_lS1_lPT4_lS5_li.has_recursion, 0
	.set _ZL20rocblas_gemvn_kernelILi32ELi16El16rocblas_bfloat16fS0_EviiT3_lPKT2_lT1_lS4_lS5_lS1_lPT4_lS5_li.has_indirect_call, 0
	.section	.AMDGPU.csdata,"",@progbits
; Kernel info:
; codeLenInByte = 3644
; TotalNumSgprs: 45
; NumVgprs: 52
; ScratchSize: 0
; MemoryBound: 0
; FloatMode: 240
; IeeeMode: 1
; LDSByteSize: 8192 bytes/workgroup (compile time only)
; SGPRBlocks: 0
; VGPRBlocks: 6
; NumSGPRsForWavesPerEU: 45
; NumVGPRsForWavesPerEU: 52
; Occupancy: 16
; WaveLimiterHint : 1
; COMPUTE_PGM_RSRC2:SCRATCH_EN: 0
; COMPUTE_PGM_RSRC2:USER_SGPR: 6
; COMPUTE_PGM_RSRC2:TRAP_HANDLER: 0
; COMPUTE_PGM_RSRC2:TGID_X_EN: 1
; COMPUTE_PGM_RSRC2:TGID_Y_EN: 0
; COMPUTE_PGM_RSRC2:TGID_Z_EN: 1
; COMPUTE_PGM_RSRC2:TIDIG_COMP_CNT: 1
	.section	.text._ZL20rocblas_gemvn_kernelILi64ELi16Ei16rocblas_bfloat16PKfS0_EviiT3_lPKT2_lT1_lS6_lS7_lS3_lPT4_lS7_li,"axG",@progbits,_ZL20rocblas_gemvn_kernelILi64ELi16Ei16rocblas_bfloat16PKfS0_EviiT3_lPKT2_lT1_lS6_lS7_lS3_lPT4_lS7_li,comdat
	.globl	_ZL20rocblas_gemvn_kernelILi64ELi16Ei16rocblas_bfloat16PKfS0_EviiT3_lPKT2_lT1_lS6_lS7_lS3_lPT4_lS7_li ; -- Begin function _ZL20rocblas_gemvn_kernelILi64ELi16Ei16rocblas_bfloat16PKfS0_EviiT3_lPKT2_lT1_lS6_lS7_lS3_lPT4_lS7_li
	.p2align	8
	.type	_ZL20rocblas_gemvn_kernelILi64ELi16Ei16rocblas_bfloat16PKfS0_EviiT3_lPKT2_lT1_lS6_lS7_lS3_lPT4_lS7_li,@function
_ZL20rocblas_gemvn_kernelILi64ELi16Ei16rocblas_bfloat16PKfS0_EviiT3_lPKT2_lT1_lS6_lS7_lS3_lPT4_lS7_li: ; @_ZL20rocblas_gemvn_kernelILi64ELi16Ei16rocblas_bfloat16PKfS0_EviiT3_lPKT2_lT1_lS6_lS7_lS3_lPT4_lS7_li
; %bb.0:
	s_load_dwordx2 s[0:1], s[4:5], 0x9c
	s_waitcnt lgkmcnt(0)
	s_lshr_b32 s2, s0, 16
	s_and_b32 s0, s0, 0xffff
	s_and_b32 s1, s1, 0xffff
	s_mul_i32 s0, s2, s0
	s_mul_i32 s0, s0, s1
	s_cmpk_lg_i32 s0, 0x400
	s_cbranch_scc1 .LBB550_69
; %bb.1:
	s_clause 0x1
	s_load_dwordx8 s[16:23], s[4:5], 0x8
	s_load_dwordx8 s[8:15], s[4:5], 0x50
	s_waitcnt lgkmcnt(0)
	s_mul_i32 s1, s19, s7
	s_mul_hi_u32 s2, s18, s7
	s_mul_i32 s0, s18, s7
	s_add_i32 s1, s2, s1
	s_mul_i32 s2, s13, s7
	s_lshl_b64 s[0:1], s[0:1], 2
	s_mul_hi_u32 s3, s12, s7
	s_add_u32 s0, s16, s0
	s_addc_u32 s1, s17, s1
	s_add_i32 s3, s3, s2
	s_mul_i32 s2, s12, s7
	s_mov_b32 s16, 0
	s_lshl_b64 s[2:3], s[2:3], 2
	s_add_u32 s2, s10, s2
	s_addc_u32 s3, s11, s3
	s_load_dword s19, s[0:1], 0x0
	s_load_dword s17, s[2:3], 0x0
	s_waitcnt lgkmcnt(0)
	v_cmp_eq_f32_e64 s0, s19, 0
	v_cmp_eq_f32_e64 s1, s17, 1.0
	s_and_b32 s0, s0, s1
	s_and_b32 vcc_lo, exec_lo, s0
	s_cbranch_vccnz .LBB550_69
; %bb.2:
	s_clause 0x3
	s_load_dwordx2 s[0:1], s[4:5], 0x80
	s_load_dwordx2 s[2:3], s[4:5], 0x70
	s_load_dword s18, s[4:5], 0x78
	s_load_dwordx2 s[10:11], s[4:5], 0x0
	v_lshlrev_b32_e32 v14, 6, v1
	v_cmp_neq_f32_e64 s24, s19, 0
	v_add_nc_u32_e32 v13, v14, v0
	s_waitcnt lgkmcnt(0)
	s_mul_i32 s1, s1, s7
	s_mul_hi_u32 s12, s0, s7
	s_mul_i32 s0, s0, s7
	s_add_i32 s1, s12, s1
	s_lshl_b64 s[0:1], s[0:1], 1
	s_add_u32 s12, s14, s0
	s_addc_u32 s13, s15, s1
	s_lshl_b64 s[0:1], s[2:3], 1
	s_add_u32 s12, s12, s0
	v_cmp_gt_u32_e64 s0, 0x100, v13
	s_addc_u32 s13, s13, s1
	s_and_b32 vcc_lo, exec_lo, s24
	s_cbranch_vccnz .LBB550_13
; %bb.3:
	s_mov_b32 s1, 0
                                        ; implicit-def: $vgpr5
                                        ; implicit-def: $vgpr2_vgpr3
	s_and_saveexec_b32 s2, s0
	s_cbranch_execz .LBB550_14
; %bb.4:
	v_lshl_or_b32 v4, s6, 8, v13
	v_mov_b32_e32 v5, 0
	s_ashr_i32 s15, s10, 31
	s_mov_b32 s14, s10
	s_mov_b32 s3, 0
	s_mov_b32 s0, exec_lo
                                        ; implicit-def: $vgpr2_vgpr3
	v_cmpx_gt_i64_e64 s[14:15], v[4:5]
	s_cbranch_execz .LBB550_12
; %bb.5:
	v_mad_u64_u32 v[2:3], null, s18, v4, 0
	s_ashr_i32 s3, s18, 31
	v_mad_u64_u32 v[3:4], null, s3, v4, v[3:4]
	v_cmp_eq_f32_e64 s3, s17, 0
	s_and_b32 vcc_lo, exec_lo, s3
	s_cbranch_vccnz .LBB550_11
; %bb.6:
	v_lshlrev_b64 v[4:5], 1, v[2:3]
	v_add_co_u32 v4, vcc_lo, s12, v4
	v_add_co_ci_u32_e64 v5, null, s13, v5, vcc_lo
	global_load_ushort v4, v[4:5], off
	s_waitcnt vmcnt(0)
	v_lshlrev_b32_e32 v4, 16, v4
	v_mul_f32_e32 v4, s17, v4
	v_and_b32_e32 v5, 0x7f800000, v4
	v_cmp_ne_u32_e32 vcc_lo, 0x7f800000, v5
                                        ; implicit-def: $vgpr5
	s_and_saveexec_b32 s3, vcc_lo
	s_xor_b32 s3, exec_lo, s3
; %bb.7:
	v_bfe_u32 v5, v4, 16, 1
	v_add3_u32 v5, v4, v5, 0x7fff
                                        ; implicit-def: $vgpr4
; %bb.8:
	s_andn2_saveexec_b32 s3, s3
; %bb.9:
	v_mov_b32_e32 v5, 0
	v_or_b32_e32 v6, 0x10000, v4
	v_cmp_eq_u32_sdwa vcc_lo, v4, v5 src0_sel:WORD_0 src1_sel:DWORD
	v_cndmask_b32_e32 v5, v6, v4, vcc_lo
; %bb.10:
	s_or_b32 exec_lo, exec_lo, s3
	v_lshrrev_b32_e32 v5, 16, v5
.LBB550_11:
	s_mov_b32 s3, exec_lo
.LBB550_12:
	s_or_b32 exec_lo, exec_lo, s0
	s_and_b32 s16, s3, exec_lo
	s_or_b32 exec_lo, exec_lo, s2
	s_and_b32 vcc_lo, exec_lo, s1
	s_cbranch_vccnz .LBB550_15
	s_branch .LBB550_67
.LBB550_13:
                                        ; implicit-def: $vgpr5
                                        ; implicit-def: $vgpr2_vgpr3
	s_cbranch_execnz .LBB550_15
	s_branch .LBB550_67
.LBB550_14:
	s_or_b32 exec_lo, exec_lo, s2
	s_and_b32 vcc_lo, exec_lo, s1
	s_cbranch_vccz .LBB550_67
.LBB550_15:
	s_clause 0x3
	s_load_dwordx4 s[0:3], s[4:5], 0x30
	s_load_dword s14, s[4:5], 0x28
	s_load_dwordx2 s[24:25], s[4:5], 0x40
	s_load_dword s4, s[4:5], 0x48
	s_mul_i32 s9, s9, s7
	v_lshlrev_b32_e32 v20, 2, v1
	v_mov_b32_e32 v15, 0
	v_mov_b32_e32 v16, 0
	;; [unrolled: 1-line block ×4, first 2 shown]
	s_waitcnt lgkmcnt(0)
	s_mul_i32 s1, s1, s7
	s_mul_hi_u32 s15, s0, s7
	s_mul_i32 s0, s0, s7
	s_add_i32 s1, s15, s1
	s_mul_hi_u32 s15, s8, s7
	s_lshl_b64 s[0:1], s[0:1], 1
	s_add_u32 s26, s20, s0
	s_addc_u32 s21, s21, s1
	s_lshl_b64 s[0:1], s[22:23], 1
	s_mul_i32 s20, s8, s7
	s_add_u32 s7, s26, s0
	s_addc_u32 s8, s21, s1
	s_add_i32 s21, s15, s9
	s_lshl_b64 s[0:1], s[20:21], 1
	s_mov_b32 s20, exec_lo
	s_add_u32 s2, s2, s0
	s_addc_u32 s3, s3, s1
	s_lshl_b64 s[0:1], s[24:25], 1
	s_add_u32 s9, s2, s0
	s_addc_u32 s15, s3, s1
	s_ashr_i32 s0, s11, 31
	s_lshl_b32 s5, s6, 8
	s_lshr_b32 s0, s0, 26
	v_add_nc_u32_e32 v19, s5, v0
	s_add_i32 s0, s11, s0
	s_and_b32 s6, s0, 0xffffffc0
	v_cmpx_gt_i32_e64 s6, v20
	s_cbranch_execz .LBB550_27
; %bb.16:
	v_add_nc_u32_e32 v5, 0xc0, v19
	v_mul_lo_u32 v3, s14, v20
	v_add_nc_u32_e32 v2, 64, v19
	v_add_nc_u32_e32 v6, 2, v20
	;; [unrolled: 1-line block ×3, first 2 shown]
	v_cmp_gt_i32_e64 s2, s10, v5
	v_mul_lo_u32 v5, v1, s14
	v_add_nc_u32_e32 v7, 3, v20
	v_mul_lo_u32 v8, v1, s4
	v_cmp_gt_i32_e64 s0, s10, v2
	v_add3_u32 v21, v3, s14, v0
	v_mad_u64_u32 v[2:3], null, s14, v6, v[0:1]
	v_cmp_gt_i32_e64 s1, s10, v4
	v_mad_u64_u32 v[3:4], null, s14, v7, v[0:1]
	v_lshl_add_u32 v22, v5, 2, v0
	v_mad_u64_u32 v[4:5], null, s4, v20, s[4:5]
	v_mul_lo_u32 v23, s4, v6
	v_mul_lo_u32 v24, s4, v7
	v_lshlrev_b32_e32 v25, 2, v8
	v_mov_b32_e32 v15, 0
	v_mov_b32_e32 v16, 0
	;; [unrolled: 1-line block ×4, first 2 shown]
	s_lshl_b32 s21, s14, 6
	s_lshl_b32 s23, s4, 6
	s_mov_b32 s22, 0
	s_mov_b32 s24, 0
	v_cmp_gt_i32_e32 vcc_lo, s10, v19
	s_branch .LBB550_21
.LBB550_17:                             ;   in Loop: Header=BB550_21 Depth=1
	s_or_b32 exec_lo, exec_lo, s27
	s_waitcnt vmcnt(3)
	v_lshlrev_b32_e32 v5, 16, v41
	s_waitcnt vmcnt(2)
	v_lshlrev_b32_e32 v6, 16, v40
	v_fmac_f32_e32 v17, v33, v5
	s_waitcnt vmcnt(1)
	v_lshlrev_b32_e32 v5, 16, v39
	v_fmac_f32_e32 v17, v29, v6
	v_fmac_f32_e32 v17, v31, v5
	s_waitcnt vmcnt(0)
	v_lshlrev_b32_e32 v5, 16, v38
	v_fmac_f32_e32 v17, v27, v5
.LBB550_18:                             ;   in Loop: Header=BB550_21 Depth=1
	s_or_b32 exec_lo, exec_lo, s26
	s_waitcnt vmcnt(3)
	v_lshlrev_b32_e32 v5, 16, v37
	s_waitcnt vmcnt(2)
	v_lshlrev_b32_e32 v6, 16, v36
	v_fmac_f32_e32 v16, v33, v5
	s_waitcnt vmcnt(1)
	v_lshlrev_b32_e32 v5, 16, v35
	v_fmac_f32_e32 v16, v29, v6
	v_fmac_f32_e32 v16, v31, v5
	s_waitcnt vmcnt(0)
	v_lshlrev_b32_e32 v5, 16, v34
	v_fmac_f32_e32 v16, v27, v5
.LBB550_19:                             ;   in Loop: Header=BB550_21 Depth=1
	s_or_b32 exec_lo, exec_lo, s3
	s_waitcnt vmcnt(3)
	v_lshlrev_b32_e32 v5, 16, v32
	s_waitcnt vmcnt(2)
	v_lshlrev_b32_e32 v6, 16, v30
	v_fmac_f32_e32 v15, v33, v5
	s_waitcnt vmcnt(1)
	v_lshlrev_b32_e32 v5, 16, v28
	v_fmac_f32_e32 v15, v29, v6
	v_fmac_f32_e32 v15, v31, v5
	s_waitcnt vmcnt(0)
	v_lshlrev_b32_e32 v5, 16, v26
	v_fmac_f32_e32 v15, v27, v5
.LBB550_20:                             ;   in Loop: Header=BB550_21 Depth=1
	s_or_b32 exec_lo, exec_lo, s25
	v_add_nc_u32_e32 v20, 64, v20
	v_add_nc_u32_e32 v21, s21, v21
	v_add_nc_u32_e32 v2, s21, v2
	v_add_nc_u32_e32 v3, s21, v3
	v_add_nc_u32_e32 v22, s21, v22
	v_cmp_le_i32_e64 s3, s6, v20
	s_add_i32 s24, s24, s23
	s_or_b32 s22, s3, s22
	s_andn2_b32 exec_lo, exec_lo, s22
	s_cbranch_execz .LBB550_26
.LBB550_21:                             ; =>This Inner Loop Header: Depth=1
	s_and_saveexec_b32 s25, vcc_lo
	s_cbranch_execz .LBB550_20
; %bb.22:                               ;   in Loop: Header=BB550_21 Depth=1
	v_add_nc_u32_e32 v5, s24, v25
	v_add_nc_u32_e32 v7, s24, v4
	;; [unrolled: 1-line block ×5, first 2 shown]
	v_ashrrev_i32_e32 v6, 31, v5
	v_ashrrev_i32_e32 v8, 31, v7
	;; [unrolled: 1-line block ×5, first 2 shown]
	v_lshlrev_b64 v[5:6], 1, v[5:6]
	v_lshlrev_b64 v[7:8], 1, v[7:8]
	;; [unrolled: 1-line block ×4, first 2 shown]
	v_add_nc_u32_e32 v28, s5, v21
	v_add_nc_u32_e32 v30, s5, v2
	v_add_co_u32 v5, s3, s9, v5
	v_add_co_ci_u32_e64 v6, null, s15, v6, s3
	v_add_co_u32 v7, s3, s9, v7
	v_add_co_ci_u32_e64 v8, null, s15, v8, s3
	;; [unrolled: 2-line block ×4, first 2 shown]
	v_lshlrev_b64 v[26:27], 1, v[26:27]
	s_clause 0x3
	global_load_ushort v33, v[5:6], off
	global_load_ushort v34, v[7:8], off
	;; [unrolled: 1-line block ×4, first 2 shown]
	v_add_nc_u32_e32 v9, s5, v3
	v_ashrrev_i32_e32 v29, 31, v28
	v_ashrrev_i32_e32 v31, 31, v30
	v_add_co_u32 v5, s3, s7, v26
	v_ashrrev_i32_e32 v10, 31, v9
	v_lshlrev_b64 v[7:8], 1, v[28:29]
	v_add_co_ci_u32_e64 v6, null, s8, v27, s3
	v_lshlrev_b64 v[26:27], 1, v[30:31]
	v_lshlrev_b64 v[9:10], 1, v[9:10]
	v_add_co_u32 v11, s3, s7, v7
	v_add_co_ci_u32_e64 v12, null, s8, v8, s3
	v_add_co_u32 v7, s3, s7, v26
	v_add_co_ci_u32_e64 v8, null, s8, v27, s3
	;; [unrolled: 2-line block ×3, first 2 shown]
	s_clause 0x3
	global_load_ushort v32, v[5:6], off
	global_load_ushort v30, v[11:12], off
	;; [unrolled: 1-line block ×4, first 2 shown]
	s_waitcnt vmcnt(7)
	v_lshlrev_b32_e32 v33, 16, v33
	s_waitcnt vmcnt(6)
	v_lshlrev_b32_e32 v29, 16, v34
	s_waitcnt vmcnt(5)
	v_lshlrev_b32_e32 v31, 16, v35
	s_waitcnt vmcnt(4)
	v_lshlrev_b32_e32 v27, 16, v36
	s_and_saveexec_b32 s3, s0
	s_cbranch_execz .LBB550_19
; %bb.23:                               ;   in Loop: Header=BB550_21 Depth=1
	s_clause 0x3
	global_load_ushort v37, v[5:6], off offset:128
	global_load_ushort v36, v[11:12], off offset:128
	global_load_ushort v35, v[7:8], off offset:128
	global_load_ushort v34, v[9:10], off offset:128
	s_and_saveexec_b32 s26, s1
	s_cbranch_execz .LBB550_18
; %bb.24:                               ;   in Loop: Header=BB550_21 Depth=1
	s_clause 0x3
	global_load_ushort v41, v[5:6], off offset:256
	global_load_ushort v40, v[11:12], off offset:256
	global_load_ushort v39, v[7:8], off offset:256
	global_load_ushort v38, v[9:10], off offset:256
	;; [unrolled: 8-line block ×3, first 2 shown]
	s_waitcnt vmcnt(3)
	v_lshlrev_b32_e32 v5, 16, v5
	s_waitcnt vmcnt(2)
	v_lshlrev_b32_e32 v6, 16, v6
	v_fmac_f32_e32 v18, v33, v5
	s_waitcnt vmcnt(1)
	v_lshlrev_b32_e32 v5, 16, v7
	v_fmac_f32_e32 v18, v29, v6
	s_waitcnt vmcnt(0)
	v_lshlrev_b32_e32 v6, 16, v8
	v_fmac_f32_e32 v18, v31, v5
	v_fmac_f32_e32 v18, v27, v6
	s_branch .LBB550_17
.LBB550_26:
	s_or_b32 exec_lo, exec_lo, s22
.LBB550_27:
	s_or_b32 exec_lo, exec_lo, s20
	s_sub_i32 s0, s11, s6
	s_cmp_lt_i32 s0, 1
	s_cbranch_scc1 .LBB550_45
; %bb.28:
	v_cmp_gt_i32_e32 vcc_lo, s11, v20
	v_mov_b32_e32 v11, 0
	v_or_b32_e32 v2, 1, v20
	v_mov_b32_e32 v10, 0
	v_mov_b32_e32 v21, 0
	v_mov_b32_e32 v12, 0
	s_and_saveexec_b32 s1, vcc_lo
	s_cbranch_execz .LBB550_36
; %bb.29:
	v_mul_lo_u32 v3, v20, s4
	v_mov_b32_e32 v12, 0
	v_mov_b32_e32 v10, 0
	;; [unrolled: 1-line block ×3, first 2 shown]
	s_mov_b32 s2, exec_lo
	v_ashrrev_i32_e32 v4, 31, v3
	v_lshlrev_b64 v[3:4], 1, v[3:4]
	v_add_co_u32 v3, s0, s9, v3
	v_add_co_ci_u32_e64 v4, null, s15, v4, s0
	global_load_ushort v3, v[3:4], off
	v_cmpx_gt_i32_e64 s11, v2
	s_cbranch_execz .LBB550_35
; %bb.30:
	v_mul_lo_u32 v4, v2, s4
	v_mov_b32_e32 v10, 0
	v_mov_b32_e32 v11, 0
	s_mov_b32 s3, exec_lo
	v_ashrrev_i32_e32 v5, 31, v4
	v_lshlrev_b64 v[4:5], 1, v[4:5]
	v_add_co_u32 v4, s0, s9, v4
	v_add_co_ci_u32_e64 v5, null, s15, v5, s0
	global_load_ushort v4, v[4:5], off
	v_or_b32_e32 v5, 2, v20
	v_cmpx_gt_i32_e64 s11, v5
	s_cbranch_execz .LBB550_34
; %bb.31:
	v_mul_lo_u32 v5, v5, s4
	v_mov_b32_e32 v10, 0
	s_mov_b32 s6, exec_lo
	v_ashrrev_i32_e32 v6, 31, v5
	v_lshlrev_b64 v[5:6], 1, v[5:6]
	v_add_co_u32 v5, s0, s9, v5
	v_add_co_ci_u32_e64 v6, null, s15, v6, s0
	global_load_ushort v5, v[5:6], off
	v_or_b32_e32 v6, 3, v20
	v_cmpx_gt_i32_e64 s11, v6
	s_cbranch_execz .LBB550_33
; %bb.32:
	v_mul_lo_u32 v6, v6, s4
	v_ashrrev_i32_e32 v7, 31, v6
	v_lshlrev_b64 v[6:7], 1, v[6:7]
	v_add_co_u32 v6, s0, s9, v6
	v_add_co_ci_u32_e64 v7, null, s15, v7, s0
	global_load_ushort v6, v[6:7], off
	s_waitcnt vmcnt(0)
	v_lshlrev_b32_e32 v10, 16, v6
.LBB550_33:
	s_or_b32 exec_lo, exec_lo, s6
	s_waitcnt vmcnt(0)
	v_lshlrev_b32_e32 v11, 16, v5
.LBB550_34:
	s_or_b32 exec_lo, exec_lo, s3
	s_waitcnt vmcnt(0)
	v_lshlrev_b32_e32 v12, 16, v4
.LBB550_35:
	s_or_b32 exec_lo, exec_lo, s2
	s_waitcnt vmcnt(0)
	v_lshlrev_b32_e32 v21, 16, v3
.LBB550_36:
	s_or_b32 exec_lo, exec_lo, s1
	s_mov_b32 s1, exec_lo
	v_cmpx_gt_i32_e64 s10, v19
	s_cbranch_execz .LBB550_44
; %bb.37:
	v_mul_lo_u32 v3, v20, s14
	v_mul_lo_u32 v4, v2, s14
	v_or_b32_e32 v5, 2, v20
	v_or_b32_e32 v6, 3, v20
	s_mov_b32 s0, exec_lo
	v_mul_lo_u32 v7, v5, s14
	v_cndmask_b32_e32 v3, 0, v3, vcc_lo
	v_cmp_gt_i32_e32 vcc_lo, s11, v2
	v_mul_lo_u32 v8, v6, s14
	v_add_nc_u32_e32 v2, v3, v19
	v_cndmask_b32_e32 v4, 0, v4, vcc_lo
	v_cmp_gt_i32_e32 vcc_lo, s11, v5
	v_ashrrev_i32_e32 v3, 31, v2
	v_add_nc_u32_e32 v4, v4, v19
	v_cndmask_b32_e32 v7, 0, v7, vcc_lo
	v_cmp_gt_i32_e32 vcc_lo, s11, v6
	v_lshlrev_b64 v[2:3], 1, v[2:3]
	v_ashrrev_i32_e32 v5, 31, v4
	v_add_nc_u32_e32 v6, v7, v19
	v_cndmask_b32_e32 v8, 0, v8, vcc_lo
	v_lshlrev_b64 v[4:5], 1, v[4:5]
	v_ashrrev_i32_e32 v7, 31, v6
	v_add_nc_u32_e32 v8, v8, v19
	v_add_co_u32 v2, vcc_lo, s7, v2
	v_add_co_ci_u32_e64 v3, null, s8, v3, vcc_lo
	v_ashrrev_i32_e32 v9, 31, v8
	v_add_co_u32 v4, vcc_lo, s7, v4
	v_add_co_ci_u32_e64 v5, null, s8, v5, vcc_lo
	v_lshlrev_b64 v[6:7], 1, v[6:7]
	v_lshlrev_b64 v[8:9], 1, v[8:9]
	s_clause 0x1
	global_load_ushort v20, v[2:3], off
	global_load_ushort v22, v[4:5], off
	v_add_co_u32 v6, vcc_lo, s7, v6
	v_add_co_ci_u32_e64 v7, null, s8, v7, vcc_lo
	v_add_co_u32 v8, vcc_lo, s7, v8
	v_add_co_ci_u32_e64 v9, null, s8, v9, vcc_lo
	s_clause 0x1
	global_load_ushort v23, v[6:7], off
	global_load_ushort v24, v[8:9], off
	s_waitcnt vmcnt(3)
	v_lshlrev_b32_e32 v20, 16, v20
	s_waitcnt vmcnt(2)
	v_lshlrev_b32_e32 v22, 16, v22
	v_fmac_f32_e32 v15, v21, v20
	v_fmac_f32_e32 v15, v12, v22
	v_add_nc_u32_e32 v22, 64, v19
	s_waitcnt vmcnt(1)
	v_lshlrev_b32_e32 v23, 16, v23
	s_waitcnt vmcnt(0)
	v_lshlrev_b32_e32 v20, 16, v24
	v_fmac_f32_e32 v15, v11, v23
	v_cmpx_gt_i32_e64 s10, v22
	s_cbranch_execz .LBB550_43
; %bb.38:
	s_clause 0x3
	global_load_ushort v22, v[2:3], off offset:128
	global_load_ushort v23, v[4:5], off offset:128
	;; [unrolled: 1-line block ×4, first 2 shown]
	s_mov_b32 s2, exec_lo
	s_waitcnt vmcnt(3)
	v_lshlrev_b32_e32 v22, 16, v22
	s_waitcnt vmcnt(2)
	v_lshlrev_b32_e32 v23, 16, v23
	;; [unrolled: 2-line block ×3, first 2 shown]
	v_fmac_f32_e32 v16, v21, v22
	s_waitcnt vmcnt(0)
	v_lshlrev_b32_e32 v22, 16, v25
	v_fmac_f32_e32 v16, v12, v23
	v_add_nc_u32_e32 v23, 0x80, v19
	v_fmac_f32_e32 v16, v11, v24
	v_cmpx_gt_i32_e64 s10, v23
	s_cbranch_execz .LBB550_42
; %bb.39:
	s_clause 0x3
	global_load_ushort v23, v[2:3], off offset:256
	global_load_ushort v24, v[4:5], off offset:256
	;; [unrolled: 1-line block ×4, first 2 shown]
	s_mov_b32 s3, exec_lo
	s_waitcnt vmcnt(3)
	v_lshlrev_b32_e32 v23, 16, v23
	s_waitcnt vmcnt(2)
	v_lshlrev_b32_e32 v24, 16, v24
	v_fmac_f32_e32 v17, v21, v23
	s_waitcnt vmcnt(1)
	v_lshlrev_b32_e32 v23, 16, v25
	v_fmac_f32_e32 v17, v12, v24
	v_add_nc_u32_e32 v24, 0xc0, v19
	s_waitcnt vmcnt(0)
	v_lshlrev_b32_e32 v19, 16, v26
	v_fmac_f32_e32 v17, v11, v23
	v_cmpx_gt_i32_e64 s10, v24
	s_cbranch_execz .LBB550_41
; %bb.40:
	s_clause 0x3
	global_load_ushort v2, v[2:3], off offset:384
	global_load_ushort v3, v[4:5], off offset:384
	;; [unrolled: 1-line block ×4, first 2 shown]
	s_waitcnt vmcnt(3)
	v_lshlrev_b32_e32 v2, 16, v2
	s_waitcnt vmcnt(2)
	v_lshlrev_b32_e32 v3, 16, v3
	v_fmac_f32_e32 v18, v21, v2
	s_waitcnt vmcnt(1)
	v_lshlrev_b32_e32 v2, 16, v4
	v_fmac_f32_e32 v18, v12, v3
	;; [unrolled: 3-line block ×3, first 2 shown]
	v_fmac_f32_e32 v18, v10, v3
.LBB550_41:
	s_or_b32 exec_lo, exec_lo, s3
	v_fmac_f32_e32 v17, v10, v19
.LBB550_42:
	s_or_b32 exec_lo, exec_lo, s2
	v_fmac_f32_e32 v16, v10, v22
.LBB550_43:
	s_or_b32 exec_lo, exec_lo, s0
	v_fmac_f32_e32 v15, v10, v20
.LBB550_44:
	s_or_b32 exec_lo, exec_lo, s1
.LBB550_45:
	v_lshlrev_b32_e32 v0, 2, v0
	s_mov_b32 s0, exec_lo
                                        ; implicit-def: $vgpr5
                                        ; implicit-def: $vgpr2_vgpr3
	v_lshl_add_u32 v1, v1, 10, v0
	ds_write2st64_b32 v1, v15, v16 offset1:1
	ds_write2st64_b32 v1, v17, v18 offset0:2 offset1:3
	s_waitcnt lgkmcnt(0)
	s_barrier
	buffer_gl0_inv
	v_cmpx_gt_u32_e32 0x100, v13
	s_cbranch_execz .LBB550_66
; %bb.46:
	v_lshl_add_u32 v6, v14, 2, v0
	s_mov_b32 s2, s16
	s_mov_b32 s1, exec_lo
	ds_read2st64_b32 v[0:1], v6 offset1:4
	ds_read2st64_b32 v[2:3], v6 offset0:8 offset1:12
	ds_read2st64_b32 v[4:5], v6 offset0:16 offset1:20
	s_waitcnt lgkmcnt(2)
	v_add_f32_e32 v7, v0, v1
	ds_read2st64_b32 v[0:1], v6 offset0:24 offset1:28
	s_waitcnt lgkmcnt(2)
	v_add_f32_e32 v2, v2, v7
	v_add_f32_e32 v7, v3, v2
	ds_read2st64_b32 v[2:3], v6 offset0:32 offset1:36
	s_waitcnt lgkmcnt(2)
	v_add_f32_e32 v4, v4, v7
	;; [unrolled: 4-line block ×3, first 2 shown]
	v_add_f32_e32 v0, v1, v0
	s_waitcnt lgkmcnt(1)
	v_add_f32_e32 v2, v2, v0
	ds_read2st64_b32 v[0:1], v6 offset0:48 offset1:52
	v_add_f32_e32 v2, v3, v2
	s_waitcnt lgkmcnt(1)
	v_add_f32_e32 v4, v4, v2
	ds_read2st64_b32 v[2:3], v6 offset0:56 offset1:60
	v_add_f32_e32 v4, v5, v4
                                        ; implicit-def: $vgpr5
	s_waitcnt lgkmcnt(1)
	v_add_f32_e32 v0, v0, v4
	v_or_b32_e32 v4, s5, v13
	v_add_f32_e32 v0, v1, v0
	s_waitcnt lgkmcnt(0)
	v_add_f32_e32 v0, v2, v0
	v_add_f32_e32 v0, v3, v0
                                        ; implicit-def: $vgpr2_vgpr3
	ds_write_b32 v6, v0
	v_cmpx_gt_i32_e64 s10, v4
	s_cbranch_execz .LBB550_65
; %bb.47:
	v_cmp_eq_f32_e64 s2, s17, 0
	v_mul_f32_e32 v0, s19, v0
	s_and_b32 vcc_lo, exec_lo, s2
	s_cbranch_vccz .LBB550_53
; %bb.48:
	v_and_b32_e32 v1, 0x7f800000, v0
	v_cmp_ne_u32_e32 vcc_lo, 0x7f800000, v1
                                        ; implicit-def: $vgpr1
	s_and_saveexec_b32 s2, vcc_lo
	s_xor_b32 s2, exec_lo, s2
; %bb.49:
	v_bfe_u32 v1, v0, 16, 1
	v_add3_u32 v1, v0, v1, 0x7fff
; %bb.50:
	s_andn2_saveexec_b32 s2, s2
; %bb.51:
	v_mov_b32_e32 v1, 0
	v_or_b32_e32 v2, 0x10000, v0
	v_cmp_eq_u32_sdwa vcc_lo, v0, v1 src0_sel:WORD_0 src1_sel:DWORD
	v_cndmask_b32_e32 v1, v2, v0, vcc_lo
; %bb.52:
	s_or_b32 exec_lo, exec_lo, s2
	s_mov_b32 s2, 0
	s_branch .LBB550_54
.LBB550_53:
	s_mov_b32 s2, -1
                                        ; implicit-def: $vgpr1
.LBB550_54:
	v_mul_lo_u32 v2, s18, v4
	s_andn2_b32 vcc_lo, exec_lo, s2
	v_ashrrev_i32_e32 v3, 31, v2
	s_cbranch_vccnz .LBB550_64
; %bb.55:
	v_lshlrev_b64 v[4:5], 1, v[2:3]
	v_add_co_u32 v4, vcc_lo, s12, v4
	v_add_co_ci_u32_e64 v5, null, s13, v5, vcc_lo
	global_load_ushort v1, v[4:5], off
	s_waitcnt vmcnt(0)
	v_lshlrev_b32_e32 v1, 16, v1
	v_mul_f32_e32 v1, s17, v1
	v_and_b32_e32 v4, 0x7f800000, v1
	v_cmp_ne_u32_e32 vcc_lo, 0x7f800000, v4
                                        ; implicit-def: $vgpr4
	s_and_saveexec_b32 s2, vcc_lo
	s_xor_b32 s2, exec_lo, s2
; %bb.56:
	v_bfe_u32 v4, v1, 16, 1
	v_add3_u32 v4, v1, v4, 0x7fff
                                        ; implicit-def: $vgpr1
; %bb.57:
	s_andn2_saveexec_b32 s2, s2
; %bb.58:
	v_mov_b32_e32 v4, 0
	v_or_b32_e32 v5, 0x10000, v1
	v_cmp_eq_u32_sdwa vcc_lo, v1, v4 src0_sel:WORD_0 src1_sel:DWORD
	v_cndmask_b32_e32 v4, v5, v1, vcc_lo
; %bb.59:
	s_or_b32 exec_lo, exec_lo, s2
	v_and_b32_e32 v1, 0xffff0000, v4
	v_add_f32_e32 v0, v0, v1
	v_and_b32_e32 v1, 0x7f800000, v0
	v_cmp_ne_u32_e32 vcc_lo, 0x7f800000, v1
                                        ; implicit-def: $vgpr1
	s_and_saveexec_b32 s2, vcc_lo
	s_xor_b32 s2, exec_lo, s2
; %bb.60:
	v_bfe_u32 v1, v0, 16, 1
	v_add3_u32 v1, v0, v1, 0x7fff
                                        ; implicit-def: $vgpr0
; %bb.61:
	s_andn2_saveexec_b32 s2, s2
; %bb.62:
	v_mov_b32_e32 v1, 0
	v_or_b32_e32 v4, 0x10000, v0
	v_cmp_eq_u32_sdwa vcc_lo, v0, v1 src0_sel:WORD_0 src1_sel:DWORD
	v_cndmask_b32_e32 v1, v4, v0, vcc_lo
; %bb.63:
	s_or_b32 exec_lo, exec_lo, s2
.LBB550_64:
	v_lshrrev_b32_e32 v5, 16, v1
	s_or_b32 s2, s16, exec_lo
.LBB550_65:
	s_or_b32 exec_lo, exec_lo, s1
	s_andn2_b32 s1, s16, exec_lo
	s_and_b32 s2, s2, exec_lo
	s_or_b32 s16, s1, s2
.LBB550_66:
	s_or_b32 exec_lo, exec_lo, s0
.LBB550_67:
	s_and_saveexec_b32 s0, s16
	s_cbranch_execz .LBB550_69
; %bb.68:
	v_lshlrev_b64 v[0:1], 1, v[2:3]
	v_add_co_u32 v0, vcc_lo, s12, v0
	v_add_co_ci_u32_e64 v1, null, s13, v1, vcc_lo
	global_store_short v[0:1], v5, off
.LBB550_69:
	s_endpgm
	.section	.rodata,"a",@progbits
	.p2align	6, 0x0
	.amdhsa_kernel _ZL20rocblas_gemvn_kernelILi64ELi16Ei16rocblas_bfloat16PKfS0_EviiT3_lPKT2_lT1_lS6_lS7_lS3_lPT4_lS7_li
		.amdhsa_group_segment_fixed_size 16384
		.amdhsa_private_segment_fixed_size 0
		.amdhsa_kernarg_size 400
		.amdhsa_user_sgpr_count 6
		.amdhsa_user_sgpr_private_segment_buffer 1
		.amdhsa_user_sgpr_dispatch_ptr 0
		.amdhsa_user_sgpr_queue_ptr 0
		.amdhsa_user_sgpr_kernarg_segment_ptr 1
		.amdhsa_user_sgpr_dispatch_id 0
		.amdhsa_user_sgpr_flat_scratch_init 0
		.amdhsa_user_sgpr_private_segment_size 0
		.amdhsa_wavefront_size32 1
		.amdhsa_uses_dynamic_stack 0
		.amdhsa_system_sgpr_private_segment_wavefront_offset 0
		.amdhsa_system_sgpr_workgroup_id_x 1
		.amdhsa_system_sgpr_workgroup_id_y 0
		.amdhsa_system_sgpr_workgroup_id_z 1
		.amdhsa_system_sgpr_workgroup_info 0
		.amdhsa_system_vgpr_workitem_id 1
		.amdhsa_next_free_vgpr 42
		.amdhsa_next_free_sgpr 28
		.amdhsa_reserve_vcc 1
		.amdhsa_reserve_flat_scratch 0
		.amdhsa_float_round_mode_32 0
		.amdhsa_float_round_mode_16_64 0
		.amdhsa_float_denorm_mode_32 3
		.amdhsa_float_denorm_mode_16_64 3
		.amdhsa_dx10_clamp 1
		.amdhsa_ieee_mode 1
		.amdhsa_fp16_overflow 0
		.amdhsa_workgroup_processor_mode 1
		.amdhsa_memory_ordered 1
		.amdhsa_forward_progress 1
		.amdhsa_shared_vgpr_count 0
		.amdhsa_exception_fp_ieee_invalid_op 0
		.amdhsa_exception_fp_denorm_src 0
		.amdhsa_exception_fp_ieee_div_zero 0
		.amdhsa_exception_fp_ieee_overflow 0
		.amdhsa_exception_fp_ieee_underflow 0
		.amdhsa_exception_fp_ieee_inexact 0
		.amdhsa_exception_int_div_zero 0
	.end_amdhsa_kernel
	.section	.text._ZL20rocblas_gemvn_kernelILi64ELi16Ei16rocblas_bfloat16PKfS0_EviiT3_lPKT2_lT1_lS6_lS7_lS3_lPT4_lS7_li,"axG",@progbits,_ZL20rocblas_gemvn_kernelILi64ELi16Ei16rocblas_bfloat16PKfS0_EviiT3_lPKT2_lT1_lS6_lS7_lS3_lPT4_lS7_li,comdat
.Lfunc_end550:
	.size	_ZL20rocblas_gemvn_kernelILi64ELi16Ei16rocblas_bfloat16PKfS0_EviiT3_lPKT2_lT1_lS6_lS7_lS3_lPT4_lS7_li, .Lfunc_end550-_ZL20rocblas_gemvn_kernelILi64ELi16Ei16rocblas_bfloat16PKfS0_EviiT3_lPKT2_lT1_lS6_lS7_lS3_lPT4_lS7_li
                                        ; -- End function
	.set _ZL20rocblas_gemvn_kernelILi64ELi16Ei16rocblas_bfloat16PKfS0_EviiT3_lPKT2_lT1_lS6_lS7_lS3_lPT4_lS7_li.num_vgpr, 42
	.set _ZL20rocblas_gemvn_kernelILi64ELi16Ei16rocblas_bfloat16PKfS0_EviiT3_lPKT2_lT1_lS6_lS7_lS3_lPT4_lS7_li.num_agpr, 0
	.set _ZL20rocblas_gemvn_kernelILi64ELi16Ei16rocblas_bfloat16PKfS0_EviiT3_lPKT2_lT1_lS6_lS7_lS3_lPT4_lS7_li.numbered_sgpr, 28
	.set _ZL20rocblas_gemvn_kernelILi64ELi16Ei16rocblas_bfloat16PKfS0_EviiT3_lPKT2_lT1_lS6_lS7_lS3_lPT4_lS7_li.num_named_barrier, 0
	.set _ZL20rocblas_gemvn_kernelILi64ELi16Ei16rocblas_bfloat16PKfS0_EviiT3_lPKT2_lT1_lS6_lS7_lS3_lPT4_lS7_li.private_seg_size, 0
	.set _ZL20rocblas_gemvn_kernelILi64ELi16Ei16rocblas_bfloat16PKfS0_EviiT3_lPKT2_lT1_lS6_lS7_lS3_lPT4_lS7_li.uses_vcc, 1
	.set _ZL20rocblas_gemvn_kernelILi64ELi16Ei16rocblas_bfloat16PKfS0_EviiT3_lPKT2_lT1_lS6_lS7_lS3_lPT4_lS7_li.uses_flat_scratch, 0
	.set _ZL20rocblas_gemvn_kernelILi64ELi16Ei16rocblas_bfloat16PKfS0_EviiT3_lPKT2_lT1_lS6_lS7_lS3_lPT4_lS7_li.has_dyn_sized_stack, 0
	.set _ZL20rocblas_gemvn_kernelILi64ELi16Ei16rocblas_bfloat16PKfS0_EviiT3_lPKT2_lT1_lS6_lS7_lS3_lPT4_lS7_li.has_recursion, 0
	.set _ZL20rocblas_gemvn_kernelILi64ELi16Ei16rocblas_bfloat16PKfS0_EviiT3_lPKT2_lT1_lS6_lS7_lS3_lPT4_lS7_li.has_indirect_call, 0
	.section	.AMDGPU.csdata,"",@progbits
; Kernel info:
; codeLenInByte = 3328
; TotalNumSgprs: 30
; NumVgprs: 42
; ScratchSize: 0
; MemoryBound: 0
; FloatMode: 240
; IeeeMode: 1
; LDSByteSize: 16384 bytes/workgroup (compile time only)
; SGPRBlocks: 0
; VGPRBlocks: 5
; NumSGPRsForWavesPerEU: 30
; NumVGPRsForWavesPerEU: 42
; Occupancy: 16
; WaveLimiterHint : 1
; COMPUTE_PGM_RSRC2:SCRATCH_EN: 0
; COMPUTE_PGM_RSRC2:USER_SGPR: 6
; COMPUTE_PGM_RSRC2:TRAP_HANDLER: 0
; COMPUTE_PGM_RSRC2:TGID_X_EN: 1
; COMPUTE_PGM_RSRC2:TGID_Y_EN: 0
; COMPUTE_PGM_RSRC2:TGID_Z_EN: 1
; COMPUTE_PGM_RSRC2:TIDIG_COMP_CNT: 1
	.section	.text._ZL20rocblas_gemvn_kernelILi64ELi16El16rocblas_bfloat16PKfS0_EviiT3_lPKT2_lT1_lS6_lS7_lS3_lPT4_lS7_li,"axG",@progbits,_ZL20rocblas_gemvn_kernelILi64ELi16El16rocblas_bfloat16PKfS0_EviiT3_lPKT2_lT1_lS6_lS7_lS3_lPT4_lS7_li,comdat
	.globl	_ZL20rocblas_gemvn_kernelILi64ELi16El16rocblas_bfloat16PKfS0_EviiT3_lPKT2_lT1_lS6_lS7_lS3_lPT4_lS7_li ; -- Begin function _ZL20rocblas_gemvn_kernelILi64ELi16El16rocblas_bfloat16PKfS0_EviiT3_lPKT2_lT1_lS6_lS7_lS3_lPT4_lS7_li
	.p2align	8
	.type	_ZL20rocblas_gemvn_kernelILi64ELi16El16rocblas_bfloat16PKfS0_EviiT3_lPKT2_lT1_lS6_lS7_lS3_lPT4_lS7_li,@function
_ZL20rocblas_gemvn_kernelILi64ELi16El16rocblas_bfloat16PKfS0_EviiT3_lPKT2_lT1_lS6_lS7_lS3_lPT4_lS7_li: ; @_ZL20rocblas_gemvn_kernelILi64ELi16El16rocblas_bfloat16PKfS0_EviiT3_lPKT2_lT1_lS6_lS7_lS3_lPT4_lS7_li
; %bb.0:
	s_load_dwordx2 s[0:1], s[4:5], 0x9c
	s_waitcnt lgkmcnt(0)
	s_lshr_b32 s2, s0, 16
	s_and_b32 s0, s0, 0xffff
	s_and_b32 s1, s1, 0xffff
	s_mul_i32 s0, s2, s0
	s_mul_i32 s0, s0, s1
	s_cmpk_lg_i32 s0, 0x400
	s_cbranch_scc1 .LBB551_69
; %bb.1:
	s_clause 0x1
	s_load_dwordx16 s[36:51], s[4:5], 0x8
	s_load_dwordx16 s[8:23], s[4:5], 0x48
	s_mov_b32 s24, 0
	s_waitcnt lgkmcnt(0)
	s_mul_i32 s1, s39, s7
	s_mul_hi_u32 s2, s38, s7
	s_mul_i32 s0, s38, s7
	s_add_i32 s1, s2, s1
	s_mul_i32 s2, s15, s7
	s_lshl_b64 s[0:1], s[0:1], 2
	s_mul_hi_u32 s3, s14, s7
	s_add_u32 s0, s36, s0
	s_addc_u32 s1, s37, s1
	s_add_i32 s3, s3, s2
	s_mul_i32 s2, s14, s7
	s_lshl_b64 s[2:3], s[2:3], 2
	s_add_u32 s2, s12, s2
	s_addc_u32 s3, s13, s3
	s_load_dword s26, s[0:1], 0x0
	s_load_dword s25, s[2:3], 0x0
	s_waitcnt lgkmcnt(0)
	v_cmp_eq_f32_e64 s0, s26, 0
	v_cmp_eq_f32_e64 s1, s25, 1.0
	s_and_b32 s0, s0, s1
	s_and_b32 vcc_lo, exec_lo, s0
	s_cbranch_vccnz .LBB551_69
; %bb.2:
	s_load_dwordx2 s[12:13], s[4:5], 0x0
	v_lshlrev_b32_e32 v14, 6, v1
	s_mul_i32 s0, s23, s7
	s_mul_hi_u32 s1, s22, s7
	v_cmp_neq_f32_e64 s4, s26, 0
	s_add_i32 s1, s1, s0
	s_mul_i32 s0, s22, s7
	v_add_nc_u32_e32 v13, v14, v0
	s_lshl_b64 s[0:1], s[0:1], 1
	s_add_u32 s2, s16, s0
	s_addc_u32 s3, s17, s1
	s_lshl_b64 s[0:1], s[18:19], 1
	s_add_u32 s5, s2, s0
	v_cmp_gt_u32_e64 s0, 0x100, v13
	s_addc_u32 s22, s3, s1
	s_and_b32 vcc_lo, exec_lo, s4
	s_cbranch_vccnz .LBB551_13
; %bb.3:
	s_mov_b32 s1, 0
                                        ; implicit-def: $vgpr5
                                        ; implicit-def: $vgpr2_vgpr3
	s_and_saveexec_b32 s2, s0
	s_cbranch_execz .LBB551_14
; %bb.4:
	v_lshl_or_b32 v4, s6, 8, v13
	v_mov_b32_e32 v5, 0
	s_waitcnt lgkmcnt(0)
	s_ashr_i32 s15, s12, 31
	s_mov_b32 s14, s12
	s_mov_b32 s3, 0
	s_mov_b32 s0, exec_lo
                                        ; implicit-def: $vgpr2_vgpr3
	v_cmpx_gt_i64_e64 s[14:15], v[4:5]
	s_cbranch_execz .LBB551_12
; %bb.5:
	v_mad_u64_u32 v[2:3], null, s20, v4, 0
	v_cmp_eq_f32_e64 s3, s25, 0
	s_and_b32 vcc_lo, exec_lo, s3
	v_mad_u64_u32 v[3:4], null, s21, v4, v[3:4]
	s_cbranch_vccnz .LBB551_11
; %bb.6:
	v_lshlrev_b64 v[4:5], 1, v[2:3]
	v_add_co_u32 v4, vcc_lo, s5, v4
	v_add_co_ci_u32_e64 v5, null, s22, v5, vcc_lo
	global_load_ushort v4, v[4:5], off
	s_waitcnt vmcnt(0)
	v_lshlrev_b32_e32 v4, 16, v4
	v_mul_f32_e32 v4, s25, v4
	v_and_b32_e32 v5, 0x7f800000, v4
	v_cmp_ne_u32_e32 vcc_lo, 0x7f800000, v5
                                        ; implicit-def: $vgpr5
	s_and_saveexec_b32 s3, vcc_lo
	s_xor_b32 s3, exec_lo, s3
; %bb.7:
	v_bfe_u32 v5, v4, 16, 1
	v_add3_u32 v5, v4, v5, 0x7fff
                                        ; implicit-def: $vgpr4
; %bb.8:
	s_andn2_saveexec_b32 s3, s3
; %bb.9:
	v_mov_b32_e32 v5, 0
	v_or_b32_e32 v6, 0x10000, v4
	v_cmp_eq_u32_sdwa vcc_lo, v4, v5 src0_sel:WORD_0 src1_sel:DWORD
	v_cndmask_b32_e32 v5, v6, v4, vcc_lo
; %bb.10:
	s_or_b32 exec_lo, exec_lo, s3
	v_lshrrev_b32_e32 v5, 16, v5
.LBB551_11:
	s_mov_b32 s3, exec_lo
.LBB551_12:
	s_or_b32 exec_lo, exec_lo, s0
	s_and_b32 s24, s3, exec_lo
	s_or_b32 exec_lo, exec_lo, s2
	s_and_b32 vcc_lo, exec_lo, s1
	s_cbranch_vccnz .LBB551_15
	s_branch .LBB551_67
.LBB551_13:
                                        ; implicit-def: $vgpr5
                                        ; implicit-def: $vgpr2_vgpr3
	s_cbranch_execnz .LBB551_15
	s_branch .LBB551_67
.LBB551_14:
	s_or_b32 exec_lo, exec_lo, s2
	s_and_b32 vcc_lo, exec_lo, s1
	s_cbranch_vccz .LBB551_67
.LBB551_15:
	s_mul_i32 s0, s47, s7
	s_mul_hi_u32 s1, s46, s7
	s_lshl_b32 s23, s6, 8
	s_add_i32 s15, s1, s0
	s_waitcnt lgkmcnt(0)
	s_ashr_i32 s1, s13, 31
	v_lshlrev_b32_e32 v19, 2, v1
	s_lshr_b32 s1, s1, 26
	v_add_nc_u32_e32 v2, s23, v0
	v_mov_b32_e32 v15, 0
	v_mov_b32_e32 v16, 0
	;; [unrolled: 1-line block ×4, first 2 shown]
	s_mul_i32 s0, s11, s7
	s_mul_hi_u32 s2, s10, s7
	s_add_i32 s27, s13, s1
	s_mul_i32 s14, s46, s7
	s_andn2_b32 s27, s27, 63
	s_add_i32 s11, s2, s0
	s_mul_i32 s10, s10, s7
	s_mov_b32 s28, exec_lo
	v_cmpx_gt_i32_e64 s27, v19
	s_cbranch_execz .LBB551_27
; %bb.16:
	v_lshlrev_b32_e32 v30, 2, v1
	v_mad_u64_u32 v[4:5], null, s8, v1, 0
	v_add_nc_u32_e32 v11, 64, v2
	v_add_nc_u32_e32 v12, 0x80, v2
	v_or_b32_e32 v15, 3, v30
	s_lshl_b64 s[0:1], s[10:11], 1
	s_lshl_b64 s[6:7], s[50:51], 1
	s_add_u32 s4, s48, s0
	s_addc_u32 s29, s49, s1
	v_mad_u64_u32 v[6:7], null, s44, v15, 0
	v_cmp_gt_i32_e64 s0, s12, v11
	v_cmp_gt_i32_e64 s1, s12, v12
	v_add_nc_u32_e32 v16, 0xc0, v2
	v_or_b32_e32 v24, 2, v30
	s_lshl_b64 s[18:19], s[42:43], 1
	s_lshl_b64 s[16:17], s[8:9], 7
	v_mad_u64_u32 v[8:9], null, s9, v1, v[5:6]
	v_mad_u64_u32 v[9:10], null, s8, v15, 0
	v_cmp_gt_i32_e64 s2, s12, v16
	s_lshl_b64 s[30:31], s[14:15], 1
	v_mad_u64_u32 v[28:29], null, s8, v24, 0
	v_mov_b32_e32 v5, v8
	v_mad_u64_u32 v[7:8], null, s45, v15, v[7:8]
	v_mad_u64_u32 v[32:33], null, s44, v30, s[44:45]
	v_lshlrev_b64 v[11:12], 3, v[4:5]
	v_mov_b32_e32 v5, v10
	v_mov_b32_e32 v8, v29
	v_ashrrev_i32_e32 v3, 31, v2
	v_lshlrev_b64 v[6:7], 1, v[6:7]
	v_cmp_gt_i32_e32 vcc_lo, s12, v2
	v_add_co_u32 v20, s3, s4, v11
	v_add_co_ci_u32_e64 v21, null, s29, v12, s3
	v_mad_u64_u32 v[15:16], null, s9, v15, v[5:6]
	v_mad_u64_u32 v[11:12], null, s44, v1, 0
	s_add_u32 s3, s40, s18
	s_addc_u32 s18, s41, s19
	s_add_u32 s19, s3, s30
	s_addc_u32 s18, s18, s31
	v_mov_b32_e32 v10, v15
	v_mad_u64_u32 v[15:16], null, s44, v24, 0
	v_mov_b32_e32 v5, v12
	v_add_co_u32 v22, s3, s19, v6
	v_add_co_ci_u32_e64 v23, null, s18, v7, s3
	v_mad_u64_u32 v[17:18], null, s45, v1, v[5:6]
	v_lshlrev_b64 v[6:7], 1, v[9:10]
	v_mov_b32_e32 v5, v16
	v_lshlrev_b64 v[3:4], 1, v[2:3]
	v_mad_u64_u32 v[9:10], null, s45, v24, v[5:6]
	v_mov_b32_e32 v12, v17
	v_mad_u64_u32 v[17:18], null, s8, v30, s[8:9]
	v_mad_u64_u32 v[26:27], null, s9, v24, v[8:9]
	v_add_co_u32 v24, s3, s4, v6
	v_add_co_ci_u32_e64 v25, null, s29, v7, s3
	v_lshlrev_b64 v[6:7], 3, v[11:12]
	v_mov_b32_e32 v5, v18
	v_mov_b32_e32 v16, v9
	;; [unrolled: 1-line block ×3, first 2 shown]
	v_add_co_u32 v26, s3, s19, v6
	v_mad_u64_u32 v[8:9], null, s9, v30, v[5:6]
	v_add_co_ci_u32_e64 v27, null, s18, v7, s3
	v_lshlrev_b64 v[6:7], 1, v[15:16]
	v_mov_b32_e32 v5, v33
	v_mov_b32_e32 v15, 0
	;; [unrolled: 1-line block ×4, first 2 shown]
	v_mad_u64_u32 v[9:10], null, s45, v30, v[5:6]
	v_lshlrev_b64 v[10:11], 1, v[28:29]
	v_add_co_u32 v28, s3, s19, v6
	v_lshlrev_b64 v[5:6], 1, v[17:18]
	v_add_co_ci_u32_e64 v29, null, s18, v7, s3
	v_mov_b32_e32 v33, v9
	v_add_co_u32 v30, s3, s4, v10
	v_add_co_ci_u32_e64 v31, null, s29, v11, s3
	v_lshlrev_b64 v[7:8], 1, v[32:33]
	v_add_co_u32 v32, s3, s4, v5
	v_add_co_ci_u32_e64 v33, null, s29, v6, s3
	v_mov_b32_e32 v17, 0
	v_add_co_u32 v34, s3, s19, v7
	v_add_co_ci_u32_e64 v35, null, s18, v8, s3
	v_mov_b32_e32 v18, 0
	s_lshl_b64 s[18:19], s[44:45], 7
	s_mov_b32 s29, 0
	s_branch .LBB551_21
.LBB551_17:                             ;   in Loop: Header=BB551_21 Depth=1
	s_or_b32 exec_lo, exec_lo, s31
	s_waitcnt vmcnt(3)
	v_lshlrev_b32_e32 v5, 16, v51
	s_waitcnt vmcnt(2)
	v_lshlrev_b32_e32 v6, 16, v50
	v_fmac_f32_e32 v17, v43, v5
	s_waitcnt vmcnt(1)
	v_lshlrev_b32_e32 v5, 16, v49
	v_fmac_f32_e32 v17, v39, v6
	v_fmac_f32_e32 v17, v41, v5
	s_waitcnt vmcnt(0)
	v_lshlrev_b32_e32 v5, 16, v48
	v_fmac_f32_e32 v17, v37, v5
.LBB551_18:                             ;   in Loop: Header=BB551_21 Depth=1
	s_or_b32 exec_lo, exec_lo, s30
	s_waitcnt vmcnt(3)
	v_lshlrev_b32_e32 v5, 16, v47
	s_waitcnt vmcnt(2)
	v_lshlrev_b32_e32 v6, 16, v46
	v_fmac_f32_e32 v16, v43, v5
	s_waitcnt vmcnt(1)
	v_lshlrev_b32_e32 v5, 16, v45
	v_fmac_f32_e32 v16, v39, v6
	v_fmac_f32_e32 v16, v41, v5
	s_waitcnt vmcnt(0)
	v_lshlrev_b32_e32 v5, 16, v44
	v_fmac_f32_e32 v16, v37, v5
.LBB551_19:                             ;   in Loop: Header=BB551_21 Depth=1
	s_or_b32 exec_lo, exec_lo, s3
	s_waitcnt vmcnt(3)
	v_lshlrev_b32_e32 v5, 16, v42
	s_waitcnt vmcnt(2)
	v_lshlrev_b32_e32 v6, 16, v40
	v_fmac_f32_e32 v15, v43, v5
	s_waitcnt vmcnt(1)
	v_lshlrev_b32_e32 v5, 16, v38
	v_fmac_f32_e32 v15, v39, v6
	v_fmac_f32_e32 v15, v41, v5
	s_waitcnt vmcnt(0)
	v_lshlrev_b32_e32 v5, 16, v36
	v_fmac_f32_e32 v15, v37, v5
.LBB551_20:                             ;   in Loop: Header=BB551_21 Depth=1
	s_or_b32 exec_lo, exec_lo, s4
	v_add_co_u32 v20, s3, v20, s16
	v_add_co_ci_u32_e64 v21, null, s17, v21, s3
	v_add_co_u32 v22, s3, v22, s18
	v_add_co_ci_u32_e64 v23, null, s19, v23, s3
	;; [unrolled: 2-line block ×4, first 2 shown]
	v_add_co_u32 v28, s3, v28, s18
	v_add_nc_u32_e32 v19, 64, v19
	v_add_co_ci_u32_e64 v29, null, s19, v29, s3
	v_add_co_u32 v30, s3, v30, s16
	v_add_co_ci_u32_e64 v31, null, s17, v31, s3
	v_add_co_u32 v32, s3, v32, s16
	v_add_co_ci_u32_e64 v33, null, s17, v33, s3
	v_cmp_le_i32_e64 s3, s27, v19
	v_add_co_u32 v34, s4, v34, s18
	v_add_co_ci_u32_e64 v35, null, s19, v35, s4
	s_or_b32 s29, s3, s29
	s_andn2_b32 exec_lo, exec_lo, s29
	s_cbranch_execz .LBB551_26
.LBB551_21:                             ; =>This Inner Loop Header: Depth=1
	s_and_saveexec_b32 s4, vcc_lo
	s_cbranch_execz .LBB551_20
; %bb.22:                               ;   in Loop: Header=BB551_21 Depth=1
	v_add_co_u32 v5, s3, v20, s6
	v_add_co_ci_u32_e64 v6, null, s7, v21, s3
	v_add_co_u32 v7, s3, v32, s6
	v_add_co_ci_u32_e64 v8, null, s7, v33, s3
	;; [unrolled: 2-line block ×4, first 2 shown]
	global_load_ushort v37, v[5:6], off
	global_load_ushort v39, v[7:8], off
	;; [unrolled: 1-line block ×4, first 2 shown]
	v_add_co_u32 v5, s3, v26, v3
	v_add_co_ci_u32_e64 v6, null, v27, v4, s3
	v_add_co_u32 v9, s3, v34, v3
	v_add_co_ci_u32_e64 v10, null, v35, v4, s3
	;; [unrolled: 2-line block ×4, first 2 shown]
	global_load_ushort v42, v[5:6], off
	global_load_ushort v40, v[9:10], off
	;; [unrolled: 1-line block ×4, first 2 shown]
	s_waitcnt vmcnt(7)
	v_lshlrev_b32_e32 v43, 16, v37
	s_waitcnt vmcnt(6)
	v_lshlrev_b32_e32 v39, 16, v39
	;; [unrolled: 2-line block ×4, first 2 shown]
	s_and_saveexec_b32 s3, s0
	s_cbranch_execz .LBB551_19
; %bb.23:                               ;   in Loop: Header=BB551_21 Depth=1
	global_load_ushort v47, v[5:6], off offset:128
	global_load_ushort v46, v[9:10], off offset:128
	global_load_ushort v45, v[7:8], off offset:128
	global_load_ushort v44, v[11:12], off offset:128
	s_and_saveexec_b32 s30, s1
	s_cbranch_execz .LBB551_18
; %bb.24:                               ;   in Loop: Header=BB551_21 Depth=1
	global_load_ushort v51, v[5:6], off offset:256
	global_load_ushort v50, v[9:10], off offset:256
	global_load_ushort v49, v[7:8], off offset:256
	global_load_ushort v48, v[11:12], off offset:256
	;; [unrolled: 7-line block ×3, first 2 shown]
	s_waitcnt vmcnt(3)
	v_lshlrev_b32_e32 v5, 16, v5
	s_waitcnt vmcnt(2)
	v_lshlrev_b32_e32 v6, 16, v6
	v_fmac_f32_e32 v18, v43, v5
	s_waitcnt vmcnt(1)
	v_lshlrev_b32_e32 v5, 16, v7
	v_fmac_f32_e32 v18, v39, v6
	;; [unrolled: 3-line block ×3, first 2 shown]
	v_fmac_f32_e32 v18, v37, v6
	s_branch .LBB551_17
.LBB551_26:
	s_or_b32 exec_lo, exec_lo, s29
.LBB551_27:
	s_or_b32 exec_lo, exec_lo, s28
	s_sub_i32 s0, s13, s27
	s_cmp_lt_i32 s0, 1
	s_cbranch_scc1 .LBB551_45
; %bb.28:
	v_cmp_gt_i32_e32 vcc_lo, s13, v19
	v_mov_b32_e32 v12, 0
	v_or_b32_e32 v4, 1, v19
	v_mov_b32_e32 v11, 0
	v_mov_b32_e32 v21, 0
	v_mov_b32_e32 v20, 0
	s_and_saveexec_b32 s1, vcc_lo
	s_cbranch_execz .LBB551_36
; %bb.29:
	v_mad_u64_u32 v[5:6], null, s8, v19, 0
	s_lshl_b64 s[2:3], s[10:11], 1
	v_mov_b32_e32 v20, 0
	s_add_u32 s0, s48, s2
	s_addc_u32 s2, s49, s3
	s_lshl_b64 s[6:7], s[50:51], 1
	v_mov_b32_e32 v11, 0
	v_mov_b32_e32 v3, v6
	s_add_u32 s3, s0, s6
	s_addc_u32 s4, s2, s7
	v_mov_b32_e32 v12, 0
	s_mov_b32 s2, exec_lo
	v_mad_u64_u32 v[6:7], null, s9, v19, v[3:4]
	v_lshlrev_b64 v[5:6], 1, v[5:6]
	v_add_co_u32 v5, s0, s3, v5
	v_add_co_ci_u32_e64 v6, null, s4, v6, s0
	global_load_ushort v3, v[5:6], off
	v_cmpx_gt_i32_e64 s13, v4
	s_cbranch_execz .LBB551_35
; %bb.30:
	v_mad_u64_u32 v[5:6], null, s8, v4, 0
	v_mov_b32_e32 v11, 0
	v_mov_b32_e32 v12, 0
	s_mov_b32 s6, exec_lo
	v_mad_u64_u32 v[6:7], null, s9, v4, v[6:7]
	v_lshlrev_b64 v[5:6], 1, v[5:6]
	v_add_co_u32 v5, s0, s3, v5
	v_add_co_ci_u32_e64 v6, null, s4, v6, s0
	global_load_ushort v5, v[5:6], off
	v_or_b32_e32 v6, 2, v19
	v_cmpx_gt_i32_e64 s13, v6
	s_cbranch_execz .LBB551_34
; %bb.31:
	v_mad_u64_u32 v[7:8], null, s8, v6, 0
	v_mov_b32_e32 v11, 0
	s_mov_b32 s7, exec_lo
	v_mad_u64_u32 v[8:9], null, s9, v6, v[8:9]
	v_lshlrev_b64 v[6:7], 1, v[7:8]
	v_add_co_u32 v6, s0, s3, v6
	v_add_co_ci_u32_e64 v7, null, s4, v7, s0
	global_load_ushort v6, v[6:7], off
	v_or_b32_e32 v7, 3, v19
	v_cmpx_gt_i32_e64 s13, v7
	s_cbranch_execz .LBB551_33
; %bb.32:
	v_mad_u64_u32 v[8:9], null, s8, v7, 0
	v_mad_u64_u32 v[9:10], null, s9, v7, v[9:10]
	v_lshlrev_b64 v[7:8], 1, v[8:9]
	v_add_co_u32 v7, s0, s3, v7
	v_add_co_ci_u32_e64 v8, null, s4, v8, s0
	global_load_ushort v7, v[7:8], off
	s_waitcnt vmcnt(0)
	v_lshlrev_b32_e32 v11, 16, v7
.LBB551_33:
	s_or_b32 exec_lo, exec_lo, s7
	s_waitcnt vmcnt(0)
	v_lshlrev_b32_e32 v12, 16, v6
.LBB551_34:
	s_or_b32 exec_lo, exec_lo, s6
	s_waitcnt vmcnt(0)
	v_lshlrev_b32_e32 v20, 16, v5
.LBB551_35:
	s_or_b32 exec_lo, exec_lo, s2
	s_waitcnt vmcnt(0)
	v_lshlrev_b32_e32 v21, 16, v3
.LBB551_36:
	s_or_b32 exec_lo, exec_lo, s1
	s_mov_b32 s1, exec_lo
	v_cmpx_gt_i32_e64 s12, v2
	s_cbranch_execz .LBB551_44
; %bb.37:
	v_mad_u64_u32 v[5:6], null, s44, v19, 0
	v_mad_u64_u32 v[7:8], null, s44, v4, 0
	v_ashrrev_i32_e32 v3, 31, v2
	v_or_b32_e32 v29, 2, v19
	s_lshl_b64 s[2:3], s[14:15], 1
	s_add_u32 s0, s40, s2
	v_cndmask_b32_e32 v5, 0, v5, vcc_lo
	v_mad_u64_u32 v[9:10], null, s45, v19, v[6:7]
	v_or_b32_e32 v19, 3, v19
	v_lshlrev_b64 v[22:23], 1, v[2:3]
	v_mad_u64_u32 v[24:25], null, s44, v29, 0
	v_mov_b32_e32 v3, v8
	s_addc_u32 s4, s41, s3
	v_cndmask_b32_e32 v6, 0, v9, vcc_lo
	v_cmp_gt_i32_e32 vcc_lo, s13, v4
	s_lshl_b64 s[2:3], s[42:43], 1
	v_mad_u64_u32 v[8:9], null, s44, v19, 0
	v_lshlrev_b64 v[5:6], 1, v[5:6]
	v_mad_u64_u32 v[26:27], null, s45, v4, v[3:4]
	s_add_u32 s2, s0, s2
	v_cndmask_b32_e32 v27, 0, v7, vcc_lo
	v_mov_b32_e32 v7, v25
	s_addc_u32 s3, s4, s3
	v_add_co_u32 v3, s0, s2, v5
	v_add_co_ci_u32_e64 v4, null, s3, v6, s0
	v_cndmask_b32_e32 v28, 0, v26, vcc_lo
	v_mad_u64_u32 v[25:26], null, s45, v29, v[7:8]
	v_mov_b32_e32 v7, v9
	v_add_co_u32 v3, vcc_lo, v3, v22
	v_add_co_ci_u32_e64 v4, null, v4, v23, vcc_lo
	v_cmp_gt_i32_e32 vcc_lo, s13, v29
	v_lshlrev_b64 v[5:6], 1, v[27:28]
	v_mad_u64_u32 v[26:27], null, s45, v19, v[7:8]
	v_cndmask_b32_e32 v9, 0, v24, vcc_lo
	v_cndmask_b32_e32 v10, 0, v25, vcc_lo
	v_cmp_gt_i32_e32 vcc_lo, s13, v19
	v_add_co_u32 v5, s0, s2, v5
	v_add_co_ci_u32_e64 v6, null, s3, v6, s0
	v_cndmask_b32_e32 v7, 0, v8, vcc_lo
	v_cndmask_b32_e32 v8, 0, v26, vcc_lo
	v_lshlrev_b64 v[9:10], 1, v[9:10]
	v_add_co_u32 v5, s0, v5, v22
	v_add_co_ci_u32_e64 v6, null, v6, v23, s0
	v_lshlrev_b64 v[7:8], 1, v[7:8]
	v_add_co_u32 v9, vcc_lo, s2, v9
	v_add_co_ci_u32_e64 v10, null, s3, v10, vcc_lo
	s_clause 0x1
	global_load_ushort v19, v[3:4], off
	global_load_ushort v24, v[5:6], off
	v_add_co_u32 v25, vcc_lo, s2, v7
	v_add_co_ci_u32_e64 v26, null, s3, v8, vcc_lo
	v_add_co_u32 v7, vcc_lo, v9, v22
	v_add_co_ci_u32_e64 v8, null, v10, v23, vcc_lo
	;; [unrolled: 2-line block ×3, first 2 shown]
	s_clause 0x1
	global_load_ushort v22, v[7:8], off
	global_load_ushort v23, v[9:10], off
	s_mov_b32 s0, exec_lo
	s_waitcnt vmcnt(3)
	v_lshlrev_b32_e32 v19, 16, v19
	s_waitcnt vmcnt(2)
	v_lshlrev_b32_e32 v24, 16, v24
	v_fmac_f32_e32 v15, v21, v19
	v_fmac_f32_e32 v15, v20, v24
	v_add_nc_u32_e32 v24, 64, v2
	s_waitcnt vmcnt(1)
	v_lshlrev_b32_e32 v22, 16, v22
	s_waitcnt vmcnt(0)
	v_lshlrev_b32_e32 v19, 16, v23
	v_fmac_f32_e32 v15, v12, v22
	v_cmpx_gt_i32_e64 s12, v24
	s_cbranch_execz .LBB551_43
; %bb.38:
	s_clause 0x3
	global_load_ushort v22, v[3:4], off offset:128
	global_load_ushort v23, v[5:6], off offset:128
	;; [unrolled: 1-line block ×4, first 2 shown]
	s_mov_b32 s2, exec_lo
	s_waitcnt vmcnt(3)
	v_lshlrev_b32_e32 v22, 16, v22
	s_waitcnt vmcnt(2)
	v_lshlrev_b32_e32 v23, 16, v23
	;; [unrolled: 2-line block ×3, first 2 shown]
	v_fmac_f32_e32 v16, v21, v22
	s_waitcnt vmcnt(0)
	v_lshlrev_b32_e32 v22, 16, v25
	v_fmac_f32_e32 v16, v20, v23
	v_add_nc_u32_e32 v23, 0x80, v2
	v_fmac_f32_e32 v16, v12, v24
	v_cmpx_gt_i32_e64 s12, v23
	s_cbranch_execz .LBB551_42
; %bb.39:
	s_clause 0x3
	global_load_ushort v23, v[3:4], off offset:256
	global_load_ushort v24, v[5:6], off offset:256
	;; [unrolled: 1-line block ×4, first 2 shown]
	s_mov_b32 s3, exec_lo
	s_waitcnt vmcnt(3)
	v_lshlrev_b32_e32 v23, 16, v23
	s_waitcnt vmcnt(2)
	v_lshlrev_b32_e32 v24, 16, v24
	v_fmac_f32_e32 v17, v21, v23
	s_waitcnt vmcnt(1)
	v_lshlrev_b32_e32 v23, 16, v25
	v_fmac_f32_e32 v17, v20, v24
	v_add_nc_u32_e32 v24, 0xc0, v2
	s_waitcnt vmcnt(0)
	v_lshlrev_b32_e32 v2, 16, v26
	v_fmac_f32_e32 v17, v12, v23
	v_cmpx_gt_i32_e64 s12, v24
	s_cbranch_execz .LBB551_41
; %bb.40:
	s_clause 0x3
	global_load_ushort v3, v[3:4], off offset:384
	global_load_ushort v4, v[5:6], off offset:384
	;; [unrolled: 1-line block ×4, first 2 shown]
	s_waitcnt vmcnt(3)
	v_lshlrev_b32_e32 v3, 16, v3
	s_waitcnt vmcnt(2)
	v_lshlrev_b32_e32 v4, 16, v4
	v_fmac_f32_e32 v18, v21, v3
	s_waitcnt vmcnt(1)
	v_lshlrev_b32_e32 v3, 16, v5
	v_fmac_f32_e32 v18, v20, v4
	;; [unrolled: 3-line block ×3, first 2 shown]
	v_fmac_f32_e32 v18, v11, v4
.LBB551_41:
	s_or_b32 exec_lo, exec_lo, s3
	v_fmac_f32_e32 v17, v11, v2
.LBB551_42:
	s_or_b32 exec_lo, exec_lo, s2
	v_fmac_f32_e32 v16, v11, v22
.LBB551_43:
	s_or_b32 exec_lo, exec_lo, s0
	v_fmac_f32_e32 v15, v11, v19
.LBB551_44:
	s_or_b32 exec_lo, exec_lo, s1
.LBB551_45:
	v_lshlrev_b32_e32 v0, 2, v0
	s_mov_b32 s0, exec_lo
                                        ; implicit-def: $vgpr5
                                        ; implicit-def: $vgpr2_vgpr3
	v_lshl_add_u32 v1, v1, 10, v0
	ds_write2st64_b32 v1, v15, v16 offset1:1
	ds_write2st64_b32 v1, v17, v18 offset0:2 offset1:3
	s_waitcnt lgkmcnt(0)
	s_barrier
	buffer_gl0_inv
	v_cmpx_gt_u32_e32 0x100, v13
	s_cbranch_execz .LBB551_66
; %bb.46:
	v_lshl_add_u32 v6, v14, 2, v0
	s_mov_b32 s2, s24
	s_mov_b32 s1, exec_lo
	ds_read2st64_b32 v[0:1], v6 offset1:4
	ds_read2st64_b32 v[2:3], v6 offset0:8 offset1:12
	ds_read2st64_b32 v[4:5], v6 offset0:16 offset1:20
	s_waitcnt lgkmcnt(2)
	v_add_f32_e32 v7, v0, v1
	ds_read2st64_b32 v[0:1], v6 offset0:24 offset1:28
	s_waitcnt lgkmcnt(2)
	v_add_f32_e32 v2, v2, v7
	v_add_f32_e32 v7, v3, v2
	ds_read2st64_b32 v[2:3], v6 offset0:32 offset1:36
	s_waitcnt lgkmcnt(2)
	v_add_f32_e32 v4, v4, v7
	;; [unrolled: 4-line block ×3, first 2 shown]
	v_add_f32_e32 v0, v1, v0
	s_waitcnt lgkmcnt(1)
	v_add_f32_e32 v2, v2, v0
	ds_read2st64_b32 v[0:1], v6 offset0:48 offset1:52
	v_add_f32_e32 v2, v3, v2
	s_waitcnt lgkmcnt(1)
	v_add_f32_e32 v4, v4, v2
	ds_read2st64_b32 v[2:3], v6 offset0:56 offset1:60
	v_add_f32_e32 v4, v5, v4
                                        ; implicit-def: $vgpr5
	s_waitcnt lgkmcnt(1)
	v_add_f32_e32 v0, v0, v4
	v_add_f32_e32 v0, v1, v0
	s_waitcnt lgkmcnt(0)
	v_add_f32_e32 v1, v2, v0
	v_or_b32_e32 v0, s23, v13
	v_add_f32_e32 v1, v3, v1
                                        ; implicit-def: $vgpr2_vgpr3
	ds_write_b32 v6, v1
	v_cmpx_gt_i32_e64 s12, v0
	s_cbranch_execz .LBB551_65
; %bb.47:
	v_cmp_eq_f32_e64 s2, s25, 0
	v_mul_f32_e32 v1, s26, v1
	s_and_b32 vcc_lo, exec_lo, s2
	s_cbranch_vccz .LBB551_53
; %bb.48:
	v_and_b32_e32 v2, 0x7f800000, v1
	s_mov_b32 s2, exec_lo
                                        ; implicit-def: $vgpr5
	v_cmpx_ne_u32_e32 0x7f800000, v2
	s_xor_b32 s2, exec_lo, s2
; %bb.49:
	v_bfe_u32 v2, v1, 16, 1
	v_add3_u32 v5, v1, v2, 0x7fff
; %bb.50:
	s_andn2_saveexec_b32 s2, s2
; %bb.51:
	v_mov_b32_e32 v2, 0
	v_or_b32_e32 v3, 0x10000, v1
	v_cmp_eq_u32_sdwa vcc_lo, v1, v2 src0_sel:WORD_0 src1_sel:DWORD
	v_cndmask_b32_e32 v5, v3, v1, vcc_lo
; %bb.52:
	s_or_b32 exec_lo, exec_lo, s2
	s_mov_b32 s2, 0
	s_branch .LBB551_54
.LBB551_53:
	s_mov_b32 s2, -1
                                        ; implicit-def: $vgpr5
.LBB551_54:
	v_ashrrev_i32_e32 v2, 31, v0
	v_mul_lo_u32 v4, s21, v0
	s_andn2_b32 vcc_lo, exec_lo, s2
	v_mul_lo_u32 v6, s20, v2
	s_cbranch_vccnz .LBB551_64
; %bb.55:
	v_mad_u64_u32 v[2:3], null, s20, v0, 0
	v_add3_u32 v3, v3, v6, v4
	v_lshlrev_b64 v[2:3], 1, v[2:3]
	v_add_co_u32 v2, vcc_lo, s5, v2
	v_add_co_ci_u32_e64 v3, null, s22, v3, vcc_lo
	global_load_ushort v2, v[2:3], off
	s_waitcnt vmcnt(0)
	v_lshlrev_b32_e32 v2, 16, v2
	v_mul_f32_e32 v2, s25, v2
	v_and_b32_e32 v3, 0x7f800000, v2
	v_cmp_ne_u32_e32 vcc_lo, 0x7f800000, v3
                                        ; implicit-def: $vgpr3
	s_and_saveexec_b32 s2, vcc_lo
	s_xor_b32 s2, exec_lo, s2
; %bb.56:
	v_bfe_u32 v3, v2, 16, 1
	v_add3_u32 v3, v2, v3, 0x7fff
                                        ; implicit-def: $vgpr2
; %bb.57:
	s_andn2_saveexec_b32 s2, s2
; %bb.58:
	v_mov_b32_e32 v3, 0
	v_or_b32_e32 v5, 0x10000, v2
	v_cmp_eq_u32_sdwa vcc_lo, v2, v3 src0_sel:WORD_0 src1_sel:DWORD
	v_cndmask_b32_e32 v3, v5, v2, vcc_lo
; %bb.59:
	s_or_b32 exec_lo, exec_lo, s2
	v_and_b32_e32 v2, 0xffff0000, v3
	s_mov_b32 s2, exec_lo
                                        ; implicit-def: $vgpr5
	v_add_f32_e32 v1, v1, v2
	v_and_b32_e32 v2, 0x7f800000, v1
	v_cmpx_ne_u32_e32 0x7f800000, v2
	s_xor_b32 s2, exec_lo, s2
; %bb.60:
	v_bfe_u32 v2, v1, 16, 1
	v_add3_u32 v5, v1, v2, 0x7fff
                                        ; implicit-def: $vgpr1
; %bb.61:
	s_andn2_saveexec_b32 s2, s2
; %bb.62:
	v_mov_b32_e32 v2, 0
	v_or_b32_e32 v3, 0x10000, v1
	v_cmp_eq_u32_sdwa vcc_lo, v1, v2 src0_sel:WORD_0 src1_sel:DWORD
	v_cndmask_b32_e32 v5, v3, v1, vcc_lo
; %bb.63:
	s_or_b32 exec_lo, exec_lo, s2
.LBB551_64:
	v_mad_u64_u32 v[2:3], null, s20, v0, 0
	v_lshrrev_b32_e32 v5, 16, v5
	s_or_b32 s2, s24, exec_lo
	v_add3_u32 v3, v3, v6, v4
.LBB551_65:
	s_or_b32 exec_lo, exec_lo, s1
	s_andn2_b32 s1, s24, exec_lo
	s_and_b32 s2, s2, exec_lo
	s_or_b32 s24, s1, s2
.LBB551_66:
	s_or_b32 exec_lo, exec_lo, s0
.LBB551_67:
	s_and_saveexec_b32 s0, s24
	s_cbranch_execz .LBB551_69
; %bb.68:
	v_lshlrev_b64 v[0:1], 1, v[2:3]
	v_add_co_u32 v0, vcc_lo, s5, v0
	v_add_co_ci_u32_e64 v1, null, s22, v1, vcc_lo
	global_store_short v[0:1], v5, off
.LBB551_69:
	s_endpgm
	.section	.rodata,"a",@progbits
	.p2align	6, 0x0
	.amdhsa_kernel _ZL20rocblas_gemvn_kernelILi64ELi16El16rocblas_bfloat16PKfS0_EviiT3_lPKT2_lT1_lS6_lS7_lS3_lPT4_lS7_li
		.amdhsa_group_segment_fixed_size 16384
		.amdhsa_private_segment_fixed_size 0
		.amdhsa_kernarg_size 400
		.amdhsa_user_sgpr_count 6
		.amdhsa_user_sgpr_private_segment_buffer 1
		.amdhsa_user_sgpr_dispatch_ptr 0
		.amdhsa_user_sgpr_queue_ptr 0
		.amdhsa_user_sgpr_kernarg_segment_ptr 1
		.amdhsa_user_sgpr_dispatch_id 0
		.amdhsa_user_sgpr_flat_scratch_init 0
		.amdhsa_user_sgpr_private_segment_size 0
		.amdhsa_wavefront_size32 1
		.amdhsa_uses_dynamic_stack 0
		.amdhsa_system_sgpr_private_segment_wavefront_offset 0
		.amdhsa_system_sgpr_workgroup_id_x 1
		.amdhsa_system_sgpr_workgroup_id_y 0
		.amdhsa_system_sgpr_workgroup_id_z 1
		.amdhsa_system_sgpr_workgroup_info 0
		.amdhsa_system_vgpr_workitem_id 1
		.amdhsa_next_free_vgpr 52
		.amdhsa_next_free_sgpr 52
		.amdhsa_reserve_vcc 1
		.amdhsa_reserve_flat_scratch 0
		.amdhsa_float_round_mode_32 0
		.amdhsa_float_round_mode_16_64 0
		.amdhsa_float_denorm_mode_32 3
		.amdhsa_float_denorm_mode_16_64 3
		.amdhsa_dx10_clamp 1
		.amdhsa_ieee_mode 1
		.amdhsa_fp16_overflow 0
		.amdhsa_workgroup_processor_mode 1
		.amdhsa_memory_ordered 1
		.amdhsa_forward_progress 1
		.amdhsa_shared_vgpr_count 0
		.amdhsa_exception_fp_ieee_invalid_op 0
		.amdhsa_exception_fp_denorm_src 0
		.amdhsa_exception_fp_ieee_div_zero 0
		.amdhsa_exception_fp_ieee_overflow 0
		.amdhsa_exception_fp_ieee_underflow 0
		.amdhsa_exception_fp_ieee_inexact 0
		.amdhsa_exception_int_div_zero 0
	.end_amdhsa_kernel
	.section	.text._ZL20rocblas_gemvn_kernelILi64ELi16El16rocblas_bfloat16PKfS0_EviiT3_lPKT2_lT1_lS6_lS7_lS3_lPT4_lS7_li,"axG",@progbits,_ZL20rocblas_gemvn_kernelILi64ELi16El16rocblas_bfloat16PKfS0_EviiT3_lPKT2_lT1_lS6_lS7_lS3_lPT4_lS7_li,comdat
.Lfunc_end551:
	.size	_ZL20rocblas_gemvn_kernelILi64ELi16El16rocblas_bfloat16PKfS0_EviiT3_lPKT2_lT1_lS6_lS7_lS3_lPT4_lS7_li, .Lfunc_end551-_ZL20rocblas_gemvn_kernelILi64ELi16El16rocblas_bfloat16PKfS0_EviiT3_lPKT2_lT1_lS6_lS7_lS3_lPT4_lS7_li
                                        ; -- End function
	.set _ZL20rocblas_gemvn_kernelILi64ELi16El16rocblas_bfloat16PKfS0_EviiT3_lPKT2_lT1_lS6_lS7_lS3_lPT4_lS7_li.num_vgpr, 52
	.set _ZL20rocblas_gemvn_kernelILi64ELi16El16rocblas_bfloat16PKfS0_EviiT3_lPKT2_lT1_lS6_lS7_lS3_lPT4_lS7_li.num_agpr, 0
	.set _ZL20rocblas_gemvn_kernelILi64ELi16El16rocblas_bfloat16PKfS0_EviiT3_lPKT2_lT1_lS6_lS7_lS3_lPT4_lS7_li.numbered_sgpr, 52
	.set _ZL20rocblas_gemvn_kernelILi64ELi16El16rocblas_bfloat16PKfS0_EviiT3_lPKT2_lT1_lS6_lS7_lS3_lPT4_lS7_li.num_named_barrier, 0
	.set _ZL20rocblas_gemvn_kernelILi64ELi16El16rocblas_bfloat16PKfS0_EviiT3_lPKT2_lT1_lS6_lS7_lS3_lPT4_lS7_li.private_seg_size, 0
	.set _ZL20rocblas_gemvn_kernelILi64ELi16El16rocblas_bfloat16PKfS0_EviiT3_lPKT2_lT1_lS6_lS7_lS3_lPT4_lS7_li.uses_vcc, 1
	.set _ZL20rocblas_gemvn_kernelILi64ELi16El16rocblas_bfloat16PKfS0_EviiT3_lPKT2_lT1_lS6_lS7_lS3_lPT4_lS7_li.uses_flat_scratch, 0
	.set _ZL20rocblas_gemvn_kernelILi64ELi16El16rocblas_bfloat16PKfS0_EviiT3_lPKT2_lT1_lS6_lS7_lS3_lPT4_lS7_li.has_dyn_sized_stack, 0
	.set _ZL20rocblas_gemvn_kernelILi64ELi16El16rocblas_bfloat16PKfS0_EviiT3_lPKT2_lT1_lS6_lS7_lS3_lPT4_lS7_li.has_recursion, 0
	.set _ZL20rocblas_gemvn_kernelILi64ELi16El16rocblas_bfloat16PKfS0_EviiT3_lPKT2_lT1_lS6_lS7_lS3_lPT4_lS7_li.has_indirect_call, 0
	.section	.AMDGPU.csdata,"",@progbits
; Kernel info:
; codeLenInByte = 3720
; TotalNumSgprs: 54
; NumVgprs: 52
; ScratchSize: 0
; MemoryBound: 0
; FloatMode: 240
; IeeeMode: 1
; LDSByteSize: 16384 bytes/workgroup (compile time only)
; SGPRBlocks: 0
; VGPRBlocks: 6
; NumSGPRsForWavesPerEU: 54
; NumVGPRsForWavesPerEU: 52
; Occupancy: 16
; WaveLimiterHint : 0
; COMPUTE_PGM_RSRC2:SCRATCH_EN: 0
; COMPUTE_PGM_RSRC2:USER_SGPR: 6
; COMPUTE_PGM_RSRC2:TRAP_HANDLER: 0
; COMPUTE_PGM_RSRC2:TGID_X_EN: 1
; COMPUTE_PGM_RSRC2:TGID_Y_EN: 0
; COMPUTE_PGM_RSRC2:TGID_Z_EN: 1
; COMPUTE_PGM_RSRC2:TIDIG_COMP_CNT: 1
	.section	.text._ZL20rocblas_gemvn_kernelILi64ELi16Ei16rocblas_bfloat16fS0_EviiT3_lPKT2_lT1_lS4_lS5_lS1_lPT4_lS5_li,"axG",@progbits,_ZL20rocblas_gemvn_kernelILi64ELi16Ei16rocblas_bfloat16fS0_EviiT3_lPKT2_lT1_lS4_lS5_lS1_lPT4_lS5_li,comdat
	.globl	_ZL20rocblas_gemvn_kernelILi64ELi16Ei16rocblas_bfloat16fS0_EviiT3_lPKT2_lT1_lS4_lS5_lS1_lPT4_lS5_li ; -- Begin function _ZL20rocblas_gemvn_kernelILi64ELi16Ei16rocblas_bfloat16fS0_EviiT3_lPKT2_lT1_lS4_lS5_lS1_lPT4_lS5_li
	.p2align	8
	.type	_ZL20rocblas_gemvn_kernelILi64ELi16Ei16rocblas_bfloat16fS0_EviiT3_lPKT2_lT1_lS4_lS5_lS1_lPT4_lS5_li,@function
_ZL20rocblas_gemvn_kernelILi64ELi16Ei16rocblas_bfloat16fS0_EviiT3_lPKT2_lT1_lS4_lS5_lS1_lPT4_lS5_li: ; @_ZL20rocblas_gemvn_kernelILi64ELi16Ei16rocblas_bfloat16fS0_EviiT3_lPKT2_lT1_lS4_lS5_lS1_lPT4_lS5_li
; %bb.0:
	s_load_dwordx2 s[0:1], s[4:5], 0x9c
	s_waitcnt lgkmcnt(0)
	s_lshr_b32 s2, s0, 16
	s_and_b32 s0, s0, 0xffff
	s_and_b32 s1, s1, 0xffff
	s_mul_i32 s0, s2, s0
	s_mul_i32 s0, s0, s1
	s_cmpk_lg_i32 s0, 0x400
	s_cbranch_scc1 .LBB552_69
; %bb.1:
	s_clause 0x1
	s_load_dwordx4 s[8:11], s[4:5], 0x0
	s_load_dword s14, s[4:5], 0x58
	s_mov_b32 s13, 0
	s_waitcnt lgkmcnt(0)
	v_cmp_eq_f32_e64 s0, s10, 0
	v_cmp_eq_f32_e64 s1, s14, 1.0
	s_and_b32 s0, s0, s1
	s_and_b32 vcc_lo, exec_lo, s0
	s_cbranch_vccnz .LBB552_69
; %bb.2:
	s_clause 0x2
	s_load_dwordx2 s[16:17], s[4:5], 0x80
	s_load_dwordx4 s[0:3], s[4:5], 0x68
	s_load_dword s15, s[4:5], 0x78
	v_lshlrev_b32_e32 v14, 6, v1
	v_cmp_neq_f32_e64 s18, s10, 0
	v_add_nc_u32_e32 v13, v14, v0
	s_waitcnt lgkmcnt(0)
	s_mul_i32 s11, s17, s7
	s_mul_hi_u32 s12, s16, s7
	s_mul_i32 s16, s16, s7
	s_add_i32 s17, s12, s11
	s_lshl_b64 s[16:17], s[16:17], 1
	s_add_u32 s11, s0, s16
	s_addc_u32 s12, s1, s17
	s_lshl_b64 s[0:1], s[2:3], 1
	s_add_u32 s11, s11, s0
	v_cmp_gt_u32_e64 s0, 0x100, v13
	s_addc_u32 s12, s12, s1
	s_and_b32 vcc_lo, exec_lo, s18
	s_cbranch_vccnz .LBB552_13
; %bb.3:
	s_mov_b32 s1, 0
                                        ; implicit-def: $vgpr5
                                        ; implicit-def: $vgpr2_vgpr3
	s_and_saveexec_b32 s2, s0
	s_cbranch_execz .LBB552_14
; %bb.4:
	v_lshl_or_b32 v4, s6, 8, v13
	v_mov_b32_e32 v5, 0
	s_ashr_i32 s17, s8, 31
	s_mov_b32 s16, s8
	s_mov_b32 s3, 0
	s_mov_b32 s0, exec_lo
                                        ; implicit-def: $vgpr2_vgpr3
	v_cmpx_gt_i64_e64 s[16:17], v[4:5]
	s_cbranch_execz .LBB552_12
; %bb.5:
	v_mad_u64_u32 v[2:3], null, s15, v4, 0
	s_ashr_i32 s3, s15, 31
	v_mad_u64_u32 v[3:4], null, s3, v4, v[3:4]
	v_cmp_eq_f32_e64 s3, s14, 0
	s_and_b32 vcc_lo, exec_lo, s3
	s_cbranch_vccnz .LBB552_11
; %bb.6:
	v_lshlrev_b64 v[4:5], 1, v[2:3]
	v_add_co_u32 v4, vcc_lo, s11, v4
	v_add_co_ci_u32_e64 v5, null, s12, v5, vcc_lo
	global_load_ushort v4, v[4:5], off
	s_waitcnt vmcnt(0)
	v_lshlrev_b32_e32 v4, 16, v4
	v_mul_f32_e32 v4, s14, v4
	v_and_b32_e32 v5, 0x7f800000, v4
	v_cmp_ne_u32_e32 vcc_lo, 0x7f800000, v5
                                        ; implicit-def: $vgpr5
	s_and_saveexec_b32 s3, vcc_lo
	s_xor_b32 s3, exec_lo, s3
; %bb.7:
	v_bfe_u32 v5, v4, 16, 1
	v_add3_u32 v5, v4, v5, 0x7fff
                                        ; implicit-def: $vgpr4
; %bb.8:
	s_andn2_saveexec_b32 s3, s3
; %bb.9:
	v_mov_b32_e32 v5, 0
	v_or_b32_e32 v6, 0x10000, v4
	v_cmp_eq_u32_sdwa vcc_lo, v4, v5 src0_sel:WORD_0 src1_sel:DWORD
	v_cndmask_b32_e32 v5, v6, v4, vcc_lo
; %bb.10:
	s_or_b32 exec_lo, exec_lo, s3
	v_lshrrev_b32_e32 v5, 16, v5
.LBB552_11:
	s_mov_b32 s3, exec_lo
.LBB552_12:
	s_or_b32 exec_lo, exec_lo, s0
	s_and_b32 s13, s3, exec_lo
	s_or_b32 exec_lo, exec_lo, s2
	s_and_b32 vcc_lo, exec_lo, s1
	s_cbranch_vccnz .LBB552_15
	s_branch .LBB552_67
.LBB552_13:
                                        ; implicit-def: $vgpr5
                                        ; implicit-def: $vgpr2_vgpr3
	s_cbranch_execnz .LBB552_15
	s_branch .LBB552_67
.LBB552_14:
	s_or_b32 exec_lo, exec_lo, s2
	s_and_b32 vcc_lo, exec_lo, s1
	s_cbranch_vccz .LBB552_67
.LBB552_15:
	s_clause 0x5
	s_load_dwordx4 s[0:3], s[4:5], 0x30
	s_load_dwordx2 s[18:19], s[4:5], 0x50
	s_load_dwordx4 s[20:23], s[4:5], 0x18
	s_load_dword s16, s[4:5], 0x28
	s_load_dwordx2 s[24:25], s[4:5], 0x40
	s_load_dword s4, s[4:5], 0x48
	v_lshlrev_b32_e32 v20, 2, v1
	v_mov_b32_e32 v15, 0
	v_mov_b32_e32 v16, 0
	;; [unrolled: 1-line block ×4, first 2 shown]
	s_waitcnt lgkmcnt(0)
	s_mul_i32 s1, s1, s7
	s_mul_hi_u32 s17, s0, s7
	s_mul_i32 s0, s0, s7
	s_add_i32 s1, s17, s1
	s_mul_i32 s19, s19, s7
	s_lshl_b64 s[0:1], s[0:1], 1
	s_mul_hi_u32 s26, s18, s7
	s_add_u32 s17, s20, s0
	s_addc_u32 s20, s21, s1
	s_lshl_b64 s[0:1], s[22:23], 1
	s_mul_i32 s18, s18, s7
	s_add_u32 s7, s17, s0
	s_addc_u32 s17, s20, s1
	s_add_i32 s19, s26, s19
	s_mov_b32 s20, exec_lo
	s_lshl_b64 s[0:1], s[18:19], 1
	s_add_u32 s2, s2, s0
	s_addc_u32 s3, s3, s1
	s_lshl_b64 s[0:1], s[24:25], 1
	s_add_u32 s18, s2, s0
	s_addc_u32 s19, s3, s1
	s_ashr_i32 s0, s9, 31
	s_lshl_b32 s5, s6, 8
	s_lshr_b32 s0, s0, 26
	v_add_nc_u32_e32 v19, s5, v0
	s_add_i32 s0, s9, s0
	s_and_b32 s6, s0, 0xffffffc0
	v_cmpx_gt_i32_e64 s6, v20
	s_cbranch_execz .LBB552_27
; %bb.16:
	v_add_nc_u32_e32 v5, 0xc0, v19
	v_mul_lo_u32 v3, s16, v20
	v_add_nc_u32_e32 v2, 64, v19
	v_add_nc_u32_e32 v6, 2, v20
	;; [unrolled: 1-line block ×3, first 2 shown]
	v_cmp_gt_i32_e64 s2, s8, v5
	v_mul_lo_u32 v5, v1, s16
	v_add_nc_u32_e32 v7, 3, v20
	v_mul_lo_u32 v8, v1, s4
	v_cmp_gt_i32_e64 s0, s8, v2
	v_add3_u32 v21, v3, s16, v0
	v_mad_u64_u32 v[2:3], null, s16, v6, v[0:1]
	v_cmp_gt_i32_e64 s1, s8, v4
	v_mad_u64_u32 v[3:4], null, s16, v7, v[0:1]
	v_lshl_add_u32 v22, v5, 2, v0
	v_mad_u64_u32 v[4:5], null, s4, v20, s[4:5]
	v_mul_lo_u32 v23, s4, v6
	v_mul_lo_u32 v24, s4, v7
	v_lshlrev_b32_e32 v25, 2, v8
	v_mov_b32_e32 v15, 0
	v_mov_b32_e32 v16, 0
	;; [unrolled: 1-line block ×4, first 2 shown]
	s_lshl_b32 s21, s16, 6
	s_lshl_b32 s23, s4, 6
	s_mov_b32 s22, 0
	s_mov_b32 s24, 0
	v_cmp_gt_i32_e32 vcc_lo, s8, v19
	s_branch .LBB552_21
.LBB552_17:                             ;   in Loop: Header=BB552_21 Depth=1
	s_or_b32 exec_lo, exec_lo, s27
	s_waitcnt vmcnt(3)
	v_lshlrev_b32_e32 v5, 16, v41
	s_waitcnt vmcnt(2)
	v_lshlrev_b32_e32 v6, 16, v40
	v_fmac_f32_e32 v17, v33, v5
	s_waitcnt vmcnt(1)
	v_lshlrev_b32_e32 v5, 16, v39
	v_fmac_f32_e32 v17, v29, v6
	v_fmac_f32_e32 v17, v31, v5
	s_waitcnt vmcnt(0)
	v_lshlrev_b32_e32 v5, 16, v38
	v_fmac_f32_e32 v17, v27, v5
.LBB552_18:                             ;   in Loop: Header=BB552_21 Depth=1
	s_or_b32 exec_lo, exec_lo, s26
	s_waitcnt vmcnt(3)
	v_lshlrev_b32_e32 v5, 16, v37
	s_waitcnt vmcnt(2)
	v_lshlrev_b32_e32 v6, 16, v36
	v_fmac_f32_e32 v16, v33, v5
	s_waitcnt vmcnt(1)
	v_lshlrev_b32_e32 v5, 16, v35
	v_fmac_f32_e32 v16, v29, v6
	v_fmac_f32_e32 v16, v31, v5
	s_waitcnt vmcnt(0)
	v_lshlrev_b32_e32 v5, 16, v34
	v_fmac_f32_e32 v16, v27, v5
.LBB552_19:                             ;   in Loop: Header=BB552_21 Depth=1
	s_or_b32 exec_lo, exec_lo, s3
	s_waitcnt vmcnt(3)
	v_lshlrev_b32_e32 v5, 16, v32
	s_waitcnt vmcnt(2)
	v_lshlrev_b32_e32 v6, 16, v30
	v_fmac_f32_e32 v15, v33, v5
	s_waitcnt vmcnt(1)
	v_lshlrev_b32_e32 v5, 16, v28
	v_fmac_f32_e32 v15, v29, v6
	v_fmac_f32_e32 v15, v31, v5
	s_waitcnt vmcnt(0)
	v_lshlrev_b32_e32 v5, 16, v26
	v_fmac_f32_e32 v15, v27, v5
.LBB552_20:                             ;   in Loop: Header=BB552_21 Depth=1
	s_or_b32 exec_lo, exec_lo, s25
	v_add_nc_u32_e32 v20, 64, v20
	v_add_nc_u32_e32 v21, s21, v21
	;; [unrolled: 1-line block ×5, first 2 shown]
	v_cmp_le_i32_e64 s3, s6, v20
	s_add_i32 s24, s24, s23
	s_or_b32 s22, s3, s22
	s_andn2_b32 exec_lo, exec_lo, s22
	s_cbranch_execz .LBB552_26
.LBB552_21:                             ; =>This Inner Loop Header: Depth=1
	s_and_saveexec_b32 s25, vcc_lo
	s_cbranch_execz .LBB552_20
; %bb.22:                               ;   in Loop: Header=BB552_21 Depth=1
	v_add_nc_u32_e32 v5, s24, v25
	v_add_nc_u32_e32 v7, s24, v4
	;; [unrolled: 1-line block ×5, first 2 shown]
	v_ashrrev_i32_e32 v6, 31, v5
	v_ashrrev_i32_e32 v8, 31, v7
	;; [unrolled: 1-line block ×5, first 2 shown]
	v_lshlrev_b64 v[5:6], 1, v[5:6]
	v_lshlrev_b64 v[7:8], 1, v[7:8]
	;; [unrolled: 1-line block ×4, first 2 shown]
	v_add_nc_u32_e32 v28, s5, v21
	v_add_nc_u32_e32 v30, s5, v2
	v_add_co_u32 v5, s3, s18, v5
	v_add_co_ci_u32_e64 v6, null, s19, v6, s3
	v_add_co_u32 v7, s3, s18, v7
	v_add_co_ci_u32_e64 v8, null, s19, v8, s3
	;; [unrolled: 2-line block ×4, first 2 shown]
	v_lshlrev_b64 v[26:27], 1, v[26:27]
	s_clause 0x3
	global_load_ushort v33, v[5:6], off
	global_load_ushort v34, v[7:8], off
	global_load_ushort v35, v[9:10], off
	global_load_ushort v36, v[11:12], off
	v_add_nc_u32_e32 v9, s5, v3
	v_ashrrev_i32_e32 v29, 31, v28
	v_ashrrev_i32_e32 v31, 31, v30
	v_add_co_u32 v5, s3, s7, v26
	v_ashrrev_i32_e32 v10, 31, v9
	v_lshlrev_b64 v[7:8], 1, v[28:29]
	v_add_co_ci_u32_e64 v6, null, s17, v27, s3
	v_lshlrev_b64 v[26:27], 1, v[30:31]
	v_lshlrev_b64 v[9:10], 1, v[9:10]
	v_add_co_u32 v11, s3, s7, v7
	v_add_co_ci_u32_e64 v12, null, s17, v8, s3
	v_add_co_u32 v7, s3, s7, v26
	v_add_co_ci_u32_e64 v8, null, s17, v27, s3
	v_add_co_u32 v9, s3, s7, v9
	v_add_co_ci_u32_e64 v10, null, s17, v10, s3
	s_clause 0x3
	global_load_ushort v32, v[5:6], off
	global_load_ushort v30, v[11:12], off
	;; [unrolled: 1-line block ×4, first 2 shown]
	s_waitcnt vmcnt(7)
	v_lshlrev_b32_e32 v33, 16, v33
	s_waitcnt vmcnt(6)
	v_lshlrev_b32_e32 v29, 16, v34
	;; [unrolled: 2-line block ×4, first 2 shown]
	s_and_saveexec_b32 s3, s0
	s_cbranch_execz .LBB552_19
; %bb.23:                               ;   in Loop: Header=BB552_21 Depth=1
	s_clause 0x3
	global_load_ushort v37, v[5:6], off offset:128
	global_load_ushort v36, v[11:12], off offset:128
	global_load_ushort v35, v[7:8], off offset:128
	global_load_ushort v34, v[9:10], off offset:128
	s_and_saveexec_b32 s26, s1
	s_cbranch_execz .LBB552_18
; %bb.24:                               ;   in Loop: Header=BB552_21 Depth=1
	s_clause 0x3
	global_load_ushort v41, v[5:6], off offset:256
	global_load_ushort v40, v[11:12], off offset:256
	global_load_ushort v39, v[7:8], off offset:256
	global_load_ushort v38, v[9:10], off offset:256
	;; [unrolled: 8-line block ×3, first 2 shown]
	s_waitcnt vmcnt(3)
	v_lshlrev_b32_e32 v5, 16, v5
	s_waitcnt vmcnt(2)
	v_lshlrev_b32_e32 v6, 16, v6
	v_fmac_f32_e32 v18, v33, v5
	s_waitcnt vmcnt(1)
	v_lshlrev_b32_e32 v5, 16, v7
	v_fmac_f32_e32 v18, v29, v6
	;; [unrolled: 3-line block ×3, first 2 shown]
	v_fmac_f32_e32 v18, v27, v6
	s_branch .LBB552_17
.LBB552_26:
	s_or_b32 exec_lo, exec_lo, s22
.LBB552_27:
	s_or_b32 exec_lo, exec_lo, s20
	s_sub_i32 s0, s9, s6
	s_cmp_lt_i32 s0, 1
	s_cbranch_scc1 .LBB552_45
; %bb.28:
	v_cmp_gt_i32_e32 vcc_lo, s9, v20
	v_mov_b32_e32 v11, 0
	v_or_b32_e32 v2, 1, v20
	v_mov_b32_e32 v10, 0
	v_mov_b32_e32 v21, 0
	;; [unrolled: 1-line block ×3, first 2 shown]
	s_and_saveexec_b32 s1, vcc_lo
	s_cbranch_execz .LBB552_36
; %bb.29:
	v_mul_lo_u32 v3, v20, s4
	v_mov_b32_e32 v12, 0
	v_mov_b32_e32 v10, 0
	;; [unrolled: 1-line block ×3, first 2 shown]
	s_mov_b32 s2, exec_lo
	v_ashrrev_i32_e32 v4, 31, v3
	v_lshlrev_b64 v[3:4], 1, v[3:4]
	v_add_co_u32 v3, s0, s18, v3
	v_add_co_ci_u32_e64 v4, null, s19, v4, s0
	global_load_ushort v3, v[3:4], off
	v_cmpx_gt_i32_e64 s9, v2
	s_cbranch_execz .LBB552_35
; %bb.30:
	v_mul_lo_u32 v4, v2, s4
	v_mov_b32_e32 v10, 0
	v_mov_b32_e32 v11, 0
	s_mov_b32 s3, exec_lo
	v_ashrrev_i32_e32 v5, 31, v4
	v_lshlrev_b64 v[4:5], 1, v[4:5]
	v_add_co_u32 v4, s0, s18, v4
	v_add_co_ci_u32_e64 v5, null, s19, v5, s0
	global_load_ushort v4, v[4:5], off
	v_or_b32_e32 v5, 2, v20
	v_cmpx_gt_i32_e64 s9, v5
	s_cbranch_execz .LBB552_34
; %bb.31:
	v_mul_lo_u32 v5, v5, s4
	v_mov_b32_e32 v10, 0
	s_mov_b32 s6, exec_lo
	v_ashrrev_i32_e32 v6, 31, v5
	v_lshlrev_b64 v[5:6], 1, v[5:6]
	v_add_co_u32 v5, s0, s18, v5
	v_add_co_ci_u32_e64 v6, null, s19, v6, s0
	global_load_ushort v5, v[5:6], off
	v_or_b32_e32 v6, 3, v20
	v_cmpx_gt_i32_e64 s9, v6
	s_cbranch_execz .LBB552_33
; %bb.32:
	v_mul_lo_u32 v6, v6, s4
	v_ashrrev_i32_e32 v7, 31, v6
	v_lshlrev_b64 v[6:7], 1, v[6:7]
	v_add_co_u32 v6, s0, s18, v6
	v_add_co_ci_u32_e64 v7, null, s19, v7, s0
	global_load_ushort v6, v[6:7], off
	s_waitcnt vmcnt(0)
	v_lshlrev_b32_e32 v10, 16, v6
.LBB552_33:
	s_or_b32 exec_lo, exec_lo, s6
	s_waitcnt vmcnt(0)
	v_lshlrev_b32_e32 v11, 16, v5
.LBB552_34:
	s_or_b32 exec_lo, exec_lo, s3
	s_waitcnt vmcnt(0)
	v_lshlrev_b32_e32 v12, 16, v4
.LBB552_35:
	s_or_b32 exec_lo, exec_lo, s2
	s_waitcnt vmcnt(0)
	v_lshlrev_b32_e32 v21, 16, v3
.LBB552_36:
	s_or_b32 exec_lo, exec_lo, s1
	s_mov_b32 s1, exec_lo
	v_cmpx_gt_i32_e64 s8, v19
	s_cbranch_execz .LBB552_44
; %bb.37:
	v_mul_lo_u32 v3, v20, s16
	v_mul_lo_u32 v4, v2, s16
	v_or_b32_e32 v5, 2, v20
	v_or_b32_e32 v6, 3, v20
	s_mov_b32 s0, exec_lo
	v_mul_lo_u32 v7, v5, s16
	v_cndmask_b32_e32 v3, 0, v3, vcc_lo
	v_cmp_gt_i32_e32 vcc_lo, s9, v2
	v_mul_lo_u32 v8, v6, s16
	v_add_nc_u32_e32 v2, v3, v19
	v_cndmask_b32_e32 v4, 0, v4, vcc_lo
	v_cmp_gt_i32_e32 vcc_lo, s9, v5
	v_ashrrev_i32_e32 v3, 31, v2
	v_add_nc_u32_e32 v4, v4, v19
	v_cndmask_b32_e32 v7, 0, v7, vcc_lo
	v_cmp_gt_i32_e32 vcc_lo, s9, v6
	v_lshlrev_b64 v[2:3], 1, v[2:3]
	v_ashrrev_i32_e32 v5, 31, v4
	v_add_nc_u32_e32 v6, v7, v19
	v_cndmask_b32_e32 v8, 0, v8, vcc_lo
	v_lshlrev_b64 v[4:5], 1, v[4:5]
	v_ashrrev_i32_e32 v7, 31, v6
	v_add_nc_u32_e32 v8, v8, v19
	v_add_co_u32 v2, vcc_lo, s7, v2
	v_add_co_ci_u32_e64 v3, null, s17, v3, vcc_lo
	v_ashrrev_i32_e32 v9, 31, v8
	v_add_co_u32 v4, vcc_lo, s7, v4
	v_add_co_ci_u32_e64 v5, null, s17, v5, vcc_lo
	v_lshlrev_b64 v[6:7], 1, v[6:7]
	v_lshlrev_b64 v[8:9], 1, v[8:9]
	s_clause 0x1
	global_load_ushort v20, v[2:3], off
	global_load_ushort v22, v[4:5], off
	v_add_co_u32 v6, vcc_lo, s7, v6
	v_add_co_ci_u32_e64 v7, null, s17, v7, vcc_lo
	v_add_co_u32 v8, vcc_lo, s7, v8
	v_add_co_ci_u32_e64 v9, null, s17, v9, vcc_lo
	s_clause 0x1
	global_load_ushort v23, v[6:7], off
	global_load_ushort v24, v[8:9], off
	s_waitcnt vmcnt(3)
	v_lshlrev_b32_e32 v20, 16, v20
	s_waitcnt vmcnt(2)
	v_lshlrev_b32_e32 v22, 16, v22
	v_fmac_f32_e32 v15, v21, v20
	v_fmac_f32_e32 v15, v12, v22
	v_add_nc_u32_e32 v22, 64, v19
	s_waitcnt vmcnt(1)
	v_lshlrev_b32_e32 v23, 16, v23
	s_waitcnt vmcnt(0)
	v_lshlrev_b32_e32 v20, 16, v24
	v_fmac_f32_e32 v15, v11, v23
	v_cmpx_gt_i32_e64 s8, v22
	s_cbranch_execz .LBB552_43
; %bb.38:
	s_clause 0x3
	global_load_ushort v22, v[2:3], off offset:128
	global_load_ushort v23, v[4:5], off offset:128
	global_load_ushort v24, v[6:7], off offset:128
	global_load_ushort v25, v[8:9], off offset:128
	s_mov_b32 s2, exec_lo
	s_waitcnt vmcnt(3)
	v_lshlrev_b32_e32 v22, 16, v22
	s_waitcnt vmcnt(2)
	v_lshlrev_b32_e32 v23, 16, v23
	;; [unrolled: 2-line block ×3, first 2 shown]
	v_fmac_f32_e32 v16, v21, v22
	s_waitcnt vmcnt(0)
	v_lshlrev_b32_e32 v22, 16, v25
	v_fmac_f32_e32 v16, v12, v23
	v_add_nc_u32_e32 v23, 0x80, v19
	v_fmac_f32_e32 v16, v11, v24
	v_cmpx_gt_i32_e64 s8, v23
	s_cbranch_execz .LBB552_42
; %bb.39:
	s_clause 0x3
	global_load_ushort v23, v[2:3], off offset:256
	global_load_ushort v24, v[4:5], off offset:256
	;; [unrolled: 1-line block ×4, first 2 shown]
	s_mov_b32 s3, exec_lo
	s_waitcnt vmcnt(3)
	v_lshlrev_b32_e32 v23, 16, v23
	s_waitcnt vmcnt(2)
	v_lshlrev_b32_e32 v24, 16, v24
	v_fmac_f32_e32 v17, v21, v23
	s_waitcnt vmcnt(1)
	v_lshlrev_b32_e32 v23, 16, v25
	v_fmac_f32_e32 v17, v12, v24
	v_add_nc_u32_e32 v24, 0xc0, v19
	s_waitcnt vmcnt(0)
	v_lshlrev_b32_e32 v19, 16, v26
	v_fmac_f32_e32 v17, v11, v23
	v_cmpx_gt_i32_e64 s8, v24
	s_cbranch_execz .LBB552_41
; %bb.40:
	s_clause 0x3
	global_load_ushort v2, v[2:3], off offset:384
	global_load_ushort v3, v[4:5], off offset:384
	;; [unrolled: 1-line block ×4, first 2 shown]
	s_waitcnt vmcnt(3)
	v_lshlrev_b32_e32 v2, 16, v2
	s_waitcnt vmcnt(2)
	v_lshlrev_b32_e32 v3, 16, v3
	v_fmac_f32_e32 v18, v21, v2
	s_waitcnt vmcnt(1)
	v_lshlrev_b32_e32 v2, 16, v4
	v_fmac_f32_e32 v18, v12, v3
	;; [unrolled: 3-line block ×3, first 2 shown]
	v_fmac_f32_e32 v18, v10, v3
.LBB552_41:
	s_or_b32 exec_lo, exec_lo, s3
	v_fmac_f32_e32 v17, v10, v19
.LBB552_42:
	s_or_b32 exec_lo, exec_lo, s2
	v_fmac_f32_e32 v16, v10, v22
.LBB552_43:
	s_or_b32 exec_lo, exec_lo, s0
	v_fmac_f32_e32 v15, v10, v20
.LBB552_44:
	s_or_b32 exec_lo, exec_lo, s1
.LBB552_45:
	v_lshlrev_b32_e32 v0, 2, v0
	s_mov_b32 s0, exec_lo
                                        ; implicit-def: $vgpr5
                                        ; implicit-def: $vgpr2_vgpr3
	v_lshl_add_u32 v1, v1, 10, v0
	ds_write2st64_b32 v1, v15, v16 offset1:1
	ds_write2st64_b32 v1, v17, v18 offset0:2 offset1:3
	s_waitcnt lgkmcnt(0)
	s_barrier
	buffer_gl0_inv
	v_cmpx_gt_u32_e32 0x100, v13
	s_cbranch_execz .LBB552_66
; %bb.46:
	v_lshl_add_u32 v6, v14, 2, v0
	s_mov_b32 s2, s13
	s_mov_b32 s1, exec_lo
	ds_read2st64_b32 v[0:1], v6 offset1:4
	ds_read2st64_b32 v[2:3], v6 offset0:8 offset1:12
	ds_read2st64_b32 v[4:5], v6 offset0:16 offset1:20
	s_waitcnt lgkmcnt(2)
	v_add_f32_e32 v7, v0, v1
	ds_read2st64_b32 v[0:1], v6 offset0:24 offset1:28
	s_waitcnt lgkmcnt(2)
	v_add_f32_e32 v2, v2, v7
	v_add_f32_e32 v7, v3, v2
	ds_read2st64_b32 v[2:3], v6 offset0:32 offset1:36
	s_waitcnt lgkmcnt(2)
	v_add_f32_e32 v4, v4, v7
	;; [unrolled: 4-line block ×3, first 2 shown]
	v_add_f32_e32 v0, v1, v0
	s_waitcnt lgkmcnt(1)
	v_add_f32_e32 v2, v2, v0
	ds_read2st64_b32 v[0:1], v6 offset0:48 offset1:52
	v_add_f32_e32 v2, v3, v2
	s_waitcnt lgkmcnt(1)
	v_add_f32_e32 v4, v4, v2
	ds_read2st64_b32 v[2:3], v6 offset0:56 offset1:60
	v_add_f32_e32 v4, v5, v4
                                        ; implicit-def: $vgpr5
	s_waitcnt lgkmcnt(1)
	v_add_f32_e32 v0, v0, v4
	v_or_b32_e32 v4, s5, v13
	v_add_f32_e32 v0, v1, v0
	s_waitcnt lgkmcnt(0)
	v_add_f32_e32 v0, v2, v0
	v_add_f32_e32 v0, v3, v0
                                        ; implicit-def: $vgpr2_vgpr3
	ds_write_b32 v6, v0
	v_cmpx_gt_i32_e64 s8, v4
	s_cbranch_execz .LBB552_65
; %bb.47:
	v_cmp_eq_f32_e64 s2, s14, 0
	v_mul_f32_e32 v0, s10, v0
	s_and_b32 vcc_lo, exec_lo, s2
	s_cbranch_vccz .LBB552_53
; %bb.48:
	v_and_b32_e32 v1, 0x7f800000, v0
	v_cmp_ne_u32_e32 vcc_lo, 0x7f800000, v1
                                        ; implicit-def: $vgpr1
	s_and_saveexec_b32 s2, vcc_lo
	s_xor_b32 s2, exec_lo, s2
; %bb.49:
	v_bfe_u32 v1, v0, 16, 1
	v_add3_u32 v1, v0, v1, 0x7fff
; %bb.50:
	s_andn2_saveexec_b32 s2, s2
; %bb.51:
	v_mov_b32_e32 v1, 0
	v_or_b32_e32 v2, 0x10000, v0
	v_cmp_eq_u32_sdwa vcc_lo, v0, v1 src0_sel:WORD_0 src1_sel:DWORD
	v_cndmask_b32_e32 v1, v2, v0, vcc_lo
; %bb.52:
	s_or_b32 exec_lo, exec_lo, s2
	s_mov_b32 s2, 0
	s_branch .LBB552_54
.LBB552_53:
	s_mov_b32 s2, -1
                                        ; implicit-def: $vgpr1
.LBB552_54:
	v_mul_lo_u32 v2, s15, v4
	s_andn2_b32 vcc_lo, exec_lo, s2
	v_ashrrev_i32_e32 v3, 31, v2
	s_cbranch_vccnz .LBB552_64
; %bb.55:
	v_lshlrev_b64 v[4:5], 1, v[2:3]
	v_add_co_u32 v4, vcc_lo, s11, v4
	v_add_co_ci_u32_e64 v5, null, s12, v5, vcc_lo
	global_load_ushort v1, v[4:5], off
	s_waitcnt vmcnt(0)
	v_lshlrev_b32_e32 v1, 16, v1
	v_mul_f32_e32 v1, s14, v1
	v_and_b32_e32 v4, 0x7f800000, v1
	v_cmp_ne_u32_e32 vcc_lo, 0x7f800000, v4
                                        ; implicit-def: $vgpr4
	s_and_saveexec_b32 s2, vcc_lo
	s_xor_b32 s2, exec_lo, s2
; %bb.56:
	v_bfe_u32 v4, v1, 16, 1
	v_add3_u32 v4, v1, v4, 0x7fff
                                        ; implicit-def: $vgpr1
; %bb.57:
	s_andn2_saveexec_b32 s2, s2
; %bb.58:
	v_mov_b32_e32 v4, 0
	v_or_b32_e32 v5, 0x10000, v1
	v_cmp_eq_u32_sdwa vcc_lo, v1, v4 src0_sel:WORD_0 src1_sel:DWORD
	v_cndmask_b32_e32 v4, v5, v1, vcc_lo
; %bb.59:
	s_or_b32 exec_lo, exec_lo, s2
	v_and_b32_e32 v1, 0xffff0000, v4
	v_add_f32_e32 v0, v0, v1
	v_and_b32_e32 v1, 0x7f800000, v0
	v_cmp_ne_u32_e32 vcc_lo, 0x7f800000, v1
                                        ; implicit-def: $vgpr1
	s_and_saveexec_b32 s2, vcc_lo
	s_xor_b32 s2, exec_lo, s2
; %bb.60:
	v_bfe_u32 v1, v0, 16, 1
	v_add3_u32 v1, v0, v1, 0x7fff
                                        ; implicit-def: $vgpr0
; %bb.61:
	s_andn2_saveexec_b32 s2, s2
; %bb.62:
	v_mov_b32_e32 v1, 0
	v_or_b32_e32 v4, 0x10000, v0
	v_cmp_eq_u32_sdwa vcc_lo, v0, v1 src0_sel:WORD_0 src1_sel:DWORD
	v_cndmask_b32_e32 v1, v4, v0, vcc_lo
; %bb.63:
	s_or_b32 exec_lo, exec_lo, s2
.LBB552_64:
	v_lshrrev_b32_e32 v5, 16, v1
	s_or_b32 s2, s13, exec_lo
.LBB552_65:
	s_or_b32 exec_lo, exec_lo, s1
	s_andn2_b32 s1, s13, exec_lo
	s_and_b32 s2, s2, exec_lo
	s_or_b32 s13, s1, s2
.LBB552_66:
	s_or_b32 exec_lo, exec_lo, s0
.LBB552_67:
	s_and_saveexec_b32 s0, s13
	s_cbranch_execz .LBB552_69
; %bb.68:
	v_lshlrev_b64 v[0:1], 1, v[2:3]
	v_add_co_u32 v0, vcc_lo, s11, v0
	v_add_co_ci_u32_e64 v1, null, s12, v1, vcc_lo
	global_store_short v[0:1], v5, off
.LBB552_69:
	s_endpgm
	.section	.rodata,"a",@progbits
	.p2align	6, 0x0
	.amdhsa_kernel _ZL20rocblas_gemvn_kernelILi64ELi16Ei16rocblas_bfloat16fS0_EviiT3_lPKT2_lT1_lS4_lS5_lS1_lPT4_lS5_li
		.amdhsa_group_segment_fixed_size 16384
		.amdhsa_private_segment_fixed_size 0
		.amdhsa_kernarg_size 400
		.amdhsa_user_sgpr_count 6
		.amdhsa_user_sgpr_private_segment_buffer 1
		.amdhsa_user_sgpr_dispatch_ptr 0
		.amdhsa_user_sgpr_queue_ptr 0
		.amdhsa_user_sgpr_kernarg_segment_ptr 1
		.amdhsa_user_sgpr_dispatch_id 0
		.amdhsa_user_sgpr_flat_scratch_init 0
		.amdhsa_user_sgpr_private_segment_size 0
		.amdhsa_wavefront_size32 1
		.amdhsa_uses_dynamic_stack 0
		.amdhsa_system_sgpr_private_segment_wavefront_offset 0
		.amdhsa_system_sgpr_workgroup_id_x 1
		.amdhsa_system_sgpr_workgroup_id_y 0
		.amdhsa_system_sgpr_workgroup_id_z 1
		.amdhsa_system_sgpr_workgroup_info 0
		.amdhsa_system_vgpr_workitem_id 1
		.amdhsa_next_free_vgpr 42
		.amdhsa_next_free_sgpr 28
		.amdhsa_reserve_vcc 1
		.amdhsa_reserve_flat_scratch 0
		.amdhsa_float_round_mode_32 0
		.amdhsa_float_round_mode_16_64 0
		.amdhsa_float_denorm_mode_32 3
		.amdhsa_float_denorm_mode_16_64 3
		.amdhsa_dx10_clamp 1
		.amdhsa_ieee_mode 1
		.amdhsa_fp16_overflow 0
		.amdhsa_workgroup_processor_mode 1
		.amdhsa_memory_ordered 1
		.amdhsa_forward_progress 1
		.amdhsa_shared_vgpr_count 0
		.amdhsa_exception_fp_ieee_invalid_op 0
		.amdhsa_exception_fp_denorm_src 0
		.amdhsa_exception_fp_ieee_div_zero 0
		.amdhsa_exception_fp_ieee_overflow 0
		.amdhsa_exception_fp_ieee_underflow 0
		.amdhsa_exception_fp_ieee_inexact 0
		.amdhsa_exception_int_div_zero 0
	.end_amdhsa_kernel
	.section	.text._ZL20rocblas_gemvn_kernelILi64ELi16Ei16rocblas_bfloat16fS0_EviiT3_lPKT2_lT1_lS4_lS5_lS1_lPT4_lS5_li,"axG",@progbits,_ZL20rocblas_gemvn_kernelILi64ELi16Ei16rocblas_bfloat16fS0_EviiT3_lPKT2_lT1_lS4_lS5_lS1_lPT4_lS5_li,comdat
.Lfunc_end552:
	.size	_ZL20rocblas_gemvn_kernelILi64ELi16Ei16rocblas_bfloat16fS0_EviiT3_lPKT2_lT1_lS4_lS5_lS1_lPT4_lS5_li, .Lfunc_end552-_ZL20rocblas_gemvn_kernelILi64ELi16Ei16rocblas_bfloat16fS0_EviiT3_lPKT2_lT1_lS4_lS5_lS1_lPT4_lS5_li
                                        ; -- End function
	.set _ZL20rocblas_gemvn_kernelILi64ELi16Ei16rocblas_bfloat16fS0_EviiT3_lPKT2_lT1_lS4_lS5_lS1_lPT4_lS5_li.num_vgpr, 42
	.set _ZL20rocblas_gemvn_kernelILi64ELi16Ei16rocblas_bfloat16fS0_EviiT3_lPKT2_lT1_lS4_lS5_lS1_lPT4_lS5_li.num_agpr, 0
	.set _ZL20rocblas_gemvn_kernelILi64ELi16Ei16rocblas_bfloat16fS0_EviiT3_lPKT2_lT1_lS4_lS5_lS1_lPT4_lS5_li.numbered_sgpr, 28
	.set _ZL20rocblas_gemvn_kernelILi64ELi16Ei16rocblas_bfloat16fS0_EviiT3_lPKT2_lT1_lS4_lS5_lS1_lPT4_lS5_li.num_named_barrier, 0
	.set _ZL20rocblas_gemvn_kernelILi64ELi16Ei16rocblas_bfloat16fS0_EviiT3_lPKT2_lT1_lS4_lS5_lS1_lPT4_lS5_li.private_seg_size, 0
	.set _ZL20rocblas_gemvn_kernelILi64ELi16Ei16rocblas_bfloat16fS0_EviiT3_lPKT2_lT1_lS4_lS5_lS1_lPT4_lS5_li.uses_vcc, 1
	.set _ZL20rocblas_gemvn_kernelILi64ELi16Ei16rocblas_bfloat16fS0_EviiT3_lPKT2_lT1_lS4_lS5_lS1_lPT4_lS5_li.uses_flat_scratch, 0
	.set _ZL20rocblas_gemvn_kernelILi64ELi16Ei16rocblas_bfloat16fS0_EviiT3_lPKT2_lT1_lS4_lS5_lS1_lPT4_lS5_li.has_dyn_sized_stack, 0
	.set _ZL20rocblas_gemvn_kernelILi64ELi16Ei16rocblas_bfloat16fS0_EviiT3_lPKT2_lT1_lS4_lS5_lS1_lPT4_lS5_li.has_recursion, 0
	.set _ZL20rocblas_gemvn_kernelILi64ELi16Ei16rocblas_bfloat16fS0_EviiT3_lPKT2_lT1_lS4_lS5_lS1_lPT4_lS5_li.has_indirect_call, 0
	.section	.AMDGPU.csdata,"",@progbits
; Kernel info:
; codeLenInByte = 3260
; TotalNumSgprs: 30
; NumVgprs: 42
; ScratchSize: 0
; MemoryBound: 0
; FloatMode: 240
; IeeeMode: 1
; LDSByteSize: 16384 bytes/workgroup (compile time only)
; SGPRBlocks: 0
; VGPRBlocks: 5
; NumSGPRsForWavesPerEU: 30
; NumVGPRsForWavesPerEU: 42
; Occupancy: 16
; WaveLimiterHint : 1
; COMPUTE_PGM_RSRC2:SCRATCH_EN: 0
; COMPUTE_PGM_RSRC2:USER_SGPR: 6
; COMPUTE_PGM_RSRC2:TRAP_HANDLER: 0
; COMPUTE_PGM_RSRC2:TGID_X_EN: 1
; COMPUTE_PGM_RSRC2:TGID_Y_EN: 0
; COMPUTE_PGM_RSRC2:TGID_Z_EN: 1
; COMPUTE_PGM_RSRC2:TIDIG_COMP_CNT: 1
	.section	.text._ZL20rocblas_gemvn_kernelILi64ELi16El16rocblas_bfloat16fS0_EviiT3_lPKT2_lT1_lS4_lS5_lS1_lPT4_lS5_li,"axG",@progbits,_ZL20rocblas_gemvn_kernelILi64ELi16El16rocblas_bfloat16fS0_EviiT3_lPKT2_lT1_lS4_lS5_lS1_lPT4_lS5_li,comdat
	.globl	_ZL20rocblas_gemvn_kernelILi64ELi16El16rocblas_bfloat16fS0_EviiT3_lPKT2_lT1_lS4_lS5_lS1_lPT4_lS5_li ; -- Begin function _ZL20rocblas_gemvn_kernelILi64ELi16El16rocblas_bfloat16fS0_EviiT3_lPKT2_lT1_lS4_lS5_lS1_lPT4_lS5_li
	.p2align	8
	.type	_ZL20rocblas_gemvn_kernelILi64ELi16El16rocblas_bfloat16fS0_EviiT3_lPKT2_lT1_lS4_lS5_lS1_lPT4_lS5_li,@function
_ZL20rocblas_gemvn_kernelILi64ELi16El16rocblas_bfloat16fS0_EviiT3_lPKT2_lT1_lS4_lS5_lS1_lPT4_lS5_li: ; @_ZL20rocblas_gemvn_kernelILi64ELi16El16rocblas_bfloat16fS0_EviiT3_lPKT2_lT1_lS4_lS5_lS1_lPT4_lS5_li
; %bb.0:
	s_load_dwordx2 s[0:1], s[4:5], 0x9c
	s_waitcnt lgkmcnt(0)
	s_lshr_b32 s2, s0, 16
	s_and_b32 s0, s0, 0xffff
	s_and_b32 s1, s1, 0xffff
	s_mul_i32 s0, s2, s0
	s_mul_i32 s0, s0, s1
	s_cmpk_lg_i32 s0, 0x400
	s_cbranch_scc1 .LBB553_69
; %bb.1:
	s_clause 0x1
	s_load_dwordx4 s[28:31], s[4:5], 0x0
	s_load_dword s37, s[4:5], 0x58
	s_mov_b32 s36, 0
	s_waitcnt lgkmcnt(0)
	v_cmp_eq_f32_e64 s0, s30, 0
	v_cmp_eq_f32_e64 s1, s37, 1.0
	s_and_b32 s0, s0, s1
	s_and_b32 vcc_lo, exec_lo, s0
	s_cbranch_vccnz .LBB553_69
; %bb.2:
	s_load_dwordx8 s[20:27], s[4:5], 0x68
	v_lshlrev_b32_e32 v14, 6, v1
	v_add_nc_u32_e32 v13, v14, v0
	s_waitcnt lgkmcnt(0)
	s_mul_i32 s1, s27, s7
	s_mul_hi_u32 s2, s26, s7
	s_mul_i32 s0, s26, s7
	s_add_i32 s1, s2, s1
	v_cmp_neq_f32_e64 s2, s30, 0
	s_lshl_b64 s[0:1], s[0:1], 1
	s_add_u32 s3, s20, s0
	s_addc_u32 s8, s21, s1
	s_lshl_b64 s[0:1], s[22:23], 1
	s_add_u32 s31, s3, s0
	v_cmp_gt_u32_e64 s0, 0x100, v13
	s_addc_u32 s33, s8, s1
	s_and_b32 vcc_lo, exec_lo, s2
	s_cbranch_vccnz .LBB553_13
; %bb.3:
	s_mov_b32 s1, 0
                                        ; implicit-def: $vgpr5
                                        ; implicit-def: $vgpr2_vgpr3
	s_and_saveexec_b32 s2, s0
	s_cbranch_execz .LBB553_14
; %bb.4:
	v_lshl_or_b32 v4, s6, 8, v13
	v_mov_b32_e32 v5, 0
	s_ashr_i32 s9, s28, 31
	s_mov_b32 s8, s28
	s_mov_b32 s3, 0
	s_mov_b32 s0, exec_lo
                                        ; implicit-def: $vgpr2_vgpr3
	v_cmpx_gt_i64_e64 s[8:9], v[4:5]
	s_cbranch_execz .LBB553_12
; %bb.5:
	v_mad_u64_u32 v[2:3], null, s24, v4, 0
	v_cmp_eq_f32_e64 s3, s37, 0
	s_and_b32 vcc_lo, exec_lo, s3
	v_mad_u64_u32 v[3:4], null, s25, v4, v[3:4]
	s_cbranch_vccnz .LBB553_11
; %bb.6:
	v_lshlrev_b64 v[4:5], 1, v[2:3]
	v_add_co_u32 v4, vcc_lo, s31, v4
	v_add_co_ci_u32_e64 v5, null, s33, v5, vcc_lo
	global_load_ushort v4, v[4:5], off
	s_waitcnt vmcnt(0)
	v_lshlrev_b32_e32 v4, 16, v4
	v_mul_f32_e32 v4, s37, v4
	v_and_b32_e32 v5, 0x7f800000, v4
	v_cmp_ne_u32_e32 vcc_lo, 0x7f800000, v5
                                        ; implicit-def: $vgpr5
	s_and_saveexec_b32 s3, vcc_lo
	s_xor_b32 s3, exec_lo, s3
; %bb.7:
	v_bfe_u32 v5, v4, 16, 1
	v_add3_u32 v5, v4, v5, 0x7fff
                                        ; implicit-def: $vgpr4
; %bb.8:
	s_andn2_saveexec_b32 s3, s3
; %bb.9:
	v_mov_b32_e32 v5, 0
	v_or_b32_e32 v6, 0x10000, v4
	v_cmp_eq_u32_sdwa vcc_lo, v4, v5 src0_sel:WORD_0 src1_sel:DWORD
	v_cndmask_b32_e32 v5, v6, v4, vcc_lo
; %bb.10:
	s_or_b32 exec_lo, exec_lo, s3
	v_lshrrev_b32_e32 v5, 16, v5
.LBB553_11:
	s_mov_b32 s3, exec_lo
.LBB553_12:
	s_or_b32 exec_lo, exec_lo, s0
	s_and_b32 s36, s3, exec_lo
	s_or_b32 exec_lo, exec_lo, s2
	s_and_b32 vcc_lo, exec_lo, s1
	s_cbranch_vccnz .LBB553_15
	s_branch .LBB553_67
.LBB553_13:
                                        ; implicit-def: $vgpr5
                                        ; implicit-def: $vgpr2_vgpr3
	s_cbranch_execnz .LBB553_15
	s_branch .LBB553_67
.LBB553_14:
	s_or_b32 exec_lo, exec_lo, s2
	s_and_b32 vcc_lo, exec_lo, s1
	s_cbranch_vccz .LBB553_67
.LBB553_15:
	s_load_dwordx16 s[8:23], s[4:5], 0x18
	s_ashr_i32 s0, s29, 31
	s_lshl_b32 s5, s6, 8
	s_lshr_b32 s0, s0, 26
	v_lshlrev_b32_e32 v19, 2, v1
	v_mov_b32_e32 v15, 0
	v_mov_b32_e32 v16, 0
	;; [unrolled: 1-line block ×4, first 2 shown]
	v_add_nc_u32_e32 v2, s5, v0
	s_add_i32 s38, s29, s0
	s_mov_b32 s39, exec_lo
	s_andn2_b32 s38, s38, 63
	s_waitcnt lgkmcnt(0)
	s_mul_i32 s0, s15, s7
	s_mul_hi_u32 s1, s14, s7
	s_mul_i32 s2, s23, s7
	s_mul_hi_u32 s3, s22, s7
	s_mul_i32 s14, s14, s7
	s_add_i32 s15, s1, s0
	s_add_i32 s23, s3, s2
	s_mul_i32 s22, s22, s7
	v_cmpx_gt_i32_e64 s38, v19
	s_cbranch_execz .LBB553_27
; %bb.16:
	v_lshlrev_b32_e32 v30, 2, v1
	v_mad_u64_u32 v[4:5], null, s20, v1, 0
	v_add_nc_u32_e32 v11, 64, v2
	v_add_nc_u32_e32 v12, 0x80, v2
	v_or_b32_e32 v15, 3, v30
	s_lshl_b64 s[0:1], s[22:23], 1
	s_lshl_b64 s[6:7], s[18:19], 1
	s_add_u32 s4, s16, s0
	s_addc_u32 s42, s17, s1
	v_mad_u64_u32 v[6:7], null, s12, v15, 0
	v_cmp_gt_i32_e64 s0, s28, v11
	v_cmp_gt_i32_e64 s1, s28, v12
	v_add_nc_u32_e32 v16, 0xc0, v2
	v_or_b32_e32 v24, 2, v30
	s_lshl_b64 s[34:35], s[10:11], 1
	s_lshl_b64 s[26:27], s[20:21], 7
	v_mad_u64_u32 v[8:9], null, s21, v1, v[5:6]
	v_mad_u64_u32 v[9:10], null, s20, v15, 0
	v_cmp_gt_i32_e64 s2, s28, v16
	s_lshl_b64 s[40:41], s[14:15], 1
	v_mad_u64_u32 v[28:29], null, s20, v24, 0
	v_mov_b32_e32 v5, v8
	v_mad_u64_u32 v[7:8], null, s13, v15, v[7:8]
	v_mad_u64_u32 v[32:33], null, s12, v30, s[12:13]
	v_lshlrev_b64 v[11:12], 3, v[4:5]
	v_mov_b32_e32 v5, v10
	v_mov_b32_e32 v8, v29
	v_ashrrev_i32_e32 v3, 31, v2
	v_lshlrev_b64 v[6:7], 1, v[6:7]
	v_cmp_gt_i32_e32 vcc_lo, s28, v2
	v_add_co_u32 v20, s3, s4, v11
	v_add_co_ci_u32_e64 v21, null, s42, v12, s3
	v_mad_u64_u32 v[15:16], null, s21, v15, v[5:6]
	v_mad_u64_u32 v[11:12], null, s12, v1, 0
	s_add_u32 s3, s8, s34
	s_addc_u32 s34, s9, s35
	s_add_u32 s35, s3, s40
	s_addc_u32 s34, s34, s41
	v_mov_b32_e32 v10, v15
	v_mad_u64_u32 v[15:16], null, s12, v24, 0
	v_mov_b32_e32 v5, v12
	v_add_co_u32 v22, s3, s35, v6
	v_add_co_ci_u32_e64 v23, null, s34, v7, s3
	v_mad_u64_u32 v[17:18], null, s13, v1, v[5:6]
	v_lshlrev_b64 v[6:7], 1, v[9:10]
	v_mov_b32_e32 v5, v16
	v_lshlrev_b64 v[3:4], 1, v[2:3]
	s_mov_b32 s40, 0
	v_mad_u64_u32 v[9:10], null, s13, v24, v[5:6]
	v_mov_b32_e32 v12, v17
	v_mad_u64_u32 v[17:18], null, s20, v30, s[20:21]
	v_mad_u64_u32 v[26:27], null, s21, v24, v[8:9]
	v_add_co_u32 v24, s3, s4, v6
	v_add_co_ci_u32_e64 v25, null, s42, v7, s3
	v_lshlrev_b64 v[6:7], 3, v[11:12]
	v_mov_b32_e32 v5, v18
	v_mov_b32_e32 v16, v9
	;; [unrolled: 1-line block ×3, first 2 shown]
	v_add_co_u32 v26, s3, s35, v6
	v_mad_u64_u32 v[8:9], null, s21, v30, v[5:6]
	v_add_co_ci_u32_e64 v27, null, s34, v7, s3
	v_lshlrev_b64 v[6:7], 1, v[15:16]
	v_mov_b32_e32 v5, v33
	v_mov_b32_e32 v15, 0
	;; [unrolled: 1-line block ×4, first 2 shown]
	v_mad_u64_u32 v[9:10], null, s13, v30, v[5:6]
	v_lshlrev_b64 v[10:11], 1, v[28:29]
	v_add_co_u32 v28, s3, s35, v6
	v_lshlrev_b64 v[5:6], 1, v[17:18]
	v_add_co_ci_u32_e64 v29, null, s34, v7, s3
	v_mov_b32_e32 v33, v9
	v_add_co_u32 v30, s3, s4, v10
	v_add_co_ci_u32_e64 v31, null, s42, v11, s3
	v_lshlrev_b64 v[7:8], 1, v[32:33]
	v_add_co_u32 v32, s3, s4, v5
	v_add_co_ci_u32_e64 v33, null, s42, v6, s3
	v_mov_b32_e32 v17, 0
	v_add_co_u32 v34, s3, s35, v7
	v_add_co_ci_u32_e64 v35, null, s34, v8, s3
	v_mov_b32_e32 v18, 0
	s_lshl_b64 s[34:35], s[12:13], 7
	s_branch .LBB553_21
.LBB553_17:                             ;   in Loop: Header=BB553_21 Depth=1
	s_or_b32 exec_lo, exec_lo, s42
	s_waitcnt vmcnt(3)
	v_lshlrev_b32_e32 v5, 16, v51
	s_waitcnt vmcnt(2)
	v_lshlrev_b32_e32 v6, 16, v50
	v_fmac_f32_e32 v17, v43, v5
	s_waitcnt vmcnt(1)
	v_lshlrev_b32_e32 v5, 16, v49
	v_fmac_f32_e32 v17, v39, v6
	v_fmac_f32_e32 v17, v41, v5
	s_waitcnt vmcnt(0)
	v_lshlrev_b32_e32 v5, 16, v48
	v_fmac_f32_e32 v17, v37, v5
.LBB553_18:                             ;   in Loop: Header=BB553_21 Depth=1
	s_or_b32 exec_lo, exec_lo, s41
	s_waitcnt vmcnt(3)
	v_lshlrev_b32_e32 v5, 16, v47
	s_waitcnt vmcnt(2)
	v_lshlrev_b32_e32 v6, 16, v46
	v_fmac_f32_e32 v16, v43, v5
	s_waitcnt vmcnt(1)
	v_lshlrev_b32_e32 v5, 16, v45
	v_fmac_f32_e32 v16, v39, v6
	v_fmac_f32_e32 v16, v41, v5
	s_waitcnt vmcnt(0)
	v_lshlrev_b32_e32 v5, 16, v44
	v_fmac_f32_e32 v16, v37, v5
.LBB553_19:                             ;   in Loop: Header=BB553_21 Depth=1
	s_or_b32 exec_lo, exec_lo, s3
	s_waitcnt vmcnt(3)
	v_lshlrev_b32_e32 v5, 16, v42
	s_waitcnt vmcnt(2)
	v_lshlrev_b32_e32 v6, 16, v40
	v_fmac_f32_e32 v15, v43, v5
	s_waitcnt vmcnt(1)
	v_lshlrev_b32_e32 v5, 16, v38
	v_fmac_f32_e32 v15, v39, v6
	v_fmac_f32_e32 v15, v41, v5
	s_waitcnt vmcnt(0)
	v_lshlrev_b32_e32 v5, 16, v36
	v_fmac_f32_e32 v15, v37, v5
.LBB553_20:                             ;   in Loop: Header=BB553_21 Depth=1
	s_or_b32 exec_lo, exec_lo, s4
	v_add_co_u32 v20, s3, v20, s26
	v_add_co_ci_u32_e64 v21, null, s27, v21, s3
	v_add_co_u32 v22, s3, v22, s34
	v_add_co_ci_u32_e64 v23, null, s35, v23, s3
	;; [unrolled: 2-line block ×4, first 2 shown]
	v_add_co_u32 v28, s3, v28, s34
	v_add_nc_u32_e32 v19, 64, v19
	v_add_co_ci_u32_e64 v29, null, s35, v29, s3
	v_add_co_u32 v30, s3, v30, s26
	v_add_co_ci_u32_e64 v31, null, s27, v31, s3
	v_add_co_u32 v32, s3, v32, s26
	v_add_co_ci_u32_e64 v33, null, s27, v33, s3
	v_cmp_le_i32_e64 s3, s38, v19
	v_add_co_u32 v34, s4, v34, s34
	v_add_co_ci_u32_e64 v35, null, s35, v35, s4
	s_or_b32 s40, s3, s40
	s_andn2_b32 exec_lo, exec_lo, s40
	s_cbranch_execz .LBB553_26
.LBB553_21:                             ; =>This Inner Loop Header: Depth=1
	s_and_saveexec_b32 s4, vcc_lo
	s_cbranch_execz .LBB553_20
; %bb.22:                               ;   in Loop: Header=BB553_21 Depth=1
	v_add_co_u32 v5, s3, v20, s6
	v_add_co_ci_u32_e64 v6, null, s7, v21, s3
	v_add_co_u32 v7, s3, v32, s6
	v_add_co_ci_u32_e64 v8, null, s7, v33, s3
	;; [unrolled: 2-line block ×4, first 2 shown]
	global_load_ushort v37, v[5:6], off
	global_load_ushort v39, v[7:8], off
	;; [unrolled: 1-line block ×4, first 2 shown]
	v_add_co_u32 v5, s3, v26, v3
	v_add_co_ci_u32_e64 v6, null, v27, v4, s3
	v_add_co_u32 v9, s3, v34, v3
	v_add_co_ci_u32_e64 v10, null, v35, v4, s3
	;; [unrolled: 2-line block ×4, first 2 shown]
	global_load_ushort v42, v[5:6], off
	global_load_ushort v40, v[9:10], off
	;; [unrolled: 1-line block ×4, first 2 shown]
	s_waitcnt vmcnt(7)
	v_lshlrev_b32_e32 v43, 16, v37
	s_waitcnt vmcnt(6)
	v_lshlrev_b32_e32 v39, 16, v39
	;; [unrolled: 2-line block ×4, first 2 shown]
	s_and_saveexec_b32 s3, s0
	s_cbranch_execz .LBB553_19
; %bb.23:                               ;   in Loop: Header=BB553_21 Depth=1
	global_load_ushort v47, v[5:6], off offset:128
	global_load_ushort v46, v[9:10], off offset:128
	global_load_ushort v45, v[7:8], off offset:128
	global_load_ushort v44, v[11:12], off offset:128
	s_and_saveexec_b32 s41, s1
	s_cbranch_execz .LBB553_18
; %bb.24:                               ;   in Loop: Header=BB553_21 Depth=1
	global_load_ushort v51, v[5:6], off offset:256
	global_load_ushort v50, v[9:10], off offset:256
	global_load_ushort v49, v[7:8], off offset:256
	global_load_ushort v48, v[11:12], off offset:256
	;; [unrolled: 7-line block ×3, first 2 shown]
	s_waitcnt vmcnt(3)
	v_lshlrev_b32_e32 v5, 16, v5
	s_waitcnt vmcnt(2)
	v_lshlrev_b32_e32 v6, 16, v6
	v_fmac_f32_e32 v18, v43, v5
	s_waitcnt vmcnt(1)
	v_lshlrev_b32_e32 v5, 16, v7
	v_fmac_f32_e32 v18, v39, v6
	;; [unrolled: 3-line block ×3, first 2 shown]
	v_fmac_f32_e32 v18, v37, v6
	s_branch .LBB553_17
.LBB553_26:
	s_or_b32 exec_lo, exec_lo, s40
.LBB553_27:
	s_or_b32 exec_lo, exec_lo, s39
	s_sub_i32 s0, s29, s38
	s_cmp_lt_i32 s0, 1
	s_cbranch_scc1 .LBB553_45
; %bb.28:
	v_cmp_gt_i32_e32 vcc_lo, s29, v19
	v_mov_b32_e32 v12, 0
	v_or_b32_e32 v4, 1, v19
	v_mov_b32_e32 v11, 0
	v_mov_b32_e32 v21, 0
	;; [unrolled: 1-line block ×3, first 2 shown]
	s_and_saveexec_b32 s1, vcc_lo
	s_cbranch_execz .LBB553_36
; %bb.29:
	v_mad_u64_u32 v[5:6], null, s20, v19, 0
	s_lshl_b64 s[2:3], s[22:23], 1
	v_mov_b32_e32 v20, 0
	s_add_u32 s0, s16, s2
	s_addc_u32 s2, s17, s3
	s_lshl_b64 s[6:7], s[18:19], 1
	v_mov_b32_e32 v11, 0
	v_mov_b32_e32 v3, v6
	s_add_u32 s3, s0, s6
	s_addc_u32 s4, s2, s7
	v_mov_b32_e32 v12, 0
	s_mov_b32 s2, exec_lo
	v_mad_u64_u32 v[6:7], null, s21, v19, v[3:4]
	v_lshlrev_b64 v[5:6], 1, v[5:6]
	v_add_co_u32 v5, s0, s3, v5
	v_add_co_ci_u32_e64 v6, null, s4, v6, s0
	global_load_ushort v3, v[5:6], off
	v_cmpx_gt_i32_e64 s29, v4
	s_cbranch_execz .LBB553_35
; %bb.30:
	v_mad_u64_u32 v[5:6], null, s20, v4, 0
	v_mov_b32_e32 v11, 0
	v_mov_b32_e32 v12, 0
	s_mov_b32 s6, exec_lo
	v_mad_u64_u32 v[6:7], null, s21, v4, v[6:7]
	v_lshlrev_b64 v[5:6], 1, v[5:6]
	v_add_co_u32 v5, s0, s3, v5
	v_add_co_ci_u32_e64 v6, null, s4, v6, s0
	global_load_ushort v5, v[5:6], off
	v_or_b32_e32 v6, 2, v19
	v_cmpx_gt_i32_e64 s29, v6
	s_cbranch_execz .LBB553_34
; %bb.31:
	v_mad_u64_u32 v[7:8], null, s20, v6, 0
	v_mov_b32_e32 v11, 0
	s_mov_b32 s7, exec_lo
	v_mad_u64_u32 v[8:9], null, s21, v6, v[8:9]
	v_lshlrev_b64 v[6:7], 1, v[7:8]
	v_add_co_u32 v6, s0, s3, v6
	v_add_co_ci_u32_e64 v7, null, s4, v7, s0
	global_load_ushort v6, v[6:7], off
	v_or_b32_e32 v7, 3, v19
	v_cmpx_gt_i32_e64 s29, v7
	s_cbranch_execz .LBB553_33
; %bb.32:
	v_mad_u64_u32 v[8:9], null, s20, v7, 0
	v_mad_u64_u32 v[9:10], null, s21, v7, v[9:10]
	v_lshlrev_b64 v[7:8], 1, v[8:9]
	v_add_co_u32 v7, s0, s3, v7
	v_add_co_ci_u32_e64 v8, null, s4, v8, s0
	global_load_ushort v7, v[7:8], off
	s_waitcnt vmcnt(0)
	v_lshlrev_b32_e32 v11, 16, v7
.LBB553_33:
	s_or_b32 exec_lo, exec_lo, s7
	s_waitcnt vmcnt(0)
	v_lshlrev_b32_e32 v12, 16, v6
.LBB553_34:
	s_or_b32 exec_lo, exec_lo, s6
	s_waitcnt vmcnt(0)
	v_lshlrev_b32_e32 v20, 16, v5
.LBB553_35:
	s_or_b32 exec_lo, exec_lo, s2
	s_waitcnt vmcnt(0)
	v_lshlrev_b32_e32 v21, 16, v3
.LBB553_36:
	s_or_b32 exec_lo, exec_lo, s1
	s_mov_b32 s1, exec_lo
	v_cmpx_gt_i32_e64 s28, v2
	s_cbranch_execz .LBB553_44
; %bb.37:
	v_mad_u64_u32 v[5:6], null, s12, v19, 0
	v_mad_u64_u32 v[7:8], null, s12, v4, 0
	v_ashrrev_i32_e32 v3, 31, v2
	v_or_b32_e32 v29, 2, v19
	s_lshl_b64 s[2:3], s[14:15], 1
	s_add_u32 s0, s8, s2
	v_cndmask_b32_e32 v5, 0, v5, vcc_lo
	v_mad_u64_u32 v[9:10], null, s13, v19, v[6:7]
	v_or_b32_e32 v19, 3, v19
	v_lshlrev_b64 v[22:23], 1, v[2:3]
	v_mad_u64_u32 v[24:25], null, s12, v29, 0
	v_mov_b32_e32 v3, v8
	s_addc_u32 s4, s9, s3
	v_cndmask_b32_e32 v6, 0, v9, vcc_lo
	v_cmp_gt_i32_e32 vcc_lo, s29, v4
	s_lshl_b64 s[2:3], s[10:11], 1
	v_mad_u64_u32 v[8:9], null, s12, v19, 0
	v_lshlrev_b64 v[5:6], 1, v[5:6]
	v_mad_u64_u32 v[26:27], null, s13, v4, v[3:4]
	s_add_u32 s2, s0, s2
	v_cndmask_b32_e32 v27, 0, v7, vcc_lo
	v_mov_b32_e32 v7, v25
	s_addc_u32 s3, s4, s3
	v_add_co_u32 v3, s0, s2, v5
	v_add_co_ci_u32_e64 v4, null, s3, v6, s0
	v_cndmask_b32_e32 v28, 0, v26, vcc_lo
	v_mad_u64_u32 v[25:26], null, s13, v29, v[7:8]
	v_mov_b32_e32 v7, v9
	v_add_co_u32 v3, vcc_lo, v3, v22
	v_add_co_ci_u32_e64 v4, null, v4, v23, vcc_lo
	v_cmp_gt_i32_e32 vcc_lo, s29, v29
	v_lshlrev_b64 v[5:6], 1, v[27:28]
	v_mad_u64_u32 v[26:27], null, s13, v19, v[7:8]
	v_cndmask_b32_e32 v9, 0, v24, vcc_lo
	v_cndmask_b32_e32 v10, 0, v25, vcc_lo
	v_cmp_gt_i32_e32 vcc_lo, s29, v19
	v_add_co_u32 v5, s0, s2, v5
	v_add_co_ci_u32_e64 v6, null, s3, v6, s0
	v_cndmask_b32_e32 v7, 0, v8, vcc_lo
	v_cndmask_b32_e32 v8, 0, v26, vcc_lo
	v_lshlrev_b64 v[9:10], 1, v[9:10]
	v_add_co_u32 v5, s0, v5, v22
	v_add_co_ci_u32_e64 v6, null, v6, v23, s0
	v_lshlrev_b64 v[7:8], 1, v[7:8]
	v_add_co_u32 v9, vcc_lo, s2, v9
	v_add_co_ci_u32_e64 v10, null, s3, v10, vcc_lo
	s_clause 0x1
	global_load_ushort v19, v[3:4], off
	global_load_ushort v24, v[5:6], off
	v_add_co_u32 v25, vcc_lo, s2, v7
	v_add_co_ci_u32_e64 v26, null, s3, v8, vcc_lo
	v_add_co_u32 v7, vcc_lo, v9, v22
	v_add_co_ci_u32_e64 v8, null, v10, v23, vcc_lo
	;; [unrolled: 2-line block ×3, first 2 shown]
	s_clause 0x1
	global_load_ushort v22, v[7:8], off
	global_load_ushort v23, v[9:10], off
	s_mov_b32 s0, exec_lo
	s_waitcnt vmcnt(3)
	v_lshlrev_b32_e32 v19, 16, v19
	s_waitcnt vmcnt(2)
	v_lshlrev_b32_e32 v24, 16, v24
	v_fmac_f32_e32 v15, v21, v19
	v_fmac_f32_e32 v15, v20, v24
	v_add_nc_u32_e32 v24, 64, v2
	s_waitcnt vmcnt(1)
	v_lshlrev_b32_e32 v22, 16, v22
	s_waitcnt vmcnt(0)
	v_lshlrev_b32_e32 v19, 16, v23
	v_fmac_f32_e32 v15, v12, v22
	v_cmpx_gt_i32_e64 s28, v24
	s_cbranch_execz .LBB553_43
; %bb.38:
	s_clause 0x3
	global_load_ushort v22, v[3:4], off offset:128
	global_load_ushort v23, v[5:6], off offset:128
	;; [unrolled: 1-line block ×4, first 2 shown]
	s_mov_b32 s2, exec_lo
	s_waitcnt vmcnt(3)
	v_lshlrev_b32_e32 v22, 16, v22
	s_waitcnt vmcnt(2)
	v_lshlrev_b32_e32 v23, 16, v23
	;; [unrolled: 2-line block ×3, first 2 shown]
	v_fmac_f32_e32 v16, v21, v22
	s_waitcnt vmcnt(0)
	v_lshlrev_b32_e32 v22, 16, v25
	v_fmac_f32_e32 v16, v20, v23
	v_add_nc_u32_e32 v23, 0x80, v2
	v_fmac_f32_e32 v16, v12, v24
	v_cmpx_gt_i32_e64 s28, v23
	s_cbranch_execz .LBB553_42
; %bb.39:
	s_clause 0x3
	global_load_ushort v23, v[3:4], off offset:256
	global_load_ushort v24, v[5:6], off offset:256
	;; [unrolled: 1-line block ×4, first 2 shown]
	s_mov_b32 s3, exec_lo
	s_waitcnt vmcnt(3)
	v_lshlrev_b32_e32 v23, 16, v23
	s_waitcnt vmcnt(2)
	v_lshlrev_b32_e32 v24, 16, v24
	v_fmac_f32_e32 v17, v21, v23
	s_waitcnt vmcnt(1)
	v_lshlrev_b32_e32 v23, 16, v25
	v_fmac_f32_e32 v17, v20, v24
	v_add_nc_u32_e32 v24, 0xc0, v2
	s_waitcnt vmcnt(0)
	v_lshlrev_b32_e32 v2, 16, v26
	v_fmac_f32_e32 v17, v12, v23
	v_cmpx_gt_i32_e64 s28, v24
	s_cbranch_execz .LBB553_41
; %bb.40:
	s_clause 0x3
	global_load_ushort v3, v[3:4], off offset:384
	global_load_ushort v4, v[5:6], off offset:384
	;; [unrolled: 1-line block ×4, first 2 shown]
	s_waitcnt vmcnt(3)
	v_lshlrev_b32_e32 v3, 16, v3
	s_waitcnt vmcnt(2)
	v_lshlrev_b32_e32 v4, 16, v4
	v_fmac_f32_e32 v18, v21, v3
	s_waitcnt vmcnt(1)
	v_lshlrev_b32_e32 v3, 16, v5
	v_fmac_f32_e32 v18, v20, v4
	s_waitcnt vmcnt(0)
	v_lshlrev_b32_e32 v4, 16, v6
	v_fmac_f32_e32 v18, v12, v3
	v_fmac_f32_e32 v18, v11, v4
.LBB553_41:
	s_or_b32 exec_lo, exec_lo, s3
	v_fmac_f32_e32 v17, v11, v2
.LBB553_42:
	s_or_b32 exec_lo, exec_lo, s2
	v_fmac_f32_e32 v16, v11, v22
.LBB553_43:
	s_or_b32 exec_lo, exec_lo, s0
	v_fmac_f32_e32 v15, v11, v19
.LBB553_44:
	s_or_b32 exec_lo, exec_lo, s1
.LBB553_45:
	v_lshlrev_b32_e32 v0, 2, v0
	s_mov_b32 s0, exec_lo
                                        ; implicit-def: $vgpr5
                                        ; implicit-def: $vgpr2_vgpr3
	v_lshl_add_u32 v1, v1, 10, v0
	ds_write2st64_b32 v1, v15, v16 offset1:1
	ds_write2st64_b32 v1, v17, v18 offset0:2 offset1:3
	s_waitcnt lgkmcnt(0)
	s_barrier
	buffer_gl0_inv
	v_cmpx_gt_u32_e32 0x100, v13
	s_cbranch_execz .LBB553_66
; %bb.46:
	v_lshl_add_u32 v6, v14, 2, v0
	s_mov_b32 s2, s36
	s_mov_b32 s1, exec_lo
	ds_read2st64_b32 v[0:1], v6 offset1:4
	ds_read2st64_b32 v[2:3], v6 offset0:8 offset1:12
	ds_read2st64_b32 v[4:5], v6 offset0:16 offset1:20
	s_waitcnt lgkmcnt(2)
	v_add_f32_e32 v7, v0, v1
	ds_read2st64_b32 v[0:1], v6 offset0:24 offset1:28
	s_waitcnt lgkmcnt(2)
	v_add_f32_e32 v2, v2, v7
	v_add_f32_e32 v7, v3, v2
	ds_read2st64_b32 v[2:3], v6 offset0:32 offset1:36
	s_waitcnt lgkmcnt(2)
	v_add_f32_e32 v4, v4, v7
	;; [unrolled: 4-line block ×3, first 2 shown]
	v_add_f32_e32 v0, v1, v0
	s_waitcnt lgkmcnt(1)
	v_add_f32_e32 v2, v2, v0
	ds_read2st64_b32 v[0:1], v6 offset0:48 offset1:52
	v_add_f32_e32 v2, v3, v2
	s_waitcnt lgkmcnt(1)
	v_add_f32_e32 v4, v4, v2
	ds_read2st64_b32 v[2:3], v6 offset0:56 offset1:60
	v_add_f32_e32 v4, v5, v4
                                        ; implicit-def: $vgpr5
	s_waitcnt lgkmcnt(1)
	v_add_f32_e32 v0, v0, v4
	v_add_f32_e32 v0, v1, v0
	s_waitcnt lgkmcnt(0)
	v_add_f32_e32 v1, v2, v0
	v_or_b32_e32 v0, s5, v13
	v_add_f32_e32 v1, v3, v1
                                        ; implicit-def: $vgpr2_vgpr3
	ds_write_b32 v6, v1
	v_cmpx_gt_i32_e64 s28, v0
	s_cbranch_execz .LBB553_65
; %bb.47:
	v_cmp_eq_f32_e64 s2, s37, 0
	v_mul_f32_e32 v1, s30, v1
	s_and_b32 vcc_lo, exec_lo, s2
	s_cbranch_vccz .LBB553_53
; %bb.48:
	v_and_b32_e32 v2, 0x7f800000, v1
	s_mov_b32 s2, exec_lo
                                        ; implicit-def: $vgpr5
	v_cmpx_ne_u32_e32 0x7f800000, v2
	s_xor_b32 s2, exec_lo, s2
; %bb.49:
	v_bfe_u32 v2, v1, 16, 1
	v_add3_u32 v5, v1, v2, 0x7fff
; %bb.50:
	s_andn2_saveexec_b32 s2, s2
; %bb.51:
	v_mov_b32_e32 v2, 0
	v_or_b32_e32 v3, 0x10000, v1
	v_cmp_eq_u32_sdwa vcc_lo, v1, v2 src0_sel:WORD_0 src1_sel:DWORD
	v_cndmask_b32_e32 v5, v3, v1, vcc_lo
; %bb.52:
	s_or_b32 exec_lo, exec_lo, s2
	s_mov_b32 s2, 0
	s_branch .LBB553_54
.LBB553_53:
	s_mov_b32 s2, -1
                                        ; implicit-def: $vgpr5
.LBB553_54:
	v_ashrrev_i32_e32 v2, 31, v0
	v_mul_lo_u32 v4, s25, v0
	s_andn2_b32 vcc_lo, exec_lo, s2
	v_mul_lo_u32 v6, s24, v2
	s_cbranch_vccnz .LBB553_64
; %bb.55:
	v_mad_u64_u32 v[2:3], null, s24, v0, 0
	v_add3_u32 v3, v3, v6, v4
	v_lshlrev_b64 v[2:3], 1, v[2:3]
	v_add_co_u32 v2, vcc_lo, s31, v2
	v_add_co_ci_u32_e64 v3, null, s33, v3, vcc_lo
	global_load_ushort v2, v[2:3], off
	s_waitcnt vmcnt(0)
	v_lshlrev_b32_e32 v2, 16, v2
	v_mul_f32_e32 v2, s37, v2
	v_and_b32_e32 v3, 0x7f800000, v2
	v_cmp_ne_u32_e32 vcc_lo, 0x7f800000, v3
                                        ; implicit-def: $vgpr3
	s_and_saveexec_b32 s2, vcc_lo
	s_xor_b32 s2, exec_lo, s2
; %bb.56:
	v_bfe_u32 v3, v2, 16, 1
	v_add3_u32 v3, v2, v3, 0x7fff
                                        ; implicit-def: $vgpr2
; %bb.57:
	s_andn2_saveexec_b32 s2, s2
; %bb.58:
	v_mov_b32_e32 v3, 0
	v_or_b32_e32 v5, 0x10000, v2
	v_cmp_eq_u32_sdwa vcc_lo, v2, v3 src0_sel:WORD_0 src1_sel:DWORD
	v_cndmask_b32_e32 v3, v5, v2, vcc_lo
; %bb.59:
	s_or_b32 exec_lo, exec_lo, s2
	v_and_b32_e32 v2, 0xffff0000, v3
	s_mov_b32 s2, exec_lo
                                        ; implicit-def: $vgpr5
	v_add_f32_e32 v1, v1, v2
	v_and_b32_e32 v2, 0x7f800000, v1
	v_cmpx_ne_u32_e32 0x7f800000, v2
	s_xor_b32 s2, exec_lo, s2
; %bb.60:
	v_bfe_u32 v2, v1, 16, 1
	v_add3_u32 v5, v1, v2, 0x7fff
                                        ; implicit-def: $vgpr1
; %bb.61:
	s_andn2_saveexec_b32 s2, s2
; %bb.62:
	v_mov_b32_e32 v2, 0
	v_or_b32_e32 v3, 0x10000, v1
	v_cmp_eq_u32_sdwa vcc_lo, v1, v2 src0_sel:WORD_0 src1_sel:DWORD
	v_cndmask_b32_e32 v5, v3, v1, vcc_lo
; %bb.63:
	s_or_b32 exec_lo, exec_lo, s2
.LBB553_64:
	v_mad_u64_u32 v[2:3], null, s24, v0, 0
	v_lshrrev_b32_e32 v5, 16, v5
	s_or_b32 s2, s36, exec_lo
	v_add3_u32 v3, v3, v6, v4
.LBB553_65:
	s_or_b32 exec_lo, exec_lo, s1
	s_andn2_b32 s1, s36, exec_lo
	s_and_b32 s2, s2, exec_lo
	s_or_b32 s36, s1, s2
.LBB553_66:
	s_or_b32 exec_lo, exec_lo, s0
.LBB553_67:
	s_and_saveexec_b32 s0, s36
	s_cbranch_execz .LBB553_69
; %bb.68:
	v_lshlrev_b64 v[0:1], 1, v[2:3]
	v_add_co_u32 v0, vcc_lo, s31, v0
	v_add_co_ci_u32_e64 v1, null, s33, v1, vcc_lo
	global_store_short v[0:1], v5, off
.LBB553_69:
	s_endpgm
	.section	.rodata,"a",@progbits
	.p2align	6, 0x0
	.amdhsa_kernel _ZL20rocblas_gemvn_kernelILi64ELi16El16rocblas_bfloat16fS0_EviiT3_lPKT2_lT1_lS4_lS5_lS1_lPT4_lS5_li
		.amdhsa_group_segment_fixed_size 16384
		.amdhsa_private_segment_fixed_size 0
		.amdhsa_kernarg_size 400
		.amdhsa_user_sgpr_count 6
		.amdhsa_user_sgpr_private_segment_buffer 1
		.amdhsa_user_sgpr_dispatch_ptr 0
		.amdhsa_user_sgpr_queue_ptr 0
		.amdhsa_user_sgpr_kernarg_segment_ptr 1
		.amdhsa_user_sgpr_dispatch_id 0
		.amdhsa_user_sgpr_flat_scratch_init 0
		.amdhsa_user_sgpr_private_segment_size 0
		.amdhsa_wavefront_size32 1
		.amdhsa_uses_dynamic_stack 0
		.amdhsa_system_sgpr_private_segment_wavefront_offset 0
		.amdhsa_system_sgpr_workgroup_id_x 1
		.amdhsa_system_sgpr_workgroup_id_y 0
		.amdhsa_system_sgpr_workgroup_id_z 1
		.amdhsa_system_sgpr_workgroup_info 0
		.amdhsa_system_vgpr_workitem_id 1
		.amdhsa_next_free_vgpr 52
		.amdhsa_next_free_sgpr 43
		.amdhsa_reserve_vcc 1
		.amdhsa_reserve_flat_scratch 0
		.amdhsa_float_round_mode_32 0
		.amdhsa_float_round_mode_16_64 0
		.amdhsa_float_denorm_mode_32 3
		.amdhsa_float_denorm_mode_16_64 3
		.amdhsa_dx10_clamp 1
		.amdhsa_ieee_mode 1
		.amdhsa_fp16_overflow 0
		.amdhsa_workgroup_processor_mode 1
		.amdhsa_memory_ordered 1
		.amdhsa_forward_progress 1
		.amdhsa_shared_vgpr_count 0
		.amdhsa_exception_fp_ieee_invalid_op 0
		.amdhsa_exception_fp_denorm_src 0
		.amdhsa_exception_fp_ieee_div_zero 0
		.amdhsa_exception_fp_ieee_overflow 0
		.amdhsa_exception_fp_ieee_underflow 0
		.amdhsa_exception_fp_ieee_inexact 0
		.amdhsa_exception_int_div_zero 0
	.end_amdhsa_kernel
	.section	.text._ZL20rocblas_gemvn_kernelILi64ELi16El16rocblas_bfloat16fS0_EviiT3_lPKT2_lT1_lS4_lS5_lS1_lPT4_lS5_li,"axG",@progbits,_ZL20rocblas_gemvn_kernelILi64ELi16El16rocblas_bfloat16fS0_EviiT3_lPKT2_lT1_lS4_lS5_lS1_lPT4_lS5_li,comdat
.Lfunc_end553:
	.size	_ZL20rocblas_gemvn_kernelILi64ELi16El16rocblas_bfloat16fS0_EviiT3_lPKT2_lT1_lS4_lS5_lS1_lPT4_lS5_li, .Lfunc_end553-_ZL20rocblas_gemvn_kernelILi64ELi16El16rocblas_bfloat16fS0_EviiT3_lPKT2_lT1_lS4_lS5_lS1_lPT4_lS5_li
                                        ; -- End function
	.set _ZL20rocblas_gemvn_kernelILi64ELi16El16rocblas_bfloat16fS0_EviiT3_lPKT2_lT1_lS4_lS5_lS1_lPT4_lS5_li.num_vgpr, 52
	.set _ZL20rocblas_gemvn_kernelILi64ELi16El16rocblas_bfloat16fS0_EviiT3_lPKT2_lT1_lS4_lS5_lS1_lPT4_lS5_li.num_agpr, 0
	.set _ZL20rocblas_gemvn_kernelILi64ELi16El16rocblas_bfloat16fS0_EviiT3_lPKT2_lT1_lS4_lS5_lS1_lPT4_lS5_li.numbered_sgpr, 43
	.set _ZL20rocblas_gemvn_kernelILi64ELi16El16rocblas_bfloat16fS0_EviiT3_lPKT2_lT1_lS4_lS5_lS1_lPT4_lS5_li.num_named_barrier, 0
	.set _ZL20rocblas_gemvn_kernelILi64ELi16El16rocblas_bfloat16fS0_EviiT3_lPKT2_lT1_lS4_lS5_lS1_lPT4_lS5_li.private_seg_size, 0
	.set _ZL20rocblas_gemvn_kernelILi64ELi16El16rocblas_bfloat16fS0_EviiT3_lPKT2_lT1_lS4_lS5_lS1_lPT4_lS5_li.uses_vcc, 1
	.set _ZL20rocblas_gemvn_kernelILi64ELi16El16rocblas_bfloat16fS0_EviiT3_lPKT2_lT1_lS4_lS5_lS1_lPT4_lS5_li.uses_flat_scratch, 0
	.set _ZL20rocblas_gemvn_kernelILi64ELi16El16rocblas_bfloat16fS0_EviiT3_lPKT2_lT1_lS4_lS5_lS1_lPT4_lS5_li.has_dyn_sized_stack, 0
	.set _ZL20rocblas_gemvn_kernelILi64ELi16El16rocblas_bfloat16fS0_EviiT3_lPKT2_lT1_lS4_lS5_lS1_lPT4_lS5_li.has_recursion, 0
	.set _ZL20rocblas_gemvn_kernelILi64ELi16El16rocblas_bfloat16fS0_EviiT3_lPKT2_lT1_lS4_lS5_lS1_lPT4_lS5_li.has_indirect_call, 0
	.section	.AMDGPU.csdata,"",@progbits
; Kernel info:
; codeLenInByte = 3652
; TotalNumSgprs: 45
; NumVgprs: 52
; ScratchSize: 0
; MemoryBound: 0
; FloatMode: 240
; IeeeMode: 1
; LDSByteSize: 16384 bytes/workgroup (compile time only)
; SGPRBlocks: 0
; VGPRBlocks: 6
; NumSGPRsForWavesPerEU: 45
; NumVGPRsForWavesPerEU: 52
; Occupancy: 16
; WaveLimiterHint : 1
; COMPUTE_PGM_RSRC2:SCRATCH_EN: 0
; COMPUTE_PGM_RSRC2:USER_SGPR: 6
; COMPUTE_PGM_RSRC2:TRAP_HANDLER: 0
; COMPUTE_PGM_RSRC2:TGID_X_EN: 1
; COMPUTE_PGM_RSRC2:TGID_Y_EN: 0
; COMPUTE_PGM_RSRC2:TGID_Z_EN: 1
; COMPUTE_PGM_RSRC2:TIDIG_COMP_CNT: 1
	.section	.text._ZL22rocblas_gemvtsm_kernelILb0ELi256E16rocblas_bfloat16PKfS0_EviiT2_lPKT1_lilS6_lilS3_lPT3_lil,"axG",@progbits,_ZL22rocblas_gemvtsm_kernelILb0ELi256E16rocblas_bfloat16PKfS0_EviiT2_lPKT1_lilS6_lilS3_lPT3_lil,comdat
	.globl	_ZL22rocblas_gemvtsm_kernelILb0ELi256E16rocblas_bfloat16PKfS0_EviiT2_lPKT1_lilS6_lilS3_lPT3_lil ; -- Begin function _ZL22rocblas_gemvtsm_kernelILb0ELi256E16rocblas_bfloat16PKfS0_EviiT2_lPKT1_lilS6_lilS3_lPT3_lil
	.p2align	8
	.type	_ZL22rocblas_gemvtsm_kernelILb0ELi256E16rocblas_bfloat16PKfS0_EviiT2_lPKT1_lilS6_lilS3_lPT3_lil,@function
_ZL22rocblas_gemvtsm_kernelILb0ELi256E16rocblas_bfloat16PKfS0_EviiT2_lPKT1_lilS6_lilS3_lPT3_lil: ; @_ZL22rocblas_gemvtsm_kernelILb0ELi256E16rocblas_bfloat16PKfS0_EviiT2_lPKT1_lilS6_lilS3_lPT3_lil
; %bb.0:
	s_clause 0x1
	s_load_dwordx8 s[8:15], s[4:5], 0x8
	s_load_dwordx8 s[16:23], s[4:5], 0x50
	s_waitcnt lgkmcnt(0)
	s_mul_i32 s1, s11, s6
	s_mul_hi_u32 s2, s10, s6
	s_mul_i32 s0, s10, s6
	s_add_i32 s1, s2, s1
	s_mul_i32 s2, s21, s6
	s_lshl_b64 s[0:1], s[0:1], 2
	s_mul_hi_u32 s3, s20, s6
	s_add_u32 s0, s8, s0
	s_addc_u32 s1, s9, s1
	s_add_i32 s3, s3, s2
	s_mul_i32 s2, s20, s6
	s_lshl_b64 s[2:3], s[2:3], 2
	s_add_u32 s2, s18, s2
	s_addc_u32 s3, s19, s3
	s_load_dword s26, s[0:1], 0x0
	s_load_dword s7, s[2:3], 0x0
	s_waitcnt lgkmcnt(0)
	v_cmp_eq_f32_e64 s0, s26, 0
	v_cmp_eq_f32_e64 s1, s7, 1.0
	s_and_b32 s0, s0, s1
	s_and_b32 vcc_lo, exec_lo, s0
	s_cbranch_vccnz .LBB554_70
; %bb.1:
	s_clause 0x3
	s_load_dwordx2 s[0:1], s[4:5], 0x80
	s_load_dwordx2 s[18:19], s[4:5], 0x70
	s_load_dword s8, s[4:5], 0x78
	s_load_dwordx2 s[10:11], s[4:5], 0x0
	v_cmp_neq_f32_e64 s2, s26, 0
	s_and_b32 vcc_lo, exec_lo, s2
	s_waitcnt lgkmcnt(0)
	s_mul_i32 s1, s1, s6
	s_mul_hi_u32 s2, s0, s6
	s_mul_i32 s20, s0, s6
	s_add_i32 s21, s2, s1
	s_cbranch_vccnz .LBB554_9
; %bb.2:
	s_cmp_gt_i32 s11, 0
	v_cmp_neq_f32_e64 s0, s7, 0
	s_cselect_b32 s2, -1, 0
	v_cndmask_b32_e64 v1, 0, 1, s2
	s_and_b32 vcc_lo, exec_lo, s0
	v_cmp_ne_u32_e64 s0, 1, v1
	s_cbranch_vccnz .LBB554_10
; %bb.3:
	s_and_b32 vcc_lo, exec_lo, s0
	s_cbranch_vccnz .LBB554_8
; %bb.4:
	v_mad_i64_i32 v[1:2], null, s8, v0, 0
	s_lshl_b64 s[24:25], s[18:19], 1
	s_ashr_i32 s9, s8, 31
	s_lshl_b64 s[0:1], s[20:21], 1
	s_add_u32 s3, s22, s24
	s_addc_u32 s24, s23, s25
	s_add_u32 s0, s3, s0
	v_lshlrev_b64 v[1:2], 1, v[1:2]
	s_addc_u32 s1, s24, s1
	v_mov_b32_e32 v3, 0
	s_mov_b32 s3, 0
	v_add_co_u32 v1, vcc_lo, s0, v1
	v_add_co_ci_u32_e64 v2, null, s1, v2, vcc_lo
	s_lshl_b64 s[0:1], s[8:9], 9
	s_branch .LBB554_6
.LBB554_5:                              ;   in Loop: Header=BB554_6 Depth=1
	s_or_b32 exec_lo, exec_lo, s9
	v_add_co_u32 v1, vcc_lo, v1, s0
	v_add_co_ci_u32_e64 v2, null, s1, v2, vcc_lo
	s_addk_i32 s3, 0x100
	s_cmp_ge_i32 s3, s11
	s_cbranch_scc1 .LBB554_8
.LBB554_6:                              ; =>This Inner Loop Header: Depth=1
	v_add_nc_u32_e32 v4, s3, v0
	s_mov_b32 s9, exec_lo
	v_cmpx_gt_i32_e64 s11, v4
	s_cbranch_execz .LBB554_5
; %bb.7:                                ;   in Loop: Header=BB554_6 Depth=1
	global_store_short v[1:2], v3, off
	s_branch .LBB554_5
.LBB554_8:
	s_cbranch_execz .LBB554_11
	s_branch .LBB554_20
.LBB554_9:
	s_branch .LBB554_21
.LBB554_10:
.LBB554_11:
	s_andn2_b32 vcc_lo, exec_lo, s2
	s_cbranch_vccnz .LBB554_20
; %bb.12:
	v_mad_i64_i32 v[1:2], null, s8, v0, 0
	s_lshl_b64 s[2:3], s[18:19], 1
	s_ashr_i32 s9, s8, 31
	s_lshl_b64 s[0:1], s[20:21], 1
	s_add_u32 s2, s22, s2
	s_addc_u32 s3, s23, s3
	s_add_u32 s0, s2, s0
	v_lshlrev_b64 v[1:2], 1, v[1:2]
	s_addc_u32 s1, s3, s1
	v_mov_b32_e32 v3, 0
	s_mov_b32 s2, 0
	v_add_co_u32 v1, vcc_lo, s0, v1
	v_add_co_ci_u32_e64 v2, null, s1, v2, vcc_lo
	s_lshl_b64 s[0:1], s[8:9], 9
	s_inst_prefetch 0x1
	s_branch .LBB554_15
	.p2align	6
.LBB554_13:                             ;   in Loop: Header=BB554_15 Depth=1
	s_or_b32 exec_lo, exec_lo, s9
	global_store_short_d16_hi v[1:2], v5, off
.LBB554_14:                             ;   in Loop: Header=BB554_15 Depth=1
	s_or_b32 exec_lo, exec_lo, s3
	v_add_co_u32 v1, vcc_lo, v1, s0
	v_add_co_ci_u32_e64 v2, null, s1, v2, vcc_lo
	s_addk_i32 s2, 0x100
	s_cmp_ge_i32 s2, s11
	s_cbranch_scc1 .LBB554_20
.LBB554_15:                             ; =>This Inner Loop Header: Depth=1
	v_add_nc_u32_e32 v4, s2, v0
	s_mov_b32 s3, exec_lo
	v_cmpx_gt_i32_e64 s11, v4
	s_cbranch_execz .LBB554_14
; %bb.16:                               ;   in Loop: Header=BB554_15 Depth=1
	global_load_ushort v4, v[1:2], off
	s_waitcnt vmcnt(0)
	v_lshlrev_b32_e32 v4, 16, v4
	v_mul_f32_e32 v4, s7, v4
	v_and_b32_e32 v5, 0x7f800000, v4
	v_cmp_ne_u32_e32 vcc_lo, 0x7f800000, v5
                                        ; implicit-def: $vgpr5
	s_and_saveexec_b32 s9, vcc_lo
	s_xor_b32 s9, exec_lo, s9
; %bb.17:                               ;   in Loop: Header=BB554_15 Depth=1
	v_bfe_u32 v5, v4, 16, 1
	v_add3_u32 v5, v4, v5, 0x7fff
                                        ; implicit-def: $vgpr4
; %bb.18:                               ;   in Loop: Header=BB554_15 Depth=1
	s_andn2_saveexec_b32 s9, s9
	s_cbranch_execz .LBB554_13
; %bb.19:                               ;   in Loop: Header=BB554_15 Depth=1
	v_or_b32_e32 v5, 0x10000, v4
	v_cmp_eq_u32_sdwa vcc_lo, v4, v3 src0_sel:WORD_0 src1_sel:DWORD
	v_cndmask_b32_e32 v5, v5, v4, vcc_lo
	s_branch .LBB554_13
.LBB554_20:
	s_inst_prefetch 0x2
	s_cbranch_execnz .LBB554_70
.LBB554_21:
	s_clause 0x1
	s_load_dwordx4 s[0:3], s[4:5], 0x30
	s_load_dwordx2 s[24:25], s[4:5], 0x40
	s_mov_b32 s9, exec_lo
	v_cmpx_gt_i32_e64 s10, v0
	s_cbranch_execz .LBB554_27
; %bb.22:
	s_load_dword s27, s[4:5], 0x48
	s_mul_i32 s17, s17, s6
	s_mul_hi_u32 s28, s16, s6
	s_mul_i32 s16, s16, s6
	s_add_i32 s17, s28, s17
	s_lshl_b64 s[16:17], s[16:17], 1
	s_waitcnt lgkmcnt(0)
	s_add_u32 s16, s2, s16
	s_addc_u32 s17, s3, s17
	s_lshl_b64 s[2:3], s[24:25], 1
	s_add_u32 s2, s16, s2
	s_addc_u32 s3, s17, s3
	v_mad_i64_i32 v[1:2], null, s27, v0, 0
	v_lshlrev_b64 v[1:2], 1, v[1:2]
	v_add_co_u32 v1, vcc_lo, s2, v1
	v_add_co_ci_u32_e64 v2, null, s3, v2, vcc_lo
	global_load_ushort v1, v[1:2], off
	s_waitcnt vmcnt(0)
	v_lshlrev_b32_e32 v1, 16, v1
	v_mul_f32_e32 v1, s26, v1
	v_and_b32_e32 v2, 0x7f800000, v1
	v_cmp_ne_u32_e32 vcc_lo, 0x7f800000, v2
                                        ; implicit-def: $vgpr2
	s_and_saveexec_b32 s2, vcc_lo
	s_xor_b32 s2, exec_lo, s2
; %bb.23:
	v_bfe_u32 v2, v1, 16, 1
	v_add3_u32 v2, v1, v2, 0x7fff
                                        ; implicit-def: $vgpr1
; %bb.24:
	s_andn2_saveexec_b32 s2, s2
; %bb.25:
	v_mov_b32_e32 v2, 0
	v_or_b32_e32 v3, 0x10000, v1
	v_cmp_eq_u32_sdwa vcc_lo, v1, v2 src0_sel:WORD_0 src1_sel:DWORD
	v_cndmask_b32_e32 v2, v3, v1, vcc_lo
; %bb.26:
	s_or_b32 exec_lo, exec_lo, s2
	v_and_b32_e32 v1, 0xffff0000, v2
	v_lshlrev_b32_e32 v2, 2, v0
	ds_write_b32 v2, v1
.LBB554_27:
	s_or_b32 exec_lo, exec_lo, s9
	s_cmp_lt_i32 s11, 1
	s_waitcnt lgkmcnt(0)
	s_waitcnt_vscnt null, 0x0
	s_barrier
	buffer_gl0_inv
	s_cbranch_scc1 .LBB554_70
; %bb.28:
	s_load_dword s24, s[4:5], 0x28
	s_lshl_b64 s[2:3], s[20:21], 1
	s_mul_i32 s1, s1, s6
	s_mul_hi_u32 s20, s0, s6
	s_mul_i32 s0, s0, s6
	s_add_u32 s6, s22, s2
	s_addc_u32 s9, s23, s3
	s_lshl_b64 s[4:5], s[18:19], 1
	v_cmp_neq_f32_e64 s2, s7, 0
	s_add_u32 s3, s6, s4
	s_addc_u32 s4, s9, s5
	s_ashr_i32 s5, s8, 31
	v_mov_b32_e32 v9, 0
	s_waitcnt lgkmcnt(0)
	s_ashr_i32 s25, s24, 31
	s_cmp_gt_i32 s10, 0
	v_mad_i64_i32 v[1:2], null, s24, v0, 0
	s_cselect_b32 s6, -1, 0
	s_and_b32 s9, s10, 3
	s_cmp_gt_u32 s10, 3
	s_cselect_b32 s16, -1, 0
	s_and_b32 s10, s10, 0x7ffffffc
	s_cmp_lg_u32 s9, 0
	v_lshlrev_b64 v[1:2], 1, v[1:2]
	s_cselect_b32 s17, -1, 0
	s_add_i32 s1, s20, s1
	s_lshl_b64 s[14:15], s[14:15], 1
	s_lshl_b64 s[0:1], s[0:1], 1
	s_add_u32 s12, s12, s14
	s_addc_u32 s13, s13, s15
	s_add_u32 s0, s12, s0
	s_addc_u32 s1, s13, s1
	v_add_co_u32 v7, vcc_lo, s0, v1
	v_add_co_ci_u32_e64 v8, null, s1, v2, vcc_lo
	s_mov_b32 s12, 0
	v_add_co_u32 v1, vcc_lo, v7, 4
	v_add_co_ci_u32_e64 v2, null, 0, v8, vcc_lo
	s_lshl_b64 s[0:1], s[24:25], 9
	s_branch .LBB554_31
.LBB554_29:                             ;   in Loop: Header=BB554_31 Depth=1
	s_or_b32 exec_lo, exec_lo, s14
	v_add_co_u32 v3, vcc_lo, s3, v3
	v_add_co_ci_u32_e64 v4, null, s4, v4, vcc_lo
	global_store_short_d16_hi v[3:4], v5, off
.LBB554_30:                             ;   in Loop: Header=BB554_31 Depth=1
	s_or_b32 exec_lo, exec_lo, s13
	v_add_co_u32 v1, vcc_lo, v1, s0
	v_add_co_ci_u32_e64 v2, null, s1, v2, vcc_lo
	v_add_co_u32 v7, vcc_lo, v7, s0
	v_add_co_ci_u32_e64 v8, null, s1, v8, vcc_lo
	s_addk_i32 s12, 0x100
	s_cmp_ge_i32 s12, s11
	s_cbranch_scc1 .LBB554_70
.LBB554_31:                             ; =>This Loop Header: Depth=1
                                        ;     Child Loop BB554_42 Depth 2
                                        ;     Child Loop BB554_62 Depth 2
	v_add_nc_u32_e32 v3, s12, v0
	s_mov_b32 s13, exec_lo
	v_cmpx_gt_i32_e64 s11, v3
	s_cbranch_execz .LBB554_30
; %bb.32:                               ;   in Loop: Header=BB554_31 Depth=1
	v_mad_u64_u32 v[4:5], null, v3, s8, 0
	s_andn2_b32 vcc_lo, exec_lo, s2
	v_mad_u64_u32 v[5:6], null, v3, s5, v[5:6]
	v_lshlrev_b64 v[3:4], 1, v[4:5]
	s_cbranch_vccnz .LBB554_38
; %bb.33:                               ;   in Loop: Header=BB554_31 Depth=1
	v_add_co_u32 v5, vcc_lo, s3, v3
	v_add_co_ci_u32_e64 v6, null, s4, v4, vcc_lo
	global_load_ushort v5, v[5:6], off
	s_waitcnt vmcnt(0)
	v_lshlrev_b32_e32 v5, 16, v5
	v_mul_f32_e32 v5, s7, v5
	v_and_b32_e32 v6, 0x7f800000, v5
	v_cmp_ne_u32_e32 vcc_lo, 0x7f800000, v6
                                        ; implicit-def: $vgpr6
	s_and_saveexec_b32 s14, vcc_lo
	s_xor_b32 s14, exec_lo, s14
; %bb.34:                               ;   in Loop: Header=BB554_31 Depth=1
	v_bfe_u32 v6, v5, 16, 1
	v_add3_u32 v6, v5, v6, 0x7fff
                                        ; implicit-def: $vgpr5
; %bb.35:                               ;   in Loop: Header=BB554_31 Depth=1
	s_andn2_saveexec_b32 s14, s14
; %bb.36:                               ;   in Loop: Header=BB554_31 Depth=1
	v_or_b32_e32 v6, 0x10000, v5
	v_cmp_eq_u32_sdwa vcc_lo, v5, v9 src0_sel:WORD_0 src1_sel:DWORD
	v_cndmask_b32_e32 v6, v6, v5, vcc_lo
; %bb.37:                               ;   in Loop: Header=BB554_31 Depth=1
	s_or_b32 exec_lo, exec_lo, s14
	v_and_b32_e32 v5, 0xffff0000, v6
	v_cvt_i32_f32_e32 v5, v5
	v_cvt_f32_i32_e32 v10, v5
	s_andn2_b32 vcc_lo, exec_lo, s6
	s_cbranch_vccz .LBB554_39
	s_branch .LBB554_66
.LBB554_38:                             ;   in Loop: Header=BB554_31 Depth=1
	v_mov_b32_e32 v10, 0
	s_andn2_b32 vcc_lo, exec_lo, s6
	s_cbranch_vccnz .LBB554_66
.LBB554_39:                             ;   in Loop: Header=BB554_31 Depth=1
	s_andn2_b32 vcc_lo, exec_lo, s16
	s_mov_b32 s14, 0
	s_cbranch_vccnz .LBB554_59
; %bb.40:                               ;   in Loop: Header=BB554_31 Depth=1
	v_mov_b32_e32 v6, v2
	v_mov_b32_e32 v5, v1
	s_mov_b32 s15, 0
	s_branch .LBB554_42
.LBB554_41:                             ;   in Loop: Header=BB554_42 Depth=2
	s_or_b32 exec_lo, exec_lo, s18
	v_and_b32_e32 v11, 0xffff0000, v11
	v_and_b32_e32 v12, 0xffff0000, v12
	v_add_co_u32 v5, vcc_lo, v5, 8
	v_add_co_ci_u32_e64 v6, null, 0, v6, vcc_lo
	v_add_f32_e32 v10, v10, v11
	v_and_b32_e32 v11, 0xffff0000, v13
	s_add_i32 s15, s15, 4
	s_add_i32 s14, s14, 16
	s_cmp_eq_u32 s10, s15
	v_add_f32_e32 v10, v10, v12
	v_and_b32_e32 v12, 0xffff0000, v14
	v_add_f32_e32 v10, v10, v11
	v_add_f32_e32 v10, v10, v12
	s_cbranch_scc1 .LBB554_58
.LBB554_42:                             ;   Parent Loop BB554_31 Depth=1
                                        ; =>  This Inner Loop Header: Depth=2
	global_load_ushort v11, v[5:6], off offset:-4
	v_mov_b32_e32 v12, s14
	ds_read_b32 v12, v12
	s_waitcnt vmcnt(0)
	v_lshlrev_b32_e32 v11, 16, v11
	s_waitcnt lgkmcnt(0)
	v_mul_f32_e32 v12, v12, v11
	v_and_b32_e32 v11, 0x7f800000, v12
	v_cmp_ne_u32_e32 vcc_lo, 0x7f800000, v11
                                        ; implicit-def: $vgpr11
	s_and_saveexec_b32 s18, vcc_lo
	s_xor_b32 s18, exec_lo, s18
; %bb.43:                               ;   in Loop: Header=BB554_42 Depth=2
	v_bfe_u32 v11, v12, 16, 1
	v_add3_u32 v11, v12, v11, 0x7fff
                                        ; implicit-def: $vgpr12
; %bb.44:                               ;   in Loop: Header=BB554_42 Depth=2
	s_andn2_saveexec_b32 s18, s18
; %bb.45:                               ;   in Loop: Header=BB554_42 Depth=2
	v_or_b32_e32 v11, 0x10000, v12
	v_cmp_eq_u32_sdwa vcc_lo, v12, v9 src0_sel:WORD_0 src1_sel:DWORD
	v_cndmask_b32_e32 v11, v11, v12, vcc_lo
; %bb.46:                               ;   in Loop: Header=BB554_42 Depth=2
	s_or_b32 exec_lo, exec_lo, s18
	global_load_ushort v12, v[5:6], off offset:-2
	v_mov_b32_e32 v13, s14
	ds_read_b32 v13, v13 offset:4
	s_waitcnt vmcnt(0)
	v_lshlrev_b32_e32 v12, 16, v12
	s_waitcnt lgkmcnt(0)
	v_mul_f32_e32 v13, v13, v12
	v_and_b32_e32 v12, 0x7f800000, v13
	v_cmp_ne_u32_e32 vcc_lo, 0x7f800000, v12
                                        ; implicit-def: $vgpr12
	s_and_saveexec_b32 s18, vcc_lo
	s_xor_b32 s18, exec_lo, s18
; %bb.47:                               ;   in Loop: Header=BB554_42 Depth=2
	v_bfe_u32 v12, v13, 16, 1
	v_add3_u32 v12, v13, v12, 0x7fff
                                        ; implicit-def: $vgpr13
; %bb.48:                               ;   in Loop: Header=BB554_42 Depth=2
	s_andn2_saveexec_b32 s18, s18
; %bb.49:                               ;   in Loop: Header=BB554_42 Depth=2
	v_or_b32_e32 v12, 0x10000, v13
	v_cmp_eq_u32_sdwa vcc_lo, v13, v9 src0_sel:WORD_0 src1_sel:DWORD
	v_cndmask_b32_e32 v12, v12, v13, vcc_lo
; %bb.50:                               ;   in Loop: Header=BB554_42 Depth=2
	s_or_b32 exec_lo, exec_lo, s18
	global_load_ushort v13, v[5:6], off
	v_mov_b32_e32 v14, s14
	ds_read_b32 v14, v14 offset:8
	s_waitcnt vmcnt(0)
	v_lshlrev_b32_e32 v13, 16, v13
	s_waitcnt lgkmcnt(0)
	v_mul_f32_e32 v14, v14, v13
	v_and_b32_e32 v13, 0x7f800000, v14
	v_cmp_ne_u32_e32 vcc_lo, 0x7f800000, v13
                                        ; implicit-def: $vgpr13
	s_and_saveexec_b32 s18, vcc_lo
	s_xor_b32 s18, exec_lo, s18
; %bb.51:                               ;   in Loop: Header=BB554_42 Depth=2
	v_bfe_u32 v13, v14, 16, 1
	v_add3_u32 v13, v14, v13, 0x7fff
                                        ; implicit-def: $vgpr14
; %bb.52:                               ;   in Loop: Header=BB554_42 Depth=2
	s_andn2_saveexec_b32 s18, s18
; %bb.53:                               ;   in Loop: Header=BB554_42 Depth=2
	v_or_b32_e32 v13, 0x10000, v14
	v_cmp_eq_u32_sdwa vcc_lo, v14, v9 src0_sel:WORD_0 src1_sel:DWORD
	v_cndmask_b32_e32 v13, v13, v14, vcc_lo
; %bb.54:                               ;   in Loop: Header=BB554_42 Depth=2
	s_or_b32 exec_lo, exec_lo, s18
	global_load_ushort v14, v[5:6], off offset:2
	v_mov_b32_e32 v15, s14
	ds_read_b32 v15, v15 offset:12
	s_waitcnt vmcnt(0)
	v_lshlrev_b32_e32 v14, 16, v14
	s_waitcnt lgkmcnt(0)
	v_mul_f32_e32 v15, v15, v14
	v_and_b32_e32 v14, 0x7f800000, v15
	v_cmp_ne_u32_e32 vcc_lo, 0x7f800000, v14
                                        ; implicit-def: $vgpr14
	s_and_saveexec_b32 s18, vcc_lo
	s_xor_b32 s18, exec_lo, s18
; %bb.55:                               ;   in Loop: Header=BB554_42 Depth=2
	v_bfe_u32 v14, v15, 16, 1
	v_add3_u32 v14, v15, v14, 0x7fff
                                        ; implicit-def: $vgpr15
; %bb.56:                               ;   in Loop: Header=BB554_42 Depth=2
	s_andn2_saveexec_b32 s18, s18
	s_cbranch_execz .LBB554_41
; %bb.57:                               ;   in Loop: Header=BB554_42 Depth=2
	v_or_b32_e32 v14, 0x10000, v15
	v_cmp_eq_u32_sdwa vcc_lo, v15, v9 src0_sel:WORD_0 src1_sel:DWORD
	v_cndmask_b32_e32 v14, v14, v15, vcc_lo
	s_branch .LBB554_41
.LBB554_58:                             ;   in Loop: Header=BB554_31 Depth=1
	s_mov_b32 s14, s10
.LBB554_59:                             ;   in Loop: Header=BB554_31 Depth=1
	s_andn2_b32 vcc_lo, exec_lo, s17
	s_cbranch_vccnz .LBB554_66
; %bb.60:                               ;   in Loop: Header=BB554_31 Depth=1
	s_lshl_b32 s15, s14, 1
	s_lshl_b32 s14, s14, 2
	v_add_co_u32 v5, vcc_lo, v7, s15
	v_add_co_ci_u32_e64 v6, null, 0, v8, vcc_lo
	s_mov_b32 s15, s9
	s_inst_prefetch 0x1
	s_branch .LBB554_62
	.p2align	6
.LBB554_61:                             ;   in Loop: Header=BB554_62 Depth=2
	s_or_b32 exec_lo, exec_lo, s18
	v_and_b32_e32 v11, 0xffff0000, v12
	v_add_co_u32 v5, vcc_lo, v5, 2
	v_add_co_ci_u32_e64 v6, null, 0, v6, vcc_lo
	v_add_f32_e32 v10, v10, v11
	s_add_i32 s15, s15, -1
	s_add_i32 s14, s14, 4
	s_cmp_lg_u32 s15, 0
	s_cbranch_scc0 .LBB554_66
.LBB554_62:                             ;   Parent Loop BB554_31 Depth=1
                                        ; =>  This Inner Loop Header: Depth=2
	global_load_ushort v11, v[5:6], off
	v_mov_b32_e32 v12, s14
	ds_read_b32 v12, v12
	s_waitcnt vmcnt(0)
	v_lshlrev_b32_e32 v11, 16, v11
	s_waitcnt lgkmcnt(0)
	v_mul_f32_e32 v11, v12, v11
	v_and_b32_e32 v12, 0x7f800000, v11
	v_cmp_ne_u32_e32 vcc_lo, 0x7f800000, v12
                                        ; implicit-def: $vgpr12
	s_and_saveexec_b32 s18, vcc_lo
	s_xor_b32 s18, exec_lo, s18
; %bb.63:                               ;   in Loop: Header=BB554_62 Depth=2
	v_bfe_u32 v12, v11, 16, 1
	v_add3_u32 v12, v11, v12, 0x7fff
                                        ; implicit-def: $vgpr11
; %bb.64:                               ;   in Loop: Header=BB554_62 Depth=2
	s_andn2_saveexec_b32 s18, s18
	s_cbranch_execz .LBB554_61
; %bb.65:                               ;   in Loop: Header=BB554_62 Depth=2
	v_or_b32_e32 v12, 0x10000, v11
	v_cmp_eq_u32_sdwa vcc_lo, v11, v9 src0_sel:WORD_0 src1_sel:DWORD
	v_cndmask_b32_e32 v12, v12, v11, vcc_lo
	s_branch .LBB554_61
.LBB554_66:                             ;   in Loop: Header=BB554_31 Depth=1
	s_inst_prefetch 0x2
	v_and_b32_e32 v5, 0x7f800000, v10
	v_cmp_ne_u32_e32 vcc_lo, 0x7f800000, v5
                                        ; implicit-def: $vgpr5
	s_and_saveexec_b32 s14, vcc_lo
	s_xor_b32 s14, exec_lo, s14
; %bb.67:                               ;   in Loop: Header=BB554_31 Depth=1
	v_bfe_u32 v5, v10, 16, 1
	v_add3_u32 v5, v10, v5, 0x7fff
                                        ; implicit-def: $vgpr10
; %bb.68:                               ;   in Loop: Header=BB554_31 Depth=1
	s_andn2_saveexec_b32 s14, s14
	s_cbranch_execz .LBB554_29
; %bb.69:                               ;   in Loop: Header=BB554_31 Depth=1
	v_or_b32_e32 v5, 0x10000, v10
	v_cmp_eq_u32_sdwa vcc_lo, v10, v9 src0_sel:WORD_0 src1_sel:DWORD
	v_cndmask_b32_e32 v5, v5, v10, vcc_lo
	s_branch .LBB554_29
.LBB554_70:
	s_endpgm
	.section	.rodata,"a",@progbits
	.p2align	6, 0x0
	.amdhsa_kernel _ZL22rocblas_gemvtsm_kernelILb0ELi256E16rocblas_bfloat16PKfS0_EviiT2_lPKT1_lilS6_lilS3_lPT3_lil
		.amdhsa_group_segment_fixed_size 256
		.amdhsa_private_segment_fixed_size 0
		.amdhsa_kernarg_size 136
		.amdhsa_user_sgpr_count 6
		.amdhsa_user_sgpr_private_segment_buffer 1
		.amdhsa_user_sgpr_dispatch_ptr 0
		.amdhsa_user_sgpr_queue_ptr 0
		.amdhsa_user_sgpr_kernarg_segment_ptr 1
		.amdhsa_user_sgpr_dispatch_id 0
		.amdhsa_user_sgpr_flat_scratch_init 0
		.amdhsa_user_sgpr_private_segment_size 0
		.amdhsa_wavefront_size32 1
		.amdhsa_uses_dynamic_stack 0
		.amdhsa_system_sgpr_private_segment_wavefront_offset 0
		.amdhsa_system_sgpr_workgroup_id_x 1
		.amdhsa_system_sgpr_workgroup_id_y 0
		.amdhsa_system_sgpr_workgroup_id_z 0
		.amdhsa_system_sgpr_workgroup_info 0
		.amdhsa_system_vgpr_workitem_id 0
		.amdhsa_next_free_vgpr 16
		.amdhsa_next_free_sgpr 29
		.amdhsa_reserve_vcc 1
		.amdhsa_reserve_flat_scratch 0
		.amdhsa_float_round_mode_32 0
		.amdhsa_float_round_mode_16_64 0
		.amdhsa_float_denorm_mode_32 3
		.amdhsa_float_denorm_mode_16_64 3
		.amdhsa_dx10_clamp 1
		.amdhsa_ieee_mode 1
		.amdhsa_fp16_overflow 0
		.amdhsa_workgroup_processor_mode 1
		.amdhsa_memory_ordered 1
		.amdhsa_forward_progress 1
		.amdhsa_shared_vgpr_count 0
		.amdhsa_exception_fp_ieee_invalid_op 0
		.amdhsa_exception_fp_denorm_src 0
		.amdhsa_exception_fp_ieee_div_zero 0
		.amdhsa_exception_fp_ieee_overflow 0
		.amdhsa_exception_fp_ieee_underflow 0
		.amdhsa_exception_fp_ieee_inexact 0
		.amdhsa_exception_int_div_zero 0
	.end_amdhsa_kernel
	.section	.text._ZL22rocblas_gemvtsm_kernelILb0ELi256E16rocblas_bfloat16PKfS0_EviiT2_lPKT1_lilS6_lilS3_lPT3_lil,"axG",@progbits,_ZL22rocblas_gemvtsm_kernelILb0ELi256E16rocblas_bfloat16PKfS0_EviiT2_lPKT1_lilS6_lilS3_lPT3_lil,comdat
.Lfunc_end554:
	.size	_ZL22rocblas_gemvtsm_kernelILb0ELi256E16rocblas_bfloat16PKfS0_EviiT2_lPKT1_lilS6_lilS3_lPT3_lil, .Lfunc_end554-_ZL22rocblas_gemvtsm_kernelILb0ELi256E16rocblas_bfloat16PKfS0_EviiT2_lPKT1_lilS6_lilS3_lPT3_lil
                                        ; -- End function
	.set _ZL22rocblas_gemvtsm_kernelILb0ELi256E16rocblas_bfloat16PKfS0_EviiT2_lPKT1_lilS6_lilS3_lPT3_lil.num_vgpr, 16
	.set _ZL22rocblas_gemvtsm_kernelILb0ELi256E16rocblas_bfloat16PKfS0_EviiT2_lPKT1_lilS6_lilS3_lPT3_lil.num_agpr, 0
	.set _ZL22rocblas_gemvtsm_kernelILb0ELi256E16rocblas_bfloat16PKfS0_EviiT2_lPKT1_lilS6_lilS3_lPT3_lil.numbered_sgpr, 29
	.set _ZL22rocblas_gemvtsm_kernelILb0ELi256E16rocblas_bfloat16PKfS0_EviiT2_lPKT1_lilS6_lilS3_lPT3_lil.num_named_barrier, 0
	.set _ZL22rocblas_gemvtsm_kernelILb0ELi256E16rocblas_bfloat16PKfS0_EviiT2_lPKT1_lilS6_lilS3_lPT3_lil.private_seg_size, 0
	.set _ZL22rocblas_gemvtsm_kernelILb0ELi256E16rocblas_bfloat16PKfS0_EviiT2_lPKT1_lilS6_lilS3_lPT3_lil.uses_vcc, 1
	.set _ZL22rocblas_gemvtsm_kernelILb0ELi256E16rocblas_bfloat16PKfS0_EviiT2_lPKT1_lilS6_lilS3_lPT3_lil.uses_flat_scratch, 0
	.set _ZL22rocblas_gemvtsm_kernelILb0ELi256E16rocblas_bfloat16PKfS0_EviiT2_lPKT1_lilS6_lilS3_lPT3_lil.has_dyn_sized_stack, 0
	.set _ZL22rocblas_gemvtsm_kernelILb0ELi256E16rocblas_bfloat16PKfS0_EviiT2_lPKT1_lilS6_lilS3_lPT3_lil.has_recursion, 0
	.set _ZL22rocblas_gemvtsm_kernelILb0ELi256E16rocblas_bfloat16PKfS0_EviiT2_lPKT1_lilS6_lilS3_lPT3_lil.has_indirect_call, 0
	.section	.AMDGPU.csdata,"",@progbits
; Kernel info:
; codeLenInByte = 2292
; TotalNumSgprs: 31
; NumVgprs: 16
; ScratchSize: 0
; MemoryBound: 0
; FloatMode: 240
; IeeeMode: 1
; LDSByteSize: 256 bytes/workgroup (compile time only)
; SGPRBlocks: 0
; VGPRBlocks: 1
; NumSGPRsForWavesPerEU: 31
; NumVGPRsForWavesPerEU: 16
; Occupancy: 16
; WaveLimiterHint : 1
; COMPUTE_PGM_RSRC2:SCRATCH_EN: 0
; COMPUTE_PGM_RSRC2:USER_SGPR: 6
; COMPUTE_PGM_RSRC2:TRAP_HANDLER: 0
; COMPUTE_PGM_RSRC2:TGID_X_EN: 1
; COMPUTE_PGM_RSRC2:TGID_Y_EN: 0
; COMPUTE_PGM_RSRC2:TGID_Z_EN: 0
; COMPUTE_PGM_RSRC2:TIDIG_COMP_CNT: 0
	.section	.text._ZL22rocblas_gemvtsm_kernelILb0ELi256E16rocblas_bfloat16fS0_EviiT2_lPKT1_lilS4_lilS1_lPT3_lil,"axG",@progbits,_ZL22rocblas_gemvtsm_kernelILb0ELi256E16rocblas_bfloat16fS0_EviiT2_lPKT1_lilS4_lilS1_lPT3_lil,comdat
	.globl	_ZL22rocblas_gemvtsm_kernelILb0ELi256E16rocblas_bfloat16fS0_EviiT2_lPKT1_lilS4_lilS1_lPT3_lil ; -- Begin function _ZL22rocblas_gemvtsm_kernelILb0ELi256E16rocblas_bfloat16fS0_EviiT2_lPKT1_lilS4_lilS1_lPT3_lil
	.p2align	8
	.type	_ZL22rocblas_gemvtsm_kernelILb0ELi256E16rocblas_bfloat16fS0_EviiT2_lPKT1_lilS4_lilS1_lPT3_lil,@function
_ZL22rocblas_gemvtsm_kernelILb0ELi256E16rocblas_bfloat16fS0_EviiT2_lPKT1_lilS4_lilS1_lPT3_lil: ; @_ZL22rocblas_gemvtsm_kernelILb0ELi256E16rocblas_bfloat16fS0_EviiT2_lPKT1_lilS4_lilS1_lPT3_lil
; %bb.0:
	s_clause 0x1
	s_load_dwordx4 s[8:11], s[4:5], 0x0
	s_load_dword s7, s[4:5], 0x58
	s_waitcnt lgkmcnt(0)
	v_cmp_eq_f32_e64 s0, s10, 0
	v_cmp_eq_f32_e64 s1, s7, 1.0
	s_and_b32 s0, s0, s1
	s_and_b32 vcc_lo, exec_lo, s0
	s_cbranch_vccnz .LBB555_70
; %bb.1:
	s_clause 0x2
	s_load_dwordx2 s[0:1], s[4:5], 0x80
	s_load_dwordx4 s[12:15], s[4:5], 0x68
	s_load_dword s20, s[4:5], 0x78
	v_cmp_neq_f32_e64 s2, s10, 0
	s_and_b32 vcc_lo, exec_lo, s2
	s_waitcnt lgkmcnt(0)
	s_mul_i32 s1, s1, s6
	s_mul_hi_u32 s2, s0, s6
	s_mul_i32 s22, s0, s6
	s_add_i32 s23, s2, s1
	s_cbranch_vccnz .LBB555_9
; %bb.2:
	s_cmp_gt_i32 s9, 0
	v_cmp_neq_f32_e64 s0, s7, 0
	s_cselect_b32 s2, -1, 0
	v_cndmask_b32_e64 v1, 0, 1, s2
	s_and_b32 vcc_lo, exec_lo, s0
	v_cmp_ne_u32_e64 s0, 1, v1
	s_cbranch_vccnz .LBB555_10
; %bb.3:
	s_and_b32 vcc_lo, exec_lo, s0
	s_cbranch_vccnz .LBB555_8
; %bb.4:
	v_mad_i64_i32 v[1:2], null, s20, v0, 0
	s_lshl_b64 s[16:17], s[14:15], 1
	s_ashr_i32 s21, s20, 31
	s_lshl_b64 s[0:1], s[22:23], 1
	s_add_u32 s3, s12, s16
	s_addc_u32 s11, s13, s17
	s_add_u32 s0, s3, s0
	v_lshlrev_b64 v[1:2], 1, v[1:2]
	s_addc_u32 s1, s11, s1
	v_mov_b32_e32 v3, 0
	s_mov_b32 s3, 0
	v_add_co_u32 v1, vcc_lo, s0, v1
	v_add_co_ci_u32_e64 v2, null, s1, v2, vcc_lo
	s_lshl_b64 s[0:1], s[20:21], 9
	s_branch .LBB555_6
.LBB555_5:                              ;   in Loop: Header=BB555_6 Depth=1
	s_or_b32 exec_lo, exec_lo, s11
	v_add_co_u32 v1, vcc_lo, v1, s0
	v_add_co_ci_u32_e64 v2, null, s1, v2, vcc_lo
	s_addk_i32 s3, 0x100
	s_cmp_ge_i32 s3, s9
	s_cbranch_scc1 .LBB555_8
.LBB555_6:                              ; =>This Inner Loop Header: Depth=1
	v_add_nc_u32_e32 v4, s3, v0
	s_mov_b32 s11, exec_lo
	v_cmpx_gt_i32_e64 s9, v4
	s_cbranch_execz .LBB555_5
; %bb.7:                                ;   in Loop: Header=BB555_6 Depth=1
	global_store_short v[1:2], v3, off
	s_branch .LBB555_5
.LBB555_8:
	s_cbranch_execz .LBB555_11
	s_branch .LBB555_20
.LBB555_9:
	s_branch .LBB555_21
.LBB555_10:
.LBB555_11:
	s_andn2_b32 vcc_lo, exec_lo, s2
	s_cbranch_vccnz .LBB555_20
; %bb.12:
	v_mad_i64_i32 v[1:2], null, s20, v0, 0
	s_lshl_b64 s[2:3], s[14:15], 1
	s_ashr_i32 s21, s20, 31
	s_lshl_b64 s[0:1], s[22:23], 1
	s_add_u32 s2, s12, s2
	s_addc_u32 s3, s13, s3
	s_add_u32 s0, s2, s0
	v_lshlrev_b64 v[1:2], 1, v[1:2]
	s_addc_u32 s1, s3, s1
	v_mov_b32_e32 v3, 0
	s_mov_b32 s2, 0
	v_add_co_u32 v1, vcc_lo, s0, v1
	v_add_co_ci_u32_e64 v2, null, s1, v2, vcc_lo
	s_lshl_b64 s[0:1], s[20:21], 9
	s_inst_prefetch 0x1
	s_branch .LBB555_15
	.p2align	6
.LBB555_13:                             ;   in Loop: Header=BB555_15 Depth=1
	s_or_b32 exec_lo, exec_lo, s11
	global_store_short_d16_hi v[1:2], v5, off
.LBB555_14:                             ;   in Loop: Header=BB555_15 Depth=1
	s_or_b32 exec_lo, exec_lo, s3
	v_add_co_u32 v1, vcc_lo, v1, s0
	v_add_co_ci_u32_e64 v2, null, s1, v2, vcc_lo
	s_addk_i32 s2, 0x100
	s_cmp_ge_i32 s2, s9
	s_cbranch_scc1 .LBB555_20
.LBB555_15:                             ; =>This Inner Loop Header: Depth=1
	v_add_nc_u32_e32 v4, s2, v0
	s_mov_b32 s3, exec_lo
	v_cmpx_gt_i32_e64 s9, v4
	s_cbranch_execz .LBB555_14
; %bb.16:                               ;   in Loop: Header=BB555_15 Depth=1
	global_load_ushort v4, v[1:2], off
	s_waitcnt vmcnt(0)
	v_lshlrev_b32_e32 v4, 16, v4
	v_mul_f32_e32 v4, s7, v4
	v_and_b32_e32 v5, 0x7f800000, v4
	v_cmp_ne_u32_e32 vcc_lo, 0x7f800000, v5
                                        ; implicit-def: $vgpr5
	s_and_saveexec_b32 s11, vcc_lo
	s_xor_b32 s11, exec_lo, s11
; %bb.17:                               ;   in Loop: Header=BB555_15 Depth=1
	v_bfe_u32 v5, v4, 16, 1
	v_add3_u32 v5, v4, v5, 0x7fff
                                        ; implicit-def: $vgpr4
; %bb.18:                               ;   in Loop: Header=BB555_15 Depth=1
	s_andn2_saveexec_b32 s11, s11
	s_cbranch_execz .LBB555_13
; %bb.19:                               ;   in Loop: Header=BB555_15 Depth=1
	v_or_b32_e32 v5, 0x10000, v4
	v_cmp_eq_u32_sdwa vcc_lo, v4, v3 src0_sel:WORD_0 src1_sel:DWORD
	v_cndmask_b32_e32 v5, v5, v4, vcc_lo
	s_branch .LBB555_13
.LBB555_20:
	s_inst_prefetch 0x2
	s_cbranch_execnz .LBB555_70
.LBB555_21:
	s_clause 0x1
	s_load_dwordx4 s[0:3], s[4:5], 0x30
	s_load_dwordx2 s[16:17], s[4:5], 0x40
	s_mov_b32 s11, exec_lo
	v_cmpx_gt_i32_e64 s8, v0
	s_cbranch_execz .LBB555_27
; %bb.22:
	s_clause 0x1
	s_load_dwordx2 s[18:19], s[4:5], 0x50
	s_load_dword s21, s[4:5], 0x48
	s_waitcnt lgkmcnt(0)
	s_mul_i32 s19, s19, s6
	v_mad_i64_i32 v[1:2], null, s21, v0, 0
	s_mul_hi_u32 s24, s18, s6
	s_mul_i32 s18, s18, s6
	s_add_i32 s19, s24, s19
	s_lshl_b64 s[18:19], s[18:19], 1
	s_add_u32 s18, s2, s18
	v_lshlrev_b64 v[1:2], 1, v[1:2]
	s_addc_u32 s19, s3, s19
	s_lshl_b64 s[2:3], s[16:17], 1
	s_add_u32 s2, s18, s2
	s_addc_u32 s3, s19, s3
	v_add_co_u32 v1, vcc_lo, s2, v1
	v_add_co_ci_u32_e64 v2, null, s3, v2, vcc_lo
	global_load_ushort v1, v[1:2], off
	s_waitcnt vmcnt(0)
	v_lshlrev_b32_e32 v1, 16, v1
	v_mul_f32_e32 v1, s10, v1
	v_and_b32_e32 v2, 0x7f800000, v1
	v_cmp_ne_u32_e32 vcc_lo, 0x7f800000, v2
                                        ; implicit-def: $vgpr2
	s_and_saveexec_b32 s2, vcc_lo
	s_xor_b32 s2, exec_lo, s2
; %bb.23:
	v_bfe_u32 v2, v1, 16, 1
	v_add3_u32 v2, v1, v2, 0x7fff
                                        ; implicit-def: $vgpr1
; %bb.24:
	s_andn2_saveexec_b32 s2, s2
; %bb.25:
	v_mov_b32_e32 v2, 0
	v_or_b32_e32 v3, 0x10000, v1
	v_cmp_eq_u32_sdwa vcc_lo, v1, v2 src0_sel:WORD_0 src1_sel:DWORD
	v_cndmask_b32_e32 v2, v3, v1, vcc_lo
; %bb.26:
	s_or_b32 exec_lo, exec_lo, s2
	v_and_b32_e32 v1, 0xffff0000, v2
	v_lshlrev_b32_e32 v2, 2, v0
	ds_write_b32 v2, v1
.LBB555_27:
	s_or_b32 exec_lo, exec_lo, s11
	s_cmp_lt_i32 s9, 1
	s_waitcnt lgkmcnt(0)
	s_waitcnt_vscnt null, 0x0
	s_barrier
	buffer_gl0_inv
	s_cbranch_scc1 .LBB555_70
; %bb.28:
	s_clause 0x1
	s_load_dword s24, s[4:5], 0x28
	s_load_dwordx4 s[16:19], s[4:5], 0x18
	s_lshl_b64 s[2:3], s[22:23], 1
	s_mul_i32 s1, s1, s6
	s_mul_hi_u32 s21, s0, s6
	s_mul_i32 s0, s0, s6
	s_add_u32 s6, s12, s2
	s_addc_u32 s10, s13, s3
	s_lshl_b64 s[4:5], s[14:15], 1
	v_cmp_neq_f32_e64 s2, s7, 0
	s_add_u32 s3, s6, s4
	s_addc_u32 s4, s10, s5
	s_ashr_i32 s5, s20, 31
	v_mov_b32_e32 v9, 0
	s_waitcnt lgkmcnt(0)
	s_ashr_i32 s25, s24, 31
	s_cmp_gt_i32 s8, 0
	v_mad_i64_i32 v[1:2], null, s24, v0, 0
	s_cselect_b32 s6, -1, 0
	s_and_b32 s10, s8, 3
	s_cmp_gt_u32 s8, 3
	s_cselect_b32 s11, -1, 0
	s_and_b32 s8, s8, 0x7ffffffc
	s_cmp_lg_u32 s10, 0
	v_lshlrev_b64 v[1:2], 1, v[1:2]
	s_cselect_b32 s12, -1, 0
	s_add_i32 s1, s21, s1
	s_lshl_b64 s[14:15], s[18:19], 1
	s_lshl_b64 s[0:1], s[0:1], 1
	s_add_u32 s13, s16, s14
	s_addc_u32 s14, s17, s15
	s_add_u32 s0, s13, s0
	s_addc_u32 s1, s14, s1
	v_add_co_u32 v7, vcc_lo, s0, v1
	v_add_co_ci_u32_e64 v8, null, s1, v2, vcc_lo
	s_mov_b32 s13, 0
	v_add_co_u32 v1, vcc_lo, v7, 4
	v_add_co_ci_u32_e64 v2, null, 0, v8, vcc_lo
	s_lshl_b64 s[0:1], s[24:25], 9
	s_branch .LBB555_31
.LBB555_29:                             ;   in Loop: Header=BB555_31 Depth=1
	s_or_b32 exec_lo, exec_lo, s15
	v_add_co_u32 v3, vcc_lo, s3, v3
	v_add_co_ci_u32_e64 v4, null, s4, v4, vcc_lo
	global_store_short_d16_hi v[3:4], v5, off
.LBB555_30:                             ;   in Loop: Header=BB555_31 Depth=1
	s_or_b32 exec_lo, exec_lo, s14
	v_add_co_u32 v1, vcc_lo, v1, s0
	v_add_co_ci_u32_e64 v2, null, s1, v2, vcc_lo
	v_add_co_u32 v7, vcc_lo, v7, s0
	v_add_co_ci_u32_e64 v8, null, s1, v8, vcc_lo
	s_addk_i32 s13, 0x100
	s_cmp_ge_i32 s13, s9
	s_cbranch_scc1 .LBB555_70
.LBB555_31:                             ; =>This Loop Header: Depth=1
                                        ;     Child Loop BB555_42 Depth 2
                                        ;     Child Loop BB555_62 Depth 2
	v_add_nc_u32_e32 v3, s13, v0
	s_mov_b32 s14, exec_lo
	v_cmpx_gt_i32_e64 s9, v3
	s_cbranch_execz .LBB555_30
; %bb.32:                               ;   in Loop: Header=BB555_31 Depth=1
	v_mad_u64_u32 v[4:5], null, v3, s20, 0
	s_andn2_b32 vcc_lo, exec_lo, s2
	v_mad_u64_u32 v[5:6], null, v3, s5, v[5:6]
	v_lshlrev_b64 v[3:4], 1, v[4:5]
	s_cbranch_vccnz .LBB555_38
; %bb.33:                               ;   in Loop: Header=BB555_31 Depth=1
	v_add_co_u32 v5, vcc_lo, s3, v3
	v_add_co_ci_u32_e64 v6, null, s4, v4, vcc_lo
	global_load_ushort v5, v[5:6], off
	s_waitcnt vmcnt(0)
	v_lshlrev_b32_e32 v5, 16, v5
	v_mul_f32_e32 v5, s7, v5
	v_and_b32_e32 v6, 0x7f800000, v5
	v_cmp_ne_u32_e32 vcc_lo, 0x7f800000, v6
                                        ; implicit-def: $vgpr6
	s_and_saveexec_b32 s15, vcc_lo
	s_xor_b32 s15, exec_lo, s15
; %bb.34:                               ;   in Loop: Header=BB555_31 Depth=1
	v_bfe_u32 v6, v5, 16, 1
	v_add3_u32 v6, v5, v6, 0x7fff
                                        ; implicit-def: $vgpr5
; %bb.35:                               ;   in Loop: Header=BB555_31 Depth=1
	s_andn2_saveexec_b32 s15, s15
; %bb.36:                               ;   in Loop: Header=BB555_31 Depth=1
	v_or_b32_e32 v6, 0x10000, v5
	v_cmp_eq_u32_sdwa vcc_lo, v5, v9 src0_sel:WORD_0 src1_sel:DWORD
	v_cndmask_b32_e32 v6, v6, v5, vcc_lo
; %bb.37:                               ;   in Loop: Header=BB555_31 Depth=1
	s_or_b32 exec_lo, exec_lo, s15
	v_and_b32_e32 v5, 0xffff0000, v6
	v_cvt_i32_f32_e32 v5, v5
	v_cvt_f32_i32_e32 v10, v5
	s_andn2_b32 vcc_lo, exec_lo, s6
	s_cbranch_vccz .LBB555_39
	s_branch .LBB555_66
.LBB555_38:                             ;   in Loop: Header=BB555_31 Depth=1
	v_mov_b32_e32 v10, 0
	s_andn2_b32 vcc_lo, exec_lo, s6
	s_cbranch_vccnz .LBB555_66
.LBB555_39:                             ;   in Loop: Header=BB555_31 Depth=1
	s_andn2_b32 vcc_lo, exec_lo, s11
	s_mov_b32 s15, 0
	s_cbranch_vccnz .LBB555_59
; %bb.40:                               ;   in Loop: Header=BB555_31 Depth=1
	v_mov_b32_e32 v6, v2
	v_mov_b32_e32 v5, v1
	s_mov_b32 s16, 0
	s_branch .LBB555_42
.LBB555_41:                             ;   in Loop: Header=BB555_42 Depth=2
	s_or_b32 exec_lo, exec_lo, s17
	v_and_b32_e32 v11, 0xffff0000, v11
	v_and_b32_e32 v12, 0xffff0000, v12
	v_add_co_u32 v5, vcc_lo, v5, 8
	v_add_co_ci_u32_e64 v6, null, 0, v6, vcc_lo
	v_add_f32_e32 v10, v10, v11
	v_and_b32_e32 v11, 0xffff0000, v13
	s_add_i32 s16, s16, 4
	s_add_i32 s15, s15, 16
	s_cmp_eq_u32 s8, s16
	v_add_f32_e32 v10, v10, v12
	v_and_b32_e32 v12, 0xffff0000, v14
	v_add_f32_e32 v10, v10, v11
	v_add_f32_e32 v10, v10, v12
	s_cbranch_scc1 .LBB555_58
.LBB555_42:                             ;   Parent Loop BB555_31 Depth=1
                                        ; =>  This Inner Loop Header: Depth=2
	global_load_ushort v11, v[5:6], off offset:-4
	v_mov_b32_e32 v12, s15
	ds_read_b32 v12, v12
	s_waitcnt vmcnt(0)
	v_lshlrev_b32_e32 v11, 16, v11
	s_waitcnt lgkmcnt(0)
	v_mul_f32_e32 v12, v12, v11
	v_and_b32_e32 v11, 0x7f800000, v12
	v_cmp_ne_u32_e32 vcc_lo, 0x7f800000, v11
                                        ; implicit-def: $vgpr11
	s_and_saveexec_b32 s17, vcc_lo
	s_xor_b32 s17, exec_lo, s17
; %bb.43:                               ;   in Loop: Header=BB555_42 Depth=2
	v_bfe_u32 v11, v12, 16, 1
	v_add3_u32 v11, v12, v11, 0x7fff
                                        ; implicit-def: $vgpr12
; %bb.44:                               ;   in Loop: Header=BB555_42 Depth=2
	s_andn2_saveexec_b32 s17, s17
; %bb.45:                               ;   in Loop: Header=BB555_42 Depth=2
	v_or_b32_e32 v11, 0x10000, v12
	v_cmp_eq_u32_sdwa vcc_lo, v12, v9 src0_sel:WORD_0 src1_sel:DWORD
	v_cndmask_b32_e32 v11, v11, v12, vcc_lo
; %bb.46:                               ;   in Loop: Header=BB555_42 Depth=2
	s_or_b32 exec_lo, exec_lo, s17
	global_load_ushort v12, v[5:6], off offset:-2
	v_mov_b32_e32 v13, s15
	ds_read_b32 v13, v13 offset:4
	s_waitcnt vmcnt(0)
	v_lshlrev_b32_e32 v12, 16, v12
	s_waitcnt lgkmcnt(0)
	v_mul_f32_e32 v13, v13, v12
	v_and_b32_e32 v12, 0x7f800000, v13
	v_cmp_ne_u32_e32 vcc_lo, 0x7f800000, v12
                                        ; implicit-def: $vgpr12
	s_and_saveexec_b32 s17, vcc_lo
	s_xor_b32 s17, exec_lo, s17
; %bb.47:                               ;   in Loop: Header=BB555_42 Depth=2
	v_bfe_u32 v12, v13, 16, 1
	v_add3_u32 v12, v13, v12, 0x7fff
                                        ; implicit-def: $vgpr13
; %bb.48:                               ;   in Loop: Header=BB555_42 Depth=2
	s_andn2_saveexec_b32 s17, s17
; %bb.49:                               ;   in Loop: Header=BB555_42 Depth=2
	v_or_b32_e32 v12, 0x10000, v13
	v_cmp_eq_u32_sdwa vcc_lo, v13, v9 src0_sel:WORD_0 src1_sel:DWORD
	v_cndmask_b32_e32 v12, v12, v13, vcc_lo
; %bb.50:                               ;   in Loop: Header=BB555_42 Depth=2
	s_or_b32 exec_lo, exec_lo, s17
	global_load_ushort v13, v[5:6], off
	v_mov_b32_e32 v14, s15
	ds_read_b32 v14, v14 offset:8
	s_waitcnt vmcnt(0)
	v_lshlrev_b32_e32 v13, 16, v13
	s_waitcnt lgkmcnt(0)
	v_mul_f32_e32 v14, v14, v13
	v_and_b32_e32 v13, 0x7f800000, v14
	v_cmp_ne_u32_e32 vcc_lo, 0x7f800000, v13
                                        ; implicit-def: $vgpr13
	s_and_saveexec_b32 s17, vcc_lo
	s_xor_b32 s17, exec_lo, s17
; %bb.51:                               ;   in Loop: Header=BB555_42 Depth=2
	v_bfe_u32 v13, v14, 16, 1
	v_add3_u32 v13, v14, v13, 0x7fff
                                        ; implicit-def: $vgpr14
; %bb.52:                               ;   in Loop: Header=BB555_42 Depth=2
	s_andn2_saveexec_b32 s17, s17
; %bb.53:                               ;   in Loop: Header=BB555_42 Depth=2
	v_or_b32_e32 v13, 0x10000, v14
	v_cmp_eq_u32_sdwa vcc_lo, v14, v9 src0_sel:WORD_0 src1_sel:DWORD
	v_cndmask_b32_e32 v13, v13, v14, vcc_lo
; %bb.54:                               ;   in Loop: Header=BB555_42 Depth=2
	s_or_b32 exec_lo, exec_lo, s17
	global_load_ushort v14, v[5:6], off offset:2
	v_mov_b32_e32 v15, s15
	ds_read_b32 v15, v15 offset:12
	s_waitcnt vmcnt(0)
	v_lshlrev_b32_e32 v14, 16, v14
	s_waitcnt lgkmcnt(0)
	v_mul_f32_e32 v15, v15, v14
	v_and_b32_e32 v14, 0x7f800000, v15
	v_cmp_ne_u32_e32 vcc_lo, 0x7f800000, v14
                                        ; implicit-def: $vgpr14
	s_and_saveexec_b32 s17, vcc_lo
	s_xor_b32 s17, exec_lo, s17
; %bb.55:                               ;   in Loop: Header=BB555_42 Depth=2
	v_bfe_u32 v14, v15, 16, 1
	v_add3_u32 v14, v15, v14, 0x7fff
                                        ; implicit-def: $vgpr15
; %bb.56:                               ;   in Loop: Header=BB555_42 Depth=2
	s_andn2_saveexec_b32 s17, s17
	s_cbranch_execz .LBB555_41
; %bb.57:                               ;   in Loop: Header=BB555_42 Depth=2
	v_or_b32_e32 v14, 0x10000, v15
	v_cmp_eq_u32_sdwa vcc_lo, v15, v9 src0_sel:WORD_0 src1_sel:DWORD
	v_cndmask_b32_e32 v14, v14, v15, vcc_lo
	s_branch .LBB555_41
.LBB555_58:                             ;   in Loop: Header=BB555_31 Depth=1
	s_mov_b32 s15, s8
.LBB555_59:                             ;   in Loop: Header=BB555_31 Depth=1
	s_andn2_b32 vcc_lo, exec_lo, s12
	s_cbranch_vccnz .LBB555_66
; %bb.60:                               ;   in Loop: Header=BB555_31 Depth=1
	s_lshl_b32 s16, s15, 1
	s_lshl_b32 s15, s15, 2
	v_add_co_u32 v5, vcc_lo, v7, s16
	v_add_co_ci_u32_e64 v6, null, 0, v8, vcc_lo
	s_mov_b32 s16, s10
	s_inst_prefetch 0x1
	s_branch .LBB555_62
	.p2align	6
.LBB555_61:                             ;   in Loop: Header=BB555_62 Depth=2
	s_or_b32 exec_lo, exec_lo, s17
	v_and_b32_e32 v11, 0xffff0000, v12
	v_add_co_u32 v5, vcc_lo, v5, 2
	v_add_co_ci_u32_e64 v6, null, 0, v6, vcc_lo
	v_add_f32_e32 v10, v10, v11
	s_add_i32 s16, s16, -1
	s_add_i32 s15, s15, 4
	s_cmp_lg_u32 s16, 0
	s_cbranch_scc0 .LBB555_66
.LBB555_62:                             ;   Parent Loop BB555_31 Depth=1
                                        ; =>  This Inner Loop Header: Depth=2
	global_load_ushort v11, v[5:6], off
	v_mov_b32_e32 v12, s15
	ds_read_b32 v12, v12
	s_waitcnt vmcnt(0)
	v_lshlrev_b32_e32 v11, 16, v11
	s_waitcnt lgkmcnt(0)
	v_mul_f32_e32 v11, v12, v11
	v_and_b32_e32 v12, 0x7f800000, v11
	v_cmp_ne_u32_e32 vcc_lo, 0x7f800000, v12
                                        ; implicit-def: $vgpr12
	s_and_saveexec_b32 s17, vcc_lo
	s_xor_b32 s17, exec_lo, s17
; %bb.63:                               ;   in Loop: Header=BB555_62 Depth=2
	v_bfe_u32 v12, v11, 16, 1
	v_add3_u32 v12, v11, v12, 0x7fff
                                        ; implicit-def: $vgpr11
; %bb.64:                               ;   in Loop: Header=BB555_62 Depth=2
	s_andn2_saveexec_b32 s17, s17
	s_cbranch_execz .LBB555_61
; %bb.65:                               ;   in Loop: Header=BB555_62 Depth=2
	v_or_b32_e32 v12, 0x10000, v11
	v_cmp_eq_u32_sdwa vcc_lo, v11, v9 src0_sel:WORD_0 src1_sel:DWORD
	v_cndmask_b32_e32 v12, v12, v11, vcc_lo
	s_branch .LBB555_61
.LBB555_66:                             ;   in Loop: Header=BB555_31 Depth=1
	s_inst_prefetch 0x2
	v_and_b32_e32 v5, 0x7f800000, v10
	v_cmp_ne_u32_e32 vcc_lo, 0x7f800000, v5
                                        ; implicit-def: $vgpr5
	s_and_saveexec_b32 s15, vcc_lo
	s_xor_b32 s15, exec_lo, s15
; %bb.67:                               ;   in Loop: Header=BB555_31 Depth=1
	v_bfe_u32 v5, v10, 16, 1
	v_add3_u32 v5, v10, v5, 0x7fff
                                        ; implicit-def: $vgpr10
; %bb.68:                               ;   in Loop: Header=BB555_31 Depth=1
	s_andn2_saveexec_b32 s15, s15
	s_cbranch_execz .LBB555_29
; %bb.69:                               ;   in Loop: Header=BB555_31 Depth=1
	v_or_b32_e32 v5, 0x10000, v10
	v_cmp_eq_u32_sdwa vcc_lo, v10, v9 src0_sel:WORD_0 src1_sel:DWORD
	v_cndmask_b32_e32 v5, v5, v10, vcc_lo
	s_branch .LBB555_29
.LBB555_70:
	s_endpgm
	.section	.rodata,"a",@progbits
	.p2align	6, 0x0
	.amdhsa_kernel _ZL22rocblas_gemvtsm_kernelILb0ELi256E16rocblas_bfloat16fS0_EviiT2_lPKT1_lilS4_lilS1_lPT3_lil
		.amdhsa_group_segment_fixed_size 256
		.amdhsa_private_segment_fixed_size 0
		.amdhsa_kernarg_size 136
		.amdhsa_user_sgpr_count 6
		.amdhsa_user_sgpr_private_segment_buffer 1
		.amdhsa_user_sgpr_dispatch_ptr 0
		.amdhsa_user_sgpr_queue_ptr 0
		.amdhsa_user_sgpr_kernarg_segment_ptr 1
		.amdhsa_user_sgpr_dispatch_id 0
		.amdhsa_user_sgpr_flat_scratch_init 0
		.amdhsa_user_sgpr_private_segment_size 0
		.amdhsa_wavefront_size32 1
		.amdhsa_uses_dynamic_stack 0
		.amdhsa_system_sgpr_private_segment_wavefront_offset 0
		.amdhsa_system_sgpr_workgroup_id_x 1
		.amdhsa_system_sgpr_workgroup_id_y 0
		.amdhsa_system_sgpr_workgroup_id_z 0
		.amdhsa_system_sgpr_workgroup_info 0
		.amdhsa_system_vgpr_workitem_id 0
		.amdhsa_next_free_vgpr 16
		.amdhsa_next_free_sgpr 26
		.amdhsa_reserve_vcc 1
		.amdhsa_reserve_flat_scratch 0
		.amdhsa_float_round_mode_32 0
		.amdhsa_float_round_mode_16_64 0
		.amdhsa_float_denorm_mode_32 3
		.amdhsa_float_denorm_mode_16_64 3
		.amdhsa_dx10_clamp 1
		.amdhsa_ieee_mode 1
		.amdhsa_fp16_overflow 0
		.amdhsa_workgroup_processor_mode 1
		.amdhsa_memory_ordered 1
		.amdhsa_forward_progress 1
		.amdhsa_shared_vgpr_count 0
		.amdhsa_exception_fp_ieee_invalid_op 0
		.amdhsa_exception_fp_denorm_src 0
		.amdhsa_exception_fp_ieee_div_zero 0
		.amdhsa_exception_fp_ieee_overflow 0
		.amdhsa_exception_fp_ieee_underflow 0
		.amdhsa_exception_fp_ieee_inexact 0
		.amdhsa_exception_int_div_zero 0
	.end_amdhsa_kernel
	.section	.text._ZL22rocblas_gemvtsm_kernelILb0ELi256E16rocblas_bfloat16fS0_EviiT2_lPKT1_lilS4_lilS1_lPT3_lil,"axG",@progbits,_ZL22rocblas_gemvtsm_kernelILb0ELi256E16rocblas_bfloat16fS0_EviiT2_lPKT1_lilS4_lilS1_lPT3_lil,comdat
.Lfunc_end555:
	.size	_ZL22rocblas_gemvtsm_kernelILb0ELi256E16rocblas_bfloat16fS0_EviiT2_lPKT1_lilS4_lilS1_lPT3_lil, .Lfunc_end555-_ZL22rocblas_gemvtsm_kernelILb0ELi256E16rocblas_bfloat16fS0_EviiT2_lPKT1_lilS4_lilS1_lPT3_lil
                                        ; -- End function
	.set _ZL22rocblas_gemvtsm_kernelILb0ELi256E16rocblas_bfloat16fS0_EviiT2_lPKT1_lilS4_lilS1_lPT3_lil.num_vgpr, 16
	.set _ZL22rocblas_gemvtsm_kernelILb0ELi256E16rocblas_bfloat16fS0_EviiT2_lPKT1_lilS4_lilS1_lPT3_lil.num_agpr, 0
	.set _ZL22rocblas_gemvtsm_kernelILb0ELi256E16rocblas_bfloat16fS0_EviiT2_lPKT1_lilS4_lilS1_lPT3_lil.numbered_sgpr, 26
	.set _ZL22rocblas_gemvtsm_kernelILb0ELi256E16rocblas_bfloat16fS0_EviiT2_lPKT1_lilS4_lilS1_lPT3_lil.num_named_barrier, 0
	.set _ZL22rocblas_gemvtsm_kernelILb0ELi256E16rocblas_bfloat16fS0_EviiT2_lPKT1_lilS4_lilS1_lPT3_lil.private_seg_size, 0
	.set _ZL22rocblas_gemvtsm_kernelILb0ELi256E16rocblas_bfloat16fS0_EviiT2_lPKT1_lilS4_lilS1_lPT3_lil.uses_vcc, 1
	.set _ZL22rocblas_gemvtsm_kernelILb0ELi256E16rocblas_bfloat16fS0_EviiT2_lPKT1_lilS4_lilS1_lPT3_lil.uses_flat_scratch, 0
	.set _ZL22rocblas_gemvtsm_kernelILb0ELi256E16rocblas_bfloat16fS0_EviiT2_lPKT1_lilS4_lilS1_lPT3_lil.has_dyn_sized_stack, 0
	.set _ZL22rocblas_gemvtsm_kernelILb0ELi256E16rocblas_bfloat16fS0_EviiT2_lPKT1_lilS4_lilS1_lPT3_lil.has_recursion, 0
	.set _ZL22rocblas_gemvtsm_kernelILb0ELi256E16rocblas_bfloat16fS0_EviiT2_lPKT1_lilS4_lilS1_lPT3_lil.has_indirect_call, 0
	.section	.AMDGPU.csdata,"",@progbits
; Kernel info:
; codeLenInByte = 2228
; TotalNumSgprs: 28
; NumVgprs: 16
; ScratchSize: 0
; MemoryBound: 0
; FloatMode: 240
; IeeeMode: 1
; LDSByteSize: 256 bytes/workgroup (compile time only)
; SGPRBlocks: 0
; VGPRBlocks: 1
; NumSGPRsForWavesPerEU: 28
; NumVGPRsForWavesPerEU: 16
; Occupancy: 16
; WaveLimiterHint : 1
; COMPUTE_PGM_RSRC2:SCRATCH_EN: 0
; COMPUTE_PGM_RSRC2:USER_SGPR: 6
; COMPUTE_PGM_RSRC2:TRAP_HANDLER: 0
; COMPUTE_PGM_RSRC2:TGID_X_EN: 1
; COMPUTE_PGM_RSRC2:TGID_Y_EN: 0
; COMPUTE_PGM_RSRC2:TGID_Z_EN: 0
; COMPUTE_PGM_RSRC2:TIDIG_COMP_CNT: 0
	.section	.text._ZL23rocblas_gemvt_sn_kernelILb0ELi256ELi4Ei16rocblas_bfloat16PKffEviiT4_lPKT3_lilS6_lilPT5_i,"axG",@progbits,_ZL23rocblas_gemvt_sn_kernelILb0ELi256ELi4Ei16rocblas_bfloat16PKffEviiT4_lPKT3_lilS6_lilPT5_i,comdat
	.globl	_ZL23rocblas_gemvt_sn_kernelILb0ELi256ELi4Ei16rocblas_bfloat16PKffEviiT4_lPKT3_lilS6_lilPT5_i ; -- Begin function _ZL23rocblas_gemvt_sn_kernelILb0ELi256ELi4Ei16rocblas_bfloat16PKffEviiT4_lPKT3_lilS6_lilPT5_i
	.p2align	8
	.type	_ZL23rocblas_gemvt_sn_kernelILb0ELi256ELi4Ei16rocblas_bfloat16PKffEviiT4_lPKT3_lilS6_lilPT5_i,@function
_ZL23rocblas_gemvt_sn_kernelILb0ELi256ELi4Ei16rocblas_bfloat16PKffEviiT4_lPKT3_lilS6_lilPT5_i: ; @_ZL23rocblas_gemvt_sn_kernelILb0ELi256ELi4Ei16rocblas_bfloat16PKffEviiT4_lPKT3_lilS6_lilPT5_i
; %bb.0:
	s_clause 0x2
	s_load_dwordx8 s[8:15], s[4:5], 0x8
	s_load_dwordx2 s[16:17], s[4:5], 0x0
	s_load_dword s18, s[4:5], 0x68
	s_mov_b32 s19, 0
	s_waitcnt lgkmcnt(0)
	s_mul_i32 s1, s11, s7
	s_mul_hi_u32 s2, s10, s7
	s_mul_i32 s0, s10, s7
	s_add_i32 s1, s2, s1
	s_mul_i32 s2, s17, s7
	s_lshl_b64 s[0:1], s[0:1], 2
	s_add_u32 s0, s8, s0
	s_addc_u32 s1, s9, s1
	s_load_dword s30, s[0:1], 0x0
	s_load_dwordx4 s[8:11], s[4:5], 0x50
	s_ashr_i32 s22, s17, 31
	s_mul_hi_u32 s0, s17, s7
	s_mul_i32 s1, s22, s7
	s_add_i32 s0, s0, s1
	s_mul_hi_u32 s1, s2, s18
	s_mul_i32 s3, s0, s18
	s_mul_i32 s0, s2, s18
	s_add_i32 s1, s1, s3
	s_lshl_b64 s[0:1], s[0:1], 2
	s_waitcnt lgkmcnt(0)
	v_cmp_neq_f32_e64 s2, s30, 0
	s_add_u32 s36, s10, s0
	v_cmp_eq_u32_e64 s0, 0, v0
	s_addc_u32 s35, s11, s1
	s_and_b32 vcc_lo, exec_lo, s2
	s_cbranch_vccnz .LBB556_5
; %bb.1:
	s_cmp_gt_i32 s17, 0
	s_cselect_b32 s1, -1, 0
	s_and_b32 s0, s0, s1
	s_and_saveexec_b32 s10, s0
	s_cbranch_execz .LBB556_4
; %bb.2:
	s_mov_b32 s0, s7
	s_mov_b32 s7, 0
	v_mov_b32_e32 v1, 0
	s_lshl_b64 s[2:3], s[6:7], 2
	s_mov_b32 s7, s0
	s_add_u32 s0, s36, s2
	s_addc_u32 s1, s35, s3
	s_lshl_b64 s[2:3], s[18:19], 2
	s_mov_b32 s11, s17
.LBB556_3:                              ; =>This Inner Loop Header: Depth=1
	s_add_i32 s11, s11, -1
	global_store_dword v1, v1, s[0:1]
	s_add_u32 s0, s0, s2
	s_addc_u32 s1, s1, s3
	s_cmp_eq_u32 s11, 0
	s_cbranch_scc0 .LBB556_3
.LBB556_4:
	s_or_b32 exec_lo, exec_lo, s10
	s_cbranch_execz .LBB556_6
	s_branch .LBB556_80
.LBB556_5:
.LBB556_6:
	s_clause 0x1
	s_load_dwordx4 s[0:3], s[4:5], 0x30
	s_load_dwordx2 s[10:11], s[4:5], 0x40
	s_mul_i32 s9, s9, s7
	s_mul_hi_u32 s19, s8, s7
	s_mul_i32 s8, s8, s7
	s_add_i32 s9, s19, s9
	s_load_dword s19, s[4:5], 0x48
	s_lshl_b64 s[8:9], s[8:9], 1
	v_and_b32_e32 v10, 31, v0
	v_mbcnt_lo_u32_b32 v24, -1, 0
	v_lshrrev_b32_e32 v25, 3, v0
	s_waitcnt lgkmcnt(0)
	s_add_u32 s8, s2, s8
	s_addc_u32 s9, s3, s9
	s_lshl_b64 s[2:3], s[10:11], 1
	s_mul_i32 s1, s1, s7
	s_mul_hi_u32 s20, s0, s7
	s_add_u32 s31, s8, s2
	s_mul_i32 s0, s0, s7
	s_addc_u32 s33, s9, s3
	s_add_i32 s1, s20, s1
	s_load_dword s10, s[4:5], 0x28
	s_lshl_b64 s[20:21], s[0:1], 1
	v_cmp_gt_u32_e64 s0, 32, v0
	s_add_u32 s1, s12, s20
	s_addc_u32 s2, s13, s21
	s_lshl_b64 s[14:15], s[14:15], 1
	s_add_u32 s3, s1, s14
	s_addc_u32 s2, s2, s15
	s_lshl_b32 s1, s6, 10
	s_ashr_i32 s4, s16, 31
	v_lshl_or_b32 v1, v0, 2, s1
	s_lshr_b32 s4, s4, 30
	s_lshr_b32 s5, s22, 30
	s_add_i32 s4, s16, s4
	s_add_i32 s5, s17, s5
	v_ashrrev_i32_e32 v2, 31, v1
	s_and_b32 s4, s4, -4
	v_mul_lo_u32 v9, s19, v1
	s_sub_i32 s34, s16, s4
	v_cmp_gt_u32_e64 s1, 8, v0
	v_lshlrev_b64 v[11:12], 1, v[1:2]
	v_add_nc_u32_e32 v26, 4, v1
	v_add_nc_u32_e32 v27, s34, v1
	s_and_b32 s37, s5, -4
	s_cmp_lt_i32 s37, 1
	v_add_co_u32 v22, vcc_lo, s3, v11
	v_add_co_ci_u32_e64 v23, null, s2, v12, vcc_lo
	s_cbranch_scc1 .LBB556_55
; %bb.7:
	v_cmp_gt_u32_e32 vcc_lo, 24, v24
	v_mul_lo_u32 v13, s19, v1
	s_cmp_gt_i32 s34, 0
	s_mov_b32 s9, 0
	s_cselect_b32 s38, -1, 0
	v_cndmask_b32_e64 v2, 0, 8, vcc_lo
	v_cmp_gt_u32_e32 vcc_lo, 28, v24
	s_waitcnt lgkmcnt(0)
	s_lshl_b32 s39, s10, 2
	s_lshl_b32 s8, s10, 1
	v_ashrrev_i32_e32 v14, 31, v13
	v_add_lshl_u32 v29, v2, v24, 2
	v_cndmask_b32_e64 v3, 0, 4, vcc_lo
	v_cmp_gt_u32_e32 vcc_lo, 30, v24
	s_add_u32 s7, s20, s14
	v_lshlrev_b64 v[5:6], 1, v[13:14]
	s_addc_u32 s22, s21, s15
	v_add_lshl_u32 v30, v3, v24, 2
	v_cndmask_b32_e64 v1, 0, 2, vcc_lo
	v_cmp_ne_u32_e32 vcc_lo, 31, v24
	s_add_u32 s7, s12, s7
	s_addc_u32 s22, s13, s22
	v_cmp_ge_i32_e64 s2, s16, v26
	v_add_lshl_u32 v31, v1, v24, 2
	v_add_nc_u32_e32 v1, s19, v13
	v_add_co_ci_u32_e64 v4, null, 0, v24, vcc_lo
	v_add_co_u32 v14, vcc_lo, s31, v5
	v_add_nc_u32_e32 v3, s19, v1
	v_ashrrev_i32_e32 v2, 31, v1
	v_lshlrev_b32_e32 v32, 2, v4
	v_add_co_ci_u32_e64 v15, null, s33, v6, vcc_lo
	v_add_nc_u32_e32 v7, s19, v3
	v_lshlrev_b64 v[1:2], 1, v[1:2]
	v_ashrrev_i32_e32 v4, 31, v3
	v_mov_b32_e32 v5, 0
	v_cmp_ge_i32_e64 s3, s16, v27
	v_ashrrev_i32_e32 v8, 31, v7
	v_lshl_or_b32 v28, v24, 2, 64
	v_lshlrev_b64 v[3:4], 1, v[3:4]
	v_add_co_u32 v16, vcc_lo, s31, v1
	v_add_co_ci_u32_e64 v17, null, s33, v2, vcc_lo
	v_lshlrev_b64 v[1:2], 1, v[7:8]
	v_add_co_u32 v18, vcc_lo, s31, v3
	v_mov_b32_e32 v6, v5
	v_mov_b32_e32 v7, v5
	;; [unrolled: 1-line block ×3, first 2 shown]
	v_add_co_ci_u32_e64 v19, null, s33, v4, vcc_lo
	v_add_co_u32 v20, vcc_lo, s31, v1
	v_add_co_ci_u32_e64 v21, null, s33, v2, vcc_lo
	v_add_co_u32 v35, vcc_lo, s7, v11
	v_mov_b32_e32 v1, v5
	v_cmp_eq_u32_e64 s4, 0, v10
	v_lshlrev_b32_e32 v33, 2, v10
	v_and_b32_e32 v34, 28, v25
	v_cmp_eq_u32_e64 s5, 0, v0
	v_add_co_ci_u32_e64 v36, null, s22, v12, vcc_lo
	v_mov_b32_e32 v2, v6
	v_mov_b32_e32 v3, v7
	;; [unrolled: 1-line block ×3, first 2 shown]
	s_mov_b32 s11, s9
	s_mul_i32 s40, s10, 3
	s_mov_b32 s41, s9
	s_mov_b32 s22, s9
	s_mov_b64 s[24:25], s[8:9]
	s_mov_b64 s[26:27], s[10:11]
	s_mov_b32 s11, 0
	s_branch .LBB556_9
.LBB556_8:                              ;   in Loop: Header=BB556_9 Depth=1
	s_or_b32 exec_lo, exec_lo, s7
	s_add_i32 s11, s11, 4
	s_add_u32 s26, s26, s39
	s_addc_u32 s27, s27, 0
	s_add_u32 s24, s24, s39
	s_addc_u32 s25, s25, 0
	;; [unrolled: 2-line block ×3, first 2 shown]
	s_add_i32 s22, s22, s39
	s_cmp_ge_i32 s11, s37
	s_cbranch_scc1 .LBB556_56
.LBB556_9:                              ; =>This Loop Header: Depth=1
                                        ;     Child Loop BB556_40 Depth 2
                                        ;     Child Loop BB556_43 Depth 2
                                        ; implicit-def: $vgpr8
                                        ; implicit-def: $vgpr37
                                        ; implicit-def: $vgpr38
                                        ; implicit-def: $vgpr39
	s_and_saveexec_b32 s7, s2
	s_xor_b32 s7, exec_lo, s7
	s_cbranch_execnz .LBB556_36
; %bb.10:                               ;   in Loop: Header=BB556_9 Depth=1
	s_andn2_saveexec_b32 s42, s7
	s_cbranch_execnz .LBB556_37
.LBB556_11:                             ;   in Loop: Header=BB556_9 Depth=1
	s_or_b32 exec_lo, exec_lo, s42
	s_and_saveexec_b32 s7, s0
.LBB556_12:                             ;   in Loop: Header=BB556_9 Depth=1
	ds_write_b32 v33, v5
.LBB556_13:                             ;   in Loop: Header=BB556_9 Depth=1
	s_or_b32 exec_lo, exec_lo, s7
	ds_bpermute_b32 v6, v28, v39
	s_waitcnt lgkmcnt(0)
	s_waitcnt_vscnt null, 0x0
	s_barrier
	buffer_gl0_inv
	v_add_f32_e32 v6, v39, v6
	ds_bpermute_b32 v7, v29, v6
	s_waitcnt lgkmcnt(0)
	v_add_f32_e32 v6, v6, v7
	ds_bpermute_b32 v7, v30, v6
	s_waitcnt lgkmcnt(0)
	;; [unrolled: 3-line block ×3, first 2 shown]
	v_add_f32_e32 v6, v6, v7
	ds_bpermute_b32 v7, v32, v6
	s_and_saveexec_b32 s7, s4
	s_cbranch_execz .LBB556_15
; %bb.14:                               ;   in Loop: Header=BB556_9 Depth=1
	s_waitcnt lgkmcnt(0)
	v_add_f32_e32 v6, v6, v7
	ds_write_b32 v34, v6
.LBB556_15:                             ;   in Loop: Header=BB556_9 Depth=1
	s_or_b32 exec_lo, exec_lo, s7
	v_mov_b32_e32 v6, 0
	s_waitcnt lgkmcnt(0)
	s_barrier
	buffer_gl0_inv
	s_and_saveexec_b32 s7, s1
	s_cbranch_execnz .LBB556_44
; %bb.16:                               ;   in Loop: Header=BB556_9 Depth=1
	s_or_b32 exec_lo, exec_lo, s7
	s_and_saveexec_b32 s7, s0
	s_cbranch_execnz .LBB556_45
.LBB556_17:                             ;   in Loop: Header=BB556_9 Depth=1
	s_or_b32 exec_lo, exec_lo, s7
	s_and_saveexec_b32 s7, s0
.LBB556_18:                             ;   in Loop: Header=BB556_9 Depth=1
	ds_write_b32 v33, v5
.LBB556_19:                             ;   in Loop: Header=BB556_9 Depth=1
	s_or_b32 exec_lo, exec_lo, s7
	ds_bpermute_b32 v7, v28, v38
	s_waitcnt lgkmcnt(0)
	s_barrier
	buffer_gl0_inv
	v_add_f32_e32 v7, v38, v7
	ds_bpermute_b32 v38, v29, v7
	s_waitcnt lgkmcnt(0)
	v_add_f32_e32 v7, v7, v38
	ds_bpermute_b32 v38, v30, v7
	s_waitcnt lgkmcnt(0)
	;; [unrolled: 3-line block ×3, first 2 shown]
	v_add_f32_e32 v7, v7, v38
	ds_bpermute_b32 v38, v32, v7
	s_and_saveexec_b32 s7, s4
	s_cbranch_execz .LBB556_21
; %bb.20:                               ;   in Loop: Header=BB556_9 Depth=1
	s_waitcnt lgkmcnt(0)
	v_add_f32_e32 v7, v7, v38
	ds_write_b32 v34, v7
.LBB556_21:                             ;   in Loop: Header=BB556_9 Depth=1
	s_or_b32 exec_lo, exec_lo, s7
	v_mov_b32_e32 v7, 0
	s_waitcnt lgkmcnt(0)
	s_barrier
	buffer_gl0_inv
	s_and_saveexec_b32 s7, s1
	s_cbranch_execnz .LBB556_46
; %bb.22:                               ;   in Loop: Header=BB556_9 Depth=1
	s_or_b32 exec_lo, exec_lo, s7
	s_and_saveexec_b32 s7, s0
	s_cbranch_execnz .LBB556_47
.LBB556_23:                             ;   in Loop: Header=BB556_9 Depth=1
	s_or_b32 exec_lo, exec_lo, s7
	s_and_saveexec_b32 s7, s0
.LBB556_24:                             ;   in Loop: Header=BB556_9 Depth=1
	ds_write_b32 v33, v5
.LBB556_25:                             ;   in Loop: Header=BB556_9 Depth=1
	s_or_b32 exec_lo, exec_lo, s7
	ds_bpermute_b32 v38, v28, v37
	s_waitcnt lgkmcnt(0)
	s_barrier
	buffer_gl0_inv
	v_add_f32_e32 v37, v37, v38
	ds_bpermute_b32 v38, v29, v37
	s_waitcnt lgkmcnt(0)
	v_add_f32_e32 v37, v37, v38
	ds_bpermute_b32 v38, v30, v37
	s_waitcnt lgkmcnt(0)
	;; [unrolled: 3-line block ×3, first 2 shown]
	v_add_f32_e32 v37, v37, v38
	ds_bpermute_b32 v38, v32, v37
	s_and_saveexec_b32 s7, s4
	s_cbranch_execz .LBB556_27
; %bb.26:                               ;   in Loop: Header=BB556_9 Depth=1
	s_waitcnt lgkmcnt(0)
	v_add_f32_e32 v37, v37, v38
	ds_write_b32 v34, v37
.LBB556_27:                             ;   in Loop: Header=BB556_9 Depth=1
	s_or_b32 exec_lo, exec_lo, s7
	v_mov_b32_e32 v37, 0
	s_waitcnt lgkmcnt(0)
	s_barrier
	buffer_gl0_inv
	s_and_saveexec_b32 s7, s1
	s_cbranch_execnz .LBB556_48
; %bb.28:                               ;   in Loop: Header=BB556_9 Depth=1
	s_or_b32 exec_lo, exec_lo, s7
	s_and_saveexec_b32 s7, s0
	s_cbranch_execnz .LBB556_49
.LBB556_29:                             ;   in Loop: Header=BB556_9 Depth=1
	s_or_b32 exec_lo, exec_lo, s7
	s_and_saveexec_b32 s7, s0
.LBB556_30:                             ;   in Loop: Header=BB556_9 Depth=1
	ds_write_b32 v33, v5
.LBB556_31:                             ;   in Loop: Header=BB556_9 Depth=1
	s_or_b32 exec_lo, exec_lo, s7
	ds_bpermute_b32 v38, v28, v8
	s_waitcnt lgkmcnt(0)
	s_barrier
	buffer_gl0_inv
	v_add_f32_e32 v8, v8, v38
	ds_bpermute_b32 v38, v29, v8
	s_waitcnt lgkmcnt(0)
	v_add_f32_e32 v8, v8, v38
	ds_bpermute_b32 v38, v30, v8
	s_waitcnt lgkmcnt(0)
	;; [unrolled: 3-line block ×3, first 2 shown]
	v_add_f32_e32 v8, v8, v38
	ds_bpermute_b32 v38, v32, v8
	s_and_saveexec_b32 s7, s4
	s_cbranch_execz .LBB556_33
; %bb.32:                               ;   in Loop: Header=BB556_9 Depth=1
	s_waitcnt lgkmcnt(0)
	v_add_f32_e32 v8, v8, v38
	ds_write_b32 v34, v8
.LBB556_33:                             ;   in Loop: Header=BB556_9 Depth=1
	s_or_b32 exec_lo, exec_lo, s7
	v_mov_b32_e32 v8, 0
	s_waitcnt lgkmcnt(0)
	s_barrier
	buffer_gl0_inv
	s_and_saveexec_b32 s7, s1
	s_cbranch_execnz .LBB556_50
; %bb.34:                               ;   in Loop: Header=BB556_9 Depth=1
	s_or_b32 exec_lo, exec_lo, s7
	s_and_saveexec_b32 s7, s0
	s_cbranch_execnz .LBB556_51
.LBB556_35:                             ;   in Loop: Header=BB556_9 Depth=1
	s_or_b32 exec_lo, exec_lo, s7
	s_and_saveexec_b32 s7, s5
	s_cbranch_execz .LBB556_8
	s_branch .LBB556_52
.LBB556_36:                             ;   in Loop: Header=BB556_9 Depth=1
	s_mul_i32 s28, s11, s10
	s_ashr_i32 s29, s28, 31
	s_add_i32 s42, s28, s10
	s_lshl_b64 s[28:29], s[28:29], 1
	s_ashr_i32 s43, s42, 31
	v_add_co_u32 v1, vcc_lo, v22, s28
	v_add_co_ci_u32_e64 v2, null, s29, v23, vcc_lo
	s_lshl_b64 s[28:29], s[42:43], 1
	v_add_co_u32 v3, vcc_lo, v22, s28
	s_add_i32 s28, s42, s10
	v_add_co_ci_u32_e64 v4, null, s29, v23, vcc_lo
	s_ashr_i32 s29, s28, 31
	s_add_i32 s42, s28, s10
	s_lshl_b64 s[28:29], s[28:29], 1
	s_clause 0x1
	global_load_dwordx2 v[6:7], v[1:2], off
	global_load_dwordx2 v[37:38], v[3:4], off
	s_ashr_i32 s43, s42, 31
	v_add_co_u32 v1, vcc_lo, v22, s28
	v_add_co_ci_u32_e64 v2, null, s29, v23, vcc_lo
	s_lshl_b64 s[28:29], s[42:43], 1
	s_waitcnt lgkmcnt(0)
	s_clause 0x2
	global_load_ushort v8, v[14:15], off
	global_load_ushort v43, v[16:17], off
	;; [unrolled: 1-line block ×3, first 2 shown]
	v_add_co_u32 v3, vcc_lo, v22, s28
	v_add_co_ci_u32_e64 v4, null, s29, v23, vcc_lo
	s_clause 0x1
	global_load_dwordx2 v[39:40], v[1:2], off
	global_load_dwordx2 v[41:42], v[3:4], off
	global_load_ushort v4, v[20:21], off
	s_waitcnt vmcnt(6)
	v_and_b32_e32 v45, 0xffff0000, v37
	v_lshlrev_b32_e32 v46, 16, v38
	v_and_b32_e32 v47, 0xffff0000, v38
	s_waitcnt vmcnt(5)
	v_lshlrev_b32_e32 v1, 16, v8
	v_lshlrev_b32_e32 v8, 16, v6
	s_waitcnt vmcnt(3)
	v_lshlrev_b32_e32 v3, 16, v44
	v_lshlrev_b32_e32 v44, 16, v37
	;; [unrolled: 1-line block ×3, first 2 shown]
	v_and_b32_e32 v6, 0xffff0000, v6
	v_lshlrev_b32_e32 v43, 16, v7
	s_waitcnt vmcnt(2)
	v_lshlrev_b32_e32 v37, 16, v39
	s_waitcnt vmcnt(1)
	v_lshlrev_b32_e32 v50, 16, v41
	v_and_b32_e32 v48, 0xffff0000, v39
	v_fma_f32 v39, v1, v8, 0
	v_and_b32_e32 v41, 0xffff0000, v41
	v_fma_f32 v38, v1, v44, 0
	v_fma_f32 v37, v1, v37, 0
	;; [unrolled: 1-line block ×3, first 2 shown]
	v_lshlrev_b32_e32 v49, 16, v40
	v_fmac_f32_e32 v39, v2, v6
	v_fmac_f32_e32 v38, v2, v45
	;; [unrolled: 1-line block ×4, first 2 shown]
	v_lshlrev_b32_e32 v6, 16, v42
	v_and_b32_e32 v7, 0xffff0000, v7
	v_and_b32_e32 v40, 0xffff0000, v40
	;; [unrolled: 1-line block ×3, first 2 shown]
	s_waitcnt vmcnt(0)
	v_lshlrev_b32_e32 v4, 16, v4
	v_fmac_f32_e32 v39, v3, v43
	v_fmac_f32_e32 v38, v3, v46
	;; [unrolled: 1-line block ×8, first 2 shown]
	s_andn2_saveexec_b32 s42, s7
	s_cbranch_execz .LBB556_11
.LBB556_37:                             ;   in Loop: Header=BB556_9 Depth=1
	s_waitcnt lgkmcnt(0)
	v_mov_b32_e32 v8, 0
	v_mov_b32_e32 v37, 0
	v_mov_b32_e32 v38, 0
	v_mov_b32_e32 v39, 0
	s_and_saveexec_b32 s43, s3
	s_cbranch_execz .LBB556_54
; %bb.38:                               ;   in Loop: Header=BB556_9 Depth=1
	s_andn2_b32 vcc_lo, exec_lo, s38
	s_cbranch_vccnz .LBB556_41
; %bb.39:                               ;   in Loop: Header=BB556_9 Depth=1
	v_mov_b32_e32 v6, v13
	s_mov_b64 s[28:29], 0
	.p2align	6
.LBB556_40:                             ;   Parent Loop BB556_9 Depth=1
                                        ; =>  This Inner Loop Header: Depth=2
	v_ashrrev_i32_e32 v7, 31, v6
	s_cmp_eq_u32 s28, 3
	v_lshlrev_b64 v[7:8], 1, v[6:7]
	v_add_nc_u32_e32 v6, s19, v6
	v_add_co_u32 v7, vcc_lo, s31, v7
	v_add_co_ci_u32_e64 v8, null, s33, v8, vcc_lo
	s_cselect_b32 vcc_lo, -1, 0
	s_cmp_eq_u32 s28, 2
	s_cselect_b32 s7, -1, 0
	global_load_ushort v7, v[7:8], off
	s_cmp_eq_u32 s28, 1
	s_cselect_b32 s8, -1, 0
	s_cmp_eq_u32 s28, 0
	s_waitcnt vmcnt(0)
	v_lshlrev_b32_e32 v7, 16, v7
	v_cndmask_b32_e32 v4, v4, v7, vcc_lo
	s_cselect_b32 vcc_lo, -1, 0
	v_cndmask_b32_e64 v3, v3, v7, s7
	v_cndmask_b32_e64 v2, v2, v7, s8
	v_cndmask_b32_e32 v1, v1, v7, vcc_lo
	s_add_u32 s28, s28, 1
	s_addc_u32 s29, s29, 0
	s_cmp_eq_u32 s34, s28
	s_cbranch_scc0 .LBB556_40
.LBB556_41:                             ;   in Loop: Header=BB556_9 Depth=1
	s_andn2_b32 vcc_lo, exec_lo, s38
	s_cbranch_vccnz .LBB556_53
; %bb.42:                               ;   in Loop: Header=BB556_9 Depth=1
	s_ashr_i32 s23, s22, 31
	v_mov_b32_e32 v39, 0
	s_lshl_b64 s[28:29], s[22:23], 1
	v_mov_b32_e32 v38, 0
	v_add_co_u32 v6, vcc_lo, v35, s28
	v_add_co_ci_u32_e64 v7, null, s29, v36, vcc_lo
	v_mov_b32_e32 v37, 0
	v_mov_b32_e32 v8, 0
	s_mov_b64 s[28:29], 0
.LBB556_43:                             ;   Parent Loop BB556_9 Depth=1
                                        ; =>  This Inner Loop Header: Depth=2
	s_cmp_eq_u32 s28, 1
	s_cselect_b32 vcc_lo, -1, 0
	s_cmp_eq_u32 s28, 2
	v_cndmask_b32_e32 v40, v1, v2, vcc_lo
	s_cselect_b32 vcc_lo, -1, 0
	s_cmp_eq_u32 s28, 3
	v_cndmask_b32_e32 v46, v40, v3, vcc_lo
	s_cselect_b32 vcc_lo, -1, 0
	s_add_i32 s44, s26, s28
	s_add_i32 s46, s24, s28
	s_ashr_i32 s45, s44, 31
	s_add_i32 s48, s40, s28
	s_ashr_i32 s47, s46, 31
	s_lshl_b64 s[44:45], s[44:45], 1
	s_ashr_i32 s49, s48, 31
	s_lshl_b64 s[46:47], s[46:47], 1
	v_add_co_u32 v40, s7, v22, s44
	s_lshl_b64 s[48:49], s[48:49], 1
	v_add_co_ci_u32_e64 v41, null, s45, v23, s7
	v_add_co_u32 v42, s7, v22, s46
	v_add_co_ci_u32_e64 v43, null, s47, v23, s7
	v_add_co_u32 v44, s7, v22, s48
	v_add_co_ci_u32_e64 v45, null, s49, v23, s7
	global_load_ushort v47, v[6:7], off
	s_clause 0x2
	global_load_ushort v40, v[40:41], off
	global_load_ushort v41, v[42:43], off
	;; [unrolled: 1-line block ×3, first 2 shown]
	v_cndmask_b32_e32 v43, v46, v4, vcc_lo
	v_add_co_u32 v6, s7, v6, 2
	v_add_co_ci_u32_e64 v7, null, 0, v7, s7
	s_add_u32 s28, s28, 1
	s_addc_u32 s29, s29, 0
	s_cmp_lg_u32 s34, s28
	s_waitcnt vmcnt(3)
	v_lshlrev_b32_e32 v44, 16, v47
	s_waitcnt vmcnt(2)
	v_lshlrev_b32_e32 v40, 16, v40
	;; [unrolled: 2-line block ×4, first 2 shown]
	v_fmac_f32_e32 v39, v43, v44
	v_fmac_f32_e32 v38, v43, v40
	;; [unrolled: 1-line block ×4, first 2 shown]
	s_cbranch_scc1 .LBB556_43
	s_branch .LBB556_54
.LBB556_44:                             ;   in Loop: Header=BB556_9 Depth=1
	ds_read_b32 v6, v33
	s_or_b32 exec_lo, exec_lo, s7
	s_and_saveexec_b32 s7, s0
	s_cbranch_execz .LBB556_17
.LBB556_45:                             ;   in Loop: Header=BB556_9 Depth=1
	s_waitcnt lgkmcnt(0)
	ds_bpermute_b32 v7, v30, v6
	s_waitcnt lgkmcnt(0)
	v_add_f32_e32 v6, v6, v7
	ds_bpermute_b32 v7, v31, v6
	s_waitcnt lgkmcnt(0)
	v_add_f32_e32 v6, v6, v7
	;; [unrolled: 3-line block ×3, first 2 shown]
	s_or_b32 exec_lo, exec_lo, s7
	s_and_saveexec_b32 s7, s0
	s_cbranch_execnz .LBB556_18
	s_branch .LBB556_19
.LBB556_46:                             ;   in Loop: Header=BB556_9 Depth=1
	ds_read_b32 v7, v33
	s_or_b32 exec_lo, exec_lo, s7
	s_and_saveexec_b32 s7, s0
	s_cbranch_execz .LBB556_23
.LBB556_47:                             ;   in Loop: Header=BB556_9 Depth=1
	s_waitcnt lgkmcnt(0)
	ds_bpermute_b32 v38, v30, v7
	s_waitcnt lgkmcnt(0)
	v_add_f32_e32 v7, v7, v38
	ds_bpermute_b32 v38, v31, v7
	s_waitcnt lgkmcnt(0)
	v_add_f32_e32 v7, v7, v38
	;; [unrolled: 3-line block ×3, first 2 shown]
	s_or_b32 exec_lo, exec_lo, s7
	s_and_saveexec_b32 s7, s0
	s_cbranch_execnz .LBB556_24
	s_branch .LBB556_25
.LBB556_48:                             ;   in Loop: Header=BB556_9 Depth=1
	ds_read_b32 v37, v33
	s_or_b32 exec_lo, exec_lo, s7
	s_and_saveexec_b32 s7, s0
	s_cbranch_execz .LBB556_29
.LBB556_49:                             ;   in Loop: Header=BB556_9 Depth=1
	s_waitcnt lgkmcnt(0)
	ds_bpermute_b32 v38, v30, v37
	s_waitcnt lgkmcnt(0)
	v_add_f32_e32 v37, v37, v38
	ds_bpermute_b32 v38, v31, v37
	s_waitcnt lgkmcnt(0)
	v_add_f32_e32 v37, v37, v38
	;; [unrolled: 3-line block ×3, first 2 shown]
	s_or_b32 exec_lo, exec_lo, s7
	s_and_saveexec_b32 s7, s0
	s_cbranch_execnz .LBB556_30
	s_branch .LBB556_31
.LBB556_50:                             ;   in Loop: Header=BB556_9 Depth=1
	ds_read_b32 v8, v33
	s_or_b32 exec_lo, exec_lo, s7
	s_and_saveexec_b32 s7, s0
	s_cbranch_execz .LBB556_35
.LBB556_51:                             ;   in Loop: Header=BB556_9 Depth=1
	s_waitcnt lgkmcnt(0)
	ds_bpermute_b32 v38, v30, v8
	s_waitcnt lgkmcnt(0)
	v_add_f32_e32 v8, v8, v38
	ds_bpermute_b32 v38, v31, v8
	s_waitcnt lgkmcnt(0)
	v_add_f32_e32 v8, v8, v38
	;; [unrolled: 3-line block ×3, first 2 shown]
	s_or_b32 exec_lo, exec_lo, s7
	s_and_saveexec_b32 s7, s5
	s_cbranch_execz .LBB556_8
.LBB556_52:                             ;   in Loop: Header=BB556_9 Depth=1
	s_mul_i32 s8, s11, s18
	v_mul_f32_e32 v6, s30, v6
	s_add_i32 s8, s8, s6
	v_mul_f32_e32 v7, s30, v7
	s_lshl_b64 s[28:29], s[8:9], 2
	v_mul_f32_e32 v37, s30, v37
	s_add_u32 s28, s36, s28
	s_addc_u32 s29, s35, s29
	s_add_i32 s8, s8, s18
	global_store_dword v5, v6, s[28:29]
	s_lshl_b64 s[42:43], s[8:9], 2
	s_waitcnt lgkmcnt(0)
	v_mul_f32_e32 v6, s30, v8
	s_add_u32 s42, s36, s42
	s_addc_u32 s43, s35, s43
	s_add_i32 s8, s8, s18
	global_store_dword v5, v7, s[42:43]
	s_lshl_b64 s[44:45], s[8:9], 2
	s_add_u32 s28, s36, s44
	s_addc_u32 s29, s35, s45
	s_add_i32 s8, s8, s18
	s_lshl_b64 s[44:45], s[8:9], 2
	s_add_u32 s42, s36, s44
	s_addc_u32 s43, s35, s45
	global_store_dword v5, v37, s[28:29]
	global_store_dword v5, v6, s[42:43]
	s_branch .LBB556_8
.LBB556_53:                             ;   in Loop: Header=BB556_9 Depth=1
	v_mov_b32_e32 v8, 0
	v_mov_b32_e32 v37, 0
	;; [unrolled: 1-line block ×4, first 2 shown]
.LBB556_54:                             ;   in Loop: Header=BB556_9 Depth=1
	s_or_b32 exec_lo, exec_lo, s43
	s_or_b32 exec_lo, exec_lo, s42
	s_and_saveexec_b32 s7, s0
	s_cbranch_execnz .LBB556_12
	s_branch .LBB556_13
.LBB556_55:
	v_mov_b32_e32 v1, 0
	s_mov_b32 s11, 0
	v_mov_b32_e32 v2, v1
	v_mov_b32_e32 v3, v1
	;; [unrolled: 1-line block ×3, first 2 shown]
.LBB556_56:
	s_cmp_ge_i32 s11, s17
	s_cbranch_scc1 .LBB556_80
; %bb.57:
	v_cmp_gt_u32_e32 vcc_lo, 24, v24
	v_lshlrev_b32_e32 v17, 2, v10
	v_cmp_eq_u32_e64 s3, 0, v10
	v_ashrrev_i32_e32 v10, 31, v9
	v_cmp_ge_i32_e64 s0, s16, v26
	v_cndmask_b32_e64 v5, 0, 8, vcc_lo
	v_cmp_gt_u32_e32 vcc_lo, 28, v24
	v_lshl_or_b32 v18, v24, 2, 64
	v_lshlrev_b64 v[13:14], 1, v[9:10]
	v_cmp_ge_i32_e64 s1, s16, v27
	v_add_lshl_u32 v19, v5, v24, 2
	v_cndmask_b32_e64 v6, 0, 4, vcc_lo
	v_cmp_gt_u32_e32 vcc_lo, 30, v24
	v_add_nc_u32_e32 v5, s19, v9
	s_cmp_gt_i32 s34, 0
	s_mov_b32 s7, 0
	v_add_lshl_u32 v20, v6, v24, 2
	v_cndmask_b32_e64 v7, 0, 2, vcc_lo
	v_cmp_ne_u32_e32 vcc_lo, 31, v24
	v_ashrrev_i32_e32 v6, 31, v5
	s_cselect_b32 s16, -1, 0
	s_lshl_b64 s[8:9], s[6:7], 2
	v_add_lshl_u32 v21, v7, v24, 2
	v_add_nc_u32_e32 v7, s19, v5
	s_waitcnt lgkmcnt(0)
	v_add_co_ci_u32_e64 v8, null, 0, v24, vcc_lo
	v_lshlrev_b64 v[15:16], 1, v[5:6]
	v_add_co_u32 v5, vcc_lo, s31, v13
	v_add_nc_u32_e32 v26, s19, v7
	v_lshlrev_b32_e32 v24, 2, v8
	v_ashrrev_i32_e32 v8, 31, v7
	v_add_co_ci_u32_e64 v6, null, s33, v14, vcc_lo
	v_ashrrev_i32_e32 v27, 31, v26
	s_add_u32 s22, s36, s8
	v_lshlrev_b64 v[13:14], 1, v[7:8]
	v_add_co_u32 v7, vcc_lo, s31, v15
	v_add_co_ci_u32_e64 v8, null, s33, v16, vcc_lo
	v_lshlrev_b64 v[15:16], 1, v[26:27]
	s_addc_u32 s23, s35, s9
	v_add_co_u32 v13, vcc_lo, s31, v13
	s_add_u32 s6, s20, s14
	s_addc_u32 s8, s21, s15
	v_add_co_ci_u32_e64 v14, null, s33, v14, vcc_lo
	v_add_co_u32 v15, vcc_lo, s31, v15
	s_add_u32 s6, s12, s6
	v_cmp_gt_u32_e64 s2, 32, v0
	v_cmp_gt_u32_e64 s4, 8, v0
	v_cmp_eq_u32_e64 s5, 0, v0
	v_add_co_ci_u32_e64 v16, null, s33, v16, vcc_lo
	s_addc_u32 s8, s13, s8
	v_add_co_u32 v0, vcc_lo, s6, v11
	v_and_b32_e32 v25, 28, v25
	v_add_co_ci_u32_e64 v12, null, s8, v12, vcc_lo
	v_mov_b32_e32 v26, 0
	s_mul_i32 s12, s11, s10
	s_branch .LBB556_59
.LBB556_58:                             ;   in Loop: Header=BB556_59 Depth=1
	s_or_b32 exec_lo, exec_lo, s6
	s_add_i32 s11, s11, 1
	s_add_i32 s12, s12, s10
	s_cmp_ge_i32 s11, s17
	s_cbranch_scc1 .LBB556_80
.LBB556_59:                             ; =>This Loop Header: Depth=1
                                        ;     Child Loop BB556_72 Depth 2
                                        ;     Child Loop BB556_75 Depth 2
	v_mov_b32_e32 v27, s7
	s_and_saveexec_b32 s6, s0
	s_xor_b32 s6, exec_lo, s6
	s_cbranch_execnz .LBB556_68
; %bb.60:                               ;   in Loop: Header=BB556_59 Depth=1
	s_andn2_saveexec_b32 s20, s6
	s_cbranch_execnz .LBB556_69
.LBB556_61:                             ;   in Loop: Header=BB556_59 Depth=1
	s_or_b32 exec_lo, exec_lo, s20
	s_and_saveexec_b32 s6, s2
.LBB556_62:                             ;   in Loop: Header=BB556_59 Depth=1
	ds_write_b32 v17, v26
.LBB556_63:                             ;   in Loop: Header=BB556_59 Depth=1
	s_or_b32 exec_lo, exec_lo, s6
	s_waitcnt lgkmcnt(0)
	ds_bpermute_b32 v10, v18, v27
	s_waitcnt lgkmcnt(0)
	s_waitcnt_vscnt null, 0x0
	s_barrier
	buffer_gl0_inv
	v_add_f32_e32 v10, v27, v10
	ds_bpermute_b32 v11, v19, v10
	s_waitcnt lgkmcnt(0)
	v_add_f32_e32 v10, v10, v11
	ds_bpermute_b32 v11, v20, v10
	s_waitcnt lgkmcnt(0)
	;; [unrolled: 3-line block ×3, first 2 shown]
	v_add_f32_e32 v10, v10, v11
	ds_bpermute_b32 v11, v24, v10
	s_and_saveexec_b32 s6, s3
	s_cbranch_execz .LBB556_65
; %bb.64:                               ;   in Loop: Header=BB556_59 Depth=1
	s_waitcnt lgkmcnt(0)
	v_add_f32_e32 v10, v10, v11
	ds_write_b32 v25, v10
.LBB556_65:                             ;   in Loop: Header=BB556_59 Depth=1
	s_or_b32 exec_lo, exec_lo, s6
	v_mov_b32_e32 v10, 0
	s_waitcnt lgkmcnt(0)
	s_barrier
	buffer_gl0_inv
	s_and_saveexec_b32 s6, s4
	s_cbranch_execnz .LBB556_77
; %bb.66:                               ;   in Loop: Header=BB556_59 Depth=1
	s_or_b32 exec_lo, exec_lo, s6
	s_and_saveexec_b32 s6, s2
	s_cbranch_execnz .LBB556_78
.LBB556_67:                             ;   in Loop: Header=BB556_59 Depth=1
	s_or_b32 exec_lo, exec_lo, s6
	s_and_saveexec_b32 s6, s5
	s_cbranch_execz .LBB556_58
	s_branch .LBB556_79
.LBB556_68:                             ;   in Loop: Header=BB556_59 Depth=1
	s_mul_i32 s8, s11, s10
	s_ashr_i32 s9, s8, 31
	s_lshl_b64 s[8:9], s[8:9], 1
	v_add_co_u32 v1, vcc_lo, v22, s8
	v_add_co_ci_u32_e64 v2, null, s9, v23, vcc_lo
	global_load_ushort v3, v[5:6], off
	s_waitcnt lgkmcnt(0)
	global_load_dwordx2 v[10:11], v[1:2], off
	s_clause 0x2
	global_load_ushort v2, v[7:8], off
	global_load_ushort v4, v[13:14], off
	global_load_ushort v28, v[15:16], off
	s_waitcnt vmcnt(4)
	v_lshlrev_b32_e32 v1, 16, v3
	s_waitcnt vmcnt(3)
	v_lshlrev_b32_e32 v3, 16, v10
	;; [unrolled: 2-line block ×3, first 2 shown]
	v_and_b32_e32 v10, 0xffff0000, v10
	v_fma_f32 v27, v1, v3, 0
	s_waitcnt vmcnt(1)
	v_lshlrev_b32_e32 v3, 16, v4
	s_waitcnt vmcnt(0)
	v_lshlrev_b32_e32 v4, 16, v28
	v_fmac_f32_e32 v27, v2, v10
	v_lshlrev_b32_e32 v10, 16, v11
	v_and_b32_e32 v11, 0xffff0000, v11
	v_fmac_f32_e32 v27, v3, v10
	v_fmac_f32_e32 v27, v4, v11
	s_andn2_saveexec_b32 s20, s6
	s_cbranch_execz .LBB556_61
.LBB556_69:                             ;   in Loop: Header=BB556_59 Depth=1
	s_and_saveexec_b32 s21, s1
	s_cbranch_execz .LBB556_76
; %bb.70:                               ;   in Loop: Header=BB556_59 Depth=1
	s_andn2_b32 vcc_lo, exec_lo, s16
	s_cbranch_vccnz .LBB556_73
; %bb.71:                               ;   in Loop: Header=BB556_59 Depth=1
	s_waitcnt lgkmcnt(0)
	v_mov_b32_e32 v10, v9
	s_mov_b64 s[14:15], 0
	.p2align	6
.LBB556_72:                             ;   Parent Loop BB556_59 Depth=1
                                        ; =>  This Inner Loop Header: Depth=2
	v_ashrrev_i32_e32 v11, 31, v10
	s_cmp_eq_u32 s14, 3
	v_lshlrev_b64 v[28:29], 1, v[10:11]
	v_add_nc_u32_e32 v10, s19, v10
	v_add_co_u32 v28, vcc_lo, s31, v28
	v_add_co_ci_u32_e64 v29, null, s33, v29, vcc_lo
	s_cselect_b32 vcc_lo, -1, 0
	s_cmp_eq_u32 s14, 2
	s_cselect_b32 s6, -1, 0
	global_load_ushort v11, v[28:29], off
	s_cmp_eq_u32 s14, 1
	s_cselect_b32 s8, -1, 0
	s_cmp_eq_u32 s14, 0
	s_waitcnt vmcnt(0)
	v_lshlrev_b32_e32 v11, 16, v11
	v_cndmask_b32_e32 v4, v4, v11, vcc_lo
	s_cselect_b32 vcc_lo, -1, 0
	v_cndmask_b32_e64 v3, v3, v11, s6
	v_cndmask_b32_e64 v2, v2, v11, s8
	v_cndmask_b32_e32 v1, v1, v11, vcc_lo
	s_add_u32 s14, s14, 1
	s_addc_u32 s15, s15, 0
	s_cmp_eq_u32 s34, s14
	s_cbranch_scc0 .LBB556_72
.LBB556_73:                             ;   in Loop: Header=BB556_59 Depth=1
	s_andn2_b32 vcc_lo, exec_lo, s16
	s_cbranch_vccnz .LBB556_76
; %bb.74:                               ;   in Loop: Header=BB556_59 Depth=1
	s_ashr_i32 s13, s12, 31
	s_lshl_b64 s[8:9], s[12:13], 1
	s_waitcnt lgkmcnt(0)
	v_add_co_u32 v10, vcc_lo, v0, s8
	v_add_co_ci_u32_e64 v11, null, s9, v12, vcc_lo
	s_mov_b64 s[8:9], 0
	.p2align	6
.LBB556_75:                             ;   Parent Loop BB556_59 Depth=1
                                        ; =>  This Inner Loop Header: Depth=2
	global_load_ushort v28, v[10:11], off
	s_cmp_eq_u32 s8, 1
	s_cselect_b32 vcc_lo, -1, 0
	s_cmp_eq_u32 s8, 2
	v_cndmask_b32_e32 v29, v1, v2, vcc_lo
	s_cselect_b32 vcc_lo, -1, 0
	s_cmp_eq_u32 s8, 3
	v_cndmask_b32_e32 v29, v29, v3, vcc_lo
	s_cselect_b32 vcc_lo, -1, 0
	s_add_u32 s8, s8, 1
	s_addc_u32 s9, s9, 0
	s_cmp_lg_u32 s34, s8
	v_cndmask_b32_e32 v29, v29, v4, vcc_lo
	v_add_co_u32 v10, vcc_lo, v10, 2
	v_add_co_ci_u32_e64 v11, null, 0, v11, vcc_lo
	s_waitcnt vmcnt(0)
	v_lshlrev_b32_e32 v28, 16, v28
	v_fmac_f32_e32 v27, v29, v28
	s_cbranch_scc1 .LBB556_75
.LBB556_76:                             ;   in Loop: Header=BB556_59 Depth=1
	s_or_b32 exec_lo, exec_lo, s21
	s_or_b32 exec_lo, exec_lo, s20
	s_and_saveexec_b32 s6, s2
	s_cbranch_execnz .LBB556_62
	s_branch .LBB556_63
.LBB556_77:                             ;   in Loop: Header=BB556_59 Depth=1
	ds_read_b32 v10, v17
	s_or_b32 exec_lo, exec_lo, s6
	s_and_saveexec_b32 s6, s2
	s_cbranch_execz .LBB556_67
.LBB556_78:                             ;   in Loop: Header=BB556_59 Depth=1
	s_waitcnt lgkmcnt(0)
	ds_bpermute_b32 v11, v20, v10
	s_waitcnt lgkmcnt(0)
	v_add_f32_e32 v10, v10, v11
	ds_bpermute_b32 v11, v21, v10
	s_waitcnt lgkmcnt(0)
	v_add_f32_e32 v10, v10, v11
	;; [unrolled: 3-line block ×3, first 2 shown]
	s_or_b32 exec_lo, exec_lo, s6
	s_and_saveexec_b32 s6, s5
	s_cbranch_execz .LBB556_58
.LBB556_79:                             ;   in Loop: Header=BB556_59 Depth=1
	s_mul_hi_u32 s9, s11, s18
	s_mul_i32 s8, s11, s18
	s_waitcnt lgkmcnt(0)
	v_mul_f32_e32 v10, s30, v10
	s_lshl_b64 s[8:9], s[8:9], 2
	s_add_u32 s8, s22, s8
	s_addc_u32 s9, s23, s9
	global_store_dword v26, v10, s[8:9]
	s_branch .LBB556_58
.LBB556_80:
	s_endpgm
	.section	.rodata,"a",@progbits
	.p2align	6, 0x0
	.amdhsa_kernel _ZL23rocblas_gemvt_sn_kernelILb0ELi256ELi4Ei16rocblas_bfloat16PKffEviiT4_lPKT3_lilS6_lilPT5_i
		.amdhsa_group_segment_fixed_size 128
		.amdhsa_private_segment_fixed_size 0
		.amdhsa_kernarg_size 360
		.amdhsa_user_sgpr_count 6
		.amdhsa_user_sgpr_private_segment_buffer 1
		.amdhsa_user_sgpr_dispatch_ptr 0
		.amdhsa_user_sgpr_queue_ptr 0
		.amdhsa_user_sgpr_kernarg_segment_ptr 1
		.amdhsa_user_sgpr_dispatch_id 0
		.amdhsa_user_sgpr_flat_scratch_init 0
		.amdhsa_user_sgpr_private_segment_size 0
		.amdhsa_wavefront_size32 1
		.amdhsa_uses_dynamic_stack 0
		.amdhsa_system_sgpr_private_segment_wavefront_offset 0
		.amdhsa_system_sgpr_workgroup_id_x 1
		.amdhsa_system_sgpr_workgroup_id_y 0
		.amdhsa_system_sgpr_workgroup_id_z 1
		.amdhsa_system_sgpr_workgroup_info 0
		.amdhsa_system_vgpr_workitem_id 0
		.amdhsa_next_free_vgpr 51
		.amdhsa_next_free_sgpr 50
		.amdhsa_reserve_vcc 1
		.amdhsa_reserve_flat_scratch 0
		.amdhsa_float_round_mode_32 0
		.amdhsa_float_round_mode_16_64 0
		.amdhsa_float_denorm_mode_32 3
		.amdhsa_float_denorm_mode_16_64 3
		.amdhsa_dx10_clamp 1
		.amdhsa_ieee_mode 1
		.amdhsa_fp16_overflow 0
		.amdhsa_workgroup_processor_mode 1
		.amdhsa_memory_ordered 1
		.amdhsa_forward_progress 1
		.amdhsa_shared_vgpr_count 0
		.amdhsa_exception_fp_ieee_invalid_op 0
		.amdhsa_exception_fp_denorm_src 0
		.amdhsa_exception_fp_ieee_div_zero 0
		.amdhsa_exception_fp_ieee_overflow 0
		.amdhsa_exception_fp_ieee_underflow 0
		.amdhsa_exception_fp_ieee_inexact 0
		.amdhsa_exception_int_div_zero 0
	.end_amdhsa_kernel
	.section	.text._ZL23rocblas_gemvt_sn_kernelILb0ELi256ELi4Ei16rocblas_bfloat16PKffEviiT4_lPKT3_lilS6_lilPT5_i,"axG",@progbits,_ZL23rocblas_gemvt_sn_kernelILb0ELi256ELi4Ei16rocblas_bfloat16PKffEviiT4_lPKT3_lilS6_lilPT5_i,comdat
.Lfunc_end556:
	.size	_ZL23rocblas_gemvt_sn_kernelILb0ELi256ELi4Ei16rocblas_bfloat16PKffEviiT4_lPKT3_lilS6_lilPT5_i, .Lfunc_end556-_ZL23rocblas_gemvt_sn_kernelILb0ELi256ELi4Ei16rocblas_bfloat16PKffEviiT4_lPKT3_lilS6_lilPT5_i
                                        ; -- End function
	.set _ZL23rocblas_gemvt_sn_kernelILb0ELi256ELi4Ei16rocblas_bfloat16PKffEviiT4_lPKT3_lilS6_lilPT5_i.num_vgpr, 51
	.set _ZL23rocblas_gemvt_sn_kernelILb0ELi256ELi4Ei16rocblas_bfloat16PKffEviiT4_lPKT3_lilS6_lilPT5_i.num_agpr, 0
	.set _ZL23rocblas_gemvt_sn_kernelILb0ELi256ELi4Ei16rocblas_bfloat16PKffEviiT4_lPKT3_lilS6_lilPT5_i.numbered_sgpr, 50
	.set _ZL23rocblas_gemvt_sn_kernelILb0ELi256ELi4Ei16rocblas_bfloat16PKffEviiT4_lPKT3_lilS6_lilPT5_i.num_named_barrier, 0
	.set _ZL23rocblas_gemvt_sn_kernelILb0ELi256ELi4Ei16rocblas_bfloat16PKffEviiT4_lPKT3_lilS6_lilPT5_i.private_seg_size, 0
	.set _ZL23rocblas_gemvt_sn_kernelILb0ELi256ELi4Ei16rocblas_bfloat16PKffEviiT4_lPKT3_lilS6_lilPT5_i.uses_vcc, 1
	.set _ZL23rocblas_gemvt_sn_kernelILb0ELi256ELi4Ei16rocblas_bfloat16PKffEviiT4_lPKT3_lilS6_lilPT5_i.uses_flat_scratch, 0
	.set _ZL23rocblas_gemvt_sn_kernelILb0ELi256ELi4Ei16rocblas_bfloat16PKffEviiT4_lPKT3_lilS6_lilPT5_i.has_dyn_sized_stack, 0
	.set _ZL23rocblas_gemvt_sn_kernelILb0ELi256ELi4Ei16rocblas_bfloat16PKffEviiT4_lPKT3_lilS6_lilPT5_i.has_recursion, 0
	.set _ZL23rocblas_gemvt_sn_kernelILb0ELi256ELi4Ei16rocblas_bfloat16PKffEviiT4_lPKT3_lilS6_lilPT5_i.has_indirect_call, 0
	.section	.AMDGPU.csdata,"",@progbits
; Kernel info:
; codeLenInByte = 4268
; TotalNumSgprs: 52
; NumVgprs: 51
; ScratchSize: 0
; MemoryBound: 0
; FloatMode: 240
; IeeeMode: 1
; LDSByteSize: 128 bytes/workgroup (compile time only)
; SGPRBlocks: 0
; VGPRBlocks: 6
; NumSGPRsForWavesPerEU: 52
; NumVGPRsForWavesPerEU: 51
; Occupancy: 16
; WaveLimiterHint : 1
; COMPUTE_PGM_RSRC2:SCRATCH_EN: 0
; COMPUTE_PGM_RSRC2:USER_SGPR: 6
; COMPUTE_PGM_RSRC2:TRAP_HANDLER: 0
; COMPUTE_PGM_RSRC2:TGID_X_EN: 1
; COMPUTE_PGM_RSRC2:TGID_Y_EN: 0
; COMPUTE_PGM_RSRC2:TGID_Z_EN: 1
; COMPUTE_PGM_RSRC2:TIDIG_COMP_CNT: 0
	.section	.text._ZL23rocblas_gemvt_sn_kernelILb0ELi256ELi4El16rocblas_bfloat16PKffEviiT4_lPKT3_lilS6_lilPT5_i,"axG",@progbits,_ZL23rocblas_gemvt_sn_kernelILb0ELi256ELi4El16rocblas_bfloat16PKffEviiT4_lPKT3_lilS6_lilPT5_i,comdat
	.globl	_ZL23rocblas_gemvt_sn_kernelILb0ELi256ELi4El16rocblas_bfloat16PKffEviiT4_lPKT3_lilS6_lilPT5_i ; -- Begin function _ZL23rocblas_gemvt_sn_kernelILb0ELi256ELi4El16rocblas_bfloat16PKffEviiT4_lPKT3_lilS6_lilPT5_i
	.p2align	8
	.type	_ZL23rocblas_gemvt_sn_kernelILb0ELi256ELi4El16rocblas_bfloat16PKffEviiT4_lPKT3_lilS6_lilPT5_i,@function
_ZL23rocblas_gemvt_sn_kernelILb0ELi256ELi4El16rocblas_bfloat16PKffEviiT4_lPKT3_lilS6_lilPT5_i: ; @_ZL23rocblas_gemvt_sn_kernelILb0ELi256ELi4El16rocblas_bfloat16PKffEviiT4_lPKT3_lilS6_lilPT5_i
; %bb.0:
	s_clause 0x2
	s_load_dwordx8 s[8:15], s[4:5], 0x8
	s_load_dwordx2 s[20:21], s[4:5], 0x0
	s_load_dword s22, s[4:5], 0x68
	s_mov_b32 s23, 0
	s_waitcnt lgkmcnt(0)
	s_mul_i32 s1, s11, s7
	s_mul_hi_u32 s2, s10, s7
	s_mul_i32 s0, s10, s7
	s_add_i32 s1, s2, s1
	s_mul_i32 s2, s21, s7
	s_lshl_b64 s[0:1], s[0:1], 2
	s_add_u32 s0, s8, s0
	s_addc_u32 s1, s9, s1
	s_load_dword s33, s[0:1], 0x0
	s_load_dwordx4 s[16:19], s[4:5], 0x50
	s_ashr_i32 s30, s21, 31
	s_mul_hi_u32 s0, s21, s7
	s_mul_i32 s1, s30, s7
	s_add_i32 s0, s0, s1
	s_mul_hi_u32 s1, s2, s22
	s_mul_i32 s3, s0, s22
	s_mul_i32 s0, s2, s22
	s_add_i32 s1, s1, s3
	s_lshl_b64 s[0:1], s[0:1], 2
	s_waitcnt lgkmcnt(0)
	v_cmp_neq_f32_e64 s2, s33, 0
	s_add_u32 s42, s18, s0
	v_cmp_eq_u32_e64 s0, 0, v0
	s_addc_u32 s43, s19, s1
	s_and_b32 vcc_lo, exec_lo, s2
	s_cbranch_vccnz .LBB557_5
; %bb.1:
	s_cmp_gt_i32 s21, 0
	s_cselect_b32 s1, -1, 0
	s_and_b32 s0, s0, s1
	s_and_saveexec_b32 s8, s0
	s_cbranch_execz .LBB557_4
; %bb.2:
	s_mov_b32 s0, s7
	s_mov_b32 s7, 0
	v_mov_b32_e32 v1, 0
	s_lshl_b64 s[2:3], s[6:7], 2
	s_mov_b32 s7, s0
	s_add_u32 s0, s42, s2
	s_addc_u32 s1, s43, s3
	s_lshl_b64 s[2:3], s[22:23], 2
	s_mov_b32 s9, s21
.LBB557_3:                              ; =>This Inner Loop Header: Depth=1
	s_add_i32 s9, s9, -1
	global_store_dword v1, v1, s[0:1]
	s_add_u32 s0, s0, s2
	s_addc_u32 s1, s1, s3
	s_cmp_eq_u32 s9, 0
	s_cbranch_scc0 .LBB557_3
.LBB557_4:
	s_or_b32 exec_lo, exec_lo, s8
	s_cbranch_execz .LBB557_6
	s_branch .LBB557_80
.LBB557_5:
.LBB557_6:
	s_clause 0x3
	s_load_dword s18, s[4:5], 0x28
	s_load_dword s24, s[4:5], 0x48
	s_load_dwordx4 s[8:11], s[4:5], 0x30
	s_load_dwordx2 s[0:1], s[4:5], 0x40
	s_mul_i32 s3, s17, s7
	s_mul_hi_u32 s4, s16, s7
	s_mul_i32 s2, s16, s7
	s_add_i32 s3, s4, s3
	v_and_b32_e32 v26, 31, v0
	s_lshl_b64 s[16:17], s[2:3], 1
	v_mbcnt_lo_u32_b32 v29, -1, 0
	v_lshrrev_b32_e32 v31, 3, v0
	s_waitcnt lgkmcnt(0)
	s_ashr_i32 s19, s18, 31
	s_ashr_i32 s25, s24, 31
	s_add_u32 s5, s10, s16
	s_mul_i32 s3, s9, s7
	s_addc_u32 s9, s11, s17
	s_lshl_b64 s[28:29], s[0:1], 1
	s_mul_hi_u32 s4, s8, s7
	s_add_u32 s44, s5, s28
	s_mul_i32 s2, s8, s7
	s_addc_u32 s45, s9, s29
	s_add_i32 s3, s4, s3
	v_cmp_gt_u32_e64 s0, 32, v0
	s_lshl_b64 s[26:27], s[2:3], 1
	v_cmp_gt_u32_e64 s1, 8, v0
	s_add_u32 s2, s12, s26
	s_addc_u32 s3, s13, s27
	s_lshl_b64 s[14:15], s[14:15], 1
	s_add_u32 s2, s2, s14
	s_addc_u32 s3, s3, s15
	s_lshl_b32 s4, s6, 10
	s_ashr_i32 s5, s20, 31
	v_lshl_or_b32 v13, v0, 2, s4
	s_lshr_b32 s4, s30, 30
	s_lshr_b32 s5, s5, 30
	s_add_i32 s4, s21, s4
	s_add_i32 s5, s20, s5
	v_ashrrev_i32_e32 v14, 31, v13
	s_and_b32 s46, s4, -4
	s_and_b32 s4, s5, -4
	v_add_nc_u32_e32 v32, 4, v13
	s_sub_i32 s23, s20, s4
	v_lshlrev_b64 v[11:12], 1, v[13:14]
	v_or_b32_e32 v30, 1, v13
	v_or_b32_e32 v28, 2, v13
	v_add_nc_u32_e32 v33, s23, v13
	v_or_b32_e32 v27, 3, v13
	s_cmp_lt_i32 s46, 1
	v_add_co_u32 v9, vcc_lo, s2, v11
	v_add_co_ci_u32_e64 v10, null, s3, v12, vcc_lo
	s_cbranch_scc1 .LBB557_55
; %bb.7:
	v_cmp_gt_u32_e32 vcc_lo, 24, v29
	v_mad_i64_i32 v[5:6], null, s24, v28, 0
	v_mad_i64_i32 v[7:8], null, s24, v27, 0
	v_cndmask_b32_e64 v1, 0, 8, vcc_lo
	v_cmp_gt_u32_e32 vcc_lo, 28, v29
	s_cmp_gt_i32 s23, 0
	s_mov_b32 s7, 0
	v_lshlrev_b64 v[5:6], 1, v[5:6]
	v_add_lshl_u32 v35, v1, v29, 2
	v_cndmask_b32_e64 v2, 0, 4, vcc_lo
	v_cmp_gt_u32_e32 vcc_lo, 30, v29
	s_cselect_b32 s47, -1, 0
	s_lshl_b64 s[8:9], s[6:7], 2
	v_mov_b32_e32 v25, v10
	v_add_lshl_u32 v36, v2, v29, 2
	v_cndmask_b32_e64 v3, 0, 2, vcc_lo
	v_cmp_ne_u32_e32 vcc_lo, 31, v29
	v_mad_i64_i32 v[1:2], null, s24, v13, 0
	s_add_u32 s48, s42, s8
	v_add_lshl_u32 v37, v3, v29, 2
	v_add_co_ci_u32_e64 v4, null, 0, v29, vcc_lo
	s_addc_u32 s49, s43, s9
	s_add_u32 s8, s10, s28
	v_lshlrev_b64 v[1:2], 1, v[1:2]
	v_lshlrev_b32_e32 v38, 2, v4
	v_mad_i64_i32 v[3:4], null, s24, v30, 0
	s_addc_u32 s9, s11, s29
	s_add_u32 s8, s8, s16
	v_add_co_u32 v14, vcc_lo, s44, v1
	v_add_co_ci_u32_e64 v15, null, s45, v2, vcc_lo
	v_lshlrev_b64 v[3:4], 1, v[3:4]
	s_addc_u32 s9, s9, s17
	v_cmp_ge_i32_e64 s2, s20, v32
	v_cmp_ge_i32_e64 s3, s20, v33
	v_lshl_or_b32 v34, v29, 2, 64
	v_cmp_eq_u32_e64 s4, 0, v26
	v_add_co_u32 v16, vcc_lo, s44, v3
	v_add_co_ci_u32_e64 v17, null, s45, v4, vcc_lo
	v_lshlrev_b64 v[3:4], 1, v[7:8]
	v_add_co_u32 v18, vcc_lo, s44, v5
	v_mov_b32_e32 v5, 0
	v_add_co_ci_u32_e64 v19, null, s45, v6, vcc_lo
	v_add_co_u32 v20, vcc_lo, s44, v3
	v_mov_b32_e32 v6, v5
	v_mov_b32_e32 v7, v5
	;; [unrolled: 1-line block ×3, first 2 shown]
	v_add_co_ci_u32_e64 v21, null, s45, v4, vcc_lo
	v_add_co_u32 v22, vcc_lo, s8, v1
	v_add_co_ci_u32_e64 v23, null, s9, v2, vcc_lo
	v_mov_b32_e32 v1, v5
	v_lshlrev_b32_e32 v39, 2, v26
	v_and_b32_e32 v40, 28, v31
	v_cmp_eq_u32_e64 s5, 0, v0
	v_mov_b32_e32 v24, v9
	v_mov_b32_e32 v2, v6
	;; [unrolled: 1-line block ×4, first 2 shown]
	s_lshl_b64 s[30:31], s[24:25], 1
	s_lshl_b64 s[34:35], s[18:19], 3
	;; [unrolled: 1-line block ×4, first 2 shown]
	s_mul_hi_i32 s50, s18, 6
	s_mul_i32 s51, s18, 6
	s_branch .LBB557_9
.LBB557_8:                              ;   in Loop: Header=BB557_9 Depth=1
	s_or_b32 exec_lo, exec_lo, s8
	v_add_co_u32 v24, vcc_lo, v24, s34
	v_add_co_ci_u32_e64 v25, null, s35, v25, vcc_lo
	s_add_i32 s7, s7, 4
	s_cmp_ge_i32 s7, s46
	s_cbranch_scc1 .LBB557_56
.LBB557_9:                              ; =>This Loop Header: Depth=1
                                        ;     Child Loop BB557_40 Depth 2
                                        ;     Child Loop BB557_43 Depth 2
                                        ; implicit-def: $vgpr8
                                        ; implicit-def: $vgpr41
                                        ; implicit-def: $vgpr42
                                        ; implicit-def: $vgpr43
	s_and_saveexec_b32 s8, s2
	s_xor_b32 s8, exec_lo, s8
	s_cbranch_execnz .LBB557_36
; %bb.10:                               ;   in Loop: Header=BB557_9 Depth=1
	s_andn2_saveexec_b32 s52, s8
	s_cbranch_execnz .LBB557_37
.LBB557_11:                             ;   in Loop: Header=BB557_9 Depth=1
	s_or_b32 exec_lo, exec_lo, s52
	s_and_saveexec_b32 s8, s0
.LBB557_12:                             ;   in Loop: Header=BB557_9 Depth=1
	ds_write_b32 v39, v5
.LBB557_13:                             ;   in Loop: Header=BB557_9 Depth=1
	s_or_b32 exec_lo, exec_lo, s8
	ds_bpermute_b32 v6, v34, v43
	s_waitcnt lgkmcnt(0)
	s_waitcnt_vscnt null, 0x0
	s_barrier
	buffer_gl0_inv
	v_add_f32_e32 v6, v43, v6
	ds_bpermute_b32 v7, v35, v6
	s_waitcnt lgkmcnt(0)
	v_add_f32_e32 v6, v6, v7
	ds_bpermute_b32 v7, v36, v6
	s_waitcnt lgkmcnt(0)
	;; [unrolled: 3-line block ×3, first 2 shown]
	v_add_f32_e32 v6, v6, v7
	ds_bpermute_b32 v7, v38, v6
	s_and_saveexec_b32 s8, s4
	s_cbranch_execz .LBB557_15
; %bb.14:                               ;   in Loop: Header=BB557_9 Depth=1
	s_waitcnt lgkmcnt(0)
	v_add_f32_e32 v6, v6, v7
	ds_write_b32 v40, v6
.LBB557_15:                             ;   in Loop: Header=BB557_9 Depth=1
	s_or_b32 exec_lo, exec_lo, s8
	v_mov_b32_e32 v6, 0
	s_waitcnt lgkmcnt(0)
	s_barrier
	buffer_gl0_inv
	s_and_saveexec_b32 s8, s1
	s_cbranch_execnz .LBB557_44
; %bb.16:                               ;   in Loop: Header=BB557_9 Depth=1
	s_or_b32 exec_lo, exec_lo, s8
	s_and_saveexec_b32 s8, s0
	s_cbranch_execnz .LBB557_45
.LBB557_17:                             ;   in Loop: Header=BB557_9 Depth=1
	s_or_b32 exec_lo, exec_lo, s8
	s_and_saveexec_b32 s8, s0
.LBB557_18:                             ;   in Loop: Header=BB557_9 Depth=1
	ds_write_b32 v39, v5
.LBB557_19:                             ;   in Loop: Header=BB557_9 Depth=1
	s_or_b32 exec_lo, exec_lo, s8
	ds_bpermute_b32 v7, v34, v42
	s_waitcnt lgkmcnt(0)
	s_barrier
	buffer_gl0_inv
	v_add_f32_e32 v7, v42, v7
	ds_bpermute_b32 v42, v35, v7
	s_waitcnt lgkmcnt(0)
	v_add_f32_e32 v7, v7, v42
	ds_bpermute_b32 v42, v36, v7
	s_waitcnt lgkmcnt(0)
	;; [unrolled: 3-line block ×3, first 2 shown]
	v_add_f32_e32 v7, v7, v42
	ds_bpermute_b32 v42, v38, v7
	s_and_saveexec_b32 s8, s4
	s_cbranch_execz .LBB557_21
; %bb.20:                               ;   in Loop: Header=BB557_9 Depth=1
	s_waitcnt lgkmcnt(0)
	v_add_f32_e32 v7, v7, v42
	ds_write_b32 v40, v7
.LBB557_21:                             ;   in Loop: Header=BB557_9 Depth=1
	s_or_b32 exec_lo, exec_lo, s8
	v_mov_b32_e32 v7, 0
	s_waitcnt lgkmcnt(0)
	s_barrier
	buffer_gl0_inv
	s_and_saveexec_b32 s8, s1
	s_cbranch_execnz .LBB557_46
; %bb.22:                               ;   in Loop: Header=BB557_9 Depth=1
	s_or_b32 exec_lo, exec_lo, s8
	s_and_saveexec_b32 s8, s0
	s_cbranch_execnz .LBB557_47
.LBB557_23:                             ;   in Loop: Header=BB557_9 Depth=1
	s_or_b32 exec_lo, exec_lo, s8
	s_and_saveexec_b32 s8, s0
.LBB557_24:                             ;   in Loop: Header=BB557_9 Depth=1
	ds_write_b32 v39, v5
.LBB557_25:                             ;   in Loop: Header=BB557_9 Depth=1
	s_or_b32 exec_lo, exec_lo, s8
	ds_bpermute_b32 v42, v34, v41
	s_waitcnt lgkmcnt(0)
	s_barrier
	buffer_gl0_inv
	v_add_f32_e32 v41, v41, v42
	ds_bpermute_b32 v42, v35, v41
	s_waitcnt lgkmcnt(0)
	v_add_f32_e32 v41, v41, v42
	ds_bpermute_b32 v42, v36, v41
	s_waitcnt lgkmcnt(0)
	;; [unrolled: 3-line block ×3, first 2 shown]
	v_add_f32_e32 v41, v41, v42
	ds_bpermute_b32 v42, v38, v41
	s_and_saveexec_b32 s8, s4
	s_cbranch_execz .LBB557_27
; %bb.26:                               ;   in Loop: Header=BB557_9 Depth=1
	s_waitcnt lgkmcnt(0)
	v_add_f32_e32 v41, v41, v42
	ds_write_b32 v40, v41
.LBB557_27:                             ;   in Loop: Header=BB557_9 Depth=1
	s_or_b32 exec_lo, exec_lo, s8
	v_mov_b32_e32 v41, 0
	s_waitcnt lgkmcnt(0)
	s_barrier
	buffer_gl0_inv
	s_and_saveexec_b32 s8, s1
	s_cbranch_execnz .LBB557_48
; %bb.28:                               ;   in Loop: Header=BB557_9 Depth=1
	s_or_b32 exec_lo, exec_lo, s8
	s_and_saveexec_b32 s8, s0
	s_cbranch_execnz .LBB557_49
.LBB557_29:                             ;   in Loop: Header=BB557_9 Depth=1
	s_or_b32 exec_lo, exec_lo, s8
	s_and_saveexec_b32 s8, s0
.LBB557_30:                             ;   in Loop: Header=BB557_9 Depth=1
	ds_write_b32 v39, v5
.LBB557_31:                             ;   in Loop: Header=BB557_9 Depth=1
	s_or_b32 exec_lo, exec_lo, s8
	ds_bpermute_b32 v42, v34, v8
	s_waitcnt lgkmcnt(0)
	s_barrier
	buffer_gl0_inv
	v_add_f32_e32 v8, v8, v42
	ds_bpermute_b32 v42, v35, v8
	s_waitcnt lgkmcnt(0)
	v_add_f32_e32 v8, v8, v42
	ds_bpermute_b32 v42, v36, v8
	s_waitcnt lgkmcnt(0)
	;; [unrolled: 3-line block ×3, first 2 shown]
	v_add_f32_e32 v8, v8, v42
	ds_bpermute_b32 v42, v38, v8
	s_and_saveexec_b32 s8, s4
	s_cbranch_execz .LBB557_33
; %bb.32:                               ;   in Loop: Header=BB557_9 Depth=1
	s_waitcnt lgkmcnt(0)
	v_add_f32_e32 v8, v8, v42
	ds_write_b32 v40, v8
.LBB557_33:                             ;   in Loop: Header=BB557_9 Depth=1
	s_or_b32 exec_lo, exec_lo, s8
	v_mov_b32_e32 v8, 0
	s_waitcnt lgkmcnt(0)
	s_barrier
	buffer_gl0_inv
	s_and_saveexec_b32 s8, s1
	s_cbranch_execnz .LBB557_50
; %bb.34:                               ;   in Loop: Header=BB557_9 Depth=1
	s_or_b32 exec_lo, exec_lo, s8
	s_and_saveexec_b32 s8, s0
	s_cbranch_execnz .LBB557_51
.LBB557_35:                             ;   in Loop: Header=BB557_9 Depth=1
	s_or_b32 exec_lo, exec_lo, s8
	s_and_saveexec_b32 s8, s5
	s_cbranch_execz .LBB557_8
	s_branch .LBB557_52
.LBB557_36:                             ;   in Loop: Header=BB557_9 Depth=1
	s_mul_i32 s9, s7, s19
	s_mul_hi_u32 s41, s7, s18
	s_mul_i32 s40, s7, s18
	s_add_i32 s41, s41, s9
	s_or_b32 s9, s7, 1
	s_lshl_b64 s[40:41], s[40:41], 1
	v_add_co_u32 v1, vcc_lo, v9, s40
	v_add_co_ci_u32_e64 v2, null, s41, v10, vcc_lo
	s_mul_i32 s40, s9, s19
	s_mul_hi_u32 s41, s9, s18
	s_add_i32 s41, s41, s40
	s_mul_i32 s40, s9, s18
	s_or_b32 s9, s7, 2
	s_lshl_b64 s[40:41], s[40:41], 1
	global_load_dwordx2 v[6:7], v[1:2], off
	s_mul_i32 s52, s9, s19
	s_mul_hi_u32 s53, s9, s18
	v_add_co_u32 v1, vcc_lo, v9, s40
	v_add_co_ci_u32_e64 v2, null, s41, v10, vcc_lo
	s_add_i32 s41, s53, s52
	s_or_b32 s52, s7, 3
	s_mul_i32 s40, s9, s18
	s_mul_i32 s9, s52, s19
	s_mul_hi_u32 s53, s52, s18
	s_lshl_b64 s[40:41], s[40:41], 1
	s_add_i32 s53, s53, s9
	s_mul_i32 s52, s52, s18
	v_add_co_u32 v3, vcc_lo, v9, s40
	v_add_co_ci_u32_e64 v4, null, s41, v10, vcc_lo
	s_lshl_b64 s[40:41], s[52:53], 1
	s_waitcnt lgkmcnt(0)
	s_clause 0x3
	global_load_ushort v8, v[14:15], off
	global_load_ushort v49, v[16:17], off
	;; [unrolled: 1-line block ×4, first 2 shown]
	v_add_co_u32 v41, vcc_lo, v9, s40
	v_add_co_ci_u32_e64 v42, null, s41, v10, vcc_lo
	s_clause 0x2
	global_load_dwordx2 v[43:44], v[1:2], off
	global_load_dwordx2 v[45:46], v[3:4], off
	global_load_dwordx2 v[47:48], v[41:42], off
	s_waitcnt vmcnt(6)
	v_lshlrev_b32_e32 v1, 16, v8
	v_lshlrev_b32_e32 v8, 16, v6
	s_waitcnt vmcnt(4)
	v_lshlrev_b32_e32 v3, 16, v50
	v_lshlrev_b32_e32 v2, 16, v49
	s_waitcnt vmcnt(3)
	v_lshlrev_b32_e32 v4, 16, v51
	v_and_b32_e32 v6, 0xffff0000, v6
	v_lshlrev_b32_e32 v49, 16, v7
	s_waitcnt vmcnt(2)
	v_lshlrev_b32_e32 v41, 16, v43
	s_waitcnt vmcnt(1)
	;; [unrolled: 2-line block ×3, first 2 shown]
	v_and_b32_e32 v52, 0xffff0000, v47
	v_lshlrev_b32_e32 v47, 16, v47
	v_and_b32_e32 v51, 0xffff0000, v43
	v_and_b32_e32 v45, 0xffff0000, v45
	v_fma_f32 v43, v1, v8, 0
	v_fma_f32 v42, v1, v41, 0
	;; [unrolled: 1-line block ×4, first 2 shown]
	v_lshlrev_b32_e32 v53, 16, v44
	v_lshlrev_b32_e32 v54, 16, v46
	;; [unrolled: 1-line block ×3, first 2 shown]
	v_fmac_f32_e32 v43, v2, v6
	v_fmac_f32_e32 v42, v2, v51
	;; [unrolled: 1-line block ×4, first 2 shown]
	v_and_b32_e32 v7, 0xffff0000, v7
	v_and_b32_e32 v44, 0xffff0000, v44
	;; [unrolled: 1-line block ×4, first 2 shown]
	v_fmac_f32_e32 v43, v3, v49
	v_fmac_f32_e32 v42, v3, v53
	;; [unrolled: 1-line block ×8, first 2 shown]
	s_andn2_saveexec_b32 s52, s8
	s_cbranch_execz .LBB557_11
.LBB557_37:                             ;   in Loop: Header=BB557_9 Depth=1
	s_waitcnt lgkmcnt(0)
	v_mov_b32_e32 v8, 0
	v_mov_b32_e32 v41, 0
	;; [unrolled: 1-line block ×4, first 2 shown]
	s_and_saveexec_b32 s53, s3
	s_cbranch_execz .LBB557_54
; %bb.38:                               ;   in Loop: Header=BB557_9 Depth=1
	s_andn2_b32 vcc_lo, exec_lo, s47
	s_cbranch_vccnz .LBB557_41
; %bb.39:                               ;   in Loop: Header=BB557_9 Depth=1
	v_mov_b32_e32 v6, v22
	v_mov_b32_e32 v7, v23
	s_mov_b64 s[40:41], 0
	.p2align	6
.LBB557_40:                             ;   Parent Loop BB557_9 Depth=1
                                        ; =>  This Inner Loop Header: Depth=2
	global_load_ushort v8, v[6:7], off
	s_cmp_eq_u32 s40, 3
	v_add_co_u32 v6, vcc_lo, v6, s30
	v_add_co_ci_u32_e64 v7, null, s31, v7, vcc_lo
	s_cselect_b32 vcc_lo, -1, 0
	s_cmp_eq_u32 s40, 2
	s_cselect_b32 s8, -1, 0
	s_cmp_eq_u32 s40, 1
	s_cselect_b32 s9, -1, 0
	s_cmp_eq_u32 s40, 0
	s_waitcnt vmcnt(0)
	v_lshlrev_b32_e32 v8, 16, v8
	v_cndmask_b32_e32 v4, v4, v8, vcc_lo
	s_cselect_b32 vcc_lo, -1, 0
	v_cndmask_b32_e64 v3, v3, v8, s8
	v_cndmask_b32_e64 v2, v2, v8, s9
	v_cndmask_b32_e32 v1, v1, v8, vcc_lo
	s_add_u32 s40, s40, 1
	s_addc_u32 s41, s41, 0
	s_cmp_eq_u32 s23, s40
	s_cbranch_scc0 .LBB557_40
.LBB557_41:                             ;   in Loop: Header=BB557_9 Depth=1
	s_andn2_b32 vcc_lo, exec_lo, s47
	s_cbranch_vccnz .LBB557_53
; %bb.42:                               ;   in Loop: Header=BB557_9 Depth=1
	v_mov_b32_e32 v6, v24
	v_mov_b32_e32 v43, 0
	v_mov_b32_e32 v7, v25
	v_mov_b32_e32 v42, 0
	v_mov_b32_e32 v41, 0
	v_mov_b32_e32 v8, 0
	s_mov_b64 s[40:41], 0
	s_inst_prefetch 0x1
	.p2align	6
.LBB557_43:                             ;   Parent Loop BB557_9 Depth=1
                                        ; =>  This Inner Loop Header: Depth=2
	v_add_co_u32 v44, vcc_lo, v6, s36
	v_add_co_ci_u32_e64 v45, null, s37, v7, vcc_lo
	v_add_co_u32 v46, vcc_lo, v6, s38
	v_add_co_ci_u32_e64 v47, null, s39, v7, vcc_lo
	;; [unrolled: 2-line block ×3, first 2 shown]
	s_clause 0x3
	global_load_ushort v50, v[6:7], off
	global_load_ushort v44, v[44:45], off
	;; [unrolled: 1-line block ×4, first 2 shown]
	s_cmp_eq_u32 s40, 1
	v_add_co_u32 v6, s8, v6, 2
	s_cselect_b32 vcc_lo, -1, 0
	s_cmp_eq_u32 s40, 2
	v_cndmask_b32_e32 v47, v1, v2, vcc_lo
	s_cselect_b32 vcc_lo, -1, 0
	s_cmp_eq_u32 s40, 3
	v_add_co_ci_u32_e64 v7, null, 0, v7, s8
	v_cndmask_b32_e32 v47, v47, v3, vcc_lo
	s_cselect_b32 vcc_lo, -1, 0
	s_add_u32 s40, s40, 1
	s_addc_u32 s41, s41, 0
	s_cmp_lg_u32 s23, s40
	v_cndmask_b32_e32 v47, v47, v4, vcc_lo
	s_waitcnt vmcnt(3)
	v_lshlrev_b32_e32 v48, 16, v50
	s_waitcnt vmcnt(2)
	v_lshlrev_b32_e32 v44, 16, v44
	;; [unrolled: 2-line block ×4, first 2 shown]
	v_fmac_f32_e32 v43, v47, v48
	v_fmac_f32_e32 v42, v47, v44
	;; [unrolled: 1-line block ×4, first 2 shown]
	s_cbranch_scc1 .LBB557_43
	s_branch .LBB557_54
.LBB557_44:                             ;   in Loop: Header=BB557_9 Depth=1
	ds_read_b32 v6, v39
	s_or_b32 exec_lo, exec_lo, s8
	s_and_saveexec_b32 s8, s0
	s_cbranch_execz .LBB557_17
.LBB557_45:                             ;   in Loop: Header=BB557_9 Depth=1
	s_waitcnt lgkmcnt(0)
	ds_bpermute_b32 v7, v36, v6
	s_waitcnt lgkmcnt(0)
	v_add_f32_e32 v6, v6, v7
	ds_bpermute_b32 v7, v37, v6
	s_waitcnt lgkmcnt(0)
	v_add_f32_e32 v6, v6, v7
	;; [unrolled: 3-line block ×3, first 2 shown]
	s_or_b32 exec_lo, exec_lo, s8
	s_and_saveexec_b32 s8, s0
	s_cbranch_execnz .LBB557_18
	s_branch .LBB557_19
.LBB557_46:                             ;   in Loop: Header=BB557_9 Depth=1
	ds_read_b32 v7, v39
	s_or_b32 exec_lo, exec_lo, s8
	s_and_saveexec_b32 s8, s0
	s_cbranch_execz .LBB557_23
.LBB557_47:                             ;   in Loop: Header=BB557_9 Depth=1
	s_waitcnt lgkmcnt(0)
	ds_bpermute_b32 v42, v36, v7
	s_waitcnt lgkmcnt(0)
	v_add_f32_e32 v7, v7, v42
	ds_bpermute_b32 v42, v37, v7
	s_waitcnt lgkmcnt(0)
	v_add_f32_e32 v7, v7, v42
	;; [unrolled: 3-line block ×3, first 2 shown]
	s_or_b32 exec_lo, exec_lo, s8
	s_and_saveexec_b32 s8, s0
	s_cbranch_execnz .LBB557_24
	s_branch .LBB557_25
.LBB557_48:                             ;   in Loop: Header=BB557_9 Depth=1
	ds_read_b32 v41, v39
	s_or_b32 exec_lo, exec_lo, s8
	s_and_saveexec_b32 s8, s0
	s_cbranch_execz .LBB557_29
.LBB557_49:                             ;   in Loop: Header=BB557_9 Depth=1
	s_waitcnt lgkmcnt(0)
	ds_bpermute_b32 v42, v36, v41
	s_waitcnt lgkmcnt(0)
	v_add_f32_e32 v41, v41, v42
	ds_bpermute_b32 v42, v37, v41
	s_waitcnt lgkmcnt(0)
	v_add_f32_e32 v41, v41, v42
	;; [unrolled: 3-line block ×3, first 2 shown]
	s_or_b32 exec_lo, exec_lo, s8
	s_and_saveexec_b32 s8, s0
	s_cbranch_execnz .LBB557_30
	s_branch .LBB557_31
.LBB557_50:                             ;   in Loop: Header=BB557_9 Depth=1
	ds_read_b32 v8, v39
	s_or_b32 exec_lo, exec_lo, s8
	s_and_saveexec_b32 s8, s0
	s_cbranch_execz .LBB557_35
.LBB557_51:                             ;   in Loop: Header=BB557_9 Depth=1
	s_waitcnt lgkmcnt(0)
	ds_bpermute_b32 v42, v36, v8
	s_waitcnt lgkmcnt(0)
	v_add_f32_e32 v8, v8, v42
	ds_bpermute_b32 v42, v37, v8
	s_waitcnt lgkmcnt(0)
	v_add_f32_e32 v8, v8, v42
	;; [unrolled: 3-line block ×3, first 2 shown]
	s_or_b32 exec_lo, exec_lo, s8
	s_and_saveexec_b32 s8, s5
	s_cbranch_execz .LBB557_8
.LBB557_52:                             ;   in Loop: Header=BB557_9 Depth=1
	s_mul_hi_u32 s41, s7, s22
	s_mul_i32 s40, s7, s22
	v_mul_f32_e32 v6, s33, v6
	s_lshl_b64 s[40:41], s[40:41], 2
	v_mul_f32_e32 v7, s33, v7
	s_add_u32 s40, s48, s40
	s_addc_u32 s41, s49, s41
	s_or_b32 s9, s7, 1
	global_store_dword v5, v6, s[40:41]
	s_mul_hi_u32 s53, s9, s22
	s_mul_i32 s52, s9, s22
	v_mul_f32_e32 v6, s33, v41
	s_lshl_b64 s[52:53], s[52:53], 2
	s_waitcnt lgkmcnt(0)
	v_mul_f32_e32 v8, s33, v8
	s_add_u32 s52, s48, s52
	s_addc_u32 s53, s49, s53
	s_or_b32 s9, s7, 2
	global_store_dword v5, v7, s[52:53]
	s_mul_hi_u32 s55, s9, s22
	s_mul_i32 s54, s9, s22
	s_lshl_b64 s[54:55], s[54:55], 2
	s_add_u32 s40, s48, s54
	s_addc_u32 s41, s49, s55
	s_or_b32 s9, s7, 3
	s_mul_hi_u32 s55, s9, s22
	s_mul_i32 s54, s9, s22
	s_lshl_b64 s[54:55], s[54:55], 2
	s_add_u32 s52, s48, s54
	s_addc_u32 s53, s49, s55
	global_store_dword v5, v6, s[40:41]
	global_store_dword v5, v8, s[52:53]
	s_branch .LBB557_8
.LBB557_53:                             ;   in Loop: Header=BB557_9 Depth=1
	v_mov_b32_e32 v8, 0
	v_mov_b32_e32 v41, 0
	;; [unrolled: 1-line block ×4, first 2 shown]
.LBB557_54:                             ;   in Loop: Header=BB557_9 Depth=1
	s_inst_prefetch 0x2
	s_or_b32 exec_lo, exec_lo, s53
	s_or_b32 exec_lo, exec_lo, s52
	s_and_saveexec_b32 s8, s0
	s_cbranch_execnz .LBB557_12
	s_branch .LBB557_13
.LBB557_55:
	v_mov_b32_e32 v1, 0
	s_mov_b32 s7, 0
	v_mov_b32_e32 v2, v1
	v_mov_b32_e32 v3, v1
	;; [unrolled: 1-line block ×3, first 2 shown]
.LBB557_56:
	s_cmp_ge_i32 s7, s21
	s_cbranch_scc1 .LBB557_80
; %bb.57:
	v_cmp_gt_u32_e32 vcc_lo, 24, v29
	v_lshl_or_b32 v22, v29, 2, 64
	v_mad_i64_i32 v[15:16], null, s24, v27, 0
	s_cmp_gt_i32 s23, 0
	v_cndmask_b32_e64 v5, 0, 8, vcc_lo
	v_cmp_gt_u32_e32 vcc_lo, 28, v29
	s_mov_b32 s9, 0
	s_mov_b32 s8, s6
	v_cmp_ge_i32_e64 s0, s20, v32
	v_add_lshl_u32 v23, v5, v29, 2
	v_cndmask_b32_e64 v6, 0, 4, vcc_lo
	v_cmp_gt_u32_e32 vcc_lo, 30, v29
	v_cmp_ge_i32_e64 s1, s20, v33
	s_cselect_b32 s20, -1, 0
	s_lshl_b64 s[30:31], s[8:9], 2
	v_add_lshl_u32 v24, v6, v29, 2
	v_cndmask_b32_e64 v7, 0, 2, vcc_lo
	v_cmp_ne_u32_e32 vcc_lo, 31, v29
	v_mad_i64_i32 v[5:6], null, s24, v13, 0
	v_mad_i64_i32 v[13:14], null, s24, v28, 0
	s_waitcnt lgkmcnt(0)
	v_add_co_ci_u32_e64 v8, null, 0, v29, vcc_lo
	v_add_lshl_u32 v25, v7, v29, 2
	s_add_u32 s30, s42, s30
	v_lshlrev_b64 v[17:18], 1, v[5:6]
	v_lshlrev_b32_e32 v29, 2, v8
	v_mad_i64_i32 v[7:8], null, s24, v30, 0
	v_lshlrev_b64 v[13:14], 1, v[13:14]
	v_lshlrev_b64 v[15:16], 1, v[15:16]
	v_add_co_u32 v5, vcc_lo, s44, v17
	s_addc_u32 s31, s43, s31
	v_add_co_ci_u32_e64 v6, null, s45, v18, vcc_lo
	v_lshlrev_b64 v[7:8], 1, v[7:8]
	s_add_u32 s6, s10, s28
	s_addc_u32 s8, s11, s29
	s_mul_i32 s10, s19, s7
	s_mul_hi_u32 s11, s18, s7
	s_add_u32 s6, s6, s16
	v_add_co_u32 v7, vcc_lo, s44, v7
	v_add_co_ci_u32_e64 v8, null, s45, v8, vcc_lo
	v_add_co_u32 v13, vcc_lo, s44, v13
	s_addc_u32 s8, s8, s17
	s_add_i32 s11, s11, s10
	s_mul_i32 s10, s18, s7
	v_add_co_ci_u32_e64 v14, null, s45, v14, vcc_lo
	v_add_co_u32 v15, vcc_lo, s44, v15
	s_lshl_b64 s[16:17], s[10:11], 1
	v_add_co_ci_u32_e64 v16, null, s45, v16, vcc_lo
	v_add_co_u32 v17, vcc_lo, s6, v17
	s_lshl_b64 s[10:11], s[24:25], 1
	s_add_u32 s6, s26, s16
	v_add_co_ci_u32_e64 v18, null, s8, v18, vcc_lo
	s_addc_u32 s8, s27, s17
	s_add_u32 s6, s6, s14
	s_addc_u32 s8, s8, s15
	s_add_u32 s6, s12, s6
	s_addc_u32 s8, s13, s8
	v_add_co_u32 v11, vcc_lo, s6, v11
	v_cmp_gt_u32_e64 s2, 32, v0
	v_lshlrev_b32_e32 v21, 2, v26
	v_cmp_eq_u32_e64 s3, 0, v26
	v_and_b32_e32 v26, 28, v31
	v_cmp_gt_u32_e64 s4, 8, v0
	v_cmp_eq_u32_e64 s5, 0, v0
	v_add_co_ci_u32_e64 v12, null, s8, v12, vcc_lo
	v_mov_b32_e32 v0, 0
	s_lshl_b64 s[12:13], s[18:19], 1
	s_branch .LBB557_59
.LBB557_58:                             ;   in Loop: Header=BB557_59 Depth=1
	s_or_b32 exec_lo, exec_lo, s6
	v_add_co_u32 v11, vcc_lo, v11, s12
	v_add_co_ci_u32_e64 v12, null, s13, v12, vcc_lo
	s_add_i32 s7, s7, 1
	s_cmp_ge_i32 s7, s21
	s_cbranch_scc1 .LBB557_80
.LBB557_59:                             ; =>This Loop Header: Depth=1
                                        ;     Child Loop BB557_72 Depth 2
                                        ;     Child Loop BB557_75 Depth 2
	v_mov_b32_e32 v27, s9
	s_and_saveexec_b32 s6, s0
	s_xor_b32 s6, exec_lo, s6
	s_cbranch_execnz .LBB557_68
; %bb.60:                               ;   in Loop: Header=BB557_59 Depth=1
	s_andn2_saveexec_b32 s16, s6
	s_cbranch_execnz .LBB557_69
.LBB557_61:                             ;   in Loop: Header=BB557_59 Depth=1
	s_or_b32 exec_lo, exec_lo, s16
	s_and_saveexec_b32 s6, s2
.LBB557_62:                             ;   in Loop: Header=BB557_59 Depth=1
	ds_write_b32 v21, v0
.LBB557_63:                             ;   in Loop: Header=BB557_59 Depth=1
	s_or_b32 exec_lo, exec_lo, s6
	s_waitcnt lgkmcnt(0)
	ds_bpermute_b32 v19, v22, v27
	s_waitcnt lgkmcnt(0)
	s_waitcnt_vscnt null, 0x0
	s_barrier
	buffer_gl0_inv
	v_add_f32_e32 v19, v27, v19
	ds_bpermute_b32 v20, v23, v19
	s_waitcnt lgkmcnt(0)
	v_add_f32_e32 v19, v19, v20
	ds_bpermute_b32 v20, v24, v19
	s_waitcnt lgkmcnt(0)
	;; [unrolled: 3-line block ×3, first 2 shown]
	v_add_f32_e32 v19, v19, v20
	ds_bpermute_b32 v20, v29, v19
	s_and_saveexec_b32 s6, s3
	s_cbranch_execz .LBB557_65
; %bb.64:                               ;   in Loop: Header=BB557_59 Depth=1
	s_waitcnt lgkmcnt(0)
	v_add_f32_e32 v19, v19, v20
	ds_write_b32 v26, v19
.LBB557_65:                             ;   in Loop: Header=BB557_59 Depth=1
	s_or_b32 exec_lo, exec_lo, s6
	v_mov_b32_e32 v19, 0
	s_waitcnt lgkmcnt(0)
	s_barrier
	buffer_gl0_inv
	s_and_saveexec_b32 s6, s4
	s_cbranch_execnz .LBB557_77
; %bb.66:                               ;   in Loop: Header=BB557_59 Depth=1
	s_or_b32 exec_lo, exec_lo, s6
	s_and_saveexec_b32 s6, s2
	s_cbranch_execnz .LBB557_78
.LBB557_67:                             ;   in Loop: Header=BB557_59 Depth=1
	s_or_b32 exec_lo, exec_lo, s6
	s_and_saveexec_b32 s6, s5
	s_cbranch_execz .LBB557_58
	s_branch .LBB557_79
.LBB557_68:                             ;   in Loop: Header=BB557_59 Depth=1
	s_mul_i32 s8, s7, s19
	s_mul_hi_u32 s15, s7, s18
	s_mul_i32 s14, s7, s18
	s_add_i32 s15, s15, s8
	s_lshl_b64 s[14:15], s[14:15], 1
	v_add_co_u32 v1, vcc_lo, v9, s14
	v_add_co_ci_u32_e64 v2, null, s15, v10, vcc_lo
	global_load_ushort v3, v[5:6], off
	s_waitcnt lgkmcnt(0)
	global_load_dwordx2 v[19:20], v[1:2], off
	s_clause 0x2
	global_load_ushort v2, v[7:8], off
	global_load_ushort v4, v[13:14], off
	;; [unrolled: 1-line block ×3, first 2 shown]
	s_waitcnt vmcnt(4)
	v_lshlrev_b32_e32 v1, 16, v3
	s_waitcnt vmcnt(3)
	v_lshlrev_b32_e32 v3, 16, v19
	;; [unrolled: 2-line block ×3, first 2 shown]
	v_and_b32_e32 v19, 0xffff0000, v19
	v_fma_f32 v27, v1, v3, 0
	s_waitcnt vmcnt(1)
	v_lshlrev_b32_e32 v3, 16, v4
	s_waitcnt vmcnt(0)
	v_lshlrev_b32_e32 v4, 16, v28
	v_fmac_f32_e32 v27, v2, v19
	v_lshlrev_b32_e32 v19, 16, v20
	v_and_b32_e32 v20, 0xffff0000, v20
	v_fmac_f32_e32 v27, v3, v19
	v_fmac_f32_e32 v27, v4, v20
	s_andn2_saveexec_b32 s16, s6
	s_cbranch_execz .LBB557_61
.LBB557_69:                             ;   in Loop: Header=BB557_59 Depth=1
	s_and_saveexec_b32 s17, s1
	s_cbranch_execz .LBB557_76
; %bb.70:                               ;   in Loop: Header=BB557_59 Depth=1
	s_andn2_b32 vcc_lo, exec_lo, s20
	s_cbranch_vccnz .LBB557_73
; %bb.71:                               ;   in Loop: Header=BB557_59 Depth=1
	s_waitcnt lgkmcnt(0)
	v_mov_b32_e32 v20, v18
	v_mov_b32_e32 v19, v17
	s_mov_b64 s[14:15], 0
	.p2align	6
.LBB557_72:                             ;   Parent Loop BB557_59 Depth=1
                                        ; =>  This Inner Loop Header: Depth=2
	global_load_ushort v28, v[19:20], off
	s_cmp_eq_u32 s14, 3
	v_add_co_u32 v19, vcc_lo, v19, s10
	v_add_co_ci_u32_e64 v20, null, s11, v20, vcc_lo
	s_cselect_b32 vcc_lo, -1, 0
	s_cmp_eq_u32 s14, 2
	s_cselect_b32 s6, -1, 0
	s_cmp_eq_u32 s14, 1
	s_cselect_b32 s8, -1, 0
	s_cmp_eq_u32 s14, 0
	s_waitcnt vmcnt(0)
	v_lshlrev_b32_e32 v28, 16, v28
	v_cndmask_b32_e32 v4, v4, v28, vcc_lo
	s_cselect_b32 vcc_lo, -1, 0
	v_cndmask_b32_e64 v3, v3, v28, s6
	v_cndmask_b32_e64 v2, v2, v28, s8
	v_cndmask_b32_e32 v1, v1, v28, vcc_lo
	s_add_u32 s14, s14, 1
	s_addc_u32 s15, s15, 0
	s_cmp_eq_u32 s23, s14
	s_cbranch_scc0 .LBB557_72
.LBB557_73:                             ;   in Loop: Header=BB557_59 Depth=1
	s_andn2_b32 vcc_lo, exec_lo, s20
	s_cbranch_vccnz .LBB557_76
; %bb.74:                               ;   in Loop: Header=BB557_59 Depth=1
	s_waitcnt lgkmcnt(0)
	v_mov_b32_e32 v20, v12
	v_mov_b32_e32 v19, v11
	s_mov_b64 s[14:15], 0
	.p2align	6
.LBB557_75:                             ;   Parent Loop BB557_59 Depth=1
                                        ; =>  This Inner Loop Header: Depth=2
	global_load_ushort v28, v[19:20], off
	s_cmp_eq_u32 s14, 1
	s_cselect_b32 vcc_lo, -1, 0
	s_cmp_eq_u32 s14, 2
	v_cndmask_b32_e32 v30, v1, v2, vcc_lo
	s_cselect_b32 vcc_lo, -1, 0
	s_cmp_eq_u32 s14, 3
	v_cndmask_b32_e32 v30, v30, v3, vcc_lo
	s_cselect_b32 vcc_lo, -1, 0
	s_add_u32 s14, s14, 1
	s_addc_u32 s15, s15, 0
	s_cmp_lg_u32 s23, s14
	v_cndmask_b32_e32 v30, v30, v4, vcc_lo
	v_add_co_u32 v19, vcc_lo, v19, 2
	v_add_co_ci_u32_e64 v20, null, 0, v20, vcc_lo
	s_waitcnt vmcnt(0)
	v_lshlrev_b32_e32 v28, 16, v28
	v_fmac_f32_e32 v27, v30, v28
	s_cbranch_scc1 .LBB557_75
.LBB557_76:                             ;   in Loop: Header=BB557_59 Depth=1
	s_or_b32 exec_lo, exec_lo, s17
	s_or_b32 exec_lo, exec_lo, s16
	s_and_saveexec_b32 s6, s2
	s_cbranch_execnz .LBB557_62
	s_branch .LBB557_63
.LBB557_77:                             ;   in Loop: Header=BB557_59 Depth=1
	ds_read_b32 v19, v21
	s_or_b32 exec_lo, exec_lo, s6
	s_and_saveexec_b32 s6, s2
	s_cbranch_execz .LBB557_67
.LBB557_78:                             ;   in Loop: Header=BB557_59 Depth=1
	s_waitcnt lgkmcnt(0)
	ds_bpermute_b32 v20, v24, v19
	s_waitcnt lgkmcnt(0)
	v_add_f32_e32 v19, v19, v20
	ds_bpermute_b32 v20, v25, v19
	s_waitcnt lgkmcnt(0)
	v_add_f32_e32 v19, v19, v20
	ds_bpermute_b32 v20, v29, v19
	s_waitcnt lgkmcnt(0)
	v_add_f32_e32 v19, v19, v20
	s_or_b32 exec_lo, exec_lo, s6
	s_and_saveexec_b32 s6, s5
	s_cbranch_execz .LBB557_58
.LBB557_79:                             ;   in Loop: Header=BB557_59 Depth=1
	s_mul_hi_u32 s15, s7, s22
	s_mul_i32 s14, s7, s22
	s_waitcnt lgkmcnt(0)
	v_mul_f32_e32 v19, s33, v19
	s_lshl_b64 s[14:15], s[14:15], 2
	s_add_u32 s14, s30, s14
	s_addc_u32 s15, s31, s15
	global_store_dword v0, v19, s[14:15]
	s_branch .LBB557_58
.LBB557_80:
	s_endpgm
	.section	.rodata,"a",@progbits
	.p2align	6, 0x0
	.amdhsa_kernel _ZL23rocblas_gemvt_sn_kernelILb0ELi256ELi4El16rocblas_bfloat16PKffEviiT4_lPKT3_lilS6_lilPT5_i
		.amdhsa_group_segment_fixed_size 128
		.amdhsa_private_segment_fixed_size 0
		.amdhsa_kernarg_size 360
		.amdhsa_user_sgpr_count 6
		.amdhsa_user_sgpr_private_segment_buffer 1
		.amdhsa_user_sgpr_dispatch_ptr 0
		.amdhsa_user_sgpr_queue_ptr 0
		.amdhsa_user_sgpr_kernarg_segment_ptr 1
		.amdhsa_user_sgpr_dispatch_id 0
		.amdhsa_user_sgpr_flat_scratch_init 0
		.amdhsa_user_sgpr_private_segment_size 0
		.amdhsa_wavefront_size32 1
		.amdhsa_uses_dynamic_stack 0
		.amdhsa_system_sgpr_private_segment_wavefront_offset 0
		.amdhsa_system_sgpr_workgroup_id_x 1
		.amdhsa_system_sgpr_workgroup_id_y 0
		.amdhsa_system_sgpr_workgroup_id_z 1
		.amdhsa_system_sgpr_workgroup_info 0
		.amdhsa_system_vgpr_workitem_id 0
		.amdhsa_next_free_vgpr 55
		.amdhsa_next_free_sgpr 56
		.amdhsa_reserve_vcc 1
		.amdhsa_reserve_flat_scratch 0
		.amdhsa_float_round_mode_32 0
		.amdhsa_float_round_mode_16_64 0
		.amdhsa_float_denorm_mode_32 3
		.amdhsa_float_denorm_mode_16_64 3
		.amdhsa_dx10_clamp 1
		.amdhsa_ieee_mode 1
		.amdhsa_fp16_overflow 0
		.amdhsa_workgroup_processor_mode 1
		.amdhsa_memory_ordered 1
		.amdhsa_forward_progress 1
		.amdhsa_shared_vgpr_count 0
		.amdhsa_exception_fp_ieee_invalid_op 0
		.amdhsa_exception_fp_denorm_src 0
		.amdhsa_exception_fp_ieee_div_zero 0
		.amdhsa_exception_fp_ieee_overflow 0
		.amdhsa_exception_fp_ieee_underflow 0
		.amdhsa_exception_fp_ieee_inexact 0
		.amdhsa_exception_int_div_zero 0
	.end_amdhsa_kernel
	.section	.text._ZL23rocblas_gemvt_sn_kernelILb0ELi256ELi4El16rocblas_bfloat16PKffEviiT4_lPKT3_lilS6_lilPT5_i,"axG",@progbits,_ZL23rocblas_gemvt_sn_kernelILb0ELi256ELi4El16rocblas_bfloat16PKffEviiT4_lPKT3_lilS6_lilPT5_i,comdat
.Lfunc_end557:
	.size	_ZL23rocblas_gemvt_sn_kernelILb0ELi256ELi4El16rocblas_bfloat16PKffEviiT4_lPKT3_lilS6_lilPT5_i, .Lfunc_end557-_ZL23rocblas_gemvt_sn_kernelILb0ELi256ELi4El16rocblas_bfloat16PKffEviiT4_lPKT3_lilS6_lilPT5_i
                                        ; -- End function
	.set _ZL23rocblas_gemvt_sn_kernelILb0ELi256ELi4El16rocblas_bfloat16PKffEviiT4_lPKT3_lilS6_lilPT5_i.num_vgpr, 55
	.set _ZL23rocblas_gemvt_sn_kernelILb0ELi256ELi4El16rocblas_bfloat16PKffEviiT4_lPKT3_lilS6_lilPT5_i.num_agpr, 0
	.set _ZL23rocblas_gemvt_sn_kernelILb0ELi256ELi4El16rocblas_bfloat16PKffEviiT4_lPKT3_lilS6_lilPT5_i.numbered_sgpr, 56
	.set _ZL23rocblas_gemvt_sn_kernelILb0ELi256ELi4El16rocblas_bfloat16PKffEviiT4_lPKT3_lilS6_lilPT5_i.num_named_barrier, 0
	.set _ZL23rocblas_gemvt_sn_kernelILb0ELi256ELi4El16rocblas_bfloat16PKffEviiT4_lPKT3_lilS6_lilPT5_i.private_seg_size, 0
	.set _ZL23rocblas_gemvt_sn_kernelILb0ELi256ELi4El16rocblas_bfloat16PKffEviiT4_lPKT3_lilS6_lilPT5_i.uses_vcc, 1
	.set _ZL23rocblas_gemvt_sn_kernelILb0ELi256ELi4El16rocblas_bfloat16PKffEviiT4_lPKT3_lilS6_lilPT5_i.uses_flat_scratch, 0
	.set _ZL23rocblas_gemvt_sn_kernelILb0ELi256ELi4El16rocblas_bfloat16PKffEviiT4_lPKT3_lilS6_lilPT5_i.has_dyn_sized_stack, 0
	.set _ZL23rocblas_gemvt_sn_kernelILb0ELi256ELi4El16rocblas_bfloat16PKffEviiT4_lPKT3_lilS6_lilPT5_i.has_recursion, 0
	.set _ZL23rocblas_gemvt_sn_kernelILb0ELi256ELi4El16rocblas_bfloat16PKffEviiT4_lPKT3_lilS6_lilPT5_i.has_indirect_call, 0
	.section	.AMDGPU.csdata,"",@progbits
; Kernel info:
; codeLenInByte = 4396
; TotalNumSgprs: 58
; NumVgprs: 55
; ScratchSize: 0
; MemoryBound: 0
; FloatMode: 240
; IeeeMode: 1
; LDSByteSize: 128 bytes/workgroup (compile time only)
; SGPRBlocks: 0
; VGPRBlocks: 6
; NumSGPRsForWavesPerEU: 58
; NumVGPRsForWavesPerEU: 55
; Occupancy: 16
; WaveLimiterHint : 1
; COMPUTE_PGM_RSRC2:SCRATCH_EN: 0
; COMPUTE_PGM_RSRC2:USER_SGPR: 6
; COMPUTE_PGM_RSRC2:TRAP_HANDLER: 0
; COMPUTE_PGM_RSRC2:TGID_X_EN: 1
; COMPUTE_PGM_RSRC2:TGID_Y_EN: 0
; COMPUTE_PGM_RSRC2:TGID_Z_EN: 1
; COMPUTE_PGM_RSRC2:TIDIG_COMP_CNT: 0
	.section	.text._ZL23rocblas_gemvt_sn_reduceILi256ELi8EfPKf16rocblas_bfloat16EviT2_lPT3_lilPT1_i,"axG",@progbits,_ZL23rocblas_gemvt_sn_reduceILi256ELi8EfPKf16rocblas_bfloat16EviT2_lPT3_lilPT1_i,comdat
	.globl	_ZL23rocblas_gemvt_sn_reduceILi256ELi8EfPKf16rocblas_bfloat16EviT2_lPT3_lilPT1_i ; -- Begin function _ZL23rocblas_gemvt_sn_reduceILi256ELi8EfPKf16rocblas_bfloat16EviT2_lPT3_lilPT1_i
	.p2align	8
	.type	_ZL23rocblas_gemvt_sn_reduceILi256ELi8EfPKf16rocblas_bfloat16EviT2_lPT3_lilPT1_i,@function
_ZL23rocblas_gemvt_sn_reduceILi256ELi8EfPKf16rocblas_bfloat16EviT2_lPT3_lilPT1_i: ; @_ZL23rocblas_gemvt_sn_reduceILi256ELi8EfPKf16rocblas_bfloat16EviT2_lPT3_lilPT1_i
; %bb.0:
	s_clause 0x2
	s_load_dwordx8 s[12:19], s[4:5], 0x8
	s_load_dword s9, s[4:5], 0x0
	s_load_dword s10, s[4:5], 0x4c
	v_lshlrev_b32_e32 v4, 3, v0
	v_mov_b32_e32 v3, 0
	s_waitcnt lgkmcnt(0)
	s_mul_i32 s0, s15, s8
	s_mul_hi_u32 s1, s14, s8
	s_ashr_i32 s11, s9, 31
	s_add_i32 s1, s1, s0
	s_mul_i32 s0, s14, s8
	s_mul_i32 s10, s10, s8
	s_lshl_b64 s[0:1], s[0:1], 2
	s_mov_b32 s14, 0
	s_add_u32 s0, s12, s0
	s_addc_u32 s1, s13, s1
	s_load_dwordx2 s[2:3], s[4:5], 0x38
	s_load_dword s6, s[0:1], 0x0
	s_add_u32 s0, s4, 0x48
	s_addc_u32 s1, s5, 0
	s_add_i32 s10, s10, s7
	s_lshr_b32 s12, s11, 29
	s_mul_i32 s11, s10, s11
	s_add_i32 s12, s9, s12
	s_mul_hi_u32 s13, s10, s9
	s_and_b32 s12, s12, -8
	s_add_i32 s11, s13, s11
	s_mul_i32 s10, s10, s9
	s_mov_b32 s13, exec_lo
	v_cmpx_gt_i32_e64 s12, v4
	s_cbranch_execz .LBB558_4
; %bb.1:
	s_load_dword s0, s[0:1], 0xc
	v_lshlrev_b32_e32 v1, 5, v0
	s_lshl_b64 s[20:21], s[10:11], 2
	v_mov_b32_e32 v3, 0
	s_waitcnt lgkmcnt(0)
	s_and_b32 s0, s0, 0xffff
	s_lshl_b32 s1, s0, 3
	s_add_u32 s15, s2, s20
	s_addc_u32 s20, s3, s21
	v_add_co_u32 v1, s15, s15, v1
	v_add_co_ci_u32_e64 v2, null, s20, 0, s15
	s_lshl_b32 s15, s0, 5
	v_add_co_u32 v1, vcc_lo, v1, 28
	v_add_co_ci_u32_e64 v2, null, 0, v2, vcc_lo
	.p2align	6
.LBB558_2:                              ; =>This Inner Loop Header: Depth=1
	s_clause 0x1
	global_load_dwordx4 v[5:8], v[1:2], off offset:-28
	global_load_dwordx4 v[9:12], v[1:2], off offset:-12
	v_add_nc_u32_e32 v4, s1, v4
	v_add_co_u32 v1, vcc_lo, v1, s15
	v_add_co_ci_u32_e64 v2, null, 0, v2, vcc_lo
	v_cmp_le_i32_e64 s0, s12, v4
	s_or_b32 s14, s0, s14
	s_waitcnt vmcnt(1)
	v_add_f32_e32 v3, v3, v5
	v_add_f32_e32 v3, v3, v6
	;; [unrolled: 1-line block ×4, first 2 shown]
	s_waitcnt vmcnt(0)
	v_add_f32_e32 v3, v3, v9
	v_add_f32_e32 v3, v3, v10
	;; [unrolled: 1-line block ×4, first 2 shown]
	s_andn2_b32 exec_lo, exec_lo, s14
	s_cbranch_execnz .LBB558_2
; %bb.3:
	s_or_b32 exec_lo, exec_lo, s14
.LBB558_4:
	s_or_b32 exec_lo, exec_lo, s13
	s_sub_i32 s0, s9, s12
	v_cmp_gt_u32_e32 vcc_lo, s0, v0
	s_and_saveexec_b32 s0, vcc_lo
	s_cbranch_execz .LBB558_6
; %bb.5:
	v_xad_u32 v1, v0, -1, s9
	v_mov_b32_e32 v2, 0
	s_lshl_b64 s[10:11], s[10:11], 2
	s_waitcnt lgkmcnt(0)
	s_add_u32 s1, s2, s10
	s_addc_u32 s2, s3, s11
	v_lshlrev_b64 v[1:2], 2, v[1:2]
	v_add_co_u32 v1, vcc_lo, s1, v1
	v_add_co_ci_u32_e64 v2, null, s2, v2, vcc_lo
	global_load_dword v1, v[1:2], off
	s_waitcnt vmcnt(0)
	v_add_f32_e32 v3, v3, v1
.LBB558_6:
	s_or_b32 exec_lo, exec_lo, s0
	v_and_b32_e32 v1, 31, v0
	v_cmp_gt_u32_e32 vcc_lo, 32, v0
	v_lshlrev_b32_e32 v2, 2, v1
	s_and_saveexec_b32 s0, vcc_lo
; %bb.7:
	v_mov_b32_e32 v4, 0
	ds_write_b32 v2, v4
; %bb.8:
	s_or_b32 exec_lo, exec_lo, s0
	v_mbcnt_lo_u32_b32 v5, -1, 0
	s_mov_b32 s1, exec_lo
	s_waitcnt lgkmcnt(0)
	s_barrier
	buffer_gl0_inv
	v_lshl_or_b32 v4, v5, 2, 64
	v_cmp_gt_u32_e64 s0, 24, v5
	ds_bpermute_b32 v4, v4, v3
	v_cndmask_b32_e64 v6, 0, 8, s0
	v_cmp_gt_u32_e64 s0, 28, v5
	v_add_lshl_u32 v6, v6, v5, 2
	s_waitcnt lgkmcnt(0)
	v_add_f32_e32 v4, v3, v4
	v_cndmask_b32_e64 v3, 0, 4, s0
	v_cmp_gt_u32_e64 s0, 30, v5
	ds_bpermute_b32 v6, v6, v4
	v_add_lshl_u32 v3, v3, v5, 2
	s_waitcnt lgkmcnt(0)
	v_add_f32_e32 v6, v4, v6
	v_cndmask_b32_e64 v4, 0, 2, s0
	v_cmp_ne_u32_e64 s0, 31, v5
	ds_bpermute_b32 v7, v3, v6
	v_add_lshl_u32 v4, v4, v5, 2
	v_add_co_ci_u32_e64 v5, null, 0, v5, s0
	v_lshlrev_b32_e32 v5, 2, v5
	s_waitcnt lgkmcnt(0)
	v_add_f32_e32 v6, v6, v7
	ds_bpermute_b32 v7, v4, v6
	s_waitcnt lgkmcnt(0)
	v_add_f32_e32 v6, v6, v7
	ds_bpermute_b32 v7, v5, v6
	v_cmpx_eq_u32_e32 0, v1
	s_cbranch_execz .LBB558_10
; %bb.9:
	v_lshrrev_b32_e32 v1, 3, v0
	s_waitcnt lgkmcnt(0)
	v_add_f32_e32 v6, v6, v7
	v_and_b32_e32 v1, 28, v1
	ds_write_b32 v1, v6
.LBB558_10:
	s_or_b32 exec_lo, exec_lo, s1
	v_mov_b32_e32 v1, 0
	s_mov_b32 s1, exec_lo
	s_waitcnt lgkmcnt(0)
	s_barrier
	buffer_gl0_inv
	v_cmpx_gt_u32_e32 8, v0
; %bb.11:
	ds_read_b32 v1, v2
; %bb.12:
	s_or_b32 exec_lo, exec_lo, s1
	s_and_saveexec_b32 s0, vcc_lo
	s_cbranch_execz .LBB558_14
; %bb.13:
	s_waitcnt lgkmcnt(0)
	ds_bpermute_b32 v2, v3, v1
	s_waitcnt lgkmcnt(0)
	v_add_f32_e32 v1, v1, v2
	ds_bpermute_b32 v2, v4, v1
	s_waitcnt lgkmcnt(0)
	v_add_f32_e32 v1, v1, v2
	;; [unrolled: 3-line block ×3, first 2 shown]
.LBB558_14:
	s_or_b32 exec_lo, exec_lo, s0
	s_mov_b32 s0, exec_lo
	v_cmpx_eq_u32_e32 0, v0
	s_cbranch_execz .LBB558_28
; %bb.15:
	s_clause 0x1
	s_load_dwordx2 s[0:1], s[4:5], 0x30
	s_load_dword s2, s[4:5], 0x28
	v_cmp_eq_f32_e64 s5, s6, 0
	s_waitcnt lgkmcnt(0)
	s_mul_i32 s1, s1, s8
	s_mul_hi_u32 s3, s0, s8
	s_mul_i32 s0, s0, s8
	s_add_i32 s1, s3, s1
	s_lshl_b64 s[0:1], s[0:1], 1
	s_add_u32 s3, s16, s0
	s_addc_u32 s4, s17, s1
	s_lshl_b64 s[0:1], s[18:19], 1
	s_add_u32 s3, s3, s0
	s_addc_u32 s4, s4, s1
	s_and_b32 vcc_lo, exec_lo, s5
	s_cbranch_vccz .LBB558_21
; %bb.16:
	v_and_b32_e32 v0, 0x7f800000, v1
	v_cmp_ne_u32_e32 vcc_lo, 0x7f800000, v0
                                        ; implicit-def: $vgpr0
	s_and_saveexec_b32 s0, vcc_lo
	s_xor_b32 s0, exec_lo, s0
; %bb.17:
	v_bfe_u32 v0, v1, 16, 1
	v_add3_u32 v0, v1, v0, 0x7fff
; %bb.18:
	s_andn2_saveexec_b32 s0, s0
; %bb.19:
	v_mov_b32_e32 v0, 0
	v_or_b32_e32 v2, 0x10000, v1
	v_cmp_eq_u32_sdwa vcc_lo, v1, v0 src0_sel:WORD_0 src1_sel:DWORD
	v_cndmask_b32_e32 v0, v2, v1, vcc_lo
; %bb.20:
	s_or_b32 exec_lo, exec_lo, s0
	s_mul_hi_u32 s5, s2, s7
	s_mul_i32 s0, s2, s7
	s_cbranch_execz .LBB558_22
	s_branch .LBB558_27
.LBB558_21:
                                        ; implicit-def: $vgpr0
	s_mul_hi_u32 s5, s2, s7
	s_mul_i32 s0, s2, s7
.LBB558_22:
	s_ashr_i32 s1, s2, 31
	v_mov_b32_e32 v0, 0
	s_mul_i32 s1, s1, s7
	s_add_i32 s1, s5, s1
	s_lshl_b64 s[8:9], s[0:1], 1
	s_add_u32 s8, s3, s8
	s_addc_u32 s9, s4, s9
	global_load_ushort v0, v0, s[8:9]
	s_waitcnt vmcnt(0)
	v_lshlrev_b32_e32 v0, 16, v0
	v_fmac_f32_e32 v1, s6, v0
	v_and_b32_e32 v0, 0x7f800000, v1
	v_cmp_ne_u32_e32 vcc_lo, 0x7f800000, v0
                                        ; implicit-def: $vgpr0
	s_and_saveexec_b32 s1, vcc_lo
	s_xor_b32 s1, exec_lo, s1
; %bb.23:
	v_bfe_u32 v0, v1, 16, 1
	v_add3_u32 v0, v1, v0, 0x7fff
                                        ; implicit-def: $vgpr1
; %bb.24:
	s_andn2_saveexec_b32 s1, s1
; %bb.25:
	v_mov_b32_e32 v0, 0
	v_or_b32_e32 v2, 0x10000, v1
	v_cmp_eq_u32_sdwa vcc_lo, v1, v0 src0_sel:WORD_0 src1_sel:DWORD
	v_cndmask_b32_e32 v0, v2, v1, vcc_lo
; %bb.26:
	s_or_b32 exec_lo, exec_lo, s1
.LBB558_27:
	s_ashr_i32 s1, s2, 31
	v_mov_b32_e32 v1, 0
	s_mul_i32 s1, s1, s7
	s_add_i32 s1, s5, s1
	s_lshl_b64 s[0:1], s[0:1], 1
	s_add_u32 s0, s3, s0
	s_addc_u32 s1, s4, s1
	global_store_short_d16_hi v1, v0, s[0:1]
.LBB558_28:
	s_endpgm
	.section	.rodata,"a",@progbits
	.p2align	6, 0x0
	.amdhsa_kernel _ZL23rocblas_gemvt_sn_reduceILi256ELi8EfPKf16rocblas_bfloat16EviT2_lPT3_lilPT1_i
		.amdhsa_group_segment_fixed_size 128
		.amdhsa_private_segment_fixed_size 0
		.amdhsa_kernarg_size 328
		.amdhsa_user_sgpr_count 6
		.amdhsa_user_sgpr_private_segment_buffer 1
		.amdhsa_user_sgpr_dispatch_ptr 0
		.amdhsa_user_sgpr_queue_ptr 0
		.amdhsa_user_sgpr_kernarg_segment_ptr 1
		.amdhsa_user_sgpr_dispatch_id 0
		.amdhsa_user_sgpr_flat_scratch_init 0
		.amdhsa_user_sgpr_private_segment_size 0
		.amdhsa_wavefront_size32 1
		.amdhsa_uses_dynamic_stack 0
		.amdhsa_system_sgpr_private_segment_wavefront_offset 0
		.amdhsa_system_sgpr_workgroup_id_x 1
		.amdhsa_system_sgpr_workgroup_id_y 1
		.amdhsa_system_sgpr_workgroup_id_z 1
		.amdhsa_system_sgpr_workgroup_info 0
		.amdhsa_system_vgpr_workitem_id 0
		.amdhsa_next_free_vgpr 13
		.amdhsa_next_free_sgpr 22
		.amdhsa_reserve_vcc 1
		.amdhsa_reserve_flat_scratch 0
		.amdhsa_float_round_mode_32 0
		.amdhsa_float_round_mode_16_64 0
		.amdhsa_float_denorm_mode_32 3
		.amdhsa_float_denorm_mode_16_64 3
		.amdhsa_dx10_clamp 1
		.amdhsa_ieee_mode 1
		.amdhsa_fp16_overflow 0
		.amdhsa_workgroup_processor_mode 1
		.amdhsa_memory_ordered 1
		.amdhsa_forward_progress 1
		.amdhsa_shared_vgpr_count 0
		.amdhsa_exception_fp_ieee_invalid_op 0
		.amdhsa_exception_fp_denorm_src 0
		.amdhsa_exception_fp_ieee_div_zero 0
		.amdhsa_exception_fp_ieee_overflow 0
		.amdhsa_exception_fp_ieee_underflow 0
		.amdhsa_exception_fp_ieee_inexact 0
		.amdhsa_exception_int_div_zero 0
	.end_amdhsa_kernel
	.section	.text._ZL23rocblas_gemvt_sn_reduceILi256ELi8EfPKf16rocblas_bfloat16EviT2_lPT3_lilPT1_i,"axG",@progbits,_ZL23rocblas_gemvt_sn_reduceILi256ELi8EfPKf16rocblas_bfloat16EviT2_lPT3_lilPT1_i,comdat
.Lfunc_end558:
	.size	_ZL23rocblas_gemvt_sn_reduceILi256ELi8EfPKf16rocblas_bfloat16EviT2_lPT3_lilPT1_i, .Lfunc_end558-_ZL23rocblas_gemvt_sn_reduceILi256ELi8EfPKf16rocblas_bfloat16EviT2_lPT3_lilPT1_i
                                        ; -- End function
	.set _ZL23rocblas_gemvt_sn_reduceILi256ELi8EfPKf16rocblas_bfloat16EviT2_lPT3_lilPT1_i.num_vgpr, 13
	.set _ZL23rocblas_gemvt_sn_reduceILi256ELi8EfPKf16rocblas_bfloat16EviT2_lPT3_lilPT1_i.num_agpr, 0
	.set _ZL23rocblas_gemvt_sn_reduceILi256ELi8EfPKf16rocblas_bfloat16EviT2_lPT3_lilPT1_i.numbered_sgpr, 22
	.set _ZL23rocblas_gemvt_sn_reduceILi256ELi8EfPKf16rocblas_bfloat16EviT2_lPT3_lilPT1_i.num_named_barrier, 0
	.set _ZL23rocblas_gemvt_sn_reduceILi256ELi8EfPKf16rocblas_bfloat16EviT2_lPT3_lilPT1_i.private_seg_size, 0
	.set _ZL23rocblas_gemvt_sn_reduceILi256ELi8EfPKf16rocblas_bfloat16EviT2_lPT3_lilPT1_i.uses_vcc, 1
	.set _ZL23rocblas_gemvt_sn_reduceILi256ELi8EfPKf16rocblas_bfloat16EviT2_lPT3_lilPT1_i.uses_flat_scratch, 0
	.set _ZL23rocblas_gemvt_sn_reduceILi256ELi8EfPKf16rocblas_bfloat16EviT2_lPT3_lilPT1_i.has_dyn_sized_stack, 0
	.set _ZL23rocblas_gemvt_sn_reduceILi256ELi8EfPKf16rocblas_bfloat16EviT2_lPT3_lilPT1_i.has_recursion, 0
	.set _ZL23rocblas_gemvt_sn_reduceILi256ELi8EfPKf16rocblas_bfloat16EviT2_lPT3_lilPT1_i.has_indirect_call, 0
	.section	.AMDGPU.csdata,"",@progbits
; Kernel info:
; codeLenInByte = 1180
; TotalNumSgprs: 24
; NumVgprs: 13
; ScratchSize: 0
; MemoryBound: 0
; FloatMode: 240
; IeeeMode: 1
; LDSByteSize: 128 bytes/workgroup (compile time only)
; SGPRBlocks: 0
; VGPRBlocks: 1
; NumSGPRsForWavesPerEU: 24
; NumVGPRsForWavesPerEU: 13
; Occupancy: 16
; WaveLimiterHint : 0
; COMPUTE_PGM_RSRC2:SCRATCH_EN: 0
; COMPUTE_PGM_RSRC2:USER_SGPR: 6
; COMPUTE_PGM_RSRC2:TRAP_HANDLER: 0
; COMPUTE_PGM_RSRC2:TGID_X_EN: 1
; COMPUTE_PGM_RSRC2:TGID_Y_EN: 1
; COMPUTE_PGM_RSRC2:TGID_Z_EN: 1
; COMPUTE_PGM_RSRC2:TIDIG_COMP_CNT: 0
	.section	.text._ZL23rocblas_gemvt_sn_kernelILb0ELi256ELi4Ei16rocblas_bfloat16ffEviiT4_lPKT3_lilS4_lilPT5_i,"axG",@progbits,_ZL23rocblas_gemvt_sn_kernelILb0ELi256ELi4Ei16rocblas_bfloat16ffEviiT4_lPKT3_lilS4_lilPT5_i,comdat
	.globl	_ZL23rocblas_gemvt_sn_kernelILb0ELi256ELi4Ei16rocblas_bfloat16ffEviiT4_lPKT3_lilS4_lilPT5_i ; -- Begin function _ZL23rocblas_gemvt_sn_kernelILb0ELi256ELi4Ei16rocblas_bfloat16ffEviiT4_lPKT3_lilS4_lilPT5_i
	.p2align	8
	.type	_ZL23rocblas_gemvt_sn_kernelILb0ELi256ELi4Ei16rocblas_bfloat16ffEviiT4_lPKT3_lilS4_lilPT5_i,@function
_ZL23rocblas_gemvt_sn_kernelILb0ELi256ELi4Ei16rocblas_bfloat16ffEviiT4_lPKT3_lilS4_lilPT5_i: ; @_ZL23rocblas_gemvt_sn_kernelILb0ELi256ELi4Ei16rocblas_bfloat16ffEviiT4_lPKT3_lilS4_lilPT5_i
; %bb.0:
	s_clause 0x2
	s_load_dwordx4 s[12:15], s[4:5], 0x0
	s_load_dword s20, s[4:5], 0x68
	s_load_dwordx4 s[8:11], s[4:5], 0x50
	s_mov_b32 s21, 0
	s_waitcnt lgkmcnt(0)
	s_ashr_i32 s24, s13, 31
	s_mul_hi_u32 s0, s13, s7
	s_mul_i32 s1, s24, s7
	s_mul_i32 s2, s13, s7
	s_add_i32 s0, s0, s1
	s_mul_hi_u32 s1, s2, s20
	s_mul_i32 s3, s0, s20
	s_mul_i32 s0, s2, s20
	s_add_i32 s1, s1, s3
	v_cmp_neq_f32_e64 s2, s14, 0
	s_lshl_b64 s[0:1], s[0:1], 2
	s_add_u32 s36, s10, s0
	v_cmp_eq_u32_e64 s0, 0, v0
	s_addc_u32 s35, s11, s1
	s_and_b32 vcc_lo, exec_lo, s2
	s_cbranch_vccnz .LBB559_5
; %bb.1:
	s_cmp_gt_i32 s13, 0
	s_cselect_b32 s1, -1, 0
	s_and_b32 s0, s0, s1
	s_and_saveexec_b32 s10, s0
	s_cbranch_execz .LBB559_4
; %bb.2:
	s_mov_b32 s0, s7
	s_mov_b32 s7, 0
	v_mov_b32_e32 v1, 0
	s_lshl_b64 s[2:3], s[6:7], 2
	s_mov_b32 s7, s0
	s_add_u32 s0, s36, s2
	s_addc_u32 s1, s35, s3
	s_lshl_b64 s[2:3], s[20:21], 2
	s_mov_b32 s11, s13
.LBB559_3:                              ; =>This Inner Loop Header: Depth=1
	s_add_i32 s11, s11, -1
	global_store_dword v1, v1, s[0:1]
	s_add_u32 s0, s0, s2
	s_addc_u32 s1, s1, s3
	s_cmp_eq_u32 s11, 0
	s_cbranch_scc0 .LBB559_3
.LBB559_4:
	s_or_b32 exec_lo, exec_lo, s10
	s_cbranch_execz .LBB559_6
	s_branch .LBB559_80
.LBB559_5:
.LBB559_6:
	s_clause 0x2
	s_load_dwordx4 s[0:3], s[4:5], 0x30
	s_load_dwordx2 s[22:23], s[4:5], 0x40
	s_load_dwordx4 s[16:19], s[4:5], 0x18
	s_mul_i32 s9, s9, s7
	s_mul_hi_u32 s10, s8, s7
	s_mul_i32 s8, s8, s7
	s_add_i32 s9, s10, s9
	s_clause 0x1
	s_load_dword s10, s[4:5], 0x28
	s_load_dword s33, s[4:5], 0x48
	s_lshl_b64 s[8:9], s[8:9], 1
	v_and_b32_e32 v10, 31, v0
	v_mbcnt_lo_u32_b32 v24, -1, 0
	v_lshrrev_b32_e32 v25, 3, v0
	s_waitcnt lgkmcnt(0)
	s_add_u32 s8, s2, s8
	s_addc_u32 s9, s3, s9
	s_lshl_b64 s[2:3], s[22:23], 1
	s_mul_i32 s1, s1, s7
	s_mul_hi_u32 s11, s0, s7
	s_add_u32 s15, s8, s2
	s_mul_i32 s0, s0, s7
	s_addc_u32 s21, s9, s3
	s_add_i32 s1, s11, s1
	s_lshl_b64 s[22:23], s[0:1], 1
	v_cmp_gt_u32_e64 s0, 32, v0
	s_add_u32 s1, s16, s22
	s_addc_u32 s2, s17, s23
	s_lshl_b64 s[18:19], s[18:19], 1
	s_add_u32 s3, s1, s18
	s_addc_u32 s2, s2, s19
	s_lshl_b32 s1, s6, 10
	s_ashr_i32 s4, s12, 31
	v_lshl_or_b32 v1, v0, 2, s1
	s_lshr_b32 s4, s4, 30
	s_lshr_b32 s5, s24, 30
	s_add_i32 s4, s12, s4
	s_add_i32 s5, s13, s5
	v_ashrrev_i32_e32 v2, 31, v1
	s_and_b32 s4, s4, -4
	v_mul_lo_u32 v9, s33, v1
	s_sub_i32 s34, s12, s4
	v_cmp_gt_u32_e64 s1, 8, v0
	v_lshlrev_b64 v[11:12], 1, v[1:2]
	v_add_nc_u32_e32 v26, 4, v1
	v_add_nc_u32_e32 v27, s34, v1
	s_and_b32 s37, s5, -4
	s_cmp_lt_i32 s37, 1
	v_add_co_u32 v22, vcc_lo, s3, v11
	v_add_co_ci_u32_e64 v23, null, s2, v12, vcc_lo
	s_cbranch_scc1 .LBB559_55
; %bb.7:
	v_cmp_gt_u32_e32 vcc_lo, 24, v24
	v_mul_lo_u32 v13, s33, v1
	s_cmp_gt_i32 s34, 0
	s_mov_b32 s9, 0
	s_cselect_b32 s38, -1, 0
	v_cndmask_b32_e64 v2, 0, 8, vcc_lo
	v_cmp_gt_u32_e32 vcc_lo, 28, v24
	s_lshl_b32 s39, s10, 2
	s_lshl_b32 s8, s10, 1
	v_ashrrev_i32_e32 v14, 31, v13
	v_add_lshl_u32 v29, v2, v24, 2
	v_cndmask_b32_e64 v3, 0, 4, vcc_lo
	v_cmp_gt_u32_e32 vcc_lo, 30, v24
	s_add_u32 s7, s22, s18
	v_lshlrev_b64 v[5:6], 1, v[13:14]
	s_addc_u32 s24, s23, s19
	v_add_lshl_u32 v30, v3, v24, 2
	v_cndmask_b32_e64 v1, 0, 2, vcc_lo
	v_cmp_ne_u32_e32 vcc_lo, 31, v24
	s_add_u32 s7, s16, s7
	s_addc_u32 s24, s17, s24
	v_cmp_ge_i32_e64 s2, s12, v26
	v_add_lshl_u32 v31, v1, v24, 2
	v_add_nc_u32_e32 v1, s33, v13
	v_add_co_ci_u32_e64 v4, null, 0, v24, vcc_lo
	v_add_co_u32 v14, vcc_lo, s15, v5
	v_add_nc_u32_e32 v3, s33, v1
	v_ashrrev_i32_e32 v2, 31, v1
	v_lshlrev_b32_e32 v32, 2, v4
	v_add_co_ci_u32_e64 v15, null, s21, v6, vcc_lo
	v_add_nc_u32_e32 v7, s33, v3
	v_lshlrev_b64 v[1:2], 1, v[1:2]
	v_ashrrev_i32_e32 v4, 31, v3
	v_mov_b32_e32 v5, 0
	v_cmp_ge_i32_e64 s3, s12, v27
	v_ashrrev_i32_e32 v8, 31, v7
	v_lshl_or_b32 v28, v24, 2, 64
	v_lshlrev_b64 v[3:4], 1, v[3:4]
	v_add_co_u32 v16, vcc_lo, s15, v1
	v_add_co_ci_u32_e64 v17, null, s21, v2, vcc_lo
	v_lshlrev_b64 v[1:2], 1, v[7:8]
	v_add_co_u32 v18, vcc_lo, s15, v3
	v_mov_b32_e32 v6, v5
	v_mov_b32_e32 v7, v5
	;; [unrolled: 1-line block ×3, first 2 shown]
	v_add_co_ci_u32_e64 v19, null, s21, v4, vcc_lo
	v_add_co_u32 v20, vcc_lo, s15, v1
	v_add_co_ci_u32_e64 v21, null, s21, v2, vcc_lo
	v_add_co_u32 v35, vcc_lo, s7, v11
	v_mov_b32_e32 v1, v5
	v_cmp_eq_u32_e64 s4, 0, v10
	v_lshlrev_b32_e32 v33, 2, v10
	v_and_b32_e32 v34, 28, v25
	v_cmp_eq_u32_e64 s5, 0, v0
	v_add_co_ci_u32_e64 v36, null, s24, v12, vcc_lo
	v_mov_b32_e32 v2, v6
	v_mov_b32_e32 v3, v7
	;; [unrolled: 1-line block ×3, first 2 shown]
	s_mov_b32 s11, s9
	s_mul_i32 s40, s10, 3
	s_mov_b32 s41, s9
	s_mov_b32 s24, s9
	s_mov_b64 s[26:27], s[8:9]
	s_mov_b64 s[28:29], s[10:11]
	s_mov_b32 s11, 0
	s_branch .LBB559_9
.LBB559_8:                              ;   in Loop: Header=BB559_9 Depth=1
	s_or_b32 exec_lo, exec_lo, s7
	s_add_i32 s11, s11, 4
	s_add_u32 s28, s28, s39
	s_addc_u32 s29, s29, 0
	s_add_u32 s26, s26, s39
	s_addc_u32 s27, s27, 0
	;; [unrolled: 2-line block ×3, first 2 shown]
	s_add_i32 s24, s24, s39
	s_cmp_ge_i32 s11, s37
	s_cbranch_scc1 .LBB559_56
.LBB559_9:                              ; =>This Loop Header: Depth=1
                                        ;     Child Loop BB559_40 Depth 2
                                        ;     Child Loop BB559_43 Depth 2
                                        ; implicit-def: $vgpr8
                                        ; implicit-def: $vgpr37
                                        ; implicit-def: $vgpr38
                                        ; implicit-def: $vgpr39
	s_and_saveexec_b32 s7, s2
	s_xor_b32 s7, exec_lo, s7
	s_cbranch_execnz .LBB559_36
; %bb.10:                               ;   in Loop: Header=BB559_9 Depth=1
	s_andn2_saveexec_b32 s42, s7
	s_cbranch_execnz .LBB559_37
.LBB559_11:                             ;   in Loop: Header=BB559_9 Depth=1
	s_or_b32 exec_lo, exec_lo, s42
	s_and_saveexec_b32 s7, s0
.LBB559_12:                             ;   in Loop: Header=BB559_9 Depth=1
	ds_write_b32 v33, v5
.LBB559_13:                             ;   in Loop: Header=BB559_9 Depth=1
	s_or_b32 exec_lo, exec_lo, s7
	ds_bpermute_b32 v6, v28, v39
	s_waitcnt lgkmcnt(0)
	s_waitcnt_vscnt null, 0x0
	s_barrier
	buffer_gl0_inv
	v_add_f32_e32 v6, v39, v6
	ds_bpermute_b32 v7, v29, v6
	s_waitcnt lgkmcnt(0)
	v_add_f32_e32 v6, v6, v7
	ds_bpermute_b32 v7, v30, v6
	s_waitcnt lgkmcnt(0)
	;; [unrolled: 3-line block ×3, first 2 shown]
	v_add_f32_e32 v6, v6, v7
	ds_bpermute_b32 v7, v32, v6
	s_and_saveexec_b32 s7, s4
	s_cbranch_execz .LBB559_15
; %bb.14:                               ;   in Loop: Header=BB559_9 Depth=1
	s_waitcnt lgkmcnt(0)
	v_add_f32_e32 v6, v6, v7
	ds_write_b32 v34, v6
.LBB559_15:                             ;   in Loop: Header=BB559_9 Depth=1
	s_or_b32 exec_lo, exec_lo, s7
	v_mov_b32_e32 v6, 0
	s_waitcnt lgkmcnt(0)
	s_barrier
	buffer_gl0_inv
	s_and_saveexec_b32 s7, s1
	s_cbranch_execnz .LBB559_44
; %bb.16:                               ;   in Loop: Header=BB559_9 Depth=1
	s_or_b32 exec_lo, exec_lo, s7
	s_and_saveexec_b32 s7, s0
	s_cbranch_execnz .LBB559_45
.LBB559_17:                             ;   in Loop: Header=BB559_9 Depth=1
	s_or_b32 exec_lo, exec_lo, s7
	s_and_saveexec_b32 s7, s0
.LBB559_18:                             ;   in Loop: Header=BB559_9 Depth=1
	ds_write_b32 v33, v5
.LBB559_19:                             ;   in Loop: Header=BB559_9 Depth=1
	s_or_b32 exec_lo, exec_lo, s7
	ds_bpermute_b32 v7, v28, v38
	s_waitcnt lgkmcnt(0)
	s_barrier
	buffer_gl0_inv
	v_add_f32_e32 v7, v38, v7
	ds_bpermute_b32 v38, v29, v7
	s_waitcnt lgkmcnt(0)
	v_add_f32_e32 v7, v7, v38
	ds_bpermute_b32 v38, v30, v7
	s_waitcnt lgkmcnt(0)
	;; [unrolled: 3-line block ×3, first 2 shown]
	v_add_f32_e32 v7, v7, v38
	ds_bpermute_b32 v38, v32, v7
	s_and_saveexec_b32 s7, s4
	s_cbranch_execz .LBB559_21
; %bb.20:                               ;   in Loop: Header=BB559_9 Depth=1
	s_waitcnt lgkmcnt(0)
	v_add_f32_e32 v7, v7, v38
	ds_write_b32 v34, v7
.LBB559_21:                             ;   in Loop: Header=BB559_9 Depth=1
	s_or_b32 exec_lo, exec_lo, s7
	v_mov_b32_e32 v7, 0
	s_waitcnt lgkmcnt(0)
	s_barrier
	buffer_gl0_inv
	s_and_saveexec_b32 s7, s1
	s_cbranch_execnz .LBB559_46
; %bb.22:                               ;   in Loop: Header=BB559_9 Depth=1
	s_or_b32 exec_lo, exec_lo, s7
	s_and_saveexec_b32 s7, s0
	s_cbranch_execnz .LBB559_47
.LBB559_23:                             ;   in Loop: Header=BB559_9 Depth=1
	s_or_b32 exec_lo, exec_lo, s7
	s_and_saveexec_b32 s7, s0
.LBB559_24:                             ;   in Loop: Header=BB559_9 Depth=1
	ds_write_b32 v33, v5
.LBB559_25:                             ;   in Loop: Header=BB559_9 Depth=1
	s_or_b32 exec_lo, exec_lo, s7
	ds_bpermute_b32 v38, v28, v37
	s_waitcnt lgkmcnt(0)
	s_barrier
	buffer_gl0_inv
	v_add_f32_e32 v37, v37, v38
	ds_bpermute_b32 v38, v29, v37
	s_waitcnt lgkmcnt(0)
	v_add_f32_e32 v37, v37, v38
	ds_bpermute_b32 v38, v30, v37
	s_waitcnt lgkmcnt(0)
	v_add_f32_e32 v37, v37, v38
	ds_bpermute_b32 v38, v31, v37
	s_waitcnt lgkmcnt(0)
	v_add_f32_e32 v37, v37, v38
	ds_bpermute_b32 v38, v32, v37
	s_and_saveexec_b32 s7, s4
	s_cbranch_execz .LBB559_27
; %bb.26:                               ;   in Loop: Header=BB559_9 Depth=1
	s_waitcnt lgkmcnt(0)
	v_add_f32_e32 v37, v37, v38
	ds_write_b32 v34, v37
.LBB559_27:                             ;   in Loop: Header=BB559_9 Depth=1
	s_or_b32 exec_lo, exec_lo, s7
	v_mov_b32_e32 v37, 0
	s_waitcnt lgkmcnt(0)
	s_barrier
	buffer_gl0_inv
	s_and_saveexec_b32 s7, s1
	s_cbranch_execnz .LBB559_48
; %bb.28:                               ;   in Loop: Header=BB559_9 Depth=1
	s_or_b32 exec_lo, exec_lo, s7
	s_and_saveexec_b32 s7, s0
	s_cbranch_execnz .LBB559_49
.LBB559_29:                             ;   in Loop: Header=BB559_9 Depth=1
	s_or_b32 exec_lo, exec_lo, s7
	s_and_saveexec_b32 s7, s0
.LBB559_30:                             ;   in Loop: Header=BB559_9 Depth=1
	ds_write_b32 v33, v5
.LBB559_31:                             ;   in Loop: Header=BB559_9 Depth=1
	s_or_b32 exec_lo, exec_lo, s7
	ds_bpermute_b32 v38, v28, v8
	s_waitcnt lgkmcnt(0)
	s_barrier
	buffer_gl0_inv
	v_add_f32_e32 v8, v8, v38
	ds_bpermute_b32 v38, v29, v8
	s_waitcnt lgkmcnt(0)
	v_add_f32_e32 v8, v8, v38
	ds_bpermute_b32 v38, v30, v8
	s_waitcnt lgkmcnt(0)
	v_add_f32_e32 v8, v8, v38
	ds_bpermute_b32 v38, v31, v8
	s_waitcnt lgkmcnt(0)
	v_add_f32_e32 v8, v8, v38
	ds_bpermute_b32 v38, v32, v8
	s_and_saveexec_b32 s7, s4
	s_cbranch_execz .LBB559_33
; %bb.32:                               ;   in Loop: Header=BB559_9 Depth=1
	s_waitcnt lgkmcnt(0)
	v_add_f32_e32 v8, v8, v38
	ds_write_b32 v34, v8
.LBB559_33:                             ;   in Loop: Header=BB559_9 Depth=1
	s_or_b32 exec_lo, exec_lo, s7
	v_mov_b32_e32 v8, 0
	s_waitcnt lgkmcnt(0)
	s_barrier
	buffer_gl0_inv
	s_and_saveexec_b32 s7, s1
	s_cbranch_execnz .LBB559_50
; %bb.34:                               ;   in Loop: Header=BB559_9 Depth=1
	s_or_b32 exec_lo, exec_lo, s7
	s_and_saveexec_b32 s7, s0
	s_cbranch_execnz .LBB559_51
.LBB559_35:                             ;   in Loop: Header=BB559_9 Depth=1
	s_or_b32 exec_lo, exec_lo, s7
	s_and_saveexec_b32 s7, s5
	s_cbranch_execz .LBB559_8
	s_branch .LBB559_52
.LBB559_36:                             ;   in Loop: Header=BB559_9 Depth=1
	s_mul_i32 s30, s11, s10
	s_ashr_i32 s31, s30, 31
	s_add_i32 s42, s30, s10
	s_lshl_b64 s[30:31], s[30:31], 1
	s_ashr_i32 s43, s42, 31
	v_add_co_u32 v1, vcc_lo, v22, s30
	v_add_co_ci_u32_e64 v2, null, s31, v23, vcc_lo
	s_lshl_b64 s[30:31], s[42:43], 1
	v_add_co_u32 v3, vcc_lo, v22, s30
	s_add_i32 s30, s42, s10
	v_add_co_ci_u32_e64 v4, null, s31, v23, vcc_lo
	s_ashr_i32 s31, s30, 31
	s_add_i32 s42, s30, s10
	s_lshl_b64 s[30:31], s[30:31], 1
	s_clause 0x1
	global_load_dwordx2 v[6:7], v[1:2], off
	global_load_dwordx2 v[37:38], v[3:4], off
	s_ashr_i32 s43, s42, 31
	v_add_co_u32 v1, vcc_lo, v22, s30
	v_add_co_ci_u32_e64 v2, null, s31, v23, vcc_lo
	s_lshl_b64 s[30:31], s[42:43], 1
	s_waitcnt lgkmcnt(0)
	s_clause 0x2
	global_load_ushort v8, v[14:15], off
	global_load_ushort v43, v[16:17], off
	;; [unrolled: 1-line block ×3, first 2 shown]
	v_add_co_u32 v3, vcc_lo, v22, s30
	v_add_co_ci_u32_e64 v4, null, s31, v23, vcc_lo
	s_clause 0x1
	global_load_dwordx2 v[39:40], v[1:2], off
	global_load_dwordx2 v[41:42], v[3:4], off
	global_load_ushort v4, v[20:21], off
	s_waitcnt vmcnt(6)
	v_and_b32_e32 v45, 0xffff0000, v37
	v_lshlrev_b32_e32 v46, 16, v38
	v_and_b32_e32 v47, 0xffff0000, v38
	s_waitcnt vmcnt(5)
	v_lshlrev_b32_e32 v1, 16, v8
	v_lshlrev_b32_e32 v8, 16, v6
	s_waitcnt vmcnt(3)
	v_lshlrev_b32_e32 v3, 16, v44
	v_lshlrev_b32_e32 v44, 16, v37
	;; [unrolled: 1-line block ×3, first 2 shown]
	v_and_b32_e32 v6, 0xffff0000, v6
	v_lshlrev_b32_e32 v43, 16, v7
	s_waitcnt vmcnt(2)
	v_lshlrev_b32_e32 v37, 16, v39
	s_waitcnt vmcnt(1)
	v_lshlrev_b32_e32 v50, 16, v41
	v_and_b32_e32 v48, 0xffff0000, v39
	v_fma_f32 v39, v1, v8, 0
	v_and_b32_e32 v41, 0xffff0000, v41
	v_fma_f32 v38, v1, v44, 0
	v_fma_f32 v37, v1, v37, 0
	v_fma_f32 v8, v50, v1, 0
	v_lshlrev_b32_e32 v49, 16, v40
	v_fmac_f32_e32 v39, v2, v6
	v_fmac_f32_e32 v38, v2, v45
	v_fmac_f32_e32 v37, v2, v48
	v_fmac_f32_e32 v8, v2, v41
	v_lshlrev_b32_e32 v6, 16, v42
	v_and_b32_e32 v7, 0xffff0000, v7
	v_and_b32_e32 v40, 0xffff0000, v40
	;; [unrolled: 1-line block ×3, first 2 shown]
	s_waitcnt vmcnt(0)
	v_lshlrev_b32_e32 v4, 16, v4
	v_fmac_f32_e32 v39, v3, v43
	v_fmac_f32_e32 v38, v3, v46
	;; [unrolled: 1-line block ×8, first 2 shown]
	s_andn2_saveexec_b32 s42, s7
	s_cbranch_execz .LBB559_11
.LBB559_37:                             ;   in Loop: Header=BB559_9 Depth=1
	s_waitcnt lgkmcnt(0)
	v_mov_b32_e32 v8, 0
	v_mov_b32_e32 v37, 0
	;; [unrolled: 1-line block ×4, first 2 shown]
	s_and_saveexec_b32 s43, s3
	s_cbranch_execz .LBB559_54
; %bb.38:                               ;   in Loop: Header=BB559_9 Depth=1
	s_andn2_b32 vcc_lo, exec_lo, s38
	s_cbranch_vccnz .LBB559_41
; %bb.39:                               ;   in Loop: Header=BB559_9 Depth=1
	v_mov_b32_e32 v6, v13
	s_mov_b64 s[30:31], 0
	.p2align	6
.LBB559_40:                             ;   Parent Loop BB559_9 Depth=1
                                        ; =>  This Inner Loop Header: Depth=2
	v_ashrrev_i32_e32 v7, 31, v6
	s_cmp_eq_u32 s30, 3
	v_lshlrev_b64 v[7:8], 1, v[6:7]
	v_add_nc_u32_e32 v6, s33, v6
	v_add_co_u32 v7, vcc_lo, s15, v7
	v_add_co_ci_u32_e64 v8, null, s21, v8, vcc_lo
	s_cselect_b32 vcc_lo, -1, 0
	s_cmp_eq_u32 s30, 2
	s_cselect_b32 s7, -1, 0
	global_load_ushort v7, v[7:8], off
	s_cmp_eq_u32 s30, 1
	s_cselect_b32 s8, -1, 0
	s_cmp_eq_u32 s30, 0
	s_waitcnt vmcnt(0)
	v_lshlrev_b32_e32 v7, 16, v7
	v_cndmask_b32_e32 v4, v4, v7, vcc_lo
	s_cselect_b32 vcc_lo, -1, 0
	v_cndmask_b32_e64 v3, v3, v7, s7
	v_cndmask_b32_e64 v2, v2, v7, s8
	v_cndmask_b32_e32 v1, v1, v7, vcc_lo
	s_add_u32 s30, s30, 1
	s_addc_u32 s31, s31, 0
	s_cmp_eq_u32 s34, s30
	s_cbranch_scc0 .LBB559_40
.LBB559_41:                             ;   in Loop: Header=BB559_9 Depth=1
	s_andn2_b32 vcc_lo, exec_lo, s38
	s_cbranch_vccnz .LBB559_53
; %bb.42:                               ;   in Loop: Header=BB559_9 Depth=1
	s_ashr_i32 s25, s24, 31
	v_mov_b32_e32 v39, 0
	s_lshl_b64 s[30:31], s[24:25], 1
	v_mov_b32_e32 v38, 0
	v_add_co_u32 v6, vcc_lo, v35, s30
	v_add_co_ci_u32_e64 v7, null, s31, v36, vcc_lo
	v_mov_b32_e32 v37, 0
	v_mov_b32_e32 v8, 0
	s_mov_b64 s[30:31], 0
.LBB559_43:                             ;   Parent Loop BB559_9 Depth=1
                                        ; =>  This Inner Loop Header: Depth=2
	s_cmp_eq_u32 s30, 1
	s_cselect_b32 vcc_lo, -1, 0
	s_cmp_eq_u32 s30, 2
	v_cndmask_b32_e32 v40, v1, v2, vcc_lo
	s_cselect_b32 vcc_lo, -1, 0
	s_cmp_eq_u32 s30, 3
	v_cndmask_b32_e32 v46, v40, v3, vcc_lo
	s_cselect_b32 vcc_lo, -1, 0
	s_add_i32 s44, s28, s30
	s_add_i32 s46, s26, s30
	s_ashr_i32 s45, s44, 31
	s_add_i32 s48, s40, s30
	s_ashr_i32 s47, s46, 31
	s_lshl_b64 s[44:45], s[44:45], 1
	s_ashr_i32 s49, s48, 31
	s_lshl_b64 s[46:47], s[46:47], 1
	v_add_co_u32 v40, s7, v22, s44
	s_lshl_b64 s[48:49], s[48:49], 1
	v_add_co_ci_u32_e64 v41, null, s45, v23, s7
	v_add_co_u32 v42, s7, v22, s46
	v_add_co_ci_u32_e64 v43, null, s47, v23, s7
	v_add_co_u32 v44, s7, v22, s48
	v_add_co_ci_u32_e64 v45, null, s49, v23, s7
	global_load_ushort v47, v[6:7], off
	s_clause 0x2
	global_load_ushort v40, v[40:41], off
	global_load_ushort v41, v[42:43], off
	;; [unrolled: 1-line block ×3, first 2 shown]
	v_cndmask_b32_e32 v43, v46, v4, vcc_lo
	v_add_co_u32 v6, s7, v6, 2
	v_add_co_ci_u32_e64 v7, null, 0, v7, s7
	s_add_u32 s30, s30, 1
	s_addc_u32 s31, s31, 0
	s_cmp_lg_u32 s34, s30
	s_waitcnt vmcnt(3)
	v_lshlrev_b32_e32 v44, 16, v47
	s_waitcnt vmcnt(2)
	v_lshlrev_b32_e32 v40, 16, v40
	;; [unrolled: 2-line block ×4, first 2 shown]
	v_fmac_f32_e32 v39, v43, v44
	v_fmac_f32_e32 v38, v43, v40
	;; [unrolled: 1-line block ×4, first 2 shown]
	s_cbranch_scc1 .LBB559_43
	s_branch .LBB559_54
.LBB559_44:                             ;   in Loop: Header=BB559_9 Depth=1
	ds_read_b32 v6, v33
	s_or_b32 exec_lo, exec_lo, s7
	s_and_saveexec_b32 s7, s0
	s_cbranch_execz .LBB559_17
.LBB559_45:                             ;   in Loop: Header=BB559_9 Depth=1
	s_waitcnt lgkmcnt(0)
	ds_bpermute_b32 v7, v30, v6
	s_waitcnt lgkmcnt(0)
	v_add_f32_e32 v6, v6, v7
	ds_bpermute_b32 v7, v31, v6
	s_waitcnt lgkmcnt(0)
	v_add_f32_e32 v6, v6, v7
	;; [unrolled: 3-line block ×3, first 2 shown]
	s_or_b32 exec_lo, exec_lo, s7
	s_and_saveexec_b32 s7, s0
	s_cbranch_execnz .LBB559_18
	s_branch .LBB559_19
.LBB559_46:                             ;   in Loop: Header=BB559_9 Depth=1
	ds_read_b32 v7, v33
	s_or_b32 exec_lo, exec_lo, s7
	s_and_saveexec_b32 s7, s0
	s_cbranch_execz .LBB559_23
.LBB559_47:                             ;   in Loop: Header=BB559_9 Depth=1
	s_waitcnt lgkmcnt(0)
	ds_bpermute_b32 v38, v30, v7
	s_waitcnt lgkmcnt(0)
	v_add_f32_e32 v7, v7, v38
	ds_bpermute_b32 v38, v31, v7
	s_waitcnt lgkmcnt(0)
	v_add_f32_e32 v7, v7, v38
	;; [unrolled: 3-line block ×3, first 2 shown]
	s_or_b32 exec_lo, exec_lo, s7
	s_and_saveexec_b32 s7, s0
	s_cbranch_execnz .LBB559_24
	s_branch .LBB559_25
.LBB559_48:                             ;   in Loop: Header=BB559_9 Depth=1
	ds_read_b32 v37, v33
	s_or_b32 exec_lo, exec_lo, s7
	s_and_saveexec_b32 s7, s0
	s_cbranch_execz .LBB559_29
.LBB559_49:                             ;   in Loop: Header=BB559_9 Depth=1
	s_waitcnt lgkmcnt(0)
	ds_bpermute_b32 v38, v30, v37
	s_waitcnt lgkmcnt(0)
	v_add_f32_e32 v37, v37, v38
	ds_bpermute_b32 v38, v31, v37
	s_waitcnt lgkmcnt(0)
	v_add_f32_e32 v37, v37, v38
	;; [unrolled: 3-line block ×3, first 2 shown]
	s_or_b32 exec_lo, exec_lo, s7
	s_and_saveexec_b32 s7, s0
	s_cbranch_execnz .LBB559_30
	s_branch .LBB559_31
.LBB559_50:                             ;   in Loop: Header=BB559_9 Depth=1
	ds_read_b32 v8, v33
	s_or_b32 exec_lo, exec_lo, s7
	s_and_saveexec_b32 s7, s0
	s_cbranch_execz .LBB559_35
.LBB559_51:                             ;   in Loop: Header=BB559_9 Depth=1
	s_waitcnt lgkmcnt(0)
	ds_bpermute_b32 v38, v30, v8
	s_waitcnt lgkmcnt(0)
	v_add_f32_e32 v8, v8, v38
	ds_bpermute_b32 v38, v31, v8
	s_waitcnt lgkmcnt(0)
	v_add_f32_e32 v8, v8, v38
	;; [unrolled: 3-line block ×3, first 2 shown]
	s_or_b32 exec_lo, exec_lo, s7
	s_and_saveexec_b32 s7, s5
	s_cbranch_execz .LBB559_8
.LBB559_52:                             ;   in Loop: Header=BB559_9 Depth=1
	s_mul_i32 s8, s11, s20
	v_mul_f32_e32 v6, s14, v6
	s_add_i32 s8, s8, s6
	v_mul_f32_e32 v7, s14, v7
	s_lshl_b64 s[30:31], s[8:9], 2
	v_mul_f32_e32 v37, s14, v37
	s_add_u32 s30, s36, s30
	s_addc_u32 s31, s35, s31
	s_add_i32 s8, s8, s20
	global_store_dword v5, v6, s[30:31]
	s_lshl_b64 s[42:43], s[8:9], 2
	s_waitcnt lgkmcnt(0)
	v_mul_f32_e32 v6, s14, v8
	s_add_u32 s42, s36, s42
	s_addc_u32 s43, s35, s43
	s_add_i32 s8, s8, s20
	global_store_dword v5, v7, s[42:43]
	s_lshl_b64 s[44:45], s[8:9], 2
	s_add_u32 s30, s36, s44
	s_addc_u32 s31, s35, s45
	s_add_i32 s8, s8, s20
	s_lshl_b64 s[44:45], s[8:9], 2
	s_add_u32 s42, s36, s44
	s_addc_u32 s43, s35, s45
	global_store_dword v5, v37, s[30:31]
	global_store_dword v5, v6, s[42:43]
	s_branch .LBB559_8
.LBB559_53:                             ;   in Loop: Header=BB559_9 Depth=1
	v_mov_b32_e32 v8, 0
	v_mov_b32_e32 v37, 0
	;; [unrolled: 1-line block ×4, first 2 shown]
.LBB559_54:                             ;   in Loop: Header=BB559_9 Depth=1
	s_or_b32 exec_lo, exec_lo, s43
	s_or_b32 exec_lo, exec_lo, s42
	s_and_saveexec_b32 s7, s0
	s_cbranch_execnz .LBB559_12
	s_branch .LBB559_13
.LBB559_55:
	v_mov_b32_e32 v1, 0
	s_mov_b32 s11, 0
	v_mov_b32_e32 v2, v1
	v_mov_b32_e32 v3, v1
	v_mov_b32_e32 v4, v1
.LBB559_56:
	s_cmp_ge_i32 s11, s13
	s_cbranch_scc1 .LBB559_80
; %bb.57:
	v_cmp_gt_u32_e32 vcc_lo, 24, v24
	v_lshlrev_b32_e32 v17, 2, v10
	v_cmp_eq_u32_e64 s3, 0, v10
	v_ashrrev_i32_e32 v10, 31, v9
	v_cmp_ge_i32_e64 s0, s12, v26
	v_cndmask_b32_e64 v5, 0, 8, vcc_lo
	v_cmp_gt_u32_e32 vcc_lo, 28, v24
	v_lshl_or_b32 v18, v24, 2, 64
	v_lshlrev_b64 v[13:14], 1, v[9:10]
	v_cmp_ge_i32_e64 s1, s12, v27
	v_add_lshl_u32 v19, v5, v24, 2
	v_cndmask_b32_e64 v6, 0, 4, vcc_lo
	v_cmp_gt_u32_e32 vcc_lo, 30, v24
	v_add_nc_u32_e32 v5, s33, v9
	s_cmp_gt_i32 s34, 0
	s_mov_b32 s7, 0
	v_add_lshl_u32 v20, v6, v24, 2
	v_cndmask_b32_e64 v7, 0, 2, vcc_lo
	v_cmp_ne_u32_e32 vcc_lo, 31, v24
	v_ashrrev_i32_e32 v6, 31, v5
	s_cselect_b32 s12, -1, 0
	s_lshl_b64 s[8:9], s[6:7], 2
	v_add_lshl_u32 v21, v7, v24, 2
	v_add_nc_u32_e32 v7, s33, v5
	s_waitcnt lgkmcnt(0)
	v_add_co_ci_u32_e64 v8, null, 0, v24, vcc_lo
	v_lshlrev_b64 v[15:16], 1, v[5:6]
	v_add_co_u32 v5, vcc_lo, s15, v13
	v_add_nc_u32_e32 v26, s33, v7
	v_lshlrev_b32_e32 v24, 2, v8
	v_ashrrev_i32_e32 v8, 31, v7
	v_add_co_ci_u32_e64 v6, null, s21, v14, vcc_lo
	v_ashrrev_i32_e32 v27, 31, v26
	s_add_u32 s24, s36, s8
	v_lshlrev_b64 v[13:14], 1, v[7:8]
	v_add_co_u32 v7, vcc_lo, s15, v15
	v_add_co_ci_u32_e64 v8, null, s21, v16, vcc_lo
	v_lshlrev_b64 v[15:16], 1, v[26:27]
	s_addc_u32 s25, s35, s9
	v_add_co_u32 v13, vcc_lo, s15, v13
	s_add_u32 s6, s22, s18
	s_addc_u32 s8, s23, s19
	v_add_co_ci_u32_e64 v14, null, s21, v14, vcc_lo
	v_add_co_u32 v15, vcc_lo, s15, v15
	s_add_u32 s6, s16, s6
	v_cmp_gt_u32_e64 s2, 32, v0
	v_cmp_gt_u32_e64 s4, 8, v0
	v_cmp_eq_u32_e64 s5, 0, v0
	v_add_co_ci_u32_e64 v16, null, s21, v16, vcc_lo
	s_addc_u32 s8, s17, s8
	v_add_co_u32 v0, vcc_lo, s6, v11
	v_and_b32_e32 v25, 28, v25
	v_add_co_ci_u32_e64 v12, null, s8, v12, vcc_lo
	v_mov_b32_e32 v26, 0
	s_mul_i32 s16, s11, s10
	s_branch .LBB559_59
.LBB559_58:                             ;   in Loop: Header=BB559_59 Depth=1
	s_or_b32 exec_lo, exec_lo, s6
	s_add_i32 s11, s11, 1
	s_add_i32 s16, s16, s10
	s_cmp_ge_i32 s11, s13
	s_cbranch_scc1 .LBB559_80
.LBB559_59:                             ; =>This Loop Header: Depth=1
                                        ;     Child Loop BB559_72 Depth 2
                                        ;     Child Loop BB559_75 Depth 2
	v_mov_b32_e32 v27, s7
	s_and_saveexec_b32 s6, s0
	s_xor_b32 s6, exec_lo, s6
	s_cbranch_execnz .LBB559_68
; %bb.60:                               ;   in Loop: Header=BB559_59 Depth=1
	s_andn2_saveexec_b32 s22, s6
	s_cbranch_execnz .LBB559_69
.LBB559_61:                             ;   in Loop: Header=BB559_59 Depth=1
	s_or_b32 exec_lo, exec_lo, s22
	s_and_saveexec_b32 s6, s2
.LBB559_62:                             ;   in Loop: Header=BB559_59 Depth=1
	ds_write_b32 v17, v26
.LBB559_63:                             ;   in Loop: Header=BB559_59 Depth=1
	s_or_b32 exec_lo, exec_lo, s6
	s_waitcnt lgkmcnt(0)
	ds_bpermute_b32 v10, v18, v27
	s_waitcnt lgkmcnt(0)
	s_waitcnt_vscnt null, 0x0
	s_barrier
	buffer_gl0_inv
	v_add_f32_e32 v10, v27, v10
	ds_bpermute_b32 v11, v19, v10
	s_waitcnt lgkmcnt(0)
	v_add_f32_e32 v10, v10, v11
	ds_bpermute_b32 v11, v20, v10
	s_waitcnt lgkmcnt(0)
	;; [unrolled: 3-line block ×3, first 2 shown]
	v_add_f32_e32 v10, v10, v11
	ds_bpermute_b32 v11, v24, v10
	s_and_saveexec_b32 s6, s3
	s_cbranch_execz .LBB559_65
; %bb.64:                               ;   in Loop: Header=BB559_59 Depth=1
	s_waitcnt lgkmcnt(0)
	v_add_f32_e32 v10, v10, v11
	ds_write_b32 v25, v10
.LBB559_65:                             ;   in Loop: Header=BB559_59 Depth=1
	s_or_b32 exec_lo, exec_lo, s6
	v_mov_b32_e32 v10, 0
	s_waitcnt lgkmcnt(0)
	s_barrier
	buffer_gl0_inv
	s_and_saveexec_b32 s6, s4
	s_cbranch_execnz .LBB559_77
; %bb.66:                               ;   in Loop: Header=BB559_59 Depth=1
	s_or_b32 exec_lo, exec_lo, s6
	s_and_saveexec_b32 s6, s2
	s_cbranch_execnz .LBB559_78
.LBB559_67:                             ;   in Loop: Header=BB559_59 Depth=1
	s_or_b32 exec_lo, exec_lo, s6
	s_and_saveexec_b32 s6, s5
	s_cbranch_execz .LBB559_58
	s_branch .LBB559_79
.LBB559_68:                             ;   in Loop: Header=BB559_59 Depth=1
	s_mul_i32 s8, s11, s10
	s_ashr_i32 s9, s8, 31
	s_lshl_b64 s[8:9], s[8:9], 1
	v_add_co_u32 v1, vcc_lo, v22, s8
	v_add_co_ci_u32_e64 v2, null, s9, v23, vcc_lo
	global_load_ushort v3, v[5:6], off
	s_waitcnt lgkmcnt(0)
	global_load_dwordx2 v[10:11], v[1:2], off
	s_clause 0x2
	global_load_ushort v2, v[7:8], off
	global_load_ushort v4, v[13:14], off
	;; [unrolled: 1-line block ×3, first 2 shown]
	s_waitcnt vmcnt(4)
	v_lshlrev_b32_e32 v1, 16, v3
	s_waitcnt vmcnt(3)
	v_lshlrev_b32_e32 v3, 16, v10
	;; [unrolled: 2-line block ×3, first 2 shown]
	v_and_b32_e32 v10, 0xffff0000, v10
	v_fma_f32 v27, v1, v3, 0
	s_waitcnt vmcnt(1)
	v_lshlrev_b32_e32 v3, 16, v4
	s_waitcnt vmcnt(0)
	v_lshlrev_b32_e32 v4, 16, v28
	v_fmac_f32_e32 v27, v2, v10
	v_lshlrev_b32_e32 v10, 16, v11
	v_and_b32_e32 v11, 0xffff0000, v11
	v_fmac_f32_e32 v27, v3, v10
	v_fmac_f32_e32 v27, v4, v11
	s_andn2_saveexec_b32 s22, s6
	s_cbranch_execz .LBB559_61
.LBB559_69:                             ;   in Loop: Header=BB559_59 Depth=1
	s_and_saveexec_b32 s23, s1
	s_cbranch_execz .LBB559_76
; %bb.70:                               ;   in Loop: Header=BB559_59 Depth=1
	s_andn2_b32 vcc_lo, exec_lo, s12
	s_cbranch_vccnz .LBB559_73
; %bb.71:                               ;   in Loop: Header=BB559_59 Depth=1
	s_waitcnt lgkmcnt(0)
	v_mov_b32_e32 v10, v9
	s_mov_b64 s[18:19], 0
	.p2align	6
.LBB559_72:                             ;   Parent Loop BB559_59 Depth=1
                                        ; =>  This Inner Loop Header: Depth=2
	v_ashrrev_i32_e32 v11, 31, v10
	s_cmp_eq_u32 s18, 3
	v_lshlrev_b64 v[28:29], 1, v[10:11]
	v_add_nc_u32_e32 v10, s33, v10
	v_add_co_u32 v28, vcc_lo, s15, v28
	v_add_co_ci_u32_e64 v29, null, s21, v29, vcc_lo
	s_cselect_b32 vcc_lo, -1, 0
	s_cmp_eq_u32 s18, 2
	s_cselect_b32 s6, -1, 0
	global_load_ushort v11, v[28:29], off
	s_cmp_eq_u32 s18, 1
	s_cselect_b32 s8, -1, 0
	s_cmp_eq_u32 s18, 0
	s_waitcnt vmcnt(0)
	v_lshlrev_b32_e32 v11, 16, v11
	v_cndmask_b32_e32 v4, v4, v11, vcc_lo
	s_cselect_b32 vcc_lo, -1, 0
	v_cndmask_b32_e64 v3, v3, v11, s6
	v_cndmask_b32_e64 v2, v2, v11, s8
	v_cndmask_b32_e32 v1, v1, v11, vcc_lo
	s_add_u32 s18, s18, 1
	s_addc_u32 s19, s19, 0
	s_cmp_eq_u32 s34, s18
	s_cbranch_scc0 .LBB559_72
.LBB559_73:                             ;   in Loop: Header=BB559_59 Depth=1
	s_andn2_b32 vcc_lo, exec_lo, s12
	s_cbranch_vccnz .LBB559_76
; %bb.74:                               ;   in Loop: Header=BB559_59 Depth=1
	s_ashr_i32 s17, s16, 31
	s_lshl_b64 s[8:9], s[16:17], 1
	s_waitcnt lgkmcnt(0)
	v_add_co_u32 v10, vcc_lo, v0, s8
	v_add_co_ci_u32_e64 v11, null, s9, v12, vcc_lo
	s_mov_b64 s[8:9], 0
	.p2align	6
.LBB559_75:                             ;   Parent Loop BB559_59 Depth=1
                                        ; =>  This Inner Loop Header: Depth=2
	global_load_ushort v28, v[10:11], off
	s_cmp_eq_u32 s8, 1
	s_cselect_b32 vcc_lo, -1, 0
	s_cmp_eq_u32 s8, 2
	v_cndmask_b32_e32 v29, v1, v2, vcc_lo
	s_cselect_b32 vcc_lo, -1, 0
	s_cmp_eq_u32 s8, 3
	v_cndmask_b32_e32 v29, v29, v3, vcc_lo
	s_cselect_b32 vcc_lo, -1, 0
	s_add_u32 s8, s8, 1
	s_addc_u32 s9, s9, 0
	s_cmp_lg_u32 s34, s8
	v_cndmask_b32_e32 v29, v29, v4, vcc_lo
	v_add_co_u32 v10, vcc_lo, v10, 2
	v_add_co_ci_u32_e64 v11, null, 0, v11, vcc_lo
	s_waitcnt vmcnt(0)
	v_lshlrev_b32_e32 v28, 16, v28
	v_fmac_f32_e32 v27, v29, v28
	s_cbranch_scc1 .LBB559_75
.LBB559_76:                             ;   in Loop: Header=BB559_59 Depth=1
	s_or_b32 exec_lo, exec_lo, s23
	s_or_b32 exec_lo, exec_lo, s22
	s_and_saveexec_b32 s6, s2
	s_cbranch_execnz .LBB559_62
	s_branch .LBB559_63
.LBB559_77:                             ;   in Loop: Header=BB559_59 Depth=1
	ds_read_b32 v10, v17
	s_or_b32 exec_lo, exec_lo, s6
	s_and_saveexec_b32 s6, s2
	s_cbranch_execz .LBB559_67
.LBB559_78:                             ;   in Loop: Header=BB559_59 Depth=1
	s_waitcnt lgkmcnt(0)
	ds_bpermute_b32 v11, v20, v10
	s_waitcnt lgkmcnt(0)
	v_add_f32_e32 v10, v10, v11
	ds_bpermute_b32 v11, v21, v10
	s_waitcnt lgkmcnt(0)
	v_add_f32_e32 v10, v10, v11
	;; [unrolled: 3-line block ×3, first 2 shown]
	s_or_b32 exec_lo, exec_lo, s6
	s_and_saveexec_b32 s6, s5
	s_cbranch_execz .LBB559_58
.LBB559_79:                             ;   in Loop: Header=BB559_59 Depth=1
	s_mul_hi_u32 s9, s11, s20
	s_mul_i32 s8, s11, s20
	s_waitcnt lgkmcnt(0)
	v_mul_f32_e32 v10, s14, v10
	s_lshl_b64 s[8:9], s[8:9], 2
	s_add_u32 s8, s24, s8
	s_addc_u32 s9, s25, s9
	global_store_dword v26, v10, s[8:9]
	s_branch .LBB559_58
.LBB559_80:
	s_endpgm
	.section	.rodata,"a",@progbits
	.p2align	6, 0x0
	.amdhsa_kernel _ZL23rocblas_gemvt_sn_kernelILb0ELi256ELi4Ei16rocblas_bfloat16ffEviiT4_lPKT3_lilS4_lilPT5_i
		.amdhsa_group_segment_fixed_size 128
		.amdhsa_private_segment_fixed_size 0
		.amdhsa_kernarg_size 360
		.amdhsa_user_sgpr_count 6
		.amdhsa_user_sgpr_private_segment_buffer 1
		.amdhsa_user_sgpr_dispatch_ptr 0
		.amdhsa_user_sgpr_queue_ptr 0
		.amdhsa_user_sgpr_kernarg_segment_ptr 1
		.amdhsa_user_sgpr_dispatch_id 0
		.amdhsa_user_sgpr_flat_scratch_init 0
		.amdhsa_user_sgpr_private_segment_size 0
		.amdhsa_wavefront_size32 1
		.amdhsa_uses_dynamic_stack 0
		.amdhsa_system_sgpr_private_segment_wavefront_offset 0
		.amdhsa_system_sgpr_workgroup_id_x 1
		.amdhsa_system_sgpr_workgroup_id_y 0
		.amdhsa_system_sgpr_workgroup_id_z 1
		.amdhsa_system_sgpr_workgroup_info 0
		.amdhsa_system_vgpr_workitem_id 0
		.amdhsa_next_free_vgpr 51
		.amdhsa_next_free_sgpr 50
		.amdhsa_reserve_vcc 1
		.amdhsa_reserve_flat_scratch 0
		.amdhsa_float_round_mode_32 0
		.amdhsa_float_round_mode_16_64 0
		.amdhsa_float_denorm_mode_32 3
		.amdhsa_float_denorm_mode_16_64 3
		.amdhsa_dx10_clamp 1
		.amdhsa_ieee_mode 1
		.amdhsa_fp16_overflow 0
		.amdhsa_workgroup_processor_mode 1
		.amdhsa_memory_ordered 1
		.amdhsa_forward_progress 1
		.amdhsa_shared_vgpr_count 0
		.amdhsa_exception_fp_ieee_invalid_op 0
		.amdhsa_exception_fp_denorm_src 0
		.amdhsa_exception_fp_ieee_div_zero 0
		.amdhsa_exception_fp_ieee_overflow 0
		.amdhsa_exception_fp_ieee_underflow 0
		.amdhsa_exception_fp_ieee_inexact 0
		.amdhsa_exception_int_div_zero 0
	.end_amdhsa_kernel
	.section	.text._ZL23rocblas_gemvt_sn_kernelILb0ELi256ELi4Ei16rocblas_bfloat16ffEviiT4_lPKT3_lilS4_lilPT5_i,"axG",@progbits,_ZL23rocblas_gemvt_sn_kernelILb0ELi256ELi4Ei16rocblas_bfloat16ffEviiT4_lPKT3_lilS4_lilPT5_i,comdat
.Lfunc_end559:
	.size	_ZL23rocblas_gemvt_sn_kernelILb0ELi256ELi4Ei16rocblas_bfloat16ffEviiT4_lPKT3_lilS4_lilPT5_i, .Lfunc_end559-_ZL23rocblas_gemvt_sn_kernelILb0ELi256ELi4Ei16rocblas_bfloat16ffEviiT4_lPKT3_lilS4_lilPT5_i
                                        ; -- End function
	.set _ZL23rocblas_gemvt_sn_kernelILb0ELi256ELi4Ei16rocblas_bfloat16ffEviiT4_lPKT3_lilS4_lilPT5_i.num_vgpr, 51
	.set _ZL23rocblas_gemvt_sn_kernelILb0ELi256ELi4Ei16rocblas_bfloat16ffEviiT4_lPKT3_lilS4_lilPT5_i.num_agpr, 0
	.set _ZL23rocblas_gemvt_sn_kernelILb0ELi256ELi4Ei16rocblas_bfloat16ffEviiT4_lPKT3_lilS4_lilPT5_i.numbered_sgpr, 50
	.set _ZL23rocblas_gemvt_sn_kernelILb0ELi256ELi4Ei16rocblas_bfloat16ffEviiT4_lPKT3_lilS4_lilPT5_i.num_named_barrier, 0
	.set _ZL23rocblas_gemvt_sn_kernelILb0ELi256ELi4Ei16rocblas_bfloat16ffEviiT4_lPKT3_lilS4_lilPT5_i.private_seg_size, 0
	.set _ZL23rocblas_gemvt_sn_kernelILb0ELi256ELi4Ei16rocblas_bfloat16ffEviiT4_lPKT3_lilS4_lilPT5_i.uses_vcc, 1
	.set _ZL23rocblas_gemvt_sn_kernelILb0ELi256ELi4Ei16rocblas_bfloat16ffEviiT4_lPKT3_lilS4_lilPT5_i.uses_flat_scratch, 0
	.set _ZL23rocblas_gemvt_sn_kernelILb0ELi256ELi4Ei16rocblas_bfloat16ffEviiT4_lPKT3_lilS4_lilPT5_i.has_dyn_sized_stack, 0
	.set _ZL23rocblas_gemvt_sn_kernelILb0ELi256ELi4Ei16rocblas_bfloat16ffEviiT4_lPKT3_lilS4_lilPT5_i.has_recursion, 0
	.set _ZL23rocblas_gemvt_sn_kernelILb0ELi256ELi4Ei16rocblas_bfloat16ffEviiT4_lPKT3_lilS4_lilPT5_i.has_indirect_call, 0
	.section	.AMDGPU.csdata,"",@progbits
; Kernel info:
; codeLenInByte = 4268
; TotalNumSgprs: 52
; NumVgprs: 51
; ScratchSize: 0
; MemoryBound: 0
; FloatMode: 240
; IeeeMode: 1
; LDSByteSize: 128 bytes/workgroup (compile time only)
; SGPRBlocks: 0
; VGPRBlocks: 6
; NumSGPRsForWavesPerEU: 52
; NumVGPRsForWavesPerEU: 51
; Occupancy: 16
; WaveLimiterHint : 1
; COMPUTE_PGM_RSRC2:SCRATCH_EN: 0
; COMPUTE_PGM_RSRC2:USER_SGPR: 6
; COMPUTE_PGM_RSRC2:TRAP_HANDLER: 0
; COMPUTE_PGM_RSRC2:TGID_X_EN: 1
; COMPUTE_PGM_RSRC2:TGID_Y_EN: 0
; COMPUTE_PGM_RSRC2:TGID_Z_EN: 1
; COMPUTE_PGM_RSRC2:TIDIG_COMP_CNT: 0
	.section	.text._ZL23rocblas_gemvt_sn_kernelILb0ELi256ELi4El16rocblas_bfloat16ffEviiT4_lPKT3_lilS4_lilPT5_i,"axG",@progbits,_ZL23rocblas_gemvt_sn_kernelILb0ELi256ELi4El16rocblas_bfloat16ffEviiT4_lPKT3_lilS4_lilPT5_i,comdat
	.globl	_ZL23rocblas_gemvt_sn_kernelILb0ELi256ELi4El16rocblas_bfloat16ffEviiT4_lPKT3_lilS4_lilPT5_i ; -- Begin function _ZL23rocblas_gemvt_sn_kernelILb0ELi256ELi4El16rocblas_bfloat16ffEviiT4_lPKT3_lilS4_lilPT5_i
	.p2align	8
	.type	_ZL23rocblas_gemvt_sn_kernelILb0ELi256ELi4El16rocblas_bfloat16ffEviiT4_lPKT3_lilS4_lilPT5_i,@function
_ZL23rocblas_gemvt_sn_kernelILb0ELi256ELi4El16rocblas_bfloat16ffEviiT4_lPKT3_lilS4_lilPT5_i: ; @_ZL23rocblas_gemvt_sn_kernelILb0ELi256ELi4El16rocblas_bfloat16ffEviiT4_lPKT3_lilS4_lilPT5_i
; %bb.0:
	s_clause 0x2
	s_load_dwordx4 s[12:15], s[4:5], 0x0
	s_load_dword s24, s[4:5], 0x68
	s_load_dwordx4 s[20:23], s[4:5], 0x50
	s_mov_b32 s25, 0
	s_waitcnt lgkmcnt(0)
	s_ashr_i32 s15, s13, 31
	s_mul_hi_u32 s0, s13, s7
	s_mul_i32 s1, s15, s7
	s_mul_i32 s2, s13, s7
	s_add_i32 s0, s0, s1
	s_mul_hi_u32 s1, s2, s24
	s_mul_i32 s3, s0, s24
	s_mul_i32 s0, s2, s24
	s_add_i32 s1, s1, s3
	v_cmp_neq_f32_e64 s2, s14, 0
	s_lshl_b64 s[0:1], s[0:1], 2
	s_add_u32 s33, s22, s0
	v_cmp_eq_u32_e64 s0, 0, v0
	s_addc_u32 s44, s23, s1
	s_and_b32 vcc_lo, exec_lo, s2
	s_cbranch_vccnz .LBB560_5
; %bb.1:
	s_cmp_gt_i32 s13, 0
	s_cselect_b32 s1, -1, 0
	s_and_b32 s0, s0, s1
	s_and_saveexec_b32 s8, s0
	s_cbranch_execz .LBB560_4
; %bb.2:
	s_mov_b32 s0, s7
	s_mov_b32 s7, 0
	v_mov_b32_e32 v1, 0
	s_lshl_b64 s[2:3], s[6:7], 2
	s_mov_b32 s7, s0
	s_add_u32 s0, s33, s2
	s_addc_u32 s1, s44, s3
	s_lshl_b64 s[2:3], s[24:25], 2
	s_mov_b32 s9, s13
.LBB560_3:                              ; =>This Inner Loop Header: Depth=1
	s_add_i32 s9, s9, -1
	global_store_dword v1, v1, s[0:1]
	s_add_u32 s0, s0, s2
	s_addc_u32 s1, s1, s3
	s_cmp_eq_u32 s9, 0
	s_cbranch_scc0 .LBB560_3
.LBB560_4:
	s_or_b32 exec_lo, exec_lo, s8
	s_cbranch_execz .LBB560_6
	s_branch .LBB560_80
.LBB560_5:
.LBB560_6:
	s_clause 0x4
	s_load_dword s22, s[4:5], 0x28
	s_load_dword s26, s[4:5], 0x48
	s_load_dwordx4 s[8:11], s[4:5], 0x30
	s_load_dwordx2 s[0:1], s[4:5], 0x40
	s_load_dwordx4 s[16:19], s[4:5], 0x18
	s_mul_i32 s3, s21, s7
	s_mul_hi_u32 s4, s20, s7
	s_mul_i32 s2, s20, s7
	s_add_i32 s3, s4, s3
	v_and_b32_e32 v26, 31, v0
	s_lshl_b64 s[20:21], s[2:3], 1
	v_mbcnt_lo_u32_b32 v29, -1, 0
	v_lshrrev_b32_e32 v31, 3, v0
	s_waitcnt lgkmcnt(0)
	s_ashr_i32 s23, s22, 31
	s_ashr_i32 s27, s26, 31
	s_add_u32 s5, s10, s20
	s_mul_i32 s3, s9, s7
	s_addc_u32 s9, s11, s21
	s_lshl_b64 s[30:31], s[0:1], 1
	s_mul_hi_u32 s4, s8, s7
	s_add_u32 s25, s5, s30
	s_mul_i32 s2, s8, s7
	s_addc_u32 s45, s9, s31
	s_add_i32 s3, s4, s3
	v_cmp_gt_u32_e64 s0, 32, v0
	s_lshl_b64 s[28:29], s[2:3], 1
	v_cmp_gt_u32_e64 s1, 8, v0
	s_add_u32 s2, s16, s28
	s_addc_u32 s3, s17, s29
	s_lshl_b64 s[18:19], s[18:19], 1
	s_add_u32 s2, s2, s18
	s_addc_u32 s3, s3, s19
	s_lshl_b32 s4, s6, 10
	s_ashr_i32 s5, s12, 31
	v_lshl_or_b32 v13, v0, 2, s4
	s_lshr_b32 s4, s15, 30
	s_lshr_b32 s5, s5, 30
	s_add_i32 s4, s13, s4
	s_add_i32 s5, s12, s5
	v_ashrrev_i32_e32 v14, 31, v13
	s_and_b32 s46, s4, -4
	s_and_b32 s4, s5, -4
	v_add_nc_u32_e32 v32, 4, v13
	s_sub_i32 s15, s12, s4
	v_lshlrev_b64 v[11:12], 1, v[13:14]
	v_or_b32_e32 v30, 1, v13
	v_or_b32_e32 v28, 2, v13
	v_add_nc_u32_e32 v33, s15, v13
	v_or_b32_e32 v27, 3, v13
	s_cmp_lt_i32 s46, 1
	v_add_co_u32 v9, vcc_lo, s2, v11
	v_add_co_ci_u32_e64 v10, null, s3, v12, vcc_lo
	s_cbranch_scc1 .LBB560_55
; %bb.7:
	v_cmp_gt_u32_e32 vcc_lo, 24, v29
	v_mad_i64_i32 v[5:6], null, s26, v28, 0
	v_mad_i64_i32 v[7:8], null, s26, v27, 0
	v_cndmask_b32_e64 v1, 0, 8, vcc_lo
	v_cmp_gt_u32_e32 vcc_lo, 28, v29
	s_cmp_gt_i32 s15, 0
	s_mov_b32 s7, 0
	v_lshlrev_b64 v[5:6], 1, v[5:6]
	v_add_lshl_u32 v35, v1, v29, 2
	v_cndmask_b32_e64 v2, 0, 4, vcc_lo
	v_cmp_gt_u32_e32 vcc_lo, 30, v29
	s_cselect_b32 s47, -1, 0
	s_lshl_b64 s[8:9], s[6:7], 2
	v_mov_b32_e32 v25, v10
	v_add_lshl_u32 v36, v2, v29, 2
	v_cndmask_b32_e64 v3, 0, 2, vcc_lo
	v_cmp_ne_u32_e32 vcc_lo, 31, v29
	v_mad_i64_i32 v[1:2], null, s26, v13, 0
	s_add_u32 s48, s33, s8
	v_add_lshl_u32 v37, v3, v29, 2
	v_add_co_ci_u32_e64 v4, null, 0, v29, vcc_lo
	s_addc_u32 s49, s44, s9
	s_add_u32 s8, s10, s30
	v_lshlrev_b64 v[1:2], 1, v[1:2]
	v_lshlrev_b32_e32 v38, 2, v4
	v_mad_i64_i32 v[3:4], null, s26, v30, 0
	s_addc_u32 s9, s11, s31
	s_add_u32 s8, s8, s20
	v_add_co_u32 v14, vcc_lo, s25, v1
	v_add_co_ci_u32_e64 v15, null, s45, v2, vcc_lo
	v_lshlrev_b64 v[3:4], 1, v[3:4]
	s_addc_u32 s9, s9, s21
	v_cmp_ge_i32_e64 s2, s12, v32
	v_cmp_ge_i32_e64 s3, s12, v33
	v_lshl_or_b32 v34, v29, 2, 64
	v_cmp_eq_u32_e64 s4, 0, v26
	v_add_co_u32 v16, vcc_lo, s25, v3
	v_add_co_ci_u32_e64 v17, null, s45, v4, vcc_lo
	v_lshlrev_b64 v[3:4], 1, v[7:8]
	v_add_co_u32 v18, vcc_lo, s25, v5
	v_mov_b32_e32 v5, 0
	v_add_co_ci_u32_e64 v19, null, s45, v6, vcc_lo
	v_add_co_u32 v20, vcc_lo, s25, v3
	v_mov_b32_e32 v6, v5
	v_mov_b32_e32 v7, v5
	;; [unrolled: 1-line block ×3, first 2 shown]
	v_add_co_ci_u32_e64 v21, null, s45, v4, vcc_lo
	v_add_co_u32 v22, vcc_lo, s8, v1
	v_add_co_ci_u32_e64 v23, null, s9, v2, vcc_lo
	v_mov_b32_e32 v1, v5
	v_lshlrev_b32_e32 v39, 2, v26
	v_and_b32_e32 v40, 28, v31
	v_cmp_eq_u32_e64 s5, 0, v0
	v_mov_b32_e32 v24, v9
	v_mov_b32_e32 v2, v6
	;; [unrolled: 1-line block ×4, first 2 shown]
	s_lshl_b64 s[34:35], s[26:27], 1
	s_lshl_b64 s[36:37], s[22:23], 3
	;; [unrolled: 1-line block ×4, first 2 shown]
	s_mul_hi_i32 s50, s22, 6
	s_mul_i32 s51, s22, 6
	s_branch .LBB560_9
.LBB560_8:                              ;   in Loop: Header=BB560_9 Depth=1
	s_or_b32 exec_lo, exec_lo, s8
	v_add_co_u32 v24, vcc_lo, v24, s36
	v_add_co_ci_u32_e64 v25, null, s37, v25, vcc_lo
	s_add_i32 s7, s7, 4
	s_cmp_ge_i32 s7, s46
	s_cbranch_scc1 .LBB560_56
.LBB560_9:                              ; =>This Loop Header: Depth=1
                                        ;     Child Loop BB560_40 Depth 2
                                        ;     Child Loop BB560_43 Depth 2
                                        ; implicit-def: $vgpr8
                                        ; implicit-def: $vgpr41
                                        ; implicit-def: $vgpr42
                                        ; implicit-def: $vgpr43
	s_and_saveexec_b32 s8, s2
	s_xor_b32 s8, exec_lo, s8
	s_cbranch_execnz .LBB560_36
; %bb.10:                               ;   in Loop: Header=BB560_9 Depth=1
	s_andn2_saveexec_b32 s52, s8
	s_cbranch_execnz .LBB560_37
.LBB560_11:                             ;   in Loop: Header=BB560_9 Depth=1
	s_or_b32 exec_lo, exec_lo, s52
	s_and_saveexec_b32 s8, s0
.LBB560_12:                             ;   in Loop: Header=BB560_9 Depth=1
	ds_write_b32 v39, v5
.LBB560_13:                             ;   in Loop: Header=BB560_9 Depth=1
	s_or_b32 exec_lo, exec_lo, s8
	ds_bpermute_b32 v6, v34, v43
	s_waitcnt lgkmcnt(0)
	s_waitcnt_vscnt null, 0x0
	s_barrier
	buffer_gl0_inv
	v_add_f32_e32 v6, v43, v6
	ds_bpermute_b32 v7, v35, v6
	s_waitcnt lgkmcnt(0)
	v_add_f32_e32 v6, v6, v7
	ds_bpermute_b32 v7, v36, v6
	s_waitcnt lgkmcnt(0)
	v_add_f32_e32 v6, v6, v7
	ds_bpermute_b32 v7, v37, v6
	s_waitcnt lgkmcnt(0)
	v_add_f32_e32 v6, v6, v7
	ds_bpermute_b32 v7, v38, v6
	s_and_saveexec_b32 s8, s4
	s_cbranch_execz .LBB560_15
; %bb.14:                               ;   in Loop: Header=BB560_9 Depth=1
	s_waitcnt lgkmcnt(0)
	v_add_f32_e32 v6, v6, v7
	ds_write_b32 v40, v6
.LBB560_15:                             ;   in Loop: Header=BB560_9 Depth=1
	s_or_b32 exec_lo, exec_lo, s8
	v_mov_b32_e32 v6, 0
	s_waitcnt lgkmcnt(0)
	s_barrier
	buffer_gl0_inv
	s_and_saveexec_b32 s8, s1
	s_cbranch_execnz .LBB560_44
; %bb.16:                               ;   in Loop: Header=BB560_9 Depth=1
	s_or_b32 exec_lo, exec_lo, s8
	s_and_saveexec_b32 s8, s0
	s_cbranch_execnz .LBB560_45
.LBB560_17:                             ;   in Loop: Header=BB560_9 Depth=1
	s_or_b32 exec_lo, exec_lo, s8
	s_and_saveexec_b32 s8, s0
.LBB560_18:                             ;   in Loop: Header=BB560_9 Depth=1
	ds_write_b32 v39, v5
.LBB560_19:                             ;   in Loop: Header=BB560_9 Depth=1
	s_or_b32 exec_lo, exec_lo, s8
	ds_bpermute_b32 v7, v34, v42
	s_waitcnt lgkmcnt(0)
	s_barrier
	buffer_gl0_inv
	v_add_f32_e32 v7, v42, v7
	ds_bpermute_b32 v42, v35, v7
	s_waitcnt lgkmcnt(0)
	v_add_f32_e32 v7, v7, v42
	ds_bpermute_b32 v42, v36, v7
	s_waitcnt lgkmcnt(0)
	;; [unrolled: 3-line block ×3, first 2 shown]
	v_add_f32_e32 v7, v7, v42
	ds_bpermute_b32 v42, v38, v7
	s_and_saveexec_b32 s8, s4
	s_cbranch_execz .LBB560_21
; %bb.20:                               ;   in Loop: Header=BB560_9 Depth=1
	s_waitcnt lgkmcnt(0)
	v_add_f32_e32 v7, v7, v42
	ds_write_b32 v40, v7
.LBB560_21:                             ;   in Loop: Header=BB560_9 Depth=1
	s_or_b32 exec_lo, exec_lo, s8
	v_mov_b32_e32 v7, 0
	s_waitcnt lgkmcnt(0)
	s_barrier
	buffer_gl0_inv
	s_and_saveexec_b32 s8, s1
	s_cbranch_execnz .LBB560_46
; %bb.22:                               ;   in Loop: Header=BB560_9 Depth=1
	s_or_b32 exec_lo, exec_lo, s8
	s_and_saveexec_b32 s8, s0
	s_cbranch_execnz .LBB560_47
.LBB560_23:                             ;   in Loop: Header=BB560_9 Depth=1
	s_or_b32 exec_lo, exec_lo, s8
	s_and_saveexec_b32 s8, s0
.LBB560_24:                             ;   in Loop: Header=BB560_9 Depth=1
	ds_write_b32 v39, v5
.LBB560_25:                             ;   in Loop: Header=BB560_9 Depth=1
	s_or_b32 exec_lo, exec_lo, s8
	ds_bpermute_b32 v42, v34, v41
	s_waitcnt lgkmcnt(0)
	s_barrier
	buffer_gl0_inv
	v_add_f32_e32 v41, v41, v42
	ds_bpermute_b32 v42, v35, v41
	s_waitcnt lgkmcnt(0)
	v_add_f32_e32 v41, v41, v42
	ds_bpermute_b32 v42, v36, v41
	s_waitcnt lgkmcnt(0)
	;; [unrolled: 3-line block ×3, first 2 shown]
	v_add_f32_e32 v41, v41, v42
	ds_bpermute_b32 v42, v38, v41
	s_and_saveexec_b32 s8, s4
	s_cbranch_execz .LBB560_27
; %bb.26:                               ;   in Loop: Header=BB560_9 Depth=1
	s_waitcnt lgkmcnt(0)
	v_add_f32_e32 v41, v41, v42
	ds_write_b32 v40, v41
.LBB560_27:                             ;   in Loop: Header=BB560_9 Depth=1
	s_or_b32 exec_lo, exec_lo, s8
	v_mov_b32_e32 v41, 0
	s_waitcnt lgkmcnt(0)
	s_barrier
	buffer_gl0_inv
	s_and_saveexec_b32 s8, s1
	s_cbranch_execnz .LBB560_48
; %bb.28:                               ;   in Loop: Header=BB560_9 Depth=1
	s_or_b32 exec_lo, exec_lo, s8
	s_and_saveexec_b32 s8, s0
	s_cbranch_execnz .LBB560_49
.LBB560_29:                             ;   in Loop: Header=BB560_9 Depth=1
	s_or_b32 exec_lo, exec_lo, s8
	s_and_saveexec_b32 s8, s0
.LBB560_30:                             ;   in Loop: Header=BB560_9 Depth=1
	ds_write_b32 v39, v5
.LBB560_31:                             ;   in Loop: Header=BB560_9 Depth=1
	s_or_b32 exec_lo, exec_lo, s8
	ds_bpermute_b32 v42, v34, v8
	s_waitcnt lgkmcnt(0)
	s_barrier
	buffer_gl0_inv
	v_add_f32_e32 v8, v8, v42
	ds_bpermute_b32 v42, v35, v8
	s_waitcnt lgkmcnt(0)
	v_add_f32_e32 v8, v8, v42
	ds_bpermute_b32 v42, v36, v8
	s_waitcnt lgkmcnt(0)
	;; [unrolled: 3-line block ×3, first 2 shown]
	v_add_f32_e32 v8, v8, v42
	ds_bpermute_b32 v42, v38, v8
	s_and_saveexec_b32 s8, s4
	s_cbranch_execz .LBB560_33
; %bb.32:                               ;   in Loop: Header=BB560_9 Depth=1
	s_waitcnt lgkmcnt(0)
	v_add_f32_e32 v8, v8, v42
	ds_write_b32 v40, v8
.LBB560_33:                             ;   in Loop: Header=BB560_9 Depth=1
	s_or_b32 exec_lo, exec_lo, s8
	v_mov_b32_e32 v8, 0
	s_waitcnt lgkmcnt(0)
	s_barrier
	buffer_gl0_inv
	s_and_saveexec_b32 s8, s1
	s_cbranch_execnz .LBB560_50
; %bb.34:                               ;   in Loop: Header=BB560_9 Depth=1
	s_or_b32 exec_lo, exec_lo, s8
	s_and_saveexec_b32 s8, s0
	s_cbranch_execnz .LBB560_51
.LBB560_35:                             ;   in Loop: Header=BB560_9 Depth=1
	s_or_b32 exec_lo, exec_lo, s8
	s_and_saveexec_b32 s8, s5
	s_cbranch_execz .LBB560_8
	s_branch .LBB560_52
.LBB560_36:                             ;   in Loop: Header=BB560_9 Depth=1
	s_mul_i32 s9, s7, s23
	s_mul_hi_u32 s43, s7, s22
	s_mul_i32 s42, s7, s22
	s_add_i32 s43, s43, s9
	s_or_b32 s9, s7, 1
	s_lshl_b64 s[42:43], s[42:43], 1
	v_add_co_u32 v1, vcc_lo, v9, s42
	v_add_co_ci_u32_e64 v2, null, s43, v10, vcc_lo
	s_mul_i32 s42, s9, s23
	s_mul_hi_u32 s43, s9, s22
	s_add_i32 s43, s43, s42
	s_mul_i32 s42, s9, s22
	s_or_b32 s9, s7, 2
	s_lshl_b64 s[42:43], s[42:43], 1
	global_load_dwordx2 v[6:7], v[1:2], off
	s_mul_i32 s52, s9, s23
	s_mul_hi_u32 s53, s9, s22
	v_add_co_u32 v1, vcc_lo, v9, s42
	v_add_co_ci_u32_e64 v2, null, s43, v10, vcc_lo
	s_add_i32 s43, s53, s52
	s_or_b32 s52, s7, 3
	s_mul_i32 s42, s9, s22
	s_mul_i32 s9, s52, s23
	s_mul_hi_u32 s53, s52, s22
	s_lshl_b64 s[42:43], s[42:43], 1
	s_add_i32 s53, s53, s9
	s_mul_i32 s52, s52, s22
	v_add_co_u32 v3, vcc_lo, v9, s42
	v_add_co_ci_u32_e64 v4, null, s43, v10, vcc_lo
	s_lshl_b64 s[42:43], s[52:53], 1
	s_waitcnt lgkmcnt(0)
	s_clause 0x3
	global_load_ushort v8, v[14:15], off
	global_load_ushort v49, v[16:17], off
	;; [unrolled: 1-line block ×4, first 2 shown]
	v_add_co_u32 v41, vcc_lo, v9, s42
	v_add_co_ci_u32_e64 v42, null, s43, v10, vcc_lo
	s_clause 0x2
	global_load_dwordx2 v[43:44], v[1:2], off
	global_load_dwordx2 v[45:46], v[3:4], off
	;; [unrolled: 1-line block ×3, first 2 shown]
	s_waitcnt vmcnt(6)
	v_lshlrev_b32_e32 v1, 16, v8
	v_lshlrev_b32_e32 v8, 16, v6
	s_waitcnt vmcnt(4)
	v_lshlrev_b32_e32 v3, 16, v50
	v_lshlrev_b32_e32 v2, 16, v49
	s_waitcnt vmcnt(3)
	v_lshlrev_b32_e32 v4, 16, v51
	v_and_b32_e32 v6, 0xffff0000, v6
	v_lshlrev_b32_e32 v49, 16, v7
	s_waitcnt vmcnt(2)
	v_lshlrev_b32_e32 v41, 16, v43
	s_waitcnt vmcnt(1)
	;; [unrolled: 2-line block ×3, first 2 shown]
	v_and_b32_e32 v52, 0xffff0000, v47
	v_lshlrev_b32_e32 v47, 16, v47
	v_and_b32_e32 v51, 0xffff0000, v43
	v_and_b32_e32 v45, 0xffff0000, v45
	v_fma_f32 v43, v1, v8, 0
	v_fma_f32 v42, v1, v41, 0
	;; [unrolled: 1-line block ×4, first 2 shown]
	v_lshlrev_b32_e32 v53, 16, v44
	v_lshlrev_b32_e32 v54, 16, v46
	;; [unrolled: 1-line block ×3, first 2 shown]
	v_fmac_f32_e32 v43, v2, v6
	v_fmac_f32_e32 v42, v2, v51
	;; [unrolled: 1-line block ×4, first 2 shown]
	v_and_b32_e32 v7, 0xffff0000, v7
	v_and_b32_e32 v44, 0xffff0000, v44
	;; [unrolled: 1-line block ×4, first 2 shown]
	v_fmac_f32_e32 v43, v3, v49
	v_fmac_f32_e32 v42, v3, v53
	;; [unrolled: 1-line block ×8, first 2 shown]
	s_andn2_saveexec_b32 s52, s8
	s_cbranch_execz .LBB560_11
.LBB560_37:                             ;   in Loop: Header=BB560_9 Depth=1
	s_waitcnt lgkmcnt(0)
	v_mov_b32_e32 v8, 0
	v_mov_b32_e32 v41, 0
	;; [unrolled: 1-line block ×4, first 2 shown]
	s_and_saveexec_b32 s53, s3
	s_cbranch_execz .LBB560_54
; %bb.38:                               ;   in Loop: Header=BB560_9 Depth=1
	s_andn2_b32 vcc_lo, exec_lo, s47
	s_cbranch_vccnz .LBB560_41
; %bb.39:                               ;   in Loop: Header=BB560_9 Depth=1
	v_mov_b32_e32 v6, v22
	v_mov_b32_e32 v7, v23
	s_mov_b64 s[42:43], 0
	.p2align	6
.LBB560_40:                             ;   Parent Loop BB560_9 Depth=1
                                        ; =>  This Inner Loop Header: Depth=2
	global_load_ushort v8, v[6:7], off
	s_cmp_eq_u32 s42, 3
	v_add_co_u32 v6, vcc_lo, v6, s34
	v_add_co_ci_u32_e64 v7, null, s35, v7, vcc_lo
	s_cselect_b32 vcc_lo, -1, 0
	s_cmp_eq_u32 s42, 2
	s_cselect_b32 s8, -1, 0
	s_cmp_eq_u32 s42, 1
	s_cselect_b32 s9, -1, 0
	s_cmp_eq_u32 s42, 0
	s_waitcnt vmcnt(0)
	v_lshlrev_b32_e32 v8, 16, v8
	v_cndmask_b32_e32 v4, v4, v8, vcc_lo
	s_cselect_b32 vcc_lo, -1, 0
	v_cndmask_b32_e64 v3, v3, v8, s8
	v_cndmask_b32_e64 v2, v2, v8, s9
	v_cndmask_b32_e32 v1, v1, v8, vcc_lo
	s_add_u32 s42, s42, 1
	s_addc_u32 s43, s43, 0
	s_cmp_eq_u32 s15, s42
	s_cbranch_scc0 .LBB560_40
.LBB560_41:                             ;   in Loop: Header=BB560_9 Depth=1
	s_andn2_b32 vcc_lo, exec_lo, s47
	s_cbranch_vccnz .LBB560_53
; %bb.42:                               ;   in Loop: Header=BB560_9 Depth=1
	v_mov_b32_e32 v6, v24
	v_mov_b32_e32 v43, 0
	;; [unrolled: 1-line block ×6, first 2 shown]
	s_mov_b64 s[42:43], 0
	s_inst_prefetch 0x1
	.p2align	6
.LBB560_43:                             ;   Parent Loop BB560_9 Depth=1
                                        ; =>  This Inner Loop Header: Depth=2
	v_add_co_u32 v44, vcc_lo, v6, s38
	v_add_co_ci_u32_e64 v45, null, s39, v7, vcc_lo
	v_add_co_u32 v46, vcc_lo, v6, s40
	v_add_co_ci_u32_e64 v47, null, s41, v7, vcc_lo
	;; [unrolled: 2-line block ×3, first 2 shown]
	s_clause 0x3
	global_load_ushort v50, v[6:7], off
	global_load_ushort v44, v[44:45], off
	;; [unrolled: 1-line block ×4, first 2 shown]
	s_cmp_eq_u32 s42, 1
	v_add_co_u32 v6, s8, v6, 2
	s_cselect_b32 vcc_lo, -1, 0
	s_cmp_eq_u32 s42, 2
	v_cndmask_b32_e32 v47, v1, v2, vcc_lo
	s_cselect_b32 vcc_lo, -1, 0
	s_cmp_eq_u32 s42, 3
	v_add_co_ci_u32_e64 v7, null, 0, v7, s8
	v_cndmask_b32_e32 v47, v47, v3, vcc_lo
	s_cselect_b32 vcc_lo, -1, 0
	s_add_u32 s42, s42, 1
	s_addc_u32 s43, s43, 0
	s_cmp_lg_u32 s15, s42
	v_cndmask_b32_e32 v47, v47, v4, vcc_lo
	s_waitcnt vmcnt(3)
	v_lshlrev_b32_e32 v48, 16, v50
	s_waitcnt vmcnt(2)
	v_lshlrev_b32_e32 v44, 16, v44
	s_waitcnt vmcnt(1)
	v_lshlrev_b32_e32 v45, 16, v45
	s_waitcnt vmcnt(0)
	v_lshlrev_b32_e32 v46, 16, v46
	v_fmac_f32_e32 v43, v47, v48
	v_fmac_f32_e32 v42, v47, v44
	;; [unrolled: 1-line block ×4, first 2 shown]
	s_cbranch_scc1 .LBB560_43
	s_branch .LBB560_54
.LBB560_44:                             ;   in Loop: Header=BB560_9 Depth=1
	ds_read_b32 v6, v39
	s_or_b32 exec_lo, exec_lo, s8
	s_and_saveexec_b32 s8, s0
	s_cbranch_execz .LBB560_17
.LBB560_45:                             ;   in Loop: Header=BB560_9 Depth=1
	s_waitcnt lgkmcnt(0)
	ds_bpermute_b32 v7, v36, v6
	s_waitcnt lgkmcnt(0)
	v_add_f32_e32 v6, v6, v7
	ds_bpermute_b32 v7, v37, v6
	s_waitcnt lgkmcnt(0)
	v_add_f32_e32 v6, v6, v7
	;; [unrolled: 3-line block ×3, first 2 shown]
	s_or_b32 exec_lo, exec_lo, s8
	s_and_saveexec_b32 s8, s0
	s_cbranch_execnz .LBB560_18
	s_branch .LBB560_19
.LBB560_46:                             ;   in Loop: Header=BB560_9 Depth=1
	ds_read_b32 v7, v39
	s_or_b32 exec_lo, exec_lo, s8
	s_and_saveexec_b32 s8, s0
	s_cbranch_execz .LBB560_23
.LBB560_47:                             ;   in Loop: Header=BB560_9 Depth=1
	s_waitcnt lgkmcnt(0)
	ds_bpermute_b32 v42, v36, v7
	s_waitcnt lgkmcnt(0)
	v_add_f32_e32 v7, v7, v42
	ds_bpermute_b32 v42, v37, v7
	s_waitcnt lgkmcnt(0)
	v_add_f32_e32 v7, v7, v42
	;; [unrolled: 3-line block ×3, first 2 shown]
	s_or_b32 exec_lo, exec_lo, s8
	s_and_saveexec_b32 s8, s0
	s_cbranch_execnz .LBB560_24
	s_branch .LBB560_25
.LBB560_48:                             ;   in Loop: Header=BB560_9 Depth=1
	ds_read_b32 v41, v39
	s_or_b32 exec_lo, exec_lo, s8
	s_and_saveexec_b32 s8, s0
	s_cbranch_execz .LBB560_29
.LBB560_49:                             ;   in Loop: Header=BB560_9 Depth=1
	s_waitcnt lgkmcnt(0)
	ds_bpermute_b32 v42, v36, v41
	s_waitcnt lgkmcnt(0)
	v_add_f32_e32 v41, v41, v42
	ds_bpermute_b32 v42, v37, v41
	s_waitcnt lgkmcnt(0)
	v_add_f32_e32 v41, v41, v42
	;; [unrolled: 3-line block ×3, first 2 shown]
	s_or_b32 exec_lo, exec_lo, s8
	s_and_saveexec_b32 s8, s0
	s_cbranch_execnz .LBB560_30
	s_branch .LBB560_31
.LBB560_50:                             ;   in Loop: Header=BB560_9 Depth=1
	ds_read_b32 v8, v39
	s_or_b32 exec_lo, exec_lo, s8
	s_and_saveexec_b32 s8, s0
	s_cbranch_execz .LBB560_35
.LBB560_51:                             ;   in Loop: Header=BB560_9 Depth=1
	s_waitcnt lgkmcnt(0)
	ds_bpermute_b32 v42, v36, v8
	s_waitcnt lgkmcnt(0)
	v_add_f32_e32 v8, v8, v42
	ds_bpermute_b32 v42, v37, v8
	s_waitcnt lgkmcnt(0)
	v_add_f32_e32 v8, v8, v42
	ds_bpermute_b32 v42, v38, v8
	s_waitcnt lgkmcnt(0)
	v_add_f32_e32 v8, v8, v42
	s_or_b32 exec_lo, exec_lo, s8
	s_and_saveexec_b32 s8, s5
	s_cbranch_execz .LBB560_8
.LBB560_52:                             ;   in Loop: Header=BB560_9 Depth=1
	s_mul_hi_u32 s43, s7, s24
	s_mul_i32 s42, s7, s24
	v_mul_f32_e32 v6, s14, v6
	s_lshl_b64 s[42:43], s[42:43], 2
	v_mul_f32_e32 v7, s14, v7
	s_add_u32 s42, s48, s42
	s_addc_u32 s43, s49, s43
	s_or_b32 s9, s7, 1
	global_store_dword v5, v6, s[42:43]
	s_mul_hi_u32 s53, s9, s24
	s_mul_i32 s52, s9, s24
	v_mul_f32_e32 v6, s14, v41
	s_lshl_b64 s[52:53], s[52:53], 2
	s_waitcnt lgkmcnt(0)
	v_mul_f32_e32 v8, s14, v8
	s_add_u32 s52, s48, s52
	s_addc_u32 s53, s49, s53
	s_or_b32 s9, s7, 2
	global_store_dword v5, v7, s[52:53]
	s_mul_hi_u32 s55, s9, s24
	s_mul_i32 s54, s9, s24
	s_lshl_b64 s[54:55], s[54:55], 2
	s_add_u32 s42, s48, s54
	s_addc_u32 s43, s49, s55
	s_or_b32 s9, s7, 3
	s_mul_hi_u32 s55, s9, s24
	s_mul_i32 s54, s9, s24
	s_lshl_b64 s[54:55], s[54:55], 2
	s_add_u32 s52, s48, s54
	s_addc_u32 s53, s49, s55
	global_store_dword v5, v6, s[42:43]
	global_store_dword v5, v8, s[52:53]
	s_branch .LBB560_8
.LBB560_53:                             ;   in Loop: Header=BB560_9 Depth=1
	v_mov_b32_e32 v8, 0
	v_mov_b32_e32 v41, 0
	v_mov_b32_e32 v42, 0
	v_mov_b32_e32 v43, 0
.LBB560_54:                             ;   in Loop: Header=BB560_9 Depth=1
	s_inst_prefetch 0x2
	s_or_b32 exec_lo, exec_lo, s53
	s_or_b32 exec_lo, exec_lo, s52
	s_and_saveexec_b32 s8, s0
	s_cbranch_execnz .LBB560_12
	s_branch .LBB560_13
.LBB560_55:
	v_mov_b32_e32 v1, 0
	s_mov_b32 s7, 0
	v_mov_b32_e32 v2, v1
	v_mov_b32_e32 v3, v1
	;; [unrolled: 1-line block ×3, first 2 shown]
.LBB560_56:
	s_cmp_ge_i32 s7, s13
	s_cbranch_scc1 .LBB560_80
; %bb.57:
	v_cmp_gt_u32_e32 vcc_lo, 24, v29
	v_lshl_or_b32 v22, v29, 2, 64
	v_mad_i64_i32 v[15:16], null, s26, v27, 0
	s_cmp_gt_i32 s15, 0
	v_cndmask_b32_e64 v5, 0, 8, vcc_lo
	v_cmp_gt_u32_e32 vcc_lo, 28, v29
	s_mov_b32 s9, 0
	s_mov_b32 s8, s6
	v_cmp_ge_i32_e64 s0, s12, v32
	v_add_lshl_u32 v23, v5, v29, 2
	v_cndmask_b32_e64 v6, 0, 4, vcc_lo
	v_cmp_gt_u32_e32 vcc_lo, 30, v29
	v_cmp_ge_i32_e64 s1, s12, v33
	s_cselect_b32 s12, -1, 0
	s_lshl_b64 s[34:35], s[8:9], 2
	v_add_lshl_u32 v24, v6, v29, 2
	v_cndmask_b32_e64 v7, 0, 2, vcc_lo
	v_cmp_ne_u32_e32 vcc_lo, 31, v29
	v_mad_i64_i32 v[5:6], null, s26, v13, 0
	v_mad_i64_i32 v[13:14], null, s26, v28, 0
	s_waitcnt lgkmcnt(0)
	v_add_co_ci_u32_e64 v8, null, 0, v29, vcc_lo
	v_add_lshl_u32 v25, v7, v29, 2
	s_add_u32 s33, s33, s34
	v_lshlrev_b64 v[17:18], 1, v[5:6]
	v_lshlrev_b32_e32 v29, 2, v8
	v_mad_i64_i32 v[7:8], null, s26, v30, 0
	v_lshlrev_b64 v[13:14], 1, v[13:14]
	v_lshlrev_b64 v[15:16], 1, v[15:16]
	v_add_co_u32 v5, vcc_lo, s25, v17
	s_addc_u32 s34, s44, s35
	v_add_co_ci_u32_e64 v6, null, s45, v18, vcc_lo
	v_lshlrev_b64 v[7:8], 1, v[7:8]
	s_add_u32 s6, s10, s30
	s_addc_u32 s8, s11, s31
	s_mul_i32 s10, s23, s7
	s_mul_hi_u32 s11, s22, s7
	s_add_u32 s6, s6, s20
	v_add_co_u32 v7, vcc_lo, s25, v7
	v_add_co_ci_u32_e64 v8, null, s45, v8, vcc_lo
	v_add_co_u32 v13, vcc_lo, s25, v13
	s_addc_u32 s8, s8, s21
	s_add_i32 s11, s11, s10
	s_mul_i32 s10, s22, s7
	v_add_co_ci_u32_e64 v14, null, s45, v14, vcc_lo
	v_add_co_u32 v15, vcc_lo, s25, v15
	s_lshl_b64 s[20:21], s[10:11], 1
	v_add_co_ci_u32_e64 v16, null, s45, v16, vcc_lo
	v_add_co_u32 v17, vcc_lo, s6, v17
	s_lshl_b64 s[10:11], s[26:27], 1
	s_add_u32 s6, s28, s20
	v_add_co_ci_u32_e64 v18, null, s8, v18, vcc_lo
	s_addc_u32 s8, s29, s21
	s_add_u32 s6, s6, s18
	s_addc_u32 s8, s8, s19
	s_add_u32 s6, s16, s6
	s_addc_u32 s8, s17, s8
	v_add_co_u32 v11, vcc_lo, s6, v11
	v_cmp_gt_u32_e64 s2, 32, v0
	v_lshlrev_b32_e32 v21, 2, v26
	v_cmp_eq_u32_e64 s3, 0, v26
	v_and_b32_e32 v26, 28, v31
	v_cmp_gt_u32_e64 s4, 8, v0
	v_cmp_eq_u32_e64 s5, 0, v0
	v_add_co_ci_u32_e64 v12, null, s8, v12, vcc_lo
	v_mov_b32_e32 v0, 0
	s_lshl_b64 s[16:17], s[22:23], 1
	s_branch .LBB560_59
.LBB560_58:                             ;   in Loop: Header=BB560_59 Depth=1
	s_or_b32 exec_lo, exec_lo, s6
	v_add_co_u32 v11, vcc_lo, v11, s16
	v_add_co_ci_u32_e64 v12, null, s17, v12, vcc_lo
	s_add_i32 s7, s7, 1
	s_cmp_ge_i32 s7, s13
	s_cbranch_scc1 .LBB560_80
.LBB560_59:                             ; =>This Loop Header: Depth=1
                                        ;     Child Loop BB560_72 Depth 2
                                        ;     Child Loop BB560_75 Depth 2
	v_mov_b32_e32 v27, s9
	s_and_saveexec_b32 s6, s0
	s_xor_b32 s6, exec_lo, s6
	s_cbranch_execnz .LBB560_68
; %bb.60:                               ;   in Loop: Header=BB560_59 Depth=1
	s_andn2_saveexec_b32 s20, s6
	s_cbranch_execnz .LBB560_69
.LBB560_61:                             ;   in Loop: Header=BB560_59 Depth=1
	s_or_b32 exec_lo, exec_lo, s20
	s_and_saveexec_b32 s6, s2
.LBB560_62:                             ;   in Loop: Header=BB560_59 Depth=1
	ds_write_b32 v21, v0
.LBB560_63:                             ;   in Loop: Header=BB560_59 Depth=1
	s_or_b32 exec_lo, exec_lo, s6
	s_waitcnt lgkmcnt(0)
	ds_bpermute_b32 v19, v22, v27
	s_waitcnt lgkmcnt(0)
	s_waitcnt_vscnt null, 0x0
	s_barrier
	buffer_gl0_inv
	v_add_f32_e32 v19, v27, v19
	ds_bpermute_b32 v20, v23, v19
	s_waitcnt lgkmcnt(0)
	v_add_f32_e32 v19, v19, v20
	ds_bpermute_b32 v20, v24, v19
	s_waitcnt lgkmcnt(0)
	;; [unrolled: 3-line block ×3, first 2 shown]
	v_add_f32_e32 v19, v19, v20
	ds_bpermute_b32 v20, v29, v19
	s_and_saveexec_b32 s6, s3
	s_cbranch_execz .LBB560_65
; %bb.64:                               ;   in Loop: Header=BB560_59 Depth=1
	s_waitcnt lgkmcnt(0)
	v_add_f32_e32 v19, v19, v20
	ds_write_b32 v26, v19
.LBB560_65:                             ;   in Loop: Header=BB560_59 Depth=1
	s_or_b32 exec_lo, exec_lo, s6
	v_mov_b32_e32 v19, 0
	s_waitcnt lgkmcnt(0)
	s_barrier
	buffer_gl0_inv
	s_and_saveexec_b32 s6, s4
	s_cbranch_execnz .LBB560_77
; %bb.66:                               ;   in Loop: Header=BB560_59 Depth=1
	s_or_b32 exec_lo, exec_lo, s6
	s_and_saveexec_b32 s6, s2
	s_cbranch_execnz .LBB560_78
.LBB560_67:                             ;   in Loop: Header=BB560_59 Depth=1
	s_or_b32 exec_lo, exec_lo, s6
	s_and_saveexec_b32 s6, s5
	s_cbranch_execz .LBB560_58
	s_branch .LBB560_79
.LBB560_68:                             ;   in Loop: Header=BB560_59 Depth=1
	s_mul_i32 s8, s7, s23
	s_mul_hi_u32 s19, s7, s22
	s_mul_i32 s18, s7, s22
	s_add_i32 s19, s19, s8
	s_lshl_b64 s[18:19], s[18:19], 1
	v_add_co_u32 v1, vcc_lo, v9, s18
	v_add_co_ci_u32_e64 v2, null, s19, v10, vcc_lo
	global_load_ushort v3, v[5:6], off
	s_waitcnt lgkmcnt(0)
	global_load_dwordx2 v[19:20], v[1:2], off
	s_clause 0x2
	global_load_ushort v2, v[7:8], off
	global_load_ushort v4, v[13:14], off
	;; [unrolled: 1-line block ×3, first 2 shown]
	s_waitcnt vmcnt(4)
	v_lshlrev_b32_e32 v1, 16, v3
	s_waitcnt vmcnt(3)
	v_lshlrev_b32_e32 v3, 16, v19
	;; [unrolled: 2-line block ×3, first 2 shown]
	v_and_b32_e32 v19, 0xffff0000, v19
	v_fma_f32 v27, v1, v3, 0
	s_waitcnt vmcnt(1)
	v_lshlrev_b32_e32 v3, 16, v4
	s_waitcnt vmcnt(0)
	v_lshlrev_b32_e32 v4, 16, v28
	v_fmac_f32_e32 v27, v2, v19
	v_lshlrev_b32_e32 v19, 16, v20
	v_and_b32_e32 v20, 0xffff0000, v20
	v_fmac_f32_e32 v27, v3, v19
	v_fmac_f32_e32 v27, v4, v20
	s_andn2_saveexec_b32 s20, s6
	s_cbranch_execz .LBB560_61
.LBB560_69:                             ;   in Loop: Header=BB560_59 Depth=1
	s_and_saveexec_b32 s21, s1
	s_cbranch_execz .LBB560_76
; %bb.70:                               ;   in Loop: Header=BB560_59 Depth=1
	s_andn2_b32 vcc_lo, exec_lo, s12
	s_cbranch_vccnz .LBB560_73
; %bb.71:                               ;   in Loop: Header=BB560_59 Depth=1
	s_waitcnt lgkmcnt(0)
	v_mov_b32_e32 v20, v18
	v_mov_b32_e32 v19, v17
	s_mov_b64 s[18:19], 0
	.p2align	6
.LBB560_72:                             ;   Parent Loop BB560_59 Depth=1
                                        ; =>  This Inner Loop Header: Depth=2
	global_load_ushort v28, v[19:20], off
	s_cmp_eq_u32 s18, 3
	v_add_co_u32 v19, vcc_lo, v19, s10
	v_add_co_ci_u32_e64 v20, null, s11, v20, vcc_lo
	s_cselect_b32 vcc_lo, -1, 0
	s_cmp_eq_u32 s18, 2
	s_cselect_b32 s6, -1, 0
	s_cmp_eq_u32 s18, 1
	s_cselect_b32 s8, -1, 0
	s_cmp_eq_u32 s18, 0
	s_waitcnt vmcnt(0)
	v_lshlrev_b32_e32 v28, 16, v28
	v_cndmask_b32_e32 v4, v4, v28, vcc_lo
	s_cselect_b32 vcc_lo, -1, 0
	v_cndmask_b32_e64 v3, v3, v28, s6
	v_cndmask_b32_e64 v2, v2, v28, s8
	v_cndmask_b32_e32 v1, v1, v28, vcc_lo
	s_add_u32 s18, s18, 1
	s_addc_u32 s19, s19, 0
	s_cmp_eq_u32 s15, s18
	s_cbranch_scc0 .LBB560_72
.LBB560_73:                             ;   in Loop: Header=BB560_59 Depth=1
	s_andn2_b32 vcc_lo, exec_lo, s12
	s_cbranch_vccnz .LBB560_76
; %bb.74:                               ;   in Loop: Header=BB560_59 Depth=1
	s_waitcnt lgkmcnt(0)
	v_mov_b32_e32 v20, v12
	v_mov_b32_e32 v19, v11
	s_mov_b64 s[18:19], 0
	.p2align	6
.LBB560_75:                             ;   Parent Loop BB560_59 Depth=1
                                        ; =>  This Inner Loop Header: Depth=2
	global_load_ushort v28, v[19:20], off
	s_cmp_eq_u32 s18, 1
	s_cselect_b32 vcc_lo, -1, 0
	s_cmp_eq_u32 s18, 2
	v_cndmask_b32_e32 v30, v1, v2, vcc_lo
	s_cselect_b32 vcc_lo, -1, 0
	s_cmp_eq_u32 s18, 3
	v_cndmask_b32_e32 v30, v30, v3, vcc_lo
	s_cselect_b32 vcc_lo, -1, 0
	s_add_u32 s18, s18, 1
	s_addc_u32 s19, s19, 0
	s_cmp_lg_u32 s15, s18
	v_cndmask_b32_e32 v30, v30, v4, vcc_lo
	v_add_co_u32 v19, vcc_lo, v19, 2
	v_add_co_ci_u32_e64 v20, null, 0, v20, vcc_lo
	s_waitcnt vmcnt(0)
	v_lshlrev_b32_e32 v28, 16, v28
	v_fmac_f32_e32 v27, v30, v28
	s_cbranch_scc1 .LBB560_75
.LBB560_76:                             ;   in Loop: Header=BB560_59 Depth=1
	s_or_b32 exec_lo, exec_lo, s21
	s_or_b32 exec_lo, exec_lo, s20
	s_and_saveexec_b32 s6, s2
	s_cbranch_execnz .LBB560_62
	s_branch .LBB560_63
.LBB560_77:                             ;   in Loop: Header=BB560_59 Depth=1
	ds_read_b32 v19, v21
	s_or_b32 exec_lo, exec_lo, s6
	s_and_saveexec_b32 s6, s2
	s_cbranch_execz .LBB560_67
.LBB560_78:                             ;   in Loop: Header=BB560_59 Depth=1
	s_waitcnt lgkmcnt(0)
	ds_bpermute_b32 v20, v24, v19
	s_waitcnt lgkmcnt(0)
	v_add_f32_e32 v19, v19, v20
	ds_bpermute_b32 v20, v25, v19
	s_waitcnt lgkmcnt(0)
	v_add_f32_e32 v19, v19, v20
	ds_bpermute_b32 v20, v29, v19
	s_waitcnt lgkmcnt(0)
	v_add_f32_e32 v19, v19, v20
	s_or_b32 exec_lo, exec_lo, s6
	s_and_saveexec_b32 s6, s5
	s_cbranch_execz .LBB560_58
.LBB560_79:                             ;   in Loop: Header=BB560_59 Depth=1
	s_mul_hi_u32 s19, s7, s24
	s_mul_i32 s18, s7, s24
	s_waitcnt lgkmcnt(0)
	v_mul_f32_e32 v19, s14, v19
	s_lshl_b64 s[18:19], s[18:19], 2
	s_add_u32 s18, s33, s18
	s_addc_u32 s19, s34, s19
	global_store_dword v0, v19, s[18:19]
	s_branch .LBB560_58
.LBB560_80:
	s_endpgm
	.section	.rodata,"a",@progbits
	.p2align	6, 0x0
	.amdhsa_kernel _ZL23rocblas_gemvt_sn_kernelILb0ELi256ELi4El16rocblas_bfloat16ffEviiT4_lPKT3_lilS4_lilPT5_i
		.amdhsa_group_segment_fixed_size 128
		.amdhsa_private_segment_fixed_size 0
		.amdhsa_kernarg_size 360
		.amdhsa_user_sgpr_count 6
		.amdhsa_user_sgpr_private_segment_buffer 1
		.amdhsa_user_sgpr_dispatch_ptr 0
		.amdhsa_user_sgpr_queue_ptr 0
		.amdhsa_user_sgpr_kernarg_segment_ptr 1
		.amdhsa_user_sgpr_dispatch_id 0
		.amdhsa_user_sgpr_flat_scratch_init 0
		.amdhsa_user_sgpr_private_segment_size 0
		.amdhsa_wavefront_size32 1
		.amdhsa_uses_dynamic_stack 0
		.amdhsa_system_sgpr_private_segment_wavefront_offset 0
		.amdhsa_system_sgpr_workgroup_id_x 1
		.amdhsa_system_sgpr_workgroup_id_y 0
		.amdhsa_system_sgpr_workgroup_id_z 1
		.amdhsa_system_sgpr_workgroup_info 0
		.amdhsa_system_vgpr_workitem_id 0
		.amdhsa_next_free_vgpr 55
		.amdhsa_next_free_sgpr 56
		.amdhsa_reserve_vcc 1
		.amdhsa_reserve_flat_scratch 0
		.amdhsa_float_round_mode_32 0
		.amdhsa_float_round_mode_16_64 0
		.amdhsa_float_denorm_mode_32 3
		.amdhsa_float_denorm_mode_16_64 3
		.amdhsa_dx10_clamp 1
		.amdhsa_ieee_mode 1
		.amdhsa_fp16_overflow 0
		.amdhsa_workgroup_processor_mode 1
		.amdhsa_memory_ordered 1
		.amdhsa_forward_progress 1
		.amdhsa_shared_vgpr_count 0
		.amdhsa_exception_fp_ieee_invalid_op 0
		.amdhsa_exception_fp_denorm_src 0
		.amdhsa_exception_fp_ieee_div_zero 0
		.amdhsa_exception_fp_ieee_overflow 0
		.amdhsa_exception_fp_ieee_underflow 0
		.amdhsa_exception_fp_ieee_inexact 0
		.amdhsa_exception_int_div_zero 0
	.end_amdhsa_kernel
	.section	.text._ZL23rocblas_gemvt_sn_kernelILb0ELi256ELi4El16rocblas_bfloat16ffEviiT4_lPKT3_lilS4_lilPT5_i,"axG",@progbits,_ZL23rocblas_gemvt_sn_kernelILb0ELi256ELi4El16rocblas_bfloat16ffEviiT4_lPKT3_lilS4_lilPT5_i,comdat
.Lfunc_end560:
	.size	_ZL23rocblas_gemvt_sn_kernelILb0ELi256ELi4El16rocblas_bfloat16ffEviiT4_lPKT3_lilS4_lilPT5_i, .Lfunc_end560-_ZL23rocblas_gemvt_sn_kernelILb0ELi256ELi4El16rocblas_bfloat16ffEviiT4_lPKT3_lilS4_lilPT5_i
                                        ; -- End function
	.set _ZL23rocblas_gemvt_sn_kernelILb0ELi256ELi4El16rocblas_bfloat16ffEviiT4_lPKT3_lilS4_lilPT5_i.num_vgpr, 55
	.set _ZL23rocblas_gemvt_sn_kernelILb0ELi256ELi4El16rocblas_bfloat16ffEviiT4_lPKT3_lilS4_lilPT5_i.num_agpr, 0
	.set _ZL23rocblas_gemvt_sn_kernelILb0ELi256ELi4El16rocblas_bfloat16ffEviiT4_lPKT3_lilS4_lilPT5_i.numbered_sgpr, 56
	.set _ZL23rocblas_gemvt_sn_kernelILb0ELi256ELi4El16rocblas_bfloat16ffEviiT4_lPKT3_lilS4_lilPT5_i.num_named_barrier, 0
	.set _ZL23rocblas_gemvt_sn_kernelILb0ELi256ELi4El16rocblas_bfloat16ffEviiT4_lPKT3_lilS4_lilPT5_i.private_seg_size, 0
	.set _ZL23rocblas_gemvt_sn_kernelILb0ELi256ELi4El16rocblas_bfloat16ffEviiT4_lPKT3_lilS4_lilPT5_i.uses_vcc, 1
	.set _ZL23rocblas_gemvt_sn_kernelILb0ELi256ELi4El16rocblas_bfloat16ffEviiT4_lPKT3_lilS4_lilPT5_i.uses_flat_scratch, 0
	.set _ZL23rocblas_gemvt_sn_kernelILb0ELi256ELi4El16rocblas_bfloat16ffEviiT4_lPKT3_lilS4_lilPT5_i.has_dyn_sized_stack, 0
	.set _ZL23rocblas_gemvt_sn_kernelILb0ELi256ELi4El16rocblas_bfloat16ffEviiT4_lPKT3_lilS4_lilPT5_i.has_recursion, 0
	.set _ZL23rocblas_gemvt_sn_kernelILb0ELi256ELi4El16rocblas_bfloat16ffEviiT4_lPKT3_lilS4_lilPT5_i.has_indirect_call, 0
	.section	.AMDGPU.csdata,"",@progbits
; Kernel info:
; codeLenInByte = 4332
; TotalNumSgprs: 58
; NumVgprs: 55
; ScratchSize: 0
; MemoryBound: 0
; FloatMode: 240
; IeeeMode: 1
; LDSByteSize: 128 bytes/workgroup (compile time only)
; SGPRBlocks: 0
; VGPRBlocks: 6
; NumSGPRsForWavesPerEU: 58
; NumVGPRsForWavesPerEU: 55
; Occupancy: 16
; WaveLimiterHint : 1
; COMPUTE_PGM_RSRC2:SCRATCH_EN: 0
; COMPUTE_PGM_RSRC2:USER_SGPR: 6
; COMPUTE_PGM_RSRC2:TRAP_HANDLER: 0
; COMPUTE_PGM_RSRC2:TGID_X_EN: 1
; COMPUTE_PGM_RSRC2:TGID_Y_EN: 0
; COMPUTE_PGM_RSRC2:TGID_Z_EN: 1
; COMPUTE_PGM_RSRC2:TIDIG_COMP_CNT: 0
	.section	.text._ZL23rocblas_gemvt_sn_reduceILi256ELi8Eff16rocblas_bfloat16EviT2_lPT3_lilPT1_i,"axG",@progbits,_ZL23rocblas_gemvt_sn_reduceILi256ELi8Eff16rocblas_bfloat16EviT2_lPT3_lilPT1_i,comdat
	.globl	_ZL23rocblas_gemvt_sn_reduceILi256ELi8Eff16rocblas_bfloat16EviT2_lPT3_lilPT1_i ; -- Begin function _ZL23rocblas_gemvt_sn_reduceILi256ELi8Eff16rocblas_bfloat16EviT2_lPT3_lilPT1_i
	.p2align	8
	.type	_ZL23rocblas_gemvt_sn_reduceILi256ELi8Eff16rocblas_bfloat16EviT2_lPT3_lilPT1_i,@function
_ZL23rocblas_gemvt_sn_reduceILi256ELi8Eff16rocblas_bfloat16EviT2_lPT3_lilPT1_i: ; @_ZL23rocblas_gemvt_sn_reduceILi256ELi8Eff16rocblas_bfloat16EviT2_lPT3_lilPT1_i
; %bb.0:
	s_clause 0x2
	s_load_dwordx2 s[2:3], s[4:5], 0x0
	s_load_dword s0, s[4:5], 0x44
	s_load_dwordx2 s[10:11], s[4:5], 0x30
	v_lshlrev_b32_e32 v4, 3, v0
	v_mov_b32_e32 v3, 0
	s_waitcnt lgkmcnt(0)
	s_ashr_i32 s6, s2, 31
	s_mul_i32 s9, s0, s8
	s_add_u32 s0, s4, 64
	s_addc_u32 s1, s5, 0
	s_lshr_b32 s12, s6, 29
	s_add_i32 s9, s9, s7
	s_add_i32 s12, s2, s12
	s_mul_i32 s13, s9, s6
	s_and_b32 s6, s12, -8
	s_mul_hi_u32 s12, s9, s2
	s_add_i32 s13, s12, s13
	s_mul_i32 s12, s9, s2
	s_mov_b32 s9, exec_lo
	v_cmpx_gt_i32_e64 s6, v4
	s_cbranch_execz .LBB561_4
; %bb.1:
	s_load_dword s0, s[0:1], 0xc
	v_lshlrev_b32_e32 v1, 5, v0
	s_lshl_b64 s[14:15], s[12:13], 2
	v_mov_b32_e32 v3, 0
	s_waitcnt lgkmcnt(0)
	s_and_b32 s0, s0, 0xffff
	s_lshl_b32 s1, s0, 3
	s_add_u32 s14, s10, s14
	s_addc_u32 s15, s11, s15
	v_add_co_u32 v1, s14, s14, v1
	v_add_co_ci_u32_e64 v2, null, s15, 0, s14
	s_mov_b32 s14, 0
	v_add_co_u32 v1, vcc_lo, v1, 28
	v_add_co_ci_u32_e64 v2, null, 0, v2, vcc_lo
	s_lshl_b32 s15, s0, 5
	.p2align	6
.LBB561_2:                              ; =>This Inner Loop Header: Depth=1
	s_clause 0x1
	global_load_dwordx4 v[5:8], v[1:2], off offset:-28
	global_load_dwordx4 v[9:12], v[1:2], off offset:-12
	v_add_nc_u32_e32 v4, s1, v4
	v_add_co_u32 v1, vcc_lo, v1, s15
	v_add_co_ci_u32_e64 v2, null, 0, v2, vcc_lo
	v_cmp_le_i32_e64 s0, s6, v4
	s_or_b32 s14, s0, s14
	s_waitcnt vmcnt(1)
	v_add_f32_e32 v3, v3, v5
	v_add_f32_e32 v3, v3, v6
	;; [unrolled: 1-line block ×4, first 2 shown]
	s_waitcnt vmcnt(0)
	v_add_f32_e32 v3, v3, v9
	v_add_f32_e32 v3, v3, v10
	;; [unrolled: 1-line block ×4, first 2 shown]
	s_andn2_b32 exec_lo, exec_lo, s14
	s_cbranch_execnz .LBB561_2
; %bb.3:
	s_or_b32 exec_lo, exec_lo, s14
.LBB561_4:
	s_or_b32 exec_lo, exec_lo, s9
	s_sub_i32 s0, s2, s6
	v_cmp_gt_u32_e32 vcc_lo, s0, v0
	s_and_saveexec_b32 s0, vcc_lo
	s_cbranch_execz .LBB561_6
; %bb.5:
	v_xad_u32 v1, v0, -1, s2
	v_mov_b32_e32 v2, 0
	s_lshl_b64 s[12:13], s[12:13], 2
	s_add_u32 s1, s10, s12
	s_addc_u32 s2, s11, s13
	v_lshlrev_b64 v[1:2], 2, v[1:2]
	v_add_co_u32 v1, vcc_lo, s1, v1
	v_add_co_ci_u32_e64 v2, null, s2, v2, vcc_lo
	global_load_dword v1, v[1:2], off
	s_waitcnt vmcnt(0)
	v_add_f32_e32 v3, v3, v1
.LBB561_6:
	s_or_b32 exec_lo, exec_lo, s0
	v_and_b32_e32 v1, 31, v0
	v_cmp_gt_u32_e32 vcc_lo, 32, v0
	v_lshlrev_b32_e32 v2, 2, v1
	s_and_saveexec_b32 s0, vcc_lo
; %bb.7:
	v_mov_b32_e32 v4, 0
	ds_write_b32 v2, v4
; %bb.8:
	s_or_b32 exec_lo, exec_lo, s0
	v_mbcnt_lo_u32_b32 v5, -1, 0
	s_mov_b32 s1, exec_lo
	s_waitcnt lgkmcnt(0)
	s_barrier
	buffer_gl0_inv
	v_lshl_or_b32 v4, v5, 2, 64
	v_cmp_gt_u32_e64 s0, 24, v5
	ds_bpermute_b32 v4, v4, v3
	v_cndmask_b32_e64 v6, 0, 8, s0
	v_cmp_gt_u32_e64 s0, 28, v5
	v_add_lshl_u32 v6, v6, v5, 2
	s_waitcnt lgkmcnt(0)
	v_add_f32_e32 v4, v3, v4
	v_cndmask_b32_e64 v3, 0, 4, s0
	v_cmp_gt_u32_e64 s0, 30, v5
	ds_bpermute_b32 v6, v6, v4
	v_add_lshl_u32 v3, v3, v5, 2
	s_waitcnt lgkmcnt(0)
	v_add_f32_e32 v6, v4, v6
	v_cndmask_b32_e64 v4, 0, 2, s0
	v_cmp_ne_u32_e64 s0, 31, v5
	ds_bpermute_b32 v7, v3, v6
	v_add_lshl_u32 v4, v4, v5, 2
	v_add_co_ci_u32_e64 v5, null, 0, v5, s0
	v_lshlrev_b32_e32 v5, 2, v5
	s_waitcnt lgkmcnt(0)
	v_add_f32_e32 v6, v6, v7
	ds_bpermute_b32 v7, v4, v6
	s_waitcnt lgkmcnt(0)
	v_add_f32_e32 v6, v6, v7
	ds_bpermute_b32 v7, v5, v6
	v_cmpx_eq_u32_e32 0, v1
	s_cbranch_execz .LBB561_10
; %bb.9:
	v_lshrrev_b32_e32 v1, 3, v0
	s_waitcnt lgkmcnt(0)
	v_add_f32_e32 v6, v6, v7
	v_and_b32_e32 v1, 28, v1
	ds_write_b32 v1, v6
.LBB561_10:
	s_or_b32 exec_lo, exec_lo, s1
	v_mov_b32_e32 v1, 0
	s_mov_b32 s1, exec_lo
	s_waitcnt lgkmcnt(0)
	s_barrier
	buffer_gl0_inv
	v_cmpx_gt_u32_e32 8, v0
; %bb.11:
	ds_read_b32 v1, v2
; %bb.12:
	s_or_b32 exec_lo, exec_lo, s1
	s_and_saveexec_b32 s0, vcc_lo
	s_cbranch_execz .LBB561_14
; %bb.13:
	s_waitcnt lgkmcnt(0)
	ds_bpermute_b32 v2, v3, v1
	s_waitcnt lgkmcnt(0)
	v_add_f32_e32 v1, v1, v2
	ds_bpermute_b32 v2, v4, v1
	s_waitcnt lgkmcnt(0)
	v_add_f32_e32 v1, v1, v2
	;; [unrolled: 3-line block ×3, first 2 shown]
.LBB561_14:
	s_or_b32 exec_lo, exec_lo, s0
	s_mov_b32 s0, exec_lo
	v_cmpx_eq_u32_e32 0, v0
	s_cbranch_execz .LBB561_28
; %bb.15:
	s_clause 0x2
	s_load_dwordx2 s[0:1], s[4:5], 0x28
	s_load_dwordx4 s[12:15], s[4:5], 0x10
	s_load_dword s2, s[4:5], 0x20
	v_cmp_eq_f32_e64 s6, s3, 0
	s_waitcnt lgkmcnt(0)
	s_mul_i32 s1, s1, s8
	s_mul_hi_u32 s4, s0, s8
	s_mul_i32 s0, s0, s8
	s_add_i32 s1, s4, s1
	s_lshl_b64 s[0:1], s[0:1], 1
	s_add_u32 s4, s12, s0
	s_addc_u32 s5, s13, s1
	s_lshl_b64 s[0:1], s[14:15], 1
	s_add_u32 s4, s4, s0
	s_addc_u32 s5, s5, s1
	s_and_b32 vcc_lo, exec_lo, s6
	s_cbranch_vccz .LBB561_21
; %bb.16:
	v_and_b32_e32 v0, 0x7f800000, v1
	v_cmp_ne_u32_e32 vcc_lo, 0x7f800000, v0
                                        ; implicit-def: $vgpr0
	s_and_saveexec_b32 s0, vcc_lo
	s_xor_b32 s0, exec_lo, s0
; %bb.17:
	v_bfe_u32 v0, v1, 16, 1
	v_add3_u32 v0, v1, v0, 0x7fff
; %bb.18:
	s_andn2_saveexec_b32 s0, s0
; %bb.19:
	v_mov_b32_e32 v0, 0
	v_or_b32_e32 v2, 0x10000, v1
	v_cmp_eq_u32_sdwa vcc_lo, v1, v0 src0_sel:WORD_0 src1_sel:DWORD
	v_cndmask_b32_e32 v0, v2, v1, vcc_lo
; %bb.20:
	s_or_b32 exec_lo, exec_lo, s0
	s_mul_hi_u32 s6, s2, s7
	s_mul_i32 s0, s2, s7
	s_cbranch_execz .LBB561_22
	s_branch .LBB561_27
.LBB561_21:
                                        ; implicit-def: $vgpr0
	s_mul_hi_u32 s6, s2, s7
	s_mul_i32 s0, s2, s7
.LBB561_22:
	s_ashr_i32 s1, s2, 31
	v_mov_b32_e32 v0, 0
	s_mul_i32 s1, s1, s7
	s_add_i32 s1, s6, s1
	s_lshl_b64 s[8:9], s[0:1], 1
	s_add_u32 s8, s4, s8
	s_addc_u32 s9, s5, s9
	global_load_ushort v0, v0, s[8:9]
	s_waitcnt vmcnt(0)
	v_lshlrev_b32_e32 v0, 16, v0
	v_fmac_f32_e32 v1, s3, v0
	v_and_b32_e32 v0, 0x7f800000, v1
	v_cmp_ne_u32_e32 vcc_lo, 0x7f800000, v0
                                        ; implicit-def: $vgpr0
	s_and_saveexec_b32 s1, vcc_lo
	s_xor_b32 s1, exec_lo, s1
; %bb.23:
	v_bfe_u32 v0, v1, 16, 1
	v_add3_u32 v0, v1, v0, 0x7fff
                                        ; implicit-def: $vgpr1
; %bb.24:
	s_andn2_saveexec_b32 s1, s1
; %bb.25:
	v_mov_b32_e32 v0, 0
	v_or_b32_e32 v2, 0x10000, v1
	v_cmp_eq_u32_sdwa vcc_lo, v1, v0 src0_sel:WORD_0 src1_sel:DWORD
	v_cndmask_b32_e32 v0, v2, v1, vcc_lo
; %bb.26:
	s_or_b32 exec_lo, exec_lo, s1
.LBB561_27:
	s_ashr_i32 s1, s2, 31
	v_mov_b32_e32 v1, 0
	s_mul_i32 s1, s1, s7
	s_add_i32 s1, s6, s1
	s_lshl_b64 s[0:1], s[0:1], 1
	s_add_u32 s0, s4, s0
	s_addc_u32 s1, s5, s1
	global_store_short_d16_hi v1, v0, s[0:1]
.LBB561_28:
	s_endpgm
	.section	.rodata,"a",@progbits
	.p2align	6, 0x0
	.amdhsa_kernel _ZL23rocblas_gemvt_sn_reduceILi256ELi8Eff16rocblas_bfloat16EviT2_lPT3_lilPT1_i
		.amdhsa_group_segment_fixed_size 128
		.amdhsa_private_segment_fixed_size 0
		.amdhsa_kernarg_size 320
		.amdhsa_user_sgpr_count 6
		.amdhsa_user_sgpr_private_segment_buffer 1
		.amdhsa_user_sgpr_dispatch_ptr 0
		.amdhsa_user_sgpr_queue_ptr 0
		.amdhsa_user_sgpr_kernarg_segment_ptr 1
		.amdhsa_user_sgpr_dispatch_id 0
		.amdhsa_user_sgpr_flat_scratch_init 0
		.amdhsa_user_sgpr_private_segment_size 0
		.amdhsa_wavefront_size32 1
		.amdhsa_uses_dynamic_stack 0
		.amdhsa_system_sgpr_private_segment_wavefront_offset 0
		.amdhsa_system_sgpr_workgroup_id_x 1
		.amdhsa_system_sgpr_workgroup_id_y 1
		.amdhsa_system_sgpr_workgroup_id_z 1
		.amdhsa_system_sgpr_workgroup_info 0
		.amdhsa_system_vgpr_workitem_id 0
		.amdhsa_next_free_vgpr 13
		.amdhsa_next_free_sgpr 16
		.amdhsa_reserve_vcc 1
		.amdhsa_reserve_flat_scratch 0
		.amdhsa_float_round_mode_32 0
		.amdhsa_float_round_mode_16_64 0
		.amdhsa_float_denorm_mode_32 3
		.amdhsa_float_denorm_mode_16_64 3
		.amdhsa_dx10_clamp 1
		.amdhsa_ieee_mode 1
		.amdhsa_fp16_overflow 0
		.amdhsa_workgroup_processor_mode 1
		.amdhsa_memory_ordered 1
		.amdhsa_forward_progress 1
		.amdhsa_shared_vgpr_count 0
		.amdhsa_exception_fp_ieee_invalid_op 0
		.amdhsa_exception_fp_denorm_src 0
		.amdhsa_exception_fp_ieee_div_zero 0
		.amdhsa_exception_fp_ieee_overflow 0
		.amdhsa_exception_fp_ieee_underflow 0
		.amdhsa_exception_fp_ieee_inexact 0
		.amdhsa_exception_int_div_zero 0
	.end_amdhsa_kernel
	.section	.text._ZL23rocblas_gemvt_sn_reduceILi256ELi8Eff16rocblas_bfloat16EviT2_lPT3_lilPT1_i,"axG",@progbits,_ZL23rocblas_gemvt_sn_reduceILi256ELi8Eff16rocblas_bfloat16EviT2_lPT3_lilPT1_i,comdat
.Lfunc_end561:
	.size	_ZL23rocblas_gemvt_sn_reduceILi256ELi8Eff16rocblas_bfloat16EviT2_lPT3_lilPT1_i, .Lfunc_end561-_ZL23rocblas_gemvt_sn_reduceILi256ELi8Eff16rocblas_bfloat16EviT2_lPT3_lilPT1_i
                                        ; -- End function
	.set _ZL23rocblas_gemvt_sn_reduceILi256ELi8Eff16rocblas_bfloat16EviT2_lPT3_lilPT1_i.num_vgpr, 13
	.set _ZL23rocblas_gemvt_sn_reduceILi256ELi8Eff16rocblas_bfloat16EviT2_lPT3_lilPT1_i.num_agpr, 0
	.set _ZL23rocblas_gemvt_sn_reduceILi256ELi8Eff16rocblas_bfloat16EviT2_lPT3_lilPT1_i.numbered_sgpr, 16
	.set _ZL23rocblas_gemvt_sn_reduceILi256ELi8Eff16rocblas_bfloat16EviT2_lPT3_lilPT1_i.num_named_barrier, 0
	.set _ZL23rocblas_gemvt_sn_reduceILi256ELi8Eff16rocblas_bfloat16EviT2_lPT3_lilPT1_i.private_seg_size, 0
	.set _ZL23rocblas_gemvt_sn_reduceILi256ELi8Eff16rocblas_bfloat16EviT2_lPT3_lilPT1_i.uses_vcc, 1
	.set _ZL23rocblas_gemvt_sn_reduceILi256ELi8Eff16rocblas_bfloat16EviT2_lPT3_lilPT1_i.uses_flat_scratch, 0
	.set _ZL23rocblas_gemvt_sn_reduceILi256ELi8Eff16rocblas_bfloat16EviT2_lPT3_lilPT1_i.has_dyn_sized_stack, 0
	.set _ZL23rocblas_gemvt_sn_reduceILi256ELi8Eff16rocblas_bfloat16EviT2_lPT3_lilPT1_i.has_recursion, 0
	.set _ZL23rocblas_gemvt_sn_reduceILi256ELi8Eff16rocblas_bfloat16EviT2_lPT3_lilPT1_i.has_indirect_call, 0
	.section	.AMDGPU.csdata,"",@progbits
; Kernel info:
; codeLenInByte = 1120
; TotalNumSgprs: 18
; NumVgprs: 13
; ScratchSize: 0
; MemoryBound: 0
; FloatMode: 240
; IeeeMode: 1
; LDSByteSize: 128 bytes/workgroup (compile time only)
; SGPRBlocks: 0
; VGPRBlocks: 1
; NumSGPRsForWavesPerEU: 18
; NumVGPRsForWavesPerEU: 13
; Occupancy: 16
; WaveLimiterHint : 0
; COMPUTE_PGM_RSRC2:SCRATCH_EN: 0
; COMPUTE_PGM_RSRC2:USER_SGPR: 6
; COMPUTE_PGM_RSRC2:TRAP_HANDLER: 0
; COMPUTE_PGM_RSRC2:TGID_X_EN: 1
; COMPUTE_PGM_RSRC2:TGID_Y_EN: 1
; COMPUTE_PGM_RSRC2:TGID_Z_EN: 1
; COMPUTE_PGM_RSRC2:TIDIG_COMP_CNT: 0
	.section	.text._ZL32rocblas_gemvt_warp_reduce_kernelILb0ELi256Ei16rocblas_bfloat16PKfS0_EviiT3_lPKT2_lT1_lS6_lS7_lS3_lPT4_lS7_li,"axG",@progbits,_ZL32rocblas_gemvt_warp_reduce_kernelILb0ELi256Ei16rocblas_bfloat16PKfS0_EviiT3_lPKT2_lT1_lS6_lS7_lS3_lPT4_lS7_li,comdat
	.globl	_ZL32rocblas_gemvt_warp_reduce_kernelILb0ELi256Ei16rocblas_bfloat16PKfS0_EviiT3_lPKT2_lT1_lS6_lS7_lS3_lPT4_lS7_li ; -- Begin function _ZL32rocblas_gemvt_warp_reduce_kernelILb0ELi256Ei16rocblas_bfloat16PKfS0_EviiT3_lPKT2_lT1_lS6_lS7_lS3_lPT4_lS7_li
	.p2align	8
	.type	_ZL32rocblas_gemvt_warp_reduce_kernelILb0ELi256Ei16rocblas_bfloat16PKfS0_EviiT3_lPKT2_lT1_lS6_lS7_lS3_lPT4_lS7_li,@function
_ZL32rocblas_gemvt_warp_reduce_kernelILb0ELi256Ei16rocblas_bfloat16PKfS0_EviiT3_lPKT2_lT1_lS6_lS7_lS3_lPT4_lS7_li: ; @_ZL32rocblas_gemvt_warp_reduce_kernelILb0ELi256Ei16rocblas_bfloat16PKfS0_EviiT3_lPKT2_lT1_lS6_lS7_lS3_lPT4_lS7_li
; %bb.0:
	s_clause 0x1
	s_load_dwordx8 s[8:15], s[4:5], 0x8
	s_load_dwordx8 s[16:23], s[4:5], 0x50
	s_waitcnt lgkmcnt(0)
	s_mul_i32 s1, s11, s7
	s_mul_hi_u32 s2, s10, s7
	s_mul_i32 s0, s10, s7
	s_add_i32 s1, s2, s1
	s_mul_i32 s2, s21, s7
	s_lshl_b64 s[0:1], s[0:1], 2
	s_mul_hi_u32 s3, s20, s7
	s_add_u32 s0, s8, s0
	s_addc_u32 s1, s9, s1
	s_add_i32 s3, s3, s2
	s_mul_i32 s2, s20, s7
	s_mov_b32 s9, 0
	s_lshl_b64 s[2:3], s[2:3], 2
	s_add_u32 s2, s18, s2
	s_addc_u32 s3, s19, s3
	s_load_dword s18, s[0:1], 0x0
	s_load_dword s10, s[2:3], 0x0
	s_waitcnt lgkmcnt(0)
	v_cmp_eq_f32_e64 s0, s18, 0
	v_cmp_eq_f32_e64 s1, s10, 1.0
	s_and_b32 s0, s0, s1
	s_and_b32 vcc_lo, exec_lo, s0
	s_cbranch_vccnz .LBB562_56
; %bb.1:
	s_clause 0x2
	s_load_dwordx2 s[0:1], s[4:5], 0x80
	s_load_dwordx2 s[2:3], s[4:5], 0x70
	s_load_dword s11, s[4:5], 0x78
	v_cmp_neq_f32_e64 s19, s18, 0
	s_waitcnt lgkmcnt(0)
	s_mul_i32 s1, s1, s7
	s_mul_hi_u32 s8, s0, s7
	s_mul_i32 s0, s0, s7
	s_add_i32 s1, s8, s1
	s_lshl_b64 s[0:1], s[0:1], 1
	s_add_u32 s0, s22, s0
	s_addc_u32 s8, s23, s1
	s_lshl_b64 s[2:3], s[2:3], 1
	s_add_u32 s1, s0, s2
	v_cmp_eq_u32_e64 s0, 0, v0
	s_addc_u32 s8, s8, s3
	s_and_b32 vcc_lo, exec_lo, s19
	s_cbranch_vccnz .LBB562_6
; %bb.2:
	s_mov_b32 s19, 0
                                        ; implicit-def: $sgpr21
                                        ; implicit-def: $sgpr2_sgpr3
	s_and_saveexec_b32 s20, s0
	s_cbranch_execz .LBB562_7
; %bb.3:
	v_cmp_eq_f32_e64 s0, s10, 0
	s_mul_i32 s2, s11, s6
	s_mov_b32 s21, 0
	s_ashr_i32 s3, s2, 31
	s_and_b32 vcc_lo, exec_lo, s0
	s_cbranch_vccnz .LBB562_12
; %bb.4:
	s_lshl_b64 s[22:23], s[2:3], 1
	v_mov_b32_e32 v1, 0
	s_add_u32 s22, s1, s22
	s_addc_u32 s23, s8, s23
	global_load_ushort v1, v1, s[22:23]
	s_waitcnt vmcnt(0)
	v_lshlrev_b32_e32 v1, 16, v1
	v_mul_f32_e32 v1, s10, v1
	v_and_b32_e32 v2, 0x7f800000, v1
	v_readfirstlane_b32 s0, v1
	v_cmp_eq_u32_e32 vcc_lo, 0x7f800000, v2
	s_cbranch_vccnz .LBB562_9
; %bb.5:
	s_bfe_u32 s9, s0, 0x10010
	s_add_i32 s9, s0, s9
	s_addk_i32 s9, 0x7fff
	s_andn2_b32 vcc_lo, exec_lo, s21
	s_cbranch_vccz .LBB562_10
	s_branch .LBB562_11
.LBB562_6:
                                        ; implicit-def: $sgpr21
                                        ; implicit-def: $sgpr2_sgpr3
	s_cbranch_execz .LBB562_8
	s_branch .LBB562_13
.LBB562_7:
	s_or_b32 exec_lo, exec_lo, s20
	s_and_b32 vcc_lo, exec_lo, s19
	s_cbranch_vccnz .LBB562_13
.LBB562_8:
	v_mov_b32_e32 v1, s21
	s_and_saveexec_b32 s0, s9
	s_cbranch_execnz .LBB562_55
	s_branch .LBB562_56
.LBB562_9:
                                        ; implicit-def: $sgpr9
.LBB562_10:
	s_and_b32 s9, s0, 0xffff
	s_or_b32 s21, s0, 0x10000
	s_cmp_eq_u32 s9, 0
	s_cselect_b32 s9, s0, s21
.LBB562_11:
	s_lshr_b32 s21, s9, 16
.LBB562_12:
	s_mov_b32 s9, exec_lo
	s_or_b32 exec_lo, exec_lo, s20
	s_and_b32 vcc_lo, exec_lo, s19
	s_cbranch_vccz .LBB562_8
.LBB562_13:
	s_clause 0x3
	s_load_dwordx4 s[20:23], s[4:5], 0x30
	s_load_dwordx2 s[24:25], s[4:5], 0x40
	s_load_dword s3, s[4:5], 0x0
	s_load_dword s0, s[4:5], 0x28
	s_mul_i32 s2, s17, s7
	s_mul_hi_u32 s17, s16, s7
	s_mul_i32 s16, s16, s7
	s_add_i32 s17, s17, s2
	s_load_dword s4, s[4:5], 0x48
	s_lshl_b64 s[16:17], s[16:17], 1
	v_mov_b32_e32 v7, 0
	s_waitcnt lgkmcnt(0)
	s_add_u32 s2, s22, s16
	s_addc_u32 s22, s23, s17
	v_cmp_gt_i32_e32 vcc_lo, s3, v0
	s_lshl_b64 s[16:17], s[24:25], 1
	s_mul_i32 s19, s21, s7
	s_mul_hi_u32 s21, s20, s7
	s_add_u32 s5, s2, s16
	v_cndmask_b32_e32 v1, 0, v0, vcc_lo
	s_mul_i32 s20, s20, s7
	s_addc_u32 s7, s22, s17
	s_add_i32 s21, s21, s19
	s_lshl_b64 s[16:17], s[20:21], 1
	s_mul_i32 s20, s0, s6
	s_add_u32 s0, s12, s16
	v_lshlrev_b32_e32 v1, 1, v1
	s_addc_u32 s2, s13, s17
	s_lshl_b64 s[12:13], s[14:15], 1
	s_add_u32 s0, s0, s12
	s_addc_u32 s2, s2, s13
	v_add_co_u32 v1, s0, s0, v1
	s_ashr_i32 s12, s3, 31
	s_ashr_i32 s21, s20, 31
	v_add_co_ci_u32_e64 v2, null, s2, 0, s0
	s_lshr_b32 s0, s12, 24
	s_lshl_b64 s[12:13], s[20:21], 1
	s_add_i32 s0, s3, s0
	v_add_co_u32 v1, vcc_lo, v1, s12
	v_add_co_ci_u32_e64 v2, null, s13, v2, vcc_lo
	s_and_b32 s2, s0, 0xffffff00
	s_mov_b32 s13, 0
	s_mov_b32 s12, exec_lo
	v_cmpx_gt_i32_e64 s2, v0
	s_cbranch_execz .LBB562_21
; %bb.14:
	v_mul_lo_u32 v3, v0, s4
	v_mov_b32_e32 v6, v2
	v_mov_b32_e32 v8, 0
	;; [unrolled: 1-line block ×5, first 2 shown]
	s_lshl_b32 s14, s4, 8
	s_branch .LBB562_16
.LBB562_15:                             ;   in Loop: Header=BB562_16 Depth=1
	s_or_b32 exec_lo, exec_lo, s0
	v_add_nc_u32_e32 v9, 0x100, v9
	v_and_b32_e32 v4, 0xffff0000, v10
	v_add_co_u32 v5, s0, 0x200, v5
	v_add_co_ci_u32_e64 v6, null, 0, v6, s0
	v_cmp_le_i32_e32 vcc_lo, s2, v9
	v_add_f32_e32 v7, v7, v4
	v_add_nc_u32_e32 v3, s14, v3
	s_or_b32 s13, vcc_lo, s13
	s_andn2_b32 exec_lo, exec_lo, s13
	s_cbranch_execz .LBB562_20
.LBB562_16:                             ; =>This Inner Loop Header: Depth=1
	v_ashrrev_i32_e32 v4, 31, v3
	v_lshlrev_b64 v[10:11], 1, v[3:4]
	v_add_co_u32 v10, vcc_lo, s5, v10
	v_add_co_ci_u32_e64 v11, null, s7, v11, vcc_lo
	global_load_ushort v4, v[5:6], off
	global_load_ushort v10, v[10:11], off
	s_waitcnt vmcnt(1)
	v_lshlrev_b32_e32 v4, 16, v4
	s_waitcnt vmcnt(0)
	v_lshlrev_b32_e32 v10, 16, v10
	v_mul_f32_e32 v4, v4, v10
	v_and_b32_e32 v10, 0x7f800000, v4
	v_cmp_ne_u32_e32 vcc_lo, 0x7f800000, v10
                                        ; implicit-def: $vgpr10
	s_and_saveexec_b32 s0, vcc_lo
	s_xor_b32 s0, exec_lo, s0
; %bb.17:                               ;   in Loop: Header=BB562_16 Depth=1
	v_bfe_u32 v10, v4, 16, 1
	v_add3_u32 v10, v4, v10, 0x7fff
                                        ; implicit-def: $vgpr4
; %bb.18:                               ;   in Loop: Header=BB562_16 Depth=1
	s_andn2_saveexec_b32 s0, s0
	s_cbranch_execz .LBB562_15
; %bb.19:                               ;   in Loop: Header=BB562_16 Depth=1
	v_or_b32_e32 v10, 0x10000, v4
	v_cmp_eq_u32_sdwa vcc_lo, v4, v8 src0_sel:WORD_0 src1_sel:DWORD
	v_cndmask_b32_e32 v10, v10, v4, vcc_lo
	s_branch .LBB562_15
.LBB562_20:
	s_or_b32 exec_lo, exec_lo, s13
.LBB562_21:
	s_or_b32 exec_lo, exec_lo, s12
	v_add_nc_u32_e32 v3, s2, v0
	s_mov_b32 s0, exec_lo
	v_cmpx_gt_i32_e64 s3, v3
	s_cbranch_execz .LBB562_27
; %bb.22:
	v_mul_lo_u32 v3, s4, v3
	s_ashr_i32 s3, s2, 31
	s_lshl_b64 s[2:3], s[2:3], 1
	v_ashrrev_i32_e32 v4, 31, v3
	v_lshlrev_b64 v[3:4], 1, v[3:4]
	v_add_co_u32 v3, vcc_lo, s5, v3
	v_add_co_ci_u32_e64 v4, null, s7, v4, vcc_lo
	v_add_co_u32 v1, vcc_lo, v1, s2
	v_add_co_ci_u32_e64 v2, null, s3, v2, vcc_lo
	global_load_ushort v3, v[3:4], off
	global_load_ushort v1, v[1:2], off
	s_waitcnt vmcnt(1)
	v_lshlrev_b32_e32 v2, 16, v3
	s_waitcnt vmcnt(0)
	v_lshlrev_b32_e32 v1, 16, v1
	v_mul_f32_e32 v1, v1, v2
	v_and_b32_e32 v2, 0x7f800000, v1
	v_cmp_ne_u32_e32 vcc_lo, 0x7f800000, v2
                                        ; implicit-def: $vgpr2
	s_and_saveexec_b32 s2, vcc_lo
	s_xor_b32 s2, exec_lo, s2
; %bb.23:
	v_bfe_u32 v2, v1, 16, 1
	v_add3_u32 v2, v1, v2, 0x7fff
                                        ; implicit-def: $vgpr1
; %bb.24:
	s_andn2_saveexec_b32 s2, s2
; %bb.25:
	v_mov_b32_e32 v2, 0
	v_or_b32_e32 v3, 0x10000, v1
	v_cmp_eq_u32_sdwa vcc_lo, v1, v2 src0_sel:WORD_0 src1_sel:DWORD
	v_cndmask_b32_e32 v2, v3, v1, vcc_lo
; %bb.26:
	s_or_b32 exec_lo, exec_lo, s2
	v_and_b32_e32 v1, 0xffff0000, v2
	v_add_f32_e32 v7, v7, v1
.LBB562_27:
	s_or_b32 exec_lo, exec_lo, s0
	v_and_b32_e32 v5, 31, v0
	v_cmp_gt_u32_e32 vcc_lo, 32, v0
	v_lshlrev_b32_e32 v1, 2, v5
	s_and_saveexec_b32 s0, vcc_lo
; %bb.28:
	v_mov_b32_e32 v2, 0
	ds_write_b32 v1, v2
; %bb.29:
	s_or_b32 exec_lo, exec_lo, s0
	v_mbcnt_lo_u32_b32 v4, -1, 0
	s_mov_b32 s2, exec_lo
	s_waitcnt lgkmcnt(0)
	s_barrier
	buffer_gl0_inv
	v_lshl_or_b32 v2, v4, 2, 64
	v_cmp_gt_u32_e64 s0, 24, v4
	ds_bpermute_b32 v2, v2, v7
	v_cndmask_b32_e64 v3, 0, 8, s0
	v_cmp_gt_u32_e64 s0, 28, v4
	v_add_lshl_u32 v3, v3, v4, 2
	s_waitcnt lgkmcnt(0)
	v_add_f32_e32 v6, v7, v2
	v_cndmask_b32_e64 v2, 0, 4, s0
	v_cmp_gt_u32_e64 s0, 30, v4
	ds_bpermute_b32 v3, v3, v6
	v_add_lshl_u32 v2, v2, v4, 2
	s_waitcnt lgkmcnt(0)
	v_add_f32_e32 v6, v6, v3
	v_cndmask_b32_e64 v3, 0, 2, s0
	v_cmp_ne_u32_e64 s0, 31, v4
	ds_bpermute_b32 v7, v2, v6
	v_add_lshl_u32 v3, v3, v4, 2
	v_add_co_ci_u32_e64 v4, null, 0, v4, s0
	v_lshlrev_b32_e32 v4, 2, v4
	s_waitcnt lgkmcnt(0)
	v_add_f32_e32 v6, v6, v7
	ds_bpermute_b32 v7, v3, v6
	s_waitcnt lgkmcnt(0)
	v_add_f32_e32 v6, v6, v7
	ds_bpermute_b32 v7, v4, v6
	v_cmpx_eq_u32_e32 0, v5
	s_cbranch_execz .LBB562_31
; %bb.30:
	v_lshrrev_b32_e32 v5, 3, v0
	s_waitcnt lgkmcnt(0)
	v_add_f32_e32 v6, v6, v7
	v_and_b32_e32 v5, 28, v5
	ds_write_b32 v5, v6
.LBB562_31:
	s_or_b32 exec_lo, exec_lo, s2
	v_mov_b32_e32 v5, 0
	s_mov_b32 s2, exec_lo
	s_waitcnt lgkmcnt(0)
	s_barrier
	buffer_gl0_inv
	v_cmpx_gt_u32_e32 8, v0
; %bb.32:
	ds_read_b32 v5, v1
; %bb.33:
	s_or_b32 exec_lo, exec_lo, s2
	s_and_saveexec_b32 s0, vcc_lo
	s_cbranch_execz .LBB562_35
; %bb.34:
	s_waitcnt lgkmcnt(0)
	ds_bpermute_b32 v1, v2, v5
	s_waitcnt lgkmcnt(0)
	v_add_f32_e32 v1, v5, v1
	ds_bpermute_b32 v2, v3, v1
	s_waitcnt lgkmcnt(0)
	v_add_f32_e32 v1, v1, v2
	;; [unrolled: 3-line block ×3, first 2 shown]
.LBB562_35:
	s_or_b32 exec_lo, exec_lo, s0
	s_mov_b32 s0, exec_lo
                                        ; implicit-def: $vgpr1
                                        ; implicit-def: $sgpr2_sgpr3
	v_cmpx_eq_u32_e32 0, v0
	s_cbranch_execz .LBB562_54
; %bb.36:
	v_cmp_eq_f32_e64 s2, s10, 0
	s_waitcnt lgkmcnt(0)
	v_mul_f32_e32 v0, s18, v5
	s_and_b32 vcc_lo, exec_lo, s2
	s_cbranch_vccz .LBB562_42
; %bb.37:
	v_and_b32_e32 v1, 0x7f800000, v0
	v_cmp_ne_u32_e32 vcc_lo, 0x7f800000, v1
                                        ; implicit-def: $vgpr1
	s_and_saveexec_b32 s2, vcc_lo
	s_xor_b32 s2, exec_lo, s2
; %bb.38:
	v_bfe_u32 v1, v0, 16, 1
	v_add3_u32 v1, v0, v1, 0x7fff
; %bb.39:
	s_andn2_saveexec_b32 s2, s2
; %bb.40:
	v_mov_b32_e32 v1, 0
	v_or_b32_e32 v2, 0x10000, v0
	v_cmp_eq_u32_sdwa vcc_lo, v0, v1 src0_sel:WORD_0 src1_sel:DWORD
	v_cndmask_b32_e32 v1, v2, v0, vcc_lo
; %bb.41:
	s_or_b32 exec_lo, exec_lo, s2
	s_mul_i32 s2, s11, s6
	s_cbranch_execz .LBB562_43
	s_branch .LBB562_53
.LBB562_42:
                                        ; implicit-def: $vgpr1
	s_mul_i32 s2, s11, s6
.LBB562_43:
	s_ashr_i32 s3, s2, 31
	v_mov_b32_e32 v1, 0
	s_lshl_b64 s[4:5], s[2:3], 1
	s_add_u32 s4, s1, s4
	s_addc_u32 s5, s8, s5
	global_load_ushort v1, v1, s[4:5]
	s_waitcnt vmcnt(0)
	v_lshlrev_b32_e32 v1, 16, v1
	v_mul_f32_e32 v1, s10, v1
	v_and_b32_e32 v2, 0x7f800000, v1
	v_readfirstlane_b32 s3, v1
	v_cmp_eq_u32_e32 vcc_lo, 0x7f800000, v2
	s_cbranch_vccnz .LBB562_45
; %bb.44:
	s_bfe_u32 s4, s3, 0x10010
	s_mov_b32 s5, 0
	s_add_i32 s4, s3, s4
	s_addk_i32 s4, 0x7fff
	s_branch .LBB562_46
.LBB562_45:
	s_mov_b32 s5, -1
                                        ; implicit-def: $sgpr4
.LBB562_46:
	s_andn2_b32 vcc_lo, exec_lo, s5
	s_cbranch_vccnz .LBB562_48
; %bb.47:
	s_and_b32 s4, s3, 0xffff
	s_or_b32 s5, s3, 0x10000
	s_cmp_eq_u32 s4, 0
	s_cselect_b32 s4, s3, s5
.LBB562_48:
	s_and_b32 s3, s4, 0xffff0000
	v_add_f32_e32 v0, s3, v0
	v_and_b32_e32 v1, 0x7f800000, v0
	v_cmp_ne_u32_e32 vcc_lo, 0x7f800000, v1
                                        ; implicit-def: $vgpr1
	s_and_saveexec_b32 s3, vcc_lo
	s_xor_b32 s3, exec_lo, s3
; %bb.49:
	v_bfe_u32 v1, v0, 16, 1
	v_add3_u32 v1, v0, v1, 0x7fff
                                        ; implicit-def: $vgpr0
; %bb.50:
	s_andn2_saveexec_b32 s3, s3
; %bb.51:
	v_mov_b32_e32 v1, 0
	v_or_b32_e32 v2, 0x10000, v0
	v_cmp_eq_u32_sdwa vcc_lo, v0, v1 src0_sel:WORD_0 src1_sel:DWORD
	v_cndmask_b32_e32 v1, v2, v0, vcc_lo
; %bb.52:
	s_or_b32 exec_lo, exec_lo, s3
.LBB562_53:
	v_lshrrev_b32_e32 v1, 16, v1
	s_ashr_i32 s3, s2, 31
	s_or_b32 s9, s9, exec_lo
.LBB562_54:
	s_or_b32 exec_lo, exec_lo, s0
	s_and_saveexec_b32 s0, s9
	s_cbranch_execz .LBB562_56
.LBB562_55:
	s_lshl_b64 s[2:3], s[2:3], 1
	v_mov_b32_e32 v0, 0
	s_add_u32 s0, s1, s2
	s_addc_u32 s1, s8, s3
	global_store_short v0, v1, s[0:1]
.LBB562_56:
	s_endpgm
	.section	.rodata,"a",@progbits
	.p2align	6, 0x0
	.amdhsa_kernel _ZL32rocblas_gemvt_warp_reduce_kernelILb0ELi256Ei16rocblas_bfloat16PKfS0_EviiT3_lPKT2_lT1_lS6_lS7_lS3_lPT4_lS7_li
		.amdhsa_group_segment_fixed_size 128
		.amdhsa_private_segment_fixed_size 0
		.amdhsa_kernarg_size 140
		.amdhsa_user_sgpr_count 6
		.amdhsa_user_sgpr_private_segment_buffer 1
		.amdhsa_user_sgpr_dispatch_ptr 0
		.amdhsa_user_sgpr_queue_ptr 0
		.amdhsa_user_sgpr_kernarg_segment_ptr 1
		.amdhsa_user_sgpr_dispatch_id 0
		.amdhsa_user_sgpr_flat_scratch_init 0
		.amdhsa_user_sgpr_private_segment_size 0
		.amdhsa_wavefront_size32 1
		.amdhsa_uses_dynamic_stack 0
		.amdhsa_system_sgpr_private_segment_wavefront_offset 0
		.amdhsa_system_sgpr_workgroup_id_x 1
		.amdhsa_system_sgpr_workgroup_id_y 0
		.amdhsa_system_sgpr_workgroup_id_z 1
		.amdhsa_system_sgpr_workgroup_info 0
		.amdhsa_system_vgpr_workitem_id 0
		.amdhsa_next_free_vgpr 12
		.amdhsa_next_free_sgpr 26
		.amdhsa_reserve_vcc 1
		.amdhsa_reserve_flat_scratch 0
		.amdhsa_float_round_mode_32 0
		.amdhsa_float_round_mode_16_64 0
		.amdhsa_float_denorm_mode_32 3
		.amdhsa_float_denorm_mode_16_64 3
		.amdhsa_dx10_clamp 1
		.amdhsa_ieee_mode 1
		.amdhsa_fp16_overflow 0
		.amdhsa_workgroup_processor_mode 1
		.amdhsa_memory_ordered 1
		.amdhsa_forward_progress 1
		.amdhsa_shared_vgpr_count 0
		.amdhsa_exception_fp_ieee_invalid_op 0
		.amdhsa_exception_fp_denorm_src 0
		.amdhsa_exception_fp_ieee_div_zero 0
		.amdhsa_exception_fp_ieee_overflow 0
		.amdhsa_exception_fp_ieee_underflow 0
		.amdhsa_exception_fp_ieee_inexact 0
		.amdhsa_exception_int_div_zero 0
	.end_amdhsa_kernel
	.section	.text._ZL32rocblas_gemvt_warp_reduce_kernelILb0ELi256Ei16rocblas_bfloat16PKfS0_EviiT3_lPKT2_lT1_lS6_lS7_lS3_lPT4_lS7_li,"axG",@progbits,_ZL32rocblas_gemvt_warp_reduce_kernelILb0ELi256Ei16rocblas_bfloat16PKfS0_EviiT3_lPKT2_lT1_lS6_lS7_lS3_lPT4_lS7_li,comdat
.Lfunc_end562:
	.size	_ZL32rocblas_gemvt_warp_reduce_kernelILb0ELi256Ei16rocblas_bfloat16PKfS0_EviiT3_lPKT2_lT1_lS6_lS7_lS3_lPT4_lS7_li, .Lfunc_end562-_ZL32rocblas_gemvt_warp_reduce_kernelILb0ELi256Ei16rocblas_bfloat16PKfS0_EviiT3_lPKT2_lT1_lS6_lS7_lS3_lPT4_lS7_li
                                        ; -- End function
	.set _ZL32rocblas_gemvt_warp_reduce_kernelILb0ELi256Ei16rocblas_bfloat16PKfS0_EviiT3_lPKT2_lT1_lS6_lS7_lS3_lPT4_lS7_li.num_vgpr, 12
	.set _ZL32rocblas_gemvt_warp_reduce_kernelILb0ELi256Ei16rocblas_bfloat16PKfS0_EviiT3_lPKT2_lT1_lS6_lS7_lS3_lPT4_lS7_li.num_agpr, 0
	.set _ZL32rocblas_gemvt_warp_reduce_kernelILb0ELi256Ei16rocblas_bfloat16PKfS0_EviiT3_lPKT2_lT1_lS6_lS7_lS3_lPT4_lS7_li.numbered_sgpr, 26
	.set _ZL32rocblas_gemvt_warp_reduce_kernelILb0ELi256Ei16rocblas_bfloat16PKfS0_EviiT3_lPKT2_lT1_lS6_lS7_lS3_lPT4_lS7_li.num_named_barrier, 0
	.set _ZL32rocblas_gemvt_warp_reduce_kernelILb0ELi256Ei16rocblas_bfloat16PKfS0_EviiT3_lPKT2_lT1_lS6_lS7_lS3_lPT4_lS7_li.private_seg_size, 0
	.set _ZL32rocblas_gemvt_warp_reduce_kernelILb0ELi256Ei16rocblas_bfloat16PKfS0_EviiT3_lPKT2_lT1_lS6_lS7_lS3_lPT4_lS7_li.uses_vcc, 1
	.set _ZL32rocblas_gemvt_warp_reduce_kernelILb0ELi256Ei16rocblas_bfloat16PKfS0_EviiT3_lPKT2_lT1_lS6_lS7_lS3_lPT4_lS7_li.uses_flat_scratch, 0
	.set _ZL32rocblas_gemvt_warp_reduce_kernelILb0ELi256Ei16rocblas_bfloat16PKfS0_EviiT3_lPKT2_lT1_lS6_lS7_lS3_lPT4_lS7_li.has_dyn_sized_stack, 0
	.set _ZL32rocblas_gemvt_warp_reduce_kernelILb0ELi256Ei16rocblas_bfloat16PKfS0_EviiT3_lPKT2_lT1_lS6_lS7_lS3_lPT4_lS7_li.has_recursion, 0
	.set _ZL32rocblas_gemvt_warp_reduce_kernelILb0ELi256Ei16rocblas_bfloat16PKfS0_EviiT3_lPKT2_lT1_lS6_lS7_lS3_lPT4_lS7_li.has_indirect_call, 0
	.section	.AMDGPU.csdata,"",@progbits
; Kernel info:
; codeLenInByte = 1884
; TotalNumSgprs: 28
; NumVgprs: 12
; ScratchSize: 0
; MemoryBound: 0
; FloatMode: 240
; IeeeMode: 1
; LDSByteSize: 128 bytes/workgroup (compile time only)
; SGPRBlocks: 0
; VGPRBlocks: 1
; NumSGPRsForWavesPerEU: 28
; NumVGPRsForWavesPerEU: 12
; Occupancy: 16
; WaveLimiterHint : 1
; COMPUTE_PGM_RSRC2:SCRATCH_EN: 0
; COMPUTE_PGM_RSRC2:USER_SGPR: 6
; COMPUTE_PGM_RSRC2:TRAP_HANDLER: 0
; COMPUTE_PGM_RSRC2:TGID_X_EN: 1
; COMPUTE_PGM_RSRC2:TGID_Y_EN: 0
; COMPUTE_PGM_RSRC2:TGID_Z_EN: 1
; COMPUTE_PGM_RSRC2:TIDIG_COMP_CNT: 0
	.section	.text._ZL32rocblas_gemvt_warp_reduce_kernelILb0ELi256El16rocblas_bfloat16PKfS0_EviiT3_lPKT2_lT1_lS6_lS7_lS3_lPT4_lS7_li,"axG",@progbits,_ZL32rocblas_gemvt_warp_reduce_kernelILb0ELi256El16rocblas_bfloat16PKfS0_EviiT3_lPKT2_lT1_lS6_lS7_lS3_lPT4_lS7_li,comdat
	.globl	_ZL32rocblas_gemvt_warp_reduce_kernelILb0ELi256El16rocblas_bfloat16PKfS0_EviiT3_lPKT2_lT1_lS6_lS7_lS3_lPT4_lS7_li ; -- Begin function _ZL32rocblas_gemvt_warp_reduce_kernelILb0ELi256El16rocblas_bfloat16PKfS0_EviiT3_lPKT2_lT1_lS6_lS7_lS3_lPT4_lS7_li
	.p2align	8
	.type	_ZL32rocblas_gemvt_warp_reduce_kernelILb0ELi256El16rocblas_bfloat16PKfS0_EviiT3_lPKT2_lT1_lS6_lS7_lS3_lPT4_lS7_li,@function
_ZL32rocblas_gemvt_warp_reduce_kernelILb0ELi256El16rocblas_bfloat16PKfS0_EviiT3_lPKT2_lT1_lS6_lS7_lS3_lPT4_lS7_li: ; @_ZL32rocblas_gemvt_warp_reduce_kernelILb0ELi256El16rocblas_bfloat16PKfS0_EviiT3_lPKT2_lT1_lS6_lS7_lS3_lPT4_lS7_li
; %bb.0:
	s_clause 0x1
	s_load_dwordx16 s[36:51], s[4:5], 0x8
	s_load_dwordx16 s[8:23], s[4:5], 0x48
	s_waitcnt lgkmcnt(0)
	s_mul_i32 s1, s39, s7
	s_mul_hi_u32 s2, s38, s7
	s_mul_i32 s0, s38, s7
	s_add_i32 s1, s2, s1
	s_mul_i32 s2, s15, s7
	s_lshl_b64 s[0:1], s[0:1], 2
	s_mul_hi_u32 s3, s14, s7
	s_add_u32 s0, s36, s0
	s_addc_u32 s1, s37, s1
	s_add_i32 s3, s3, s2
	s_mul_i32 s2, s14, s7
	s_lshl_b64 s[2:3], s[2:3], 2
	s_add_u32 s2, s12, s2
	s_addc_u32 s3, s13, s3
	s_load_dword s15, s[0:1], 0x0
	s_load_dword s14, s[2:3], 0x0
	s_mov_b32 s13, 0
	s_waitcnt lgkmcnt(0)
	v_cmp_eq_f32_e64 s0, s15, 0
	v_cmp_eq_f32_e64 s1, s14, 1.0
	s_and_b32 s0, s0, s1
	s_and_b32 vcc_lo, exec_lo, s0
	s_cbranch_vccnz .LBB563_57
; %bb.1:
	s_mul_i32 s1, s23, s7
	s_mul_hi_u32 s2, s22, s7
	s_mul_i32 s0, s22, s7
	s_add_i32 s1, s2, s1
	v_cmp_neq_f32_e64 s22, s15, 0
	s_lshl_b64 s[0:1], s[0:1], 1
	s_add_u32 s0, s16, s0
	s_addc_u32 s12, s17, s1
	s_lshl_b64 s[2:3], s[18:19], 1
	s_add_u32 s1, s0, s2
	v_cmp_eq_u32_e64 s0, 0, v0
	s_addc_u32 s12, s12, s3
	s_and_b32 vcc_lo, exec_lo, s22
	s_cbranch_vccnz .LBB563_6
; %bb.2:
	s_mov_b32 s16, 0
                                        ; implicit-def: $sgpr18
                                        ; implicit-def: $sgpr2_sgpr3
	s_and_saveexec_b32 s17, s0
	s_cbranch_execz .LBB563_7
; %bb.3:
	s_ashr_i32 s0, s6, 31
	v_cmp_eq_f32_e64 s13, s14, 0
	s_mul_hi_u32 s2, s20, s6
	s_mul_i32 s0, s20, s0
	s_mov_b32 s18, 0
	s_add_i32 s0, s2, s0
	s_mul_i32 s2, s21, s6
	s_and_b32 vcc_lo, exec_lo, s13
	s_add_i32 s3, s0, s2
	s_mul_i32 s2, s20, s6
	s_cbranch_vccnz .LBB563_12
; %bb.4:
	s_lshl_b64 s[18:19], s[2:3], 1
	v_mov_b32_e32 v1, 0
	s_add_u32 s18, s1, s18
	s_addc_u32 s19, s12, s19
	global_load_ushort v1, v1, s[18:19]
	s_waitcnt vmcnt(0)
	v_lshlrev_b32_e32 v1, 16, v1
	v_mul_f32_e32 v1, s14, v1
	v_and_b32_e32 v2, 0x7f800000, v1
	v_readfirstlane_b32 s0, v1
	v_cmp_eq_u32_e32 vcc_lo, 0x7f800000, v2
	s_cbranch_vccnz .LBB563_9
; %bb.5:
	s_bfe_u32 s13, s0, 0x10010
	s_add_i32 s13, s0, s13
	s_addk_i32 s13, 0x7fff
	s_cbranch_execz .LBB563_10
	s_branch .LBB563_11
.LBB563_6:
                                        ; implicit-def: $sgpr18
                                        ; implicit-def: $sgpr2_sgpr3
	s_cbranch_execz .LBB563_8
	s_branch .LBB563_13
.LBB563_7:
	s_or_b32 exec_lo, exec_lo, s17
	s_and_b32 vcc_lo, exec_lo, s16
	s_cbranch_vccnz .LBB563_13
.LBB563_8:
	v_mov_b32_e32 v1, s18
	s_and_saveexec_b32 s0, s13
	s_cbranch_execnz .LBB563_56
	s_branch .LBB563_57
.LBB563_9:
                                        ; implicit-def: $sgpr13
.LBB563_10:
	s_and_b32 s13, s0, 0xffff
	s_or_b32 s18, s0, 0x10000
	s_cmp_eq_u32 s13, 0
	s_cselect_b32 s13, s0, s18
.LBB563_11:
	s_lshr_b32 s18, s13, 16
.LBB563_12:
	s_mov_b32 s13, exec_lo
	s_or_b32 exec_lo, exec_lo, s17
	s_and_b32 vcc_lo, exec_lo, s16
	s_cbranch_vccz .LBB563_8
.LBB563_13:
	s_load_dword s5, s[4:5], 0x0
	s_mul_i32 s0, s11, s7
	s_mul_i32 s3, s47, s7
	s_mul_hi_u32 s11, s46, s7
	s_mul_i32 s2, s46, s7
	s_add_i32 s3, s11, s3
	s_mul_hi_u32 s4, s10, s7
	s_lshl_b64 s[16:17], s[2:3], 1
	s_add_i32 s3, s4, s0
	s_add_u32 s0, s40, s16
	s_addc_u32 s2, s41, s17
	s_lshl_b64 s[16:17], s[42:43], 1
	s_mul_hi_u32 s4, s44, s6
	s_add_u32 s0, s0, s16
	s_addc_u32 s2, s2, s17
	s_ashr_i32 s16, s6, 31
	s_mul_i32 s11, s45, s6
	s_mul_i32 s17, s44, s16
	;; [unrolled: 1-line block ×3, first 2 shown]
	s_add_i32 s4, s4, s17
	s_waitcnt lgkmcnt(0)
	v_cmp_gt_i32_e32 vcc_lo, s5, v0
	s_add_i32 s19, s4, s11
	s_ashr_i32 s4, s5, 31
	s_lshl_b64 s[18:19], s[18:19], 1
	s_lshr_b32 s4, s4, 24
	v_cndmask_b32_e32 v1, 0, v0, vcc_lo
	v_mov_b32_e32 v7, 0
	s_add_i32 s4, s5, s4
	s_mov_b32 s17, 0
	s_and_b32 s4, s4, 0xffffff00
	v_lshlrev_b32_e32 v1, 1, v1
	v_add_co_u32 v1, s0, s0, v1
	v_add_co_ci_u32_e64 v2, null, s2, 0, s0
	s_mul_i32 s2, s10, s7
	v_add_co_u32 v1, vcc_lo, v1, s18
	v_add_co_ci_u32_e64 v2, null, s19, v2, vcc_lo
	s_mov_b32 s7, exec_lo
	v_cmpx_gt_i32_e64 s4, v0
	s_cbranch_execz .LBB563_21
; %bb.14:
	v_mad_u64_u32 v[5:6], null, s8, v0, 0
	s_lshl_b64 s[18:19], s[50:51], 1
	s_lshl_b64 s[10:11], s[2:3], 1
	s_add_u32 s0, s48, s18
	s_addc_u32 s18, s49, s19
	s_add_u32 s0, s0, s10
	s_addc_u32 s10, s18, s11
	v_mov_b32_e32 v3, v6
	v_mov_b32_e32 v8, 0
	;; [unrolled: 1-line block ×4, first 2 shown]
	v_mad_u64_u32 v[3:4], null, s9, v0, v[3:4]
	v_mov_b32_e32 v6, v3
	v_mov_b32_e32 v4, v2
	;; [unrolled: 1-line block ×3, first 2 shown]
	v_lshlrev_b64 v[5:6], 1, v[5:6]
	v_add_co_u32 v5, vcc_lo, s0, v5
	v_add_co_ci_u32_e64 v6, null, s10, v6, vcc_lo
	s_lshl_b64 s[10:11], s[8:9], 9
	s_inst_prefetch 0x1
	s_branch .LBB563_16
	.p2align	6
.LBB563_15:                             ;   in Loop: Header=BB563_16 Depth=1
	s_or_b32 exec_lo, exec_lo, s0
	v_add_nc_u32_e32 v9, 0x100, v9
	v_and_b32_e32 v10, 0xffff0000, v11
	v_add_co_u32 v3, vcc_lo, 0x200, v3
	v_add_co_ci_u32_e64 v4, null, 0, v4, vcc_lo
	v_cmp_le_i32_e32 vcc_lo, s4, v9
	v_add_co_u32 v5, s0, v5, s10
	v_add_f32_e32 v7, v7, v10
	v_add_co_ci_u32_e64 v6, null, s11, v6, s0
	s_or_b32 s17, vcc_lo, s17
	s_andn2_b32 exec_lo, exec_lo, s17
	s_cbranch_execz .LBB563_20
.LBB563_16:                             ; =>This Inner Loop Header: Depth=1
	global_load_ushort v10, v[5:6], off
	global_load_ushort v11, v[3:4], off
	s_waitcnt vmcnt(1)
	v_lshlrev_b32_e32 v10, 16, v10
	s_waitcnt vmcnt(0)
	v_lshlrev_b32_e32 v11, 16, v11
	v_mul_f32_e32 v10, v11, v10
	v_and_b32_e32 v11, 0x7f800000, v10
	v_cmp_ne_u32_e32 vcc_lo, 0x7f800000, v11
                                        ; implicit-def: $vgpr11
	s_and_saveexec_b32 s0, vcc_lo
	s_xor_b32 s0, exec_lo, s0
; %bb.17:                               ;   in Loop: Header=BB563_16 Depth=1
	v_bfe_u32 v11, v10, 16, 1
	v_add3_u32 v11, v10, v11, 0x7fff
                                        ; implicit-def: $vgpr10
; %bb.18:                               ;   in Loop: Header=BB563_16 Depth=1
	s_andn2_saveexec_b32 s0, s0
	s_cbranch_execz .LBB563_15
; %bb.19:                               ;   in Loop: Header=BB563_16 Depth=1
	v_or_b32_e32 v11, 0x10000, v10
	v_cmp_eq_u32_sdwa vcc_lo, v10, v8 src0_sel:WORD_0 src1_sel:DWORD
	v_cndmask_b32_e32 v11, v11, v10, vcc_lo
	s_branch .LBB563_15
.LBB563_20:
	s_inst_prefetch 0x2
	s_or_b32 exec_lo, exec_lo, s17
.LBB563_21:
	s_or_b32 exec_lo, exec_lo, s7
	v_add_nc_u32_e32 v3, s4, v0
	s_mov_b32 s0, exec_lo
	v_cmpx_gt_i32_e64 s5, v3
	s_cbranch_execz .LBB563_27
; %bb.22:
	v_ashrrev_i32_e32 v5, 31, v3
	v_mul_lo_u32 v6, s9, v3
	v_mad_u64_u32 v[3:4], null, s8, v3, 0
	s_lshl_b64 s[2:3], s[2:3], 1
	v_mul_lo_u32 v5, s8, v5
	s_add_u32 s5, s48, s2
	s_addc_u32 s7, s49, s3
	s_lshl_b64 s[2:3], s[50:51], 1
	s_add_u32 s8, s5, s2
	s_addc_u32 s7, s7, s3
	s_ashr_i32 s5, s4, 31
	v_add3_u32 v4, v4, v5, v6
	s_lshl_b64 s[2:3], s[4:5], 1
	v_lshlrev_b64 v[3:4], 1, v[3:4]
	v_add_co_u32 v3, vcc_lo, s8, v3
	v_add_co_ci_u32_e64 v4, null, s7, v4, vcc_lo
	v_add_co_u32 v1, vcc_lo, v1, s2
	v_add_co_ci_u32_e64 v2, null, s3, v2, vcc_lo
	global_load_ushort v3, v[3:4], off
	global_load_ushort v1, v[1:2], off
	s_waitcnt vmcnt(1)
	v_lshlrev_b32_e32 v2, 16, v3
	s_waitcnt vmcnt(0)
	v_lshlrev_b32_e32 v1, 16, v1
	v_mul_f32_e32 v1, v1, v2
	v_and_b32_e32 v2, 0x7f800000, v1
	v_cmp_ne_u32_e32 vcc_lo, 0x7f800000, v2
                                        ; implicit-def: $vgpr2
	s_and_saveexec_b32 s2, vcc_lo
	s_xor_b32 s2, exec_lo, s2
; %bb.23:
	v_bfe_u32 v2, v1, 16, 1
	v_add3_u32 v2, v1, v2, 0x7fff
                                        ; implicit-def: $vgpr1
; %bb.24:
	s_andn2_saveexec_b32 s2, s2
; %bb.25:
	v_mov_b32_e32 v2, 0
	v_or_b32_e32 v3, 0x10000, v1
	v_cmp_eq_u32_sdwa vcc_lo, v1, v2 src0_sel:WORD_0 src1_sel:DWORD
	v_cndmask_b32_e32 v2, v3, v1, vcc_lo
; %bb.26:
	s_or_b32 exec_lo, exec_lo, s2
	v_and_b32_e32 v1, 0xffff0000, v2
	v_add_f32_e32 v7, v7, v1
.LBB563_27:
	s_or_b32 exec_lo, exec_lo, s0
	v_and_b32_e32 v5, 31, v0
	v_cmp_gt_u32_e32 vcc_lo, 32, v0
	v_lshlrev_b32_e32 v1, 2, v5
	s_and_saveexec_b32 s0, vcc_lo
; %bb.28:
	v_mov_b32_e32 v2, 0
	ds_write_b32 v1, v2
; %bb.29:
	s_or_b32 exec_lo, exec_lo, s0
	v_mbcnt_lo_u32_b32 v4, -1, 0
	s_mov_b32 s2, exec_lo
	s_waitcnt lgkmcnt(0)
	s_barrier
	buffer_gl0_inv
	v_lshl_or_b32 v2, v4, 2, 64
	v_cmp_gt_u32_e64 s0, 24, v4
	ds_bpermute_b32 v2, v2, v7
	v_cndmask_b32_e64 v3, 0, 8, s0
	v_cmp_gt_u32_e64 s0, 28, v4
	v_add_lshl_u32 v3, v3, v4, 2
	s_waitcnt lgkmcnt(0)
	v_add_f32_e32 v6, v7, v2
	v_cndmask_b32_e64 v2, 0, 4, s0
	v_cmp_gt_u32_e64 s0, 30, v4
	ds_bpermute_b32 v3, v3, v6
	v_add_lshl_u32 v2, v2, v4, 2
	s_waitcnt lgkmcnt(0)
	v_add_f32_e32 v6, v6, v3
	v_cndmask_b32_e64 v3, 0, 2, s0
	v_cmp_ne_u32_e64 s0, 31, v4
	ds_bpermute_b32 v7, v2, v6
	v_add_lshl_u32 v3, v3, v4, 2
	v_add_co_ci_u32_e64 v4, null, 0, v4, s0
	v_lshlrev_b32_e32 v4, 2, v4
	s_waitcnt lgkmcnt(0)
	v_add_f32_e32 v6, v6, v7
	ds_bpermute_b32 v7, v3, v6
	s_waitcnt lgkmcnt(0)
	v_add_f32_e32 v6, v6, v7
	ds_bpermute_b32 v7, v4, v6
	v_cmpx_eq_u32_e32 0, v5
	s_cbranch_execz .LBB563_31
; %bb.30:
	v_lshrrev_b32_e32 v5, 3, v0
	s_waitcnt lgkmcnt(0)
	v_add_f32_e32 v6, v6, v7
	v_and_b32_e32 v5, 28, v5
	ds_write_b32 v5, v6
.LBB563_31:
	s_or_b32 exec_lo, exec_lo, s2
	v_mov_b32_e32 v5, 0
	s_mov_b32 s2, exec_lo
	s_waitcnt lgkmcnt(0)
	s_barrier
	buffer_gl0_inv
	v_cmpx_gt_u32_e32 8, v0
; %bb.32:
	ds_read_b32 v5, v1
; %bb.33:
	s_or_b32 exec_lo, exec_lo, s2
	s_and_saveexec_b32 s0, vcc_lo
	s_cbranch_execz .LBB563_35
; %bb.34:
	s_waitcnt lgkmcnt(0)
	ds_bpermute_b32 v1, v2, v5
	s_waitcnt lgkmcnt(0)
	v_add_f32_e32 v1, v5, v1
	ds_bpermute_b32 v2, v3, v1
	s_waitcnt lgkmcnt(0)
	v_add_f32_e32 v1, v1, v2
	;; [unrolled: 3-line block ×3, first 2 shown]
.LBB563_35:
	s_or_b32 exec_lo, exec_lo, s0
	s_mov_b32 s0, exec_lo
                                        ; implicit-def: $vgpr1
                                        ; implicit-def: $sgpr2_sgpr3
	v_cmpx_eq_u32_e32 0, v0
	s_cbranch_execz .LBB563_55
; %bb.36:
	v_cmp_eq_f32_e64 s2, s14, 0
	s_waitcnt lgkmcnt(0)
	v_mul_f32_e32 v0, s15, v5
	s_and_b32 vcc_lo, exec_lo, s2
	s_cbranch_vccz .LBB563_42
; %bb.37:
	v_and_b32_e32 v1, 0x7f800000, v0
	v_cmp_ne_u32_e32 vcc_lo, 0x7f800000, v1
                                        ; implicit-def: $vgpr1
	s_and_saveexec_b32 s2, vcc_lo
	s_xor_b32 s2, exec_lo, s2
; %bb.38:
	v_bfe_u32 v1, v0, 16, 1
	v_add3_u32 v1, v0, v1, 0x7fff
; %bb.39:
	s_andn2_saveexec_b32 s2, s2
; %bb.40:
	v_mov_b32_e32 v1, 0
	v_or_b32_e32 v2, 0x10000, v0
	v_cmp_eq_u32_sdwa vcc_lo, v0, v1 src0_sel:WORD_0 src1_sel:DWORD
	v_cndmask_b32_e32 v1, v2, v0, vcc_lo
; %bb.41:
	s_or_b32 exec_lo, exec_lo, s2
	s_mov_b32 s2, 0
	s_branch .LBB563_43
.LBB563_42:
	s_mov_b32 s2, -1
                                        ; implicit-def: $vgpr1
.LBB563_43:
	s_mul_i32 s4, s20, s16
	s_mul_hi_u32 s5, s20, s6
	s_andn2_b32 vcc_lo, exec_lo, s2
	s_mul_i32 s7, s21, s6
	s_mul_i32 s2, s20, s6
	s_cbranch_vccnz .LBB563_54
; %bb.44:
	s_add_i32 s3, s5, s4
	v_mov_b32_e32 v1, 0
	s_add_i32 s3, s3, s7
	s_lshl_b64 s[8:9], s[2:3], 1
	s_add_u32 s8, s1, s8
	s_addc_u32 s9, s12, s9
	global_load_ushort v1, v1, s[8:9]
	s_waitcnt vmcnt(0)
	v_lshlrev_b32_e32 v1, 16, v1
	v_mul_f32_e32 v1, s14, v1
	v_and_b32_e32 v2, 0x7f800000, v1
	v_readfirstlane_b32 s3, v1
	v_cmp_eq_u32_e32 vcc_lo, 0x7f800000, v2
	s_cbranch_vccnz .LBB563_46
; %bb.45:
	s_bfe_u32 s6, s3, 0x10010
	s_mov_b32 s8, 0
	s_add_i32 s6, s3, s6
	s_addk_i32 s6, 0x7fff
	s_branch .LBB563_47
.LBB563_46:
	s_mov_b32 s8, -1
                                        ; implicit-def: $sgpr6
.LBB563_47:
	s_andn2_b32 vcc_lo, exec_lo, s8
	s_cbranch_vccnz .LBB563_49
; %bb.48:
	s_and_b32 s6, s3, 0xffff
	s_or_b32 s8, s3, 0x10000
	s_cmp_eq_u32 s6, 0
	s_cselect_b32 s6, s3, s8
.LBB563_49:
	s_and_b32 s3, s6, 0xffff0000
	v_add_f32_e32 v0, s3, v0
	v_and_b32_e32 v1, 0x7f800000, v0
	v_cmp_ne_u32_e32 vcc_lo, 0x7f800000, v1
                                        ; implicit-def: $vgpr1
	s_and_saveexec_b32 s3, vcc_lo
	s_xor_b32 s3, exec_lo, s3
; %bb.50:
	v_bfe_u32 v1, v0, 16, 1
	v_add3_u32 v1, v0, v1, 0x7fff
                                        ; implicit-def: $vgpr0
; %bb.51:
	s_andn2_saveexec_b32 s3, s3
; %bb.52:
	v_mov_b32_e32 v1, 0
	v_or_b32_e32 v2, 0x10000, v0
	v_cmp_eq_u32_sdwa vcc_lo, v0, v1 src0_sel:WORD_0 src1_sel:DWORD
	v_cndmask_b32_e32 v1, v2, v0, vcc_lo
; %bb.53:
	s_or_b32 exec_lo, exec_lo, s3
.LBB563_54:
	v_lshrrev_b32_e32 v1, 16, v1
	s_add_i32 s3, s5, s4
	s_or_b32 s13, s13, exec_lo
	s_add_i32 s3, s3, s7
.LBB563_55:
	s_or_b32 exec_lo, exec_lo, s0
	s_and_saveexec_b32 s0, s13
	s_cbranch_execz .LBB563_57
.LBB563_56:
	s_lshl_b64 s[2:3], s[2:3], 1
	v_mov_b32_e32 v0, 0
	s_add_u32 s0, s1, s2
	s_addc_u32 s1, s12, s3
	global_store_short v0, v1, s[0:1]
.LBB563_57:
	s_endpgm
	.section	.rodata,"a",@progbits
	.p2align	6, 0x0
	.amdhsa_kernel _ZL32rocblas_gemvt_warp_reduce_kernelILb0ELi256El16rocblas_bfloat16PKfS0_EviiT3_lPKT2_lT1_lS6_lS7_lS3_lPT4_lS7_li
		.amdhsa_group_segment_fixed_size 128
		.amdhsa_private_segment_fixed_size 0
		.amdhsa_kernarg_size 140
		.amdhsa_user_sgpr_count 6
		.amdhsa_user_sgpr_private_segment_buffer 1
		.amdhsa_user_sgpr_dispatch_ptr 0
		.amdhsa_user_sgpr_queue_ptr 0
		.amdhsa_user_sgpr_kernarg_segment_ptr 1
		.amdhsa_user_sgpr_dispatch_id 0
		.amdhsa_user_sgpr_flat_scratch_init 0
		.amdhsa_user_sgpr_private_segment_size 0
		.amdhsa_wavefront_size32 1
		.amdhsa_uses_dynamic_stack 0
		.amdhsa_system_sgpr_private_segment_wavefront_offset 0
		.amdhsa_system_sgpr_workgroup_id_x 1
		.amdhsa_system_sgpr_workgroup_id_y 0
		.amdhsa_system_sgpr_workgroup_id_z 1
		.amdhsa_system_sgpr_workgroup_info 0
		.amdhsa_system_vgpr_workitem_id 0
		.amdhsa_next_free_vgpr 12
		.amdhsa_next_free_sgpr 52
		.amdhsa_reserve_vcc 1
		.amdhsa_reserve_flat_scratch 0
		.amdhsa_float_round_mode_32 0
		.amdhsa_float_round_mode_16_64 0
		.amdhsa_float_denorm_mode_32 3
		.amdhsa_float_denorm_mode_16_64 3
		.amdhsa_dx10_clamp 1
		.amdhsa_ieee_mode 1
		.amdhsa_fp16_overflow 0
		.amdhsa_workgroup_processor_mode 1
		.amdhsa_memory_ordered 1
		.amdhsa_forward_progress 1
		.amdhsa_shared_vgpr_count 0
		.amdhsa_exception_fp_ieee_invalid_op 0
		.amdhsa_exception_fp_denorm_src 0
		.amdhsa_exception_fp_ieee_div_zero 0
		.amdhsa_exception_fp_ieee_overflow 0
		.amdhsa_exception_fp_ieee_underflow 0
		.amdhsa_exception_fp_ieee_inexact 0
		.amdhsa_exception_int_div_zero 0
	.end_amdhsa_kernel
	.section	.text._ZL32rocblas_gemvt_warp_reduce_kernelILb0ELi256El16rocblas_bfloat16PKfS0_EviiT3_lPKT2_lT1_lS6_lS7_lS3_lPT4_lS7_li,"axG",@progbits,_ZL32rocblas_gemvt_warp_reduce_kernelILb0ELi256El16rocblas_bfloat16PKfS0_EviiT3_lPKT2_lT1_lS6_lS7_lS3_lPT4_lS7_li,comdat
.Lfunc_end563:
	.size	_ZL32rocblas_gemvt_warp_reduce_kernelILb0ELi256El16rocblas_bfloat16PKfS0_EviiT3_lPKT2_lT1_lS6_lS7_lS3_lPT4_lS7_li, .Lfunc_end563-_ZL32rocblas_gemvt_warp_reduce_kernelILb0ELi256El16rocblas_bfloat16PKfS0_EviiT3_lPKT2_lT1_lS6_lS7_lS3_lPT4_lS7_li
                                        ; -- End function
	.set _ZL32rocblas_gemvt_warp_reduce_kernelILb0ELi256El16rocblas_bfloat16PKfS0_EviiT3_lPKT2_lT1_lS6_lS7_lS3_lPT4_lS7_li.num_vgpr, 12
	.set _ZL32rocblas_gemvt_warp_reduce_kernelILb0ELi256El16rocblas_bfloat16PKfS0_EviiT3_lPKT2_lT1_lS6_lS7_lS3_lPT4_lS7_li.num_agpr, 0
	.set _ZL32rocblas_gemvt_warp_reduce_kernelILb0ELi256El16rocblas_bfloat16PKfS0_EviiT3_lPKT2_lT1_lS6_lS7_lS3_lPT4_lS7_li.numbered_sgpr, 52
	.set _ZL32rocblas_gemvt_warp_reduce_kernelILb0ELi256El16rocblas_bfloat16PKfS0_EviiT3_lPKT2_lT1_lS6_lS7_lS3_lPT4_lS7_li.num_named_barrier, 0
	.set _ZL32rocblas_gemvt_warp_reduce_kernelILb0ELi256El16rocblas_bfloat16PKfS0_EviiT3_lPKT2_lT1_lS6_lS7_lS3_lPT4_lS7_li.private_seg_size, 0
	.set _ZL32rocblas_gemvt_warp_reduce_kernelILb0ELi256El16rocblas_bfloat16PKfS0_EviiT3_lPKT2_lT1_lS6_lS7_lS3_lPT4_lS7_li.uses_vcc, 1
	.set _ZL32rocblas_gemvt_warp_reduce_kernelILb0ELi256El16rocblas_bfloat16PKfS0_EviiT3_lPKT2_lT1_lS6_lS7_lS3_lPT4_lS7_li.uses_flat_scratch, 0
	.set _ZL32rocblas_gemvt_warp_reduce_kernelILb0ELi256El16rocblas_bfloat16PKfS0_EviiT3_lPKT2_lT1_lS6_lS7_lS3_lPT4_lS7_li.has_dyn_sized_stack, 0
	.set _ZL32rocblas_gemvt_warp_reduce_kernelILb0ELi256El16rocblas_bfloat16PKfS0_EviiT3_lPKT2_lT1_lS6_lS7_lS3_lPT4_lS7_li.has_recursion, 0
	.set _ZL32rocblas_gemvt_warp_reduce_kernelILb0ELi256El16rocblas_bfloat16PKfS0_EviiT3_lPKT2_lT1_lS6_lS7_lS3_lPT4_lS7_li.has_indirect_call, 0
	.section	.AMDGPU.csdata,"",@progbits
; Kernel info:
; codeLenInByte = 2016
; TotalNumSgprs: 54
; NumVgprs: 12
; ScratchSize: 0
; MemoryBound: 0
; FloatMode: 240
; IeeeMode: 1
; LDSByteSize: 128 bytes/workgroup (compile time only)
; SGPRBlocks: 0
; VGPRBlocks: 1
; NumSGPRsForWavesPerEU: 54
; NumVGPRsForWavesPerEU: 12
; Occupancy: 16
; WaveLimiterHint : 0
; COMPUTE_PGM_RSRC2:SCRATCH_EN: 0
; COMPUTE_PGM_RSRC2:USER_SGPR: 6
; COMPUTE_PGM_RSRC2:TRAP_HANDLER: 0
; COMPUTE_PGM_RSRC2:TGID_X_EN: 1
; COMPUTE_PGM_RSRC2:TGID_Y_EN: 0
; COMPUTE_PGM_RSRC2:TGID_Z_EN: 1
; COMPUTE_PGM_RSRC2:TIDIG_COMP_CNT: 0
	.section	.text._ZL32rocblas_gemvt_warp_reduce_kernelILb0ELi256Ei16rocblas_bfloat16fS0_EviiT3_lPKT2_lT1_lS4_lS5_lS1_lPT4_lS5_li,"axG",@progbits,_ZL32rocblas_gemvt_warp_reduce_kernelILb0ELi256Ei16rocblas_bfloat16fS0_EviiT3_lPKT2_lT1_lS4_lS5_lS1_lPT4_lS5_li,comdat
	.globl	_ZL32rocblas_gemvt_warp_reduce_kernelILb0ELi256Ei16rocblas_bfloat16fS0_EviiT3_lPKT2_lT1_lS4_lS5_lS1_lPT4_lS5_li ; -- Begin function _ZL32rocblas_gemvt_warp_reduce_kernelILb0ELi256Ei16rocblas_bfloat16fS0_EviiT3_lPKT2_lT1_lS4_lS5_lS1_lPT4_lS5_li
	.p2align	8
	.type	_ZL32rocblas_gemvt_warp_reduce_kernelILb0ELi256Ei16rocblas_bfloat16fS0_EviiT3_lPKT2_lT1_lS4_lS5_lS1_lPT4_lS5_li,@function
_ZL32rocblas_gemvt_warp_reduce_kernelILb0ELi256Ei16rocblas_bfloat16fS0_EviiT3_lPKT2_lT1_lS4_lS5_lS1_lPT4_lS5_li: ; @_ZL32rocblas_gemvt_warp_reduce_kernelILb0ELi256Ei16rocblas_bfloat16fS0_EviiT3_lPKT2_lT1_lS4_lS5_lS1_lPT4_lS5_li
; %bb.0:
	s_clause 0x1
	s_load_dword s13, s[4:5], 0x8
	s_load_dword s11, s[4:5], 0x58
	s_mov_b32 s10, 0
	s_waitcnt lgkmcnt(0)
	v_cmp_eq_f32_e64 s0, s13, 0
	v_cmp_eq_f32_e64 s1, s11, 1.0
	s_and_b32 s0, s0, s1
	s_and_b32 vcc_lo, exec_lo, s0
	s_cbranch_vccnz .LBB564_56
; %bb.1:
	s_clause 0x2
	s_load_dwordx2 s[8:9], s[4:5], 0x80
	s_load_dwordx4 s[0:3], s[4:5], 0x68
	s_load_dword s12, s[4:5], 0x78
	s_waitcnt lgkmcnt(0)
	s_mul_i32 s9, s9, s7
	s_mul_hi_u32 s14, s8, s7
	s_mul_i32 s8, s8, s7
	s_add_i32 s9, s14, s9
	v_cmp_neq_f32_e64 s14, s13, 0
	s_lshl_b64 s[8:9], s[8:9], 1
	s_add_u32 s8, s0, s8
	s_addc_u32 s9, s1, s9
	s_lshl_b64 s[0:1], s[2:3], 1
	s_add_u32 s8, s8, s0
	v_cmp_eq_u32_e64 s0, 0, v0
	s_addc_u32 s9, s9, s1
	s_and_b32 vcc_lo, exec_lo, s14
	s_cbranch_vccnz .LBB564_6
; %bb.2:
	s_mov_b32 s1, 0
                                        ; implicit-def: $sgpr15
                                        ; implicit-def: $sgpr2_sgpr3
	s_and_saveexec_b32 s14, s0
	s_cbranch_execz .LBB564_7
; %bb.3:
	v_cmp_eq_f32_e64 s0, s11, 0
	s_mul_i32 s2, s12, s6
	s_mov_b32 s15, 0
	s_ashr_i32 s3, s2, 31
	s_and_b32 vcc_lo, exec_lo, s0
	s_cbranch_vccnz .LBB564_12
; %bb.4:
	s_lshl_b64 s[16:17], s[2:3], 1
	v_mov_b32_e32 v1, 0
	s_add_u32 s16, s8, s16
	s_addc_u32 s17, s9, s17
	global_load_ushort v1, v1, s[16:17]
	s_waitcnt vmcnt(0)
	v_lshlrev_b32_e32 v1, 16, v1
	v_mul_f32_e32 v1, s11, v1
	v_and_b32_e32 v2, 0x7f800000, v1
	v_readfirstlane_b32 s0, v1
	v_cmp_eq_u32_e32 vcc_lo, 0x7f800000, v2
	s_cbranch_vccnz .LBB564_9
; %bb.5:
	s_bfe_u32 s10, s0, 0x10010
	s_add_i32 s10, s0, s10
	s_addk_i32 s10, 0x7fff
	s_andn2_b32 vcc_lo, exec_lo, s15
	s_cbranch_vccz .LBB564_10
	s_branch .LBB564_11
.LBB564_6:
                                        ; implicit-def: $sgpr15
                                        ; implicit-def: $sgpr2_sgpr3
	s_cbranch_execz .LBB564_8
	s_branch .LBB564_13
.LBB564_7:
	s_or_b32 exec_lo, exec_lo, s14
	s_and_b32 vcc_lo, exec_lo, s1
	s_cbranch_vccnz .LBB564_13
.LBB564_8:
	v_mov_b32_e32 v1, s15
	s_and_saveexec_b32 s0, s10
	s_cbranch_execnz .LBB564_55
	s_branch .LBB564_56
.LBB564_9:
                                        ; implicit-def: $sgpr10
.LBB564_10:
	s_and_b32 s10, s0, 0xffff
	s_or_b32 s15, s0, 0x10000
	s_cmp_eq_u32 s10, 0
	s_cselect_b32 s10, s0, s15
.LBB564_11:
	s_lshr_b32 s15, s10, 16
.LBB564_12:
	s_mov_b32 s10, exec_lo
	s_or_b32 exec_lo, exec_lo, s14
	s_and_b32 vcc_lo, exec_lo, s1
	s_cbranch_vccz .LBB564_8
.LBB564_13:
	s_clause 0x6
	s_load_dwordx2 s[20:21], s[4:5], 0x50
	s_load_dwordx4 s[16:19], s[4:5], 0x30
	s_load_dwordx2 s[22:23], s[4:5], 0x40
	s_load_dword s14, s[4:5], 0x0
	s_load_dwordx4 s[0:3], s[4:5], 0x18
	s_load_dword s15, s[4:5], 0x28
	s_load_dword s4, s[4:5], 0x48
	v_mov_b32_e32 v7, 0
	s_waitcnt lgkmcnt(0)
	s_mul_i32 s5, s21, s7
	s_mul_hi_u32 s21, s20, s7
	s_mul_i32 s20, s20, s7
	s_add_i32 s21, s21, s5
	v_cmp_gt_i32_e32 vcc_lo, s14, v0
	s_lshl_b64 s[20:21], s[20:21], 1
	s_mul_i32 s17, s17, s7
	s_add_u32 s5, s18, s20
	s_addc_u32 s20, s19, s21
	s_lshl_b64 s[18:19], s[22:23], 1
	s_mul_hi_u32 s24, s16, s7
	s_add_u32 s5, s5, s18
	v_cndmask_b32_e32 v1, 0, v0, vcc_lo
	s_mul_i32 s16, s16, s7
	s_addc_u32 s7, s20, s19
	s_add_i32 s17, s24, s17
	s_mul_i32 s18, s15, s6
	s_lshl_b64 s[16:17], s[16:17], 1
	v_lshlrev_b32_e32 v1, 1, v1
	s_add_u32 s15, s0, s16
	s_addc_u32 s16, s1, s17
	s_lshl_b64 s[0:1], s[2:3], 1
	s_mov_b32 s3, 0
	s_add_u32 s0, s15, s0
	s_addc_u32 s1, s16, s1
	v_add_co_u32 v1, s0, s0, v1
	s_ashr_i32 s19, s18, 31
	v_add_co_ci_u32_e64 v2, null, s1, 0, s0
	s_lshl_b64 s[0:1], s[18:19], 1
	s_ashr_i32 s2, s14, 31
	v_add_co_u32 v1, vcc_lo, v1, s0
	s_lshr_b32 s2, s2, 24
	v_add_co_ci_u32_e64 v2, null, s1, v2, vcc_lo
	s_add_i32 s2, s14, s2
	s_mov_b32 s1, exec_lo
	s_and_b32 s2, s2, 0xffffff00
	v_cmpx_gt_i32_e64 s2, v0
	s_cbranch_execz .LBB564_21
; %bb.14:
	v_mul_lo_u32 v3, v0, s4
	v_mov_b32_e32 v6, v2
	v_mov_b32_e32 v8, 0
	;; [unrolled: 1-line block ×5, first 2 shown]
	s_lshl_b32 s15, s4, 8
	s_branch .LBB564_16
.LBB564_15:                             ;   in Loop: Header=BB564_16 Depth=1
	s_or_b32 exec_lo, exec_lo, s0
	v_add_nc_u32_e32 v9, 0x100, v9
	v_and_b32_e32 v4, 0xffff0000, v10
	v_add_co_u32 v5, s0, 0x200, v5
	v_add_co_ci_u32_e64 v6, null, 0, v6, s0
	v_cmp_le_i32_e32 vcc_lo, s2, v9
	v_add_f32_e32 v7, v7, v4
	v_add_nc_u32_e32 v3, s15, v3
	s_or_b32 s3, vcc_lo, s3
	s_andn2_b32 exec_lo, exec_lo, s3
	s_cbranch_execz .LBB564_20
.LBB564_16:                             ; =>This Inner Loop Header: Depth=1
	v_ashrrev_i32_e32 v4, 31, v3
	v_lshlrev_b64 v[10:11], 1, v[3:4]
	v_add_co_u32 v10, vcc_lo, s5, v10
	v_add_co_ci_u32_e64 v11, null, s7, v11, vcc_lo
	global_load_ushort v4, v[5:6], off
	global_load_ushort v10, v[10:11], off
	s_waitcnt vmcnt(1)
	v_lshlrev_b32_e32 v4, 16, v4
	s_waitcnt vmcnt(0)
	v_lshlrev_b32_e32 v10, 16, v10
	v_mul_f32_e32 v4, v4, v10
	v_and_b32_e32 v10, 0x7f800000, v4
	v_cmp_ne_u32_e32 vcc_lo, 0x7f800000, v10
                                        ; implicit-def: $vgpr10
	s_and_saveexec_b32 s0, vcc_lo
	s_xor_b32 s0, exec_lo, s0
; %bb.17:                               ;   in Loop: Header=BB564_16 Depth=1
	v_bfe_u32 v10, v4, 16, 1
	v_add3_u32 v10, v4, v10, 0x7fff
                                        ; implicit-def: $vgpr4
; %bb.18:                               ;   in Loop: Header=BB564_16 Depth=1
	s_andn2_saveexec_b32 s0, s0
	s_cbranch_execz .LBB564_15
; %bb.19:                               ;   in Loop: Header=BB564_16 Depth=1
	v_or_b32_e32 v10, 0x10000, v4
	v_cmp_eq_u32_sdwa vcc_lo, v4, v8 src0_sel:WORD_0 src1_sel:DWORD
	v_cndmask_b32_e32 v10, v10, v4, vcc_lo
	s_branch .LBB564_15
.LBB564_20:
	s_or_b32 exec_lo, exec_lo, s3
.LBB564_21:
	s_or_b32 exec_lo, exec_lo, s1
	v_add_nc_u32_e32 v3, s2, v0
	s_mov_b32 s0, exec_lo
	v_cmpx_gt_i32_e64 s14, v3
	s_cbranch_execz .LBB564_27
; %bb.22:
	v_mul_lo_u32 v3, s4, v3
	s_ashr_i32 s3, s2, 31
	s_lshl_b64 s[2:3], s[2:3], 1
	v_ashrrev_i32_e32 v4, 31, v3
	v_lshlrev_b64 v[3:4], 1, v[3:4]
	v_add_co_u32 v3, vcc_lo, s5, v3
	v_add_co_ci_u32_e64 v4, null, s7, v4, vcc_lo
	v_add_co_u32 v1, vcc_lo, v1, s2
	v_add_co_ci_u32_e64 v2, null, s3, v2, vcc_lo
	global_load_ushort v3, v[3:4], off
	global_load_ushort v1, v[1:2], off
	s_waitcnt vmcnt(1)
	v_lshlrev_b32_e32 v2, 16, v3
	s_waitcnt vmcnt(0)
	v_lshlrev_b32_e32 v1, 16, v1
	v_mul_f32_e32 v1, v1, v2
	v_and_b32_e32 v2, 0x7f800000, v1
	v_cmp_ne_u32_e32 vcc_lo, 0x7f800000, v2
                                        ; implicit-def: $vgpr2
	s_and_saveexec_b32 s1, vcc_lo
	s_xor_b32 s1, exec_lo, s1
; %bb.23:
	v_bfe_u32 v2, v1, 16, 1
	v_add3_u32 v2, v1, v2, 0x7fff
                                        ; implicit-def: $vgpr1
; %bb.24:
	s_andn2_saveexec_b32 s1, s1
; %bb.25:
	v_mov_b32_e32 v2, 0
	v_or_b32_e32 v3, 0x10000, v1
	v_cmp_eq_u32_sdwa vcc_lo, v1, v2 src0_sel:WORD_0 src1_sel:DWORD
	v_cndmask_b32_e32 v2, v3, v1, vcc_lo
; %bb.26:
	s_or_b32 exec_lo, exec_lo, s1
	v_and_b32_e32 v1, 0xffff0000, v2
	v_add_f32_e32 v7, v7, v1
.LBB564_27:
	s_or_b32 exec_lo, exec_lo, s0
	v_and_b32_e32 v5, 31, v0
	v_cmp_gt_u32_e32 vcc_lo, 32, v0
	v_lshlrev_b32_e32 v1, 2, v5
	s_and_saveexec_b32 s0, vcc_lo
; %bb.28:
	v_mov_b32_e32 v2, 0
	ds_write_b32 v1, v2
; %bb.29:
	s_or_b32 exec_lo, exec_lo, s0
	v_mbcnt_lo_u32_b32 v4, -1, 0
	s_mov_b32 s1, exec_lo
	s_waitcnt lgkmcnt(0)
	s_barrier
	buffer_gl0_inv
	v_lshl_or_b32 v2, v4, 2, 64
	v_cmp_gt_u32_e64 s0, 24, v4
	ds_bpermute_b32 v2, v2, v7
	v_cndmask_b32_e64 v3, 0, 8, s0
	v_cmp_gt_u32_e64 s0, 28, v4
	v_add_lshl_u32 v3, v3, v4, 2
	s_waitcnt lgkmcnt(0)
	v_add_f32_e32 v6, v7, v2
	v_cndmask_b32_e64 v2, 0, 4, s0
	v_cmp_gt_u32_e64 s0, 30, v4
	ds_bpermute_b32 v3, v3, v6
	v_add_lshl_u32 v2, v2, v4, 2
	s_waitcnt lgkmcnt(0)
	v_add_f32_e32 v6, v6, v3
	v_cndmask_b32_e64 v3, 0, 2, s0
	v_cmp_ne_u32_e64 s0, 31, v4
	ds_bpermute_b32 v7, v2, v6
	v_add_lshl_u32 v3, v3, v4, 2
	v_add_co_ci_u32_e64 v4, null, 0, v4, s0
	v_lshlrev_b32_e32 v4, 2, v4
	s_waitcnt lgkmcnt(0)
	v_add_f32_e32 v6, v6, v7
	ds_bpermute_b32 v7, v3, v6
	s_waitcnt lgkmcnt(0)
	v_add_f32_e32 v6, v6, v7
	ds_bpermute_b32 v7, v4, v6
	v_cmpx_eq_u32_e32 0, v5
	s_cbranch_execz .LBB564_31
; %bb.30:
	v_lshrrev_b32_e32 v5, 3, v0
	s_waitcnt lgkmcnt(0)
	v_add_f32_e32 v6, v6, v7
	v_and_b32_e32 v5, 28, v5
	ds_write_b32 v5, v6
.LBB564_31:
	s_or_b32 exec_lo, exec_lo, s1
	v_mov_b32_e32 v5, 0
	s_mov_b32 s1, exec_lo
	s_waitcnt lgkmcnt(0)
	s_barrier
	buffer_gl0_inv
	v_cmpx_gt_u32_e32 8, v0
; %bb.32:
	ds_read_b32 v5, v1
; %bb.33:
	s_or_b32 exec_lo, exec_lo, s1
	s_and_saveexec_b32 s0, vcc_lo
	s_cbranch_execz .LBB564_35
; %bb.34:
	s_waitcnt lgkmcnt(0)
	ds_bpermute_b32 v1, v2, v5
	s_waitcnt lgkmcnt(0)
	v_add_f32_e32 v1, v5, v1
	ds_bpermute_b32 v2, v3, v1
	s_waitcnt lgkmcnt(0)
	v_add_f32_e32 v1, v1, v2
	ds_bpermute_b32 v2, v4, v1
	s_waitcnt lgkmcnt(0)
	v_add_f32_e32 v5, v1, v2
.LBB564_35:
	s_or_b32 exec_lo, exec_lo, s0
	s_mov_b32 s0, exec_lo
                                        ; implicit-def: $vgpr1
                                        ; implicit-def: $sgpr2_sgpr3
	v_cmpx_eq_u32_e32 0, v0
	s_cbranch_execz .LBB564_54
; %bb.36:
	v_cmp_eq_f32_e64 s1, s11, 0
	s_waitcnt lgkmcnt(0)
	v_mul_f32_e32 v0, s13, v5
	s_and_b32 vcc_lo, exec_lo, s1
	s_cbranch_vccz .LBB564_42
; %bb.37:
	v_and_b32_e32 v1, 0x7f800000, v0
	v_cmp_ne_u32_e32 vcc_lo, 0x7f800000, v1
                                        ; implicit-def: $vgpr1
	s_and_saveexec_b32 s1, vcc_lo
	s_xor_b32 s1, exec_lo, s1
; %bb.38:
	v_bfe_u32 v1, v0, 16, 1
	v_add3_u32 v1, v0, v1, 0x7fff
; %bb.39:
	s_andn2_saveexec_b32 s1, s1
; %bb.40:
	v_mov_b32_e32 v1, 0
	v_or_b32_e32 v2, 0x10000, v0
	v_cmp_eq_u32_sdwa vcc_lo, v0, v1 src0_sel:WORD_0 src1_sel:DWORD
	v_cndmask_b32_e32 v1, v2, v0, vcc_lo
; %bb.41:
	s_or_b32 exec_lo, exec_lo, s1
	s_mul_i32 s2, s12, s6
	s_cbranch_execz .LBB564_43
	s_branch .LBB564_53
.LBB564_42:
                                        ; implicit-def: $vgpr1
	s_mul_i32 s2, s12, s6
.LBB564_43:
	s_ashr_i32 s3, s2, 31
	v_mov_b32_e32 v1, 0
	s_lshl_b64 s[4:5], s[2:3], 1
	s_add_u32 s4, s8, s4
	s_addc_u32 s5, s9, s5
	global_load_ushort v1, v1, s[4:5]
	s_waitcnt vmcnt(0)
	v_lshlrev_b32_e32 v1, 16, v1
	v_mul_f32_e32 v1, s11, v1
	v_and_b32_e32 v2, 0x7f800000, v1
	v_readfirstlane_b32 s1, v1
	v_cmp_eq_u32_e32 vcc_lo, 0x7f800000, v2
	s_cbranch_vccnz .LBB564_45
; %bb.44:
	s_bfe_u32 s3, s1, 0x10010
	s_mov_b32 s4, 0
	s_add_i32 s3, s1, s3
	s_addk_i32 s3, 0x7fff
	s_branch .LBB564_46
.LBB564_45:
	s_mov_b32 s4, -1
                                        ; implicit-def: $sgpr3
.LBB564_46:
	s_andn2_b32 vcc_lo, exec_lo, s4
	s_cbranch_vccnz .LBB564_48
; %bb.47:
	s_and_b32 s3, s1, 0xffff
	s_or_b32 s4, s1, 0x10000
	s_cmp_eq_u32 s3, 0
	s_cselect_b32 s3, s1, s4
.LBB564_48:
	s_and_b32 s1, s3, 0xffff0000
	v_add_f32_e32 v0, s1, v0
	v_and_b32_e32 v1, 0x7f800000, v0
	v_cmp_ne_u32_e32 vcc_lo, 0x7f800000, v1
                                        ; implicit-def: $vgpr1
	s_and_saveexec_b32 s1, vcc_lo
	s_xor_b32 s1, exec_lo, s1
; %bb.49:
	v_bfe_u32 v1, v0, 16, 1
	v_add3_u32 v1, v0, v1, 0x7fff
                                        ; implicit-def: $vgpr0
; %bb.50:
	s_andn2_saveexec_b32 s1, s1
; %bb.51:
	v_mov_b32_e32 v1, 0
	v_or_b32_e32 v2, 0x10000, v0
	v_cmp_eq_u32_sdwa vcc_lo, v0, v1 src0_sel:WORD_0 src1_sel:DWORD
	v_cndmask_b32_e32 v1, v2, v0, vcc_lo
; %bb.52:
	s_or_b32 exec_lo, exec_lo, s1
.LBB564_53:
	v_lshrrev_b32_e32 v1, 16, v1
	s_ashr_i32 s3, s2, 31
	s_or_b32 s10, s10, exec_lo
.LBB564_54:
	s_or_b32 exec_lo, exec_lo, s0
	s_and_saveexec_b32 s0, s10
	s_cbranch_execz .LBB564_56
.LBB564_55:
	s_lshl_b64 s[0:1], s[2:3], 1
	v_mov_b32_e32 v0, 0
	s_add_u32 s0, s8, s0
	s_addc_u32 s1, s9, s1
	global_store_short v0, v1, s[0:1]
.LBB564_56:
	s_endpgm
	.section	.rodata,"a",@progbits
	.p2align	6, 0x0
	.amdhsa_kernel _ZL32rocblas_gemvt_warp_reduce_kernelILb0ELi256Ei16rocblas_bfloat16fS0_EviiT3_lPKT2_lT1_lS4_lS5_lS1_lPT4_lS5_li
		.amdhsa_group_segment_fixed_size 128
		.amdhsa_private_segment_fixed_size 0
		.amdhsa_kernarg_size 140
		.amdhsa_user_sgpr_count 6
		.amdhsa_user_sgpr_private_segment_buffer 1
		.amdhsa_user_sgpr_dispatch_ptr 0
		.amdhsa_user_sgpr_queue_ptr 0
		.amdhsa_user_sgpr_kernarg_segment_ptr 1
		.amdhsa_user_sgpr_dispatch_id 0
		.amdhsa_user_sgpr_flat_scratch_init 0
		.amdhsa_user_sgpr_private_segment_size 0
		.amdhsa_wavefront_size32 1
		.amdhsa_uses_dynamic_stack 0
		.amdhsa_system_sgpr_private_segment_wavefront_offset 0
		.amdhsa_system_sgpr_workgroup_id_x 1
		.amdhsa_system_sgpr_workgroup_id_y 0
		.amdhsa_system_sgpr_workgroup_id_z 1
		.amdhsa_system_sgpr_workgroup_info 0
		.amdhsa_system_vgpr_workitem_id 0
		.amdhsa_next_free_vgpr 12
		.amdhsa_next_free_sgpr 25
		.amdhsa_reserve_vcc 1
		.amdhsa_reserve_flat_scratch 0
		.amdhsa_float_round_mode_32 0
		.amdhsa_float_round_mode_16_64 0
		.amdhsa_float_denorm_mode_32 3
		.amdhsa_float_denorm_mode_16_64 3
		.amdhsa_dx10_clamp 1
		.amdhsa_ieee_mode 1
		.amdhsa_fp16_overflow 0
		.amdhsa_workgroup_processor_mode 1
		.amdhsa_memory_ordered 1
		.amdhsa_forward_progress 1
		.amdhsa_shared_vgpr_count 0
		.amdhsa_exception_fp_ieee_invalid_op 0
		.amdhsa_exception_fp_denorm_src 0
		.amdhsa_exception_fp_ieee_div_zero 0
		.amdhsa_exception_fp_ieee_overflow 0
		.amdhsa_exception_fp_ieee_underflow 0
		.amdhsa_exception_fp_ieee_inexact 0
		.amdhsa_exception_int_div_zero 0
	.end_amdhsa_kernel
	.section	.text._ZL32rocblas_gemvt_warp_reduce_kernelILb0ELi256Ei16rocblas_bfloat16fS0_EviiT3_lPKT2_lT1_lS4_lS5_lS1_lPT4_lS5_li,"axG",@progbits,_ZL32rocblas_gemvt_warp_reduce_kernelILb0ELi256Ei16rocblas_bfloat16fS0_EviiT3_lPKT2_lT1_lS4_lS5_lS1_lPT4_lS5_li,comdat
.Lfunc_end564:
	.size	_ZL32rocblas_gemvt_warp_reduce_kernelILb0ELi256Ei16rocblas_bfloat16fS0_EviiT3_lPKT2_lT1_lS4_lS5_lS1_lPT4_lS5_li, .Lfunc_end564-_ZL32rocblas_gemvt_warp_reduce_kernelILb0ELi256Ei16rocblas_bfloat16fS0_EviiT3_lPKT2_lT1_lS4_lS5_lS1_lPT4_lS5_li
                                        ; -- End function
	.set _ZL32rocblas_gemvt_warp_reduce_kernelILb0ELi256Ei16rocblas_bfloat16fS0_EviiT3_lPKT2_lT1_lS4_lS5_lS1_lPT4_lS5_li.num_vgpr, 12
	.set _ZL32rocblas_gemvt_warp_reduce_kernelILb0ELi256Ei16rocblas_bfloat16fS0_EviiT3_lPKT2_lT1_lS4_lS5_lS1_lPT4_lS5_li.num_agpr, 0
	.set _ZL32rocblas_gemvt_warp_reduce_kernelILb0ELi256Ei16rocblas_bfloat16fS0_EviiT3_lPKT2_lT1_lS4_lS5_lS1_lPT4_lS5_li.numbered_sgpr, 25
	.set _ZL32rocblas_gemvt_warp_reduce_kernelILb0ELi256Ei16rocblas_bfloat16fS0_EviiT3_lPKT2_lT1_lS4_lS5_lS1_lPT4_lS5_li.num_named_barrier, 0
	.set _ZL32rocblas_gemvt_warp_reduce_kernelILb0ELi256Ei16rocblas_bfloat16fS0_EviiT3_lPKT2_lT1_lS4_lS5_lS1_lPT4_lS5_li.private_seg_size, 0
	.set _ZL32rocblas_gemvt_warp_reduce_kernelILb0ELi256Ei16rocblas_bfloat16fS0_EviiT3_lPKT2_lT1_lS4_lS5_lS1_lPT4_lS5_li.uses_vcc, 1
	.set _ZL32rocblas_gemvt_warp_reduce_kernelILb0ELi256Ei16rocblas_bfloat16fS0_EviiT3_lPKT2_lT1_lS4_lS5_lS1_lPT4_lS5_li.uses_flat_scratch, 0
	.set _ZL32rocblas_gemvt_warp_reduce_kernelILb0ELi256Ei16rocblas_bfloat16fS0_EviiT3_lPKT2_lT1_lS4_lS5_lS1_lPT4_lS5_li.has_dyn_sized_stack, 0
	.set _ZL32rocblas_gemvt_warp_reduce_kernelILb0ELi256Ei16rocblas_bfloat16fS0_EviiT3_lPKT2_lT1_lS4_lS5_lS1_lPT4_lS5_li.has_recursion, 0
	.set _ZL32rocblas_gemvt_warp_reduce_kernelILb0ELi256Ei16rocblas_bfloat16fS0_EviiT3_lPKT2_lT1_lS4_lS5_lS1_lPT4_lS5_li.has_indirect_call, 0
	.section	.AMDGPU.csdata,"",@progbits
; Kernel info:
; codeLenInByte = 1824
; TotalNumSgprs: 27
; NumVgprs: 12
; ScratchSize: 0
; MemoryBound: 0
; FloatMode: 240
; IeeeMode: 1
; LDSByteSize: 128 bytes/workgroup (compile time only)
; SGPRBlocks: 0
; VGPRBlocks: 1
; NumSGPRsForWavesPerEU: 27
; NumVGPRsForWavesPerEU: 12
; Occupancy: 16
; WaveLimiterHint : 1
; COMPUTE_PGM_RSRC2:SCRATCH_EN: 0
; COMPUTE_PGM_RSRC2:USER_SGPR: 6
; COMPUTE_PGM_RSRC2:TRAP_HANDLER: 0
; COMPUTE_PGM_RSRC2:TGID_X_EN: 1
; COMPUTE_PGM_RSRC2:TGID_Y_EN: 0
; COMPUTE_PGM_RSRC2:TGID_Z_EN: 1
; COMPUTE_PGM_RSRC2:TIDIG_COMP_CNT: 0
	.section	.text._ZL32rocblas_gemvt_warp_reduce_kernelILb0ELi256El16rocblas_bfloat16fS0_EviiT3_lPKT2_lT1_lS4_lS5_lS1_lPT4_lS5_li,"axG",@progbits,_ZL32rocblas_gemvt_warp_reduce_kernelILb0ELi256El16rocblas_bfloat16fS0_EviiT3_lPKT2_lT1_lS4_lS5_lS1_lPT4_lS5_li,comdat
	.globl	_ZL32rocblas_gemvt_warp_reduce_kernelILb0ELi256El16rocblas_bfloat16fS0_EviiT3_lPKT2_lT1_lS4_lS5_lS1_lPT4_lS5_li ; -- Begin function _ZL32rocblas_gemvt_warp_reduce_kernelILb0ELi256El16rocblas_bfloat16fS0_EviiT3_lPKT2_lT1_lS4_lS5_lS1_lPT4_lS5_li
	.p2align	8
	.type	_ZL32rocblas_gemvt_warp_reduce_kernelILb0ELi256El16rocblas_bfloat16fS0_EviiT3_lPKT2_lT1_lS4_lS5_lS1_lPT4_lS5_li,@function
_ZL32rocblas_gemvt_warp_reduce_kernelILb0ELi256El16rocblas_bfloat16fS0_EviiT3_lPKT2_lT1_lS4_lS5_lS1_lPT4_lS5_li: ; @_ZL32rocblas_gemvt_warp_reduce_kernelILb0ELi256El16rocblas_bfloat16fS0_EviiT3_lPKT2_lT1_lS4_lS5_lS1_lPT4_lS5_li
; %bb.0:
	s_clause 0x1
	s_load_dword s30, s[4:5], 0x8
	s_load_dword s29, s[4:5], 0x58
	s_mov_b32 s28, 0
	s_waitcnt lgkmcnt(0)
	v_cmp_eq_f32_e64 s0, s30, 0
	v_cmp_eq_f32_e64 s1, s29, 1.0
	s_and_b32 s0, s0, s1
	s_and_b32 vcc_lo, exec_lo, s0
	s_cbranch_vccnz .LBB565_57
; %bb.1:
	s_load_dwordx8 s[20:27], s[4:5], 0x68
	v_cmp_neq_f32_e64 s8, s30, 0
	s_waitcnt lgkmcnt(0)
	s_mul_i32 s1, s27, s7
	s_mul_hi_u32 s2, s26, s7
	s_mul_i32 s0, s26, s7
	s_add_i32 s1, s2, s1
	s_lshl_b64 s[0:1], s[0:1], 1
	s_add_u32 s0, s20, s0
	s_addc_u32 s9, s21, s1
	s_lshl_b64 s[2:3], s[22:23], 1
	s_add_u32 s1, s0, s2
	v_cmp_eq_u32_e64 s0, 0, v0
	s_addc_u32 s26, s9, s3
	s_and_b32 vcc_lo, exec_lo, s8
	s_cbranch_vccnz .LBB565_6
; %bb.2:
	s_mov_b32 s8, 0
                                        ; implicit-def: $sgpr10
                                        ; implicit-def: $sgpr2_sgpr3
	s_and_saveexec_b32 s9, s0
	s_cbranch_execz .LBB565_7
; %bb.3:
	s_ashr_i32 s0, s6, 31
	v_cmp_eq_f32_e64 s11, s29, 0
	s_mul_hi_u32 s2, s24, s6
	s_mul_i32 s0, s24, s0
	s_mov_b32 s10, 0
	s_add_i32 s0, s2, s0
	s_mul_i32 s2, s25, s6
	s_and_b32 vcc_lo, exec_lo, s11
	s_add_i32 s3, s0, s2
	s_mul_i32 s2, s24, s6
	s_cbranch_vccnz .LBB565_12
; %bb.4:
	s_lshl_b64 s[10:11], s[2:3], 1
	v_mov_b32_e32 v1, 0
	s_add_u32 s10, s1, s10
	s_addc_u32 s11, s26, s11
	global_load_ushort v1, v1, s[10:11]
	s_waitcnt vmcnt(0)
	v_lshlrev_b32_e32 v1, 16, v1
	v_mul_f32_e32 v1, s29, v1
	v_and_b32_e32 v2, 0x7f800000, v1
	v_readfirstlane_b32 s0, v1
	v_cmp_eq_u32_e32 vcc_lo, 0x7f800000, v2
	s_cbranch_vccnz .LBB565_9
; %bb.5:
	s_bfe_u32 s10, s0, 0x10010
	s_add_i32 s10, s0, s10
	s_addk_i32 s10, 0x7fff
	s_cbranch_execz .LBB565_10
	s_branch .LBB565_11
.LBB565_6:
                                        ; implicit-def: $sgpr10
                                        ; implicit-def: $sgpr2_sgpr3
	s_cbranch_execz .LBB565_8
	s_branch .LBB565_13
.LBB565_7:
	s_or_b32 exec_lo, exec_lo, s9
	s_and_b32 vcc_lo, exec_lo, s8
	s_cbranch_vccnz .LBB565_13
.LBB565_8:
	v_mov_b32_e32 v1, s10
	s_and_saveexec_b32 s0, s28
	s_cbranch_execnz .LBB565_56
	s_branch .LBB565_57
.LBB565_9:
                                        ; implicit-def: $sgpr10
.LBB565_10:
	s_and_b32 s10, s0, 0xffff
	s_or_b32 s11, s0, 0x10000
	s_cmp_eq_u32 s10, 0
	s_cselect_b32 s10, s0, s11
.LBB565_11:
	s_lshr_b32 s10, s10, 16
.LBB565_12:
	s_mov_b32 s28, exec_lo
	s_or_b32 exec_lo, exec_lo, s9
	s_and_b32 vcc_lo, exec_lo, s8
	s_cbranch_vccz .LBB565_8
.LBB565_13:
	s_clause 0x1
	s_load_dwordx16 s[8:23], s[4:5], 0x18
	s_load_dword s5, s[4:5], 0x0
	v_mov_b32_e32 v7, 0
	s_waitcnt lgkmcnt(0)
	s_mul_i32 s3, s15, s7
	v_cmp_gt_i32_e32 vcc_lo, s5, v0
	s_mul_hi_u32 s15, s14, s7
	s_mul_i32 s2, s14, s7
	s_add_i32 s3, s15, s3
	s_mul_i32 s0, s23, s7
	v_cndmask_b32_e32 v1, 0, v0, vcc_lo
	s_mul_hi_u32 s4, s22, s7
	s_lshl_b64 s[34:35], s[2:3], 1
	s_add_i32 s3, s4, s0
	s_add_u32 s0, s8, s34
	v_lshlrev_b32_e32 v1, 1, v1
	s_addc_u32 s2, s9, s35
	s_lshl_b64 s[8:9], s[10:11], 1
	s_mul_hi_u32 s23, s12, s6
	s_add_u32 s0, s0, s8
	s_addc_u32 s2, s2, s9
	s_ashr_i32 s10, s6, 31
	v_add_co_u32 v1, s0, s0, v1
	v_add_co_ci_u32_e64 v2, null, s2, 0, s0
	s_mul_i32 s0, s12, s10
	s_mul_i32 s13, s13, s6
	s_add_i32 s0, s23, s0
	s_mul_i32 s14, s12, s6
	s_add_i32 s15, s0, s13
	s_ashr_i32 s4, s5, 31
	s_lshl_b64 s[8:9], s[14:15], 1
	s_lshr_b32 s2, s4, 24
	v_add_co_u32 v1, vcc_lo, v1, s8
	v_add_co_ci_u32_e64 v2, null, s9, v2, vcc_lo
	s_add_i32 s2, s5, s2
	s_mov_b32 s11, 0
	s_and_b32 s4, s2, 0xffffff00
	s_mul_i32 s2, s22, s7
	s_mov_b32 s7, exec_lo
	v_cmpx_gt_i32_e64 s4, v0
	s_cbranch_execz .LBB565_21
; %bb.14:
	v_mad_u64_u32 v[5:6], null, s20, v0, 0
	s_lshl_b64 s[12:13], s[18:19], 1
	s_lshl_b64 s[8:9], s[2:3], 1
	s_add_u32 s0, s16, s12
	s_addc_u32 s12, s17, s13
	s_add_u32 s0, s0, s8
	s_addc_u32 s8, s12, s9
	v_mov_b32_e32 v3, v6
	v_mov_b32_e32 v8, 0
	;; [unrolled: 1-line block ×4, first 2 shown]
	v_mad_u64_u32 v[3:4], null, s21, v0, v[3:4]
	v_mov_b32_e32 v6, v3
	v_mov_b32_e32 v4, v2
	;; [unrolled: 1-line block ×3, first 2 shown]
	v_lshlrev_b64 v[5:6], 1, v[5:6]
	v_add_co_u32 v5, vcc_lo, s0, v5
	v_add_co_ci_u32_e64 v6, null, s8, v6, vcc_lo
	s_lshl_b64 s[8:9], s[20:21], 9
	s_inst_prefetch 0x1
	s_branch .LBB565_16
	.p2align	6
.LBB565_15:                             ;   in Loop: Header=BB565_16 Depth=1
	s_or_b32 exec_lo, exec_lo, s0
	v_add_nc_u32_e32 v9, 0x100, v9
	v_and_b32_e32 v10, 0xffff0000, v11
	v_add_co_u32 v3, vcc_lo, 0x200, v3
	v_add_co_ci_u32_e64 v4, null, 0, v4, vcc_lo
	v_cmp_le_i32_e32 vcc_lo, s4, v9
	v_add_co_u32 v5, s0, v5, s8
	v_add_f32_e32 v7, v7, v10
	v_add_co_ci_u32_e64 v6, null, s9, v6, s0
	s_or_b32 s11, vcc_lo, s11
	s_andn2_b32 exec_lo, exec_lo, s11
	s_cbranch_execz .LBB565_20
.LBB565_16:                             ; =>This Inner Loop Header: Depth=1
	global_load_ushort v10, v[5:6], off
	global_load_ushort v11, v[3:4], off
	s_waitcnt vmcnt(1)
	v_lshlrev_b32_e32 v10, 16, v10
	s_waitcnt vmcnt(0)
	v_lshlrev_b32_e32 v11, 16, v11
	v_mul_f32_e32 v10, v11, v10
	v_and_b32_e32 v11, 0x7f800000, v10
	v_cmp_ne_u32_e32 vcc_lo, 0x7f800000, v11
                                        ; implicit-def: $vgpr11
	s_and_saveexec_b32 s0, vcc_lo
	s_xor_b32 s0, exec_lo, s0
; %bb.17:                               ;   in Loop: Header=BB565_16 Depth=1
	v_bfe_u32 v11, v10, 16, 1
	v_add3_u32 v11, v10, v11, 0x7fff
                                        ; implicit-def: $vgpr10
; %bb.18:                               ;   in Loop: Header=BB565_16 Depth=1
	s_andn2_saveexec_b32 s0, s0
	s_cbranch_execz .LBB565_15
; %bb.19:                               ;   in Loop: Header=BB565_16 Depth=1
	v_or_b32_e32 v11, 0x10000, v10
	v_cmp_eq_u32_sdwa vcc_lo, v10, v8 src0_sel:WORD_0 src1_sel:DWORD
	v_cndmask_b32_e32 v11, v11, v10, vcc_lo
	s_branch .LBB565_15
.LBB565_20:
	s_inst_prefetch 0x2
	s_or_b32 exec_lo, exec_lo, s11
.LBB565_21:
	s_or_b32 exec_lo, exec_lo, s7
	v_add_nc_u32_e32 v3, s4, v0
	s_mov_b32 s0, exec_lo
	v_cmpx_gt_i32_e64 s5, v3
	s_cbranch_execz .LBB565_27
; %bb.22:
	v_ashrrev_i32_e32 v5, 31, v3
	v_mul_lo_u32 v6, s21, v3
	v_mad_u64_u32 v[3:4], null, s20, v3, 0
	s_lshl_b64 s[2:3], s[2:3], 1
	v_mul_lo_u32 v5, s20, v5
	s_add_u32 s5, s16, s2
	s_addc_u32 s7, s17, s3
	s_lshl_b64 s[2:3], s[18:19], 1
	s_add_u32 s8, s5, s2
	s_addc_u32 s7, s7, s3
	s_ashr_i32 s5, s4, 31
	v_add3_u32 v4, v4, v5, v6
	s_lshl_b64 s[2:3], s[4:5], 1
	v_lshlrev_b64 v[3:4], 1, v[3:4]
	v_add_co_u32 v3, vcc_lo, s8, v3
	v_add_co_ci_u32_e64 v4, null, s7, v4, vcc_lo
	v_add_co_u32 v1, vcc_lo, v1, s2
	v_add_co_ci_u32_e64 v2, null, s3, v2, vcc_lo
	global_load_ushort v3, v[3:4], off
	global_load_ushort v1, v[1:2], off
	s_waitcnt vmcnt(1)
	v_lshlrev_b32_e32 v2, 16, v3
	s_waitcnt vmcnt(0)
	v_lshlrev_b32_e32 v1, 16, v1
	v_mul_f32_e32 v1, v1, v2
	v_and_b32_e32 v2, 0x7f800000, v1
	v_cmp_ne_u32_e32 vcc_lo, 0x7f800000, v2
                                        ; implicit-def: $vgpr2
	s_and_saveexec_b32 s2, vcc_lo
	s_xor_b32 s2, exec_lo, s2
; %bb.23:
	v_bfe_u32 v2, v1, 16, 1
	v_add3_u32 v2, v1, v2, 0x7fff
                                        ; implicit-def: $vgpr1
; %bb.24:
	s_andn2_saveexec_b32 s2, s2
; %bb.25:
	v_mov_b32_e32 v2, 0
	v_or_b32_e32 v3, 0x10000, v1
	v_cmp_eq_u32_sdwa vcc_lo, v1, v2 src0_sel:WORD_0 src1_sel:DWORD
	v_cndmask_b32_e32 v2, v3, v1, vcc_lo
; %bb.26:
	s_or_b32 exec_lo, exec_lo, s2
	v_and_b32_e32 v1, 0xffff0000, v2
	v_add_f32_e32 v7, v7, v1
.LBB565_27:
	s_or_b32 exec_lo, exec_lo, s0
	v_and_b32_e32 v5, 31, v0
	v_cmp_gt_u32_e32 vcc_lo, 32, v0
	v_lshlrev_b32_e32 v1, 2, v5
	s_and_saveexec_b32 s0, vcc_lo
; %bb.28:
	v_mov_b32_e32 v2, 0
	ds_write_b32 v1, v2
; %bb.29:
	s_or_b32 exec_lo, exec_lo, s0
	v_mbcnt_lo_u32_b32 v4, -1, 0
	s_mov_b32 s2, exec_lo
	s_waitcnt lgkmcnt(0)
	s_barrier
	buffer_gl0_inv
	v_lshl_or_b32 v2, v4, 2, 64
	v_cmp_gt_u32_e64 s0, 24, v4
	ds_bpermute_b32 v2, v2, v7
	v_cndmask_b32_e64 v3, 0, 8, s0
	v_cmp_gt_u32_e64 s0, 28, v4
	v_add_lshl_u32 v3, v3, v4, 2
	s_waitcnt lgkmcnt(0)
	v_add_f32_e32 v6, v7, v2
	v_cndmask_b32_e64 v2, 0, 4, s0
	v_cmp_gt_u32_e64 s0, 30, v4
	ds_bpermute_b32 v3, v3, v6
	v_add_lshl_u32 v2, v2, v4, 2
	s_waitcnt lgkmcnt(0)
	v_add_f32_e32 v6, v6, v3
	v_cndmask_b32_e64 v3, 0, 2, s0
	v_cmp_ne_u32_e64 s0, 31, v4
	ds_bpermute_b32 v7, v2, v6
	v_add_lshl_u32 v3, v3, v4, 2
	v_add_co_ci_u32_e64 v4, null, 0, v4, s0
	v_lshlrev_b32_e32 v4, 2, v4
	s_waitcnt lgkmcnt(0)
	v_add_f32_e32 v6, v6, v7
	ds_bpermute_b32 v7, v3, v6
	s_waitcnt lgkmcnt(0)
	v_add_f32_e32 v6, v6, v7
	ds_bpermute_b32 v7, v4, v6
	v_cmpx_eq_u32_e32 0, v5
	s_cbranch_execz .LBB565_31
; %bb.30:
	v_lshrrev_b32_e32 v5, 3, v0
	s_waitcnt lgkmcnt(0)
	v_add_f32_e32 v6, v6, v7
	v_and_b32_e32 v5, 28, v5
	ds_write_b32 v5, v6
.LBB565_31:
	s_or_b32 exec_lo, exec_lo, s2
	v_mov_b32_e32 v5, 0
	s_mov_b32 s2, exec_lo
	s_waitcnt lgkmcnt(0)
	s_barrier
	buffer_gl0_inv
	v_cmpx_gt_u32_e32 8, v0
; %bb.32:
	ds_read_b32 v5, v1
; %bb.33:
	s_or_b32 exec_lo, exec_lo, s2
	s_and_saveexec_b32 s0, vcc_lo
	s_cbranch_execz .LBB565_35
; %bb.34:
	s_waitcnt lgkmcnt(0)
	ds_bpermute_b32 v1, v2, v5
	s_waitcnt lgkmcnt(0)
	v_add_f32_e32 v1, v5, v1
	ds_bpermute_b32 v2, v3, v1
	s_waitcnt lgkmcnt(0)
	v_add_f32_e32 v1, v1, v2
	;; [unrolled: 3-line block ×3, first 2 shown]
.LBB565_35:
	s_or_b32 exec_lo, exec_lo, s0
	s_mov_b32 s0, exec_lo
                                        ; implicit-def: $vgpr1
                                        ; implicit-def: $sgpr2_sgpr3
	v_cmpx_eq_u32_e32 0, v0
	s_cbranch_execz .LBB565_55
; %bb.36:
	v_cmp_eq_f32_e64 s2, s29, 0
	s_waitcnt lgkmcnt(0)
	v_mul_f32_e32 v0, s30, v5
	s_and_b32 vcc_lo, exec_lo, s2
	s_cbranch_vccz .LBB565_42
; %bb.37:
	v_and_b32_e32 v1, 0x7f800000, v0
	v_cmp_ne_u32_e32 vcc_lo, 0x7f800000, v1
                                        ; implicit-def: $vgpr1
	s_and_saveexec_b32 s2, vcc_lo
	s_xor_b32 s2, exec_lo, s2
; %bb.38:
	v_bfe_u32 v1, v0, 16, 1
	v_add3_u32 v1, v0, v1, 0x7fff
; %bb.39:
	s_andn2_saveexec_b32 s2, s2
; %bb.40:
	v_mov_b32_e32 v1, 0
	v_or_b32_e32 v2, 0x10000, v0
	v_cmp_eq_u32_sdwa vcc_lo, v0, v1 src0_sel:WORD_0 src1_sel:DWORD
	v_cndmask_b32_e32 v1, v2, v0, vcc_lo
; %bb.41:
	s_or_b32 exec_lo, exec_lo, s2
	s_mov_b32 s2, 0
	s_branch .LBB565_43
.LBB565_42:
	s_mov_b32 s2, -1
                                        ; implicit-def: $vgpr1
.LBB565_43:
	s_mul_i32 s4, s24, s10
	s_mul_hi_u32 s5, s24, s6
	s_andn2_b32 vcc_lo, exec_lo, s2
	s_mul_i32 s7, s25, s6
	s_mul_i32 s2, s24, s6
	s_cbranch_vccnz .LBB565_54
; %bb.44:
	s_add_i32 s3, s5, s4
	v_mov_b32_e32 v1, 0
	s_add_i32 s3, s3, s7
	s_lshl_b64 s[8:9], s[2:3], 1
	s_add_u32 s8, s1, s8
	s_addc_u32 s9, s26, s9
	global_load_ushort v1, v1, s[8:9]
	s_waitcnt vmcnt(0)
	v_lshlrev_b32_e32 v1, 16, v1
	v_mul_f32_e32 v1, s29, v1
	v_and_b32_e32 v2, 0x7f800000, v1
	v_readfirstlane_b32 s3, v1
	v_cmp_eq_u32_e32 vcc_lo, 0x7f800000, v2
	s_cbranch_vccnz .LBB565_46
; %bb.45:
	s_bfe_u32 s6, s3, 0x10010
	s_mov_b32 s8, 0
	s_add_i32 s6, s3, s6
	s_addk_i32 s6, 0x7fff
	s_branch .LBB565_47
.LBB565_46:
	s_mov_b32 s8, -1
                                        ; implicit-def: $sgpr6
.LBB565_47:
	s_andn2_b32 vcc_lo, exec_lo, s8
	s_cbranch_vccnz .LBB565_49
; %bb.48:
	s_and_b32 s6, s3, 0xffff
	s_or_b32 s8, s3, 0x10000
	s_cmp_eq_u32 s6, 0
	s_cselect_b32 s6, s3, s8
.LBB565_49:
	s_and_b32 s3, s6, 0xffff0000
	v_add_f32_e32 v0, s3, v0
	v_and_b32_e32 v1, 0x7f800000, v0
	v_cmp_ne_u32_e32 vcc_lo, 0x7f800000, v1
                                        ; implicit-def: $vgpr1
	s_and_saveexec_b32 s3, vcc_lo
	s_xor_b32 s3, exec_lo, s3
; %bb.50:
	v_bfe_u32 v1, v0, 16, 1
	v_add3_u32 v1, v0, v1, 0x7fff
                                        ; implicit-def: $vgpr0
; %bb.51:
	s_andn2_saveexec_b32 s3, s3
; %bb.52:
	v_mov_b32_e32 v1, 0
	v_or_b32_e32 v2, 0x10000, v0
	v_cmp_eq_u32_sdwa vcc_lo, v0, v1 src0_sel:WORD_0 src1_sel:DWORD
	v_cndmask_b32_e32 v1, v2, v0, vcc_lo
; %bb.53:
	s_or_b32 exec_lo, exec_lo, s3
.LBB565_54:
	v_lshrrev_b32_e32 v1, 16, v1
	s_add_i32 s3, s5, s4
	s_or_b32 s28, s28, exec_lo
	s_add_i32 s3, s3, s7
.LBB565_55:
	s_or_b32 exec_lo, exec_lo, s0
	s_and_saveexec_b32 s0, s28
	s_cbranch_execz .LBB565_57
.LBB565_56:
	s_lshl_b64 s[2:3], s[2:3], 1
	v_mov_b32_e32 v0, 0
	s_add_u32 s0, s1, s2
	s_addc_u32 s1, s26, s3
	global_store_short v0, v1, s[0:1]
.LBB565_57:
	s_endpgm
	.section	.rodata,"a",@progbits
	.p2align	6, 0x0
	.amdhsa_kernel _ZL32rocblas_gemvt_warp_reduce_kernelILb0ELi256El16rocblas_bfloat16fS0_EviiT3_lPKT2_lT1_lS4_lS5_lS1_lPT4_lS5_li
		.amdhsa_group_segment_fixed_size 128
		.amdhsa_private_segment_fixed_size 0
		.amdhsa_kernarg_size 140
		.amdhsa_user_sgpr_count 6
		.amdhsa_user_sgpr_private_segment_buffer 1
		.amdhsa_user_sgpr_dispatch_ptr 0
		.amdhsa_user_sgpr_queue_ptr 0
		.amdhsa_user_sgpr_kernarg_segment_ptr 1
		.amdhsa_user_sgpr_dispatch_id 0
		.amdhsa_user_sgpr_flat_scratch_init 0
		.amdhsa_user_sgpr_private_segment_size 0
		.amdhsa_wavefront_size32 1
		.amdhsa_uses_dynamic_stack 0
		.amdhsa_system_sgpr_private_segment_wavefront_offset 0
		.amdhsa_system_sgpr_workgroup_id_x 1
		.amdhsa_system_sgpr_workgroup_id_y 0
		.amdhsa_system_sgpr_workgroup_id_z 1
		.amdhsa_system_sgpr_workgroup_info 0
		.amdhsa_system_vgpr_workitem_id 0
		.amdhsa_next_free_vgpr 12
		.amdhsa_next_free_sgpr 36
		.amdhsa_reserve_vcc 1
		.amdhsa_reserve_flat_scratch 0
		.amdhsa_float_round_mode_32 0
		.amdhsa_float_round_mode_16_64 0
		.amdhsa_float_denorm_mode_32 3
		.amdhsa_float_denorm_mode_16_64 3
		.amdhsa_dx10_clamp 1
		.amdhsa_ieee_mode 1
		.amdhsa_fp16_overflow 0
		.amdhsa_workgroup_processor_mode 1
		.amdhsa_memory_ordered 1
		.amdhsa_forward_progress 1
		.amdhsa_shared_vgpr_count 0
		.amdhsa_exception_fp_ieee_invalid_op 0
		.amdhsa_exception_fp_denorm_src 0
		.amdhsa_exception_fp_ieee_div_zero 0
		.amdhsa_exception_fp_ieee_overflow 0
		.amdhsa_exception_fp_ieee_underflow 0
		.amdhsa_exception_fp_ieee_inexact 0
		.amdhsa_exception_int_div_zero 0
	.end_amdhsa_kernel
	.section	.text._ZL32rocblas_gemvt_warp_reduce_kernelILb0ELi256El16rocblas_bfloat16fS0_EviiT3_lPKT2_lT1_lS4_lS5_lS1_lPT4_lS5_li,"axG",@progbits,_ZL32rocblas_gemvt_warp_reduce_kernelILb0ELi256El16rocblas_bfloat16fS0_EviiT3_lPKT2_lT1_lS4_lS5_lS1_lPT4_lS5_li,comdat
.Lfunc_end565:
	.size	_ZL32rocblas_gemvt_warp_reduce_kernelILb0ELi256El16rocblas_bfloat16fS0_EviiT3_lPKT2_lT1_lS4_lS5_lS1_lPT4_lS5_li, .Lfunc_end565-_ZL32rocblas_gemvt_warp_reduce_kernelILb0ELi256El16rocblas_bfloat16fS0_EviiT3_lPKT2_lT1_lS4_lS5_lS1_lPT4_lS5_li
                                        ; -- End function
	.set _ZL32rocblas_gemvt_warp_reduce_kernelILb0ELi256El16rocblas_bfloat16fS0_EviiT3_lPKT2_lT1_lS4_lS5_lS1_lPT4_lS5_li.num_vgpr, 12
	.set _ZL32rocblas_gemvt_warp_reduce_kernelILb0ELi256El16rocblas_bfloat16fS0_EviiT3_lPKT2_lT1_lS4_lS5_lS1_lPT4_lS5_li.num_agpr, 0
	.set _ZL32rocblas_gemvt_warp_reduce_kernelILb0ELi256El16rocblas_bfloat16fS0_EviiT3_lPKT2_lT1_lS4_lS5_lS1_lPT4_lS5_li.numbered_sgpr, 36
	.set _ZL32rocblas_gemvt_warp_reduce_kernelILb0ELi256El16rocblas_bfloat16fS0_EviiT3_lPKT2_lT1_lS4_lS5_lS1_lPT4_lS5_li.num_named_barrier, 0
	.set _ZL32rocblas_gemvt_warp_reduce_kernelILb0ELi256El16rocblas_bfloat16fS0_EviiT3_lPKT2_lT1_lS4_lS5_lS1_lPT4_lS5_li.private_seg_size, 0
	.set _ZL32rocblas_gemvt_warp_reduce_kernelILb0ELi256El16rocblas_bfloat16fS0_EviiT3_lPKT2_lT1_lS4_lS5_lS1_lPT4_lS5_li.uses_vcc, 1
	.set _ZL32rocblas_gemvt_warp_reduce_kernelILb0ELi256El16rocblas_bfloat16fS0_EviiT3_lPKT2_lT1_lS4_lS5_lS1_lPT4_lS5_li.uses_flat_scratch, 0
	.set _ZL32rocblas_gemvt_warp_reduce_kernelILb0ELi256El16rocblas_bfloat16fS0_EviiT3_lPKT2_lT1_lS4_lS5_lS1_lPT4_lS5_li.has_dyn_sized_stack, 0
	.set _ZL32rocblas_gemvt_warp_reduce_kernelILb0ELi256El16rocblas_bfloat16fS0_EviiT3_lPKT2_lT1_lS4_lS5_lS1_lPT4_lS5_li.has_recursion, 0
	.set _ZL32rocblas_gemvt_warp_reduce_kernelILb0ELi256El16rocblas_bfloat16fS0_EviiT3_lPKT2_lT1_lS4_lS5_lS1_lPT4_lS5_li.has_indirect_call, 0
	.section	.AMDGPU.csdata,"",@progbits
; Kernel info:
; codeLenInByte = 1952
; TotalNumSgprs: 38
; NumVgprs: 12
; ScratchSize: 0
; MemoryBound: 0
; FloatMode: 240
; IeeeMode: 1
; LDSByteSize: 128 bytes/workgroup (compile time only)
; SGPRBlocks: 0
; VGPRBlocks: 1
; NumSGPRsForWavesPerEU: 38
; NumVGPRsForWavesPerEU: 12
; Occupancy: 16
; WaveLimiterHint : 1
; COMPUTE_PGM_RSRC2:SCRATCH_EN: 0
; COMPUTE_PGM_RSRC2:USER_SGPR: 6
; COMPUTE_PGM_RSRC2:TRAP_HANDLER: 0
; COMPUTE_PGM_RSRC2:TGID_X_EN: 1
; COMPUTE_PGM_RSRC2:TGID_Y_EN: 0
; COMPUTE_PGM_RSRC2:TGID_Z_EN: 1
; COMPUTE_PGM_RSRC2:TIDIG_COMP_CNT: 0
	.section	.text._ZL20rocblas_gemvt_kernelILb0ELi256E16rocblas_bfloat16PKfS0_EviiT2_lPKT1_lilS6_lilS3_lPT3_lili,"axG",@progbits,_ZL20rocblas_gemvt_kernelILb0ELi256E16rocblas_bfloat16PKfS0_EviiT2_lPKT1_lilS6_lilS3_lPT3_lili,comdat
	.globl	_ZL20rocblas_gemvt_kernelILb0ELi256E16rocblas_bfloat16PKfS0_EviiT2_lPKT1_lilS6_lilS3_lPT3_lili ; -- Begin function _ZL20rocblas_gemvt_kernelILb0ELi256E16rocblas_bfloat16PKfS0_EviiT2_lPKT1_lilS6_lilS3_lPT3_lili
	.p2align	8
	.type	_ZL20rocblas_gemvt_kernelILb0ELi256E16rocblas_bfloat16PKfS0_EviiT2_lPKT1_lilS6_lilS3_lPT3_lili,@function
_ZL20rocblas_gemvt_kernelILb0ELi256E16rocblas_bfloat16PKfS0_EviiT2_lPKT1_lilS6_lilS3_lPT3_lili: ; @_ZL20rocblas_gemvt_kernelILb0ELi256E16rocblas_bfloat16PKfS0_EviiT2_lPKT1_lilS6_lilS3_lPT3_lili
; %bb.0:
	s_clause 0x1
	s_load_dwordx8 s[8:15], s[4:5], 0x8
	s_load_dwordx8 s[16:23], s[4:5], 0x50
	s_waitcnt lgkmcnt(0)
	s_mul_i32 s1, s11, s7
	s_mul_hi_u32 s2, s10, s7
	s_mul_i32 s0, s10, s7
	s_add_i32 s1, s2, s1
	s_mul_i32 s2, s21, s7
	s_lshl_b64 s[0:1], s[0:1], 2
	s_mul_hi_u32 s3, s20, s7
	s_add_u32 s0, s8, s0
	s_addc_u32 s1, s9, s1
	s_add_i32 s3, s3, s2
	s_mul_i32 s2, s20, s7
	s_mov_b32 s20, 0
	s_lshl_b64 s[2:3], s[2:3], 2
	s_add_u32 s2, s18, s2
	s_addc_u32 s3, s19, s3
	s_load_dword s25, s[0:1], 0x0
	s_load_dword s21, s[2:3], 0x0
	s_waitcnt lgkmcnt(0)
	v_cmp_eq_f32_e64 s0, s25, 0
	v_cmp_eq_f32_e64 s1, s21, 1.0
	s_and_b32 s0, s0, s1
	s_and_b32 vcc_lo, exec_lo, s0
	s_cbranch_vccnz .LBB566_64
; %bb.1:
	s_clause 0x2
	s_load_dwordx2 s[0:1], s[4:5], 0x80
	s_load_dwordx2 s[2:3], s[4:5], 0x70
	s_load_dword s24, s[4:5], 0x78
	s_waitcnt lgkmcnt(0)
	s_mul_i32 s1, s1, s7
	s_mul_hi_u32 s8, s0, s7
	s_mul_i32 s0, s0, s7
	s_add_i32 s1, s8, s1
	v_cmp_neq_f32_e64 s8, s25, 0
	s_lshl_b64 s[0:1], s[0:1], 1
	s_add_u32 s9, s22, s0
	s_addc_u32 s10, s23, s1
	s_lshl_b64 s[0:1], s[2:3], 1
	s_add_u32 s18, s9, s0
	v_cmp_eq_u32_e64 s0, 0, v0
	s_addc_u32 s19, s10, s1
	s_and_b32 vcc_lo, exec_lo, s8
	s_cbranch_vccnz .LBB566_6
; %bb.2:
	s_mov_b32 s1, 0
                                        ; implicit-def: $sgpr8
                                        ; implicit-def: $sgpr2_sgpr3
	s_and_saveexec_b32 s9, s0
	s_cbranch_execz .LBB566_7
; %bb.3:
	v_cmp_eq_f32_e64 s0, s21, 0
	s_mov_b32 s8, 0
	s_mul_hi_i32 s3, s24, s6
	s_mul_i32 s2, s24, s6
	s_and_b32 vcc_lo, exec_lo, s0
	s_cbranch_vccnz .LBB566_11
; %bb.4:
	s_lshl_b64 s[10:11], s[2:3], 1
	v_mov_b32_e32 v1, 0
	s_add_u32 s10, s18, s10
	s_addc_u32 s11, s19, s11
	global_load_ushort v1, v1, s[10:11]
	s_waitcnt vmcnt(0)
	v_lshlrev_b32_e32 v1, 16, v1
	v_mul_f32_e32 v1, s21, v1
	v_and_b32_e32 v2, 0x7f800000, v1
	v_readfirstlane_b32 s0, v1
	v_cmp_eq_u32_e32 vcc_lo, 0x7f800000, v2
	s_cbranch_vccnz .LBB566_8
; %bb.5:
	s_bfe_u32 s8, s0, 0x10010
	s_add_i32 s8, s0, s8
	s_addk_i32 s8, 0x7fff
	s_cbranch_execz .LBB566_9
	s_branch .LBB566_10
.LBB566_6:
                                        ; implicit-def: $sgpr8
                                        ; implicit-def: $sgpr2_sgpr3
	s_cbranch_execnz .LBB566_12
	s_branch .LBB566_62
.LBB566_7:
	s_or_b32 exec_lo, exec_lo, s9
	s_and_b32 vcc_lo, exec_lo, s1
	s_cbranch_vccnz .LBB566_12
	s_branch .LBB566_62
.LBB566_8:
                                        ; implicit-def: $sgpr8
.LBB566_9:
	s_and_b32 s8, s0, 0xffff
	s_or_b32 s10, s0, 0x10000
	s_cmp_eq_u32 s8, 0
	s_cselect_b32 s8, s0, s10
.LBB566_10:
	s_lshr_b32 s8, s8, 16
.LBB566_11:
	s_mov_b32 s20, exec_lo
	s_or_b32 exec_lo, exec_lo, s9
	s_and_b32 vcc_lo, exec_lo, s1
	s_cbranch_vccz .LBB566_62
.LBB566_12:
	s_clause 0x4
	s_load_dwordx4 s[0:3], s[4:5], 0x30
	s_load_dword s22, s[4:5], 0x0
	s_load_dword s23, s[4:5], 0x28
	s_load_dwordx2 s[8:9], s[4:5], 0x40
	s_load_dword s4, s[4:5], 0x48
	s_mul_i32 s11, s17, s7
	s_mul_hi_u32 s17, s16, s7
	s_mul_i32 s10, s16, s7
	s_add_i32 s11, s17, s11
	v_mov_b32_e32 v7, 0
	s_waitcnt lgkmcnt(0)
	s_mul_i32 s1, s1, s7
	v_cmp_gt_i32_e32 vcc_lo, s22, v0
	s_mul_hi_u32 s5, s0, s7
	s_mul_i32 s0, s0, s7
	s_add_i32 s1, s5, s1
	s_mul_hi_i32 s17, s23, s6
	v_cndmask_b32_e32 v1, 0, v0, vcc_lo
	s_lshl_b64 s[0:1], s[0:1], 1
	s_mul_i32 s16, s23, s6
	s_add_u32 s5, s12, s0
	s_addc_u32 s7, s13, s1
	v_lshlrev_b32_e32 v1, 1, v1
	s_lshl_b64 s[0:1], s[14:15], 1
	s_add_u32 s5, s5, s0
	s_addc_u32 s7, s7, s1
	v_add_co_u32 v1, s5, s5, v1
	v_add_co_ci_u32_e64 v2, null, s7, 0, s5
	s_ashr_i32 s12, s22, 31
	s_lshl_b64 s[0:1], s[16:17], 1
	s_lshr_b32 s12, s12, 24
	v_add_co_u32 v1, vcc_lo, v1, s0
	s_add_i32 s5, s22, s12
	v_add_co_ci_u32_e64 v2, null, s1, v2, vcc_lo
	s_and_b32 s0, s5, 0xffffff00
	s_cmpk_lt_i32 s22, 0x100
	s_mov_b32 s1, 0
	s_cbranch_scc1 .LBB566_19
; %bb.13:
	v_mad_i64_i32 v[3:4], null, s4, v0, 0
	s_lshl_b64 s[14:15], s[8:9], 1
	s_ashr_i32 s5, s4, 31
	s_lshl_b64 s[12:13], s[10:11], 1
	s_add_u32 s7, s2, s14
	s_addc_u32 s14, s3, s15
	s_add_u32 s7, s7, s12
	v_lshlrev_b64 v[3:4], 1, v[3:4]
	s_addc_u32 s12, s14, s13
	v_mov_b32_e32 v6, v2
	v_mov_b32_e32 v8, 0
	;; [unrolled: 1-line block ×4, first 2 shown]
	v_add_co_u32 v3, vcc_lo, s7, v3
	v_add_co_ci_u32_e64 v4, null, s12, v4, vcc_lo
	s_lshl_b64 s[12:13], s[4:5], 9
	s_inst_prefetch 0x1
	s_branch .LBB566_15
	.p2align	6
.LBB566_14:                             ;   in Loop: Header=BB566_15 Depth=1
	s_or_b32 exec_lo, exec_lo, s5
	v_and_b32_e32 v9, 0xffff0000, v10
	v_add_co_u32 v3, vcc_lo, v3, s12
	v_add_co_ci_u32_e64 v4, null, s13, v4, vcc_lo
	v_add_co_u32 v5, vcc_lo, 0x200, v5
	v_add_f32_e32 v7, v7, v9
	v_add_co_ci_u32_e64 v6, null, 0, v6, vcc_lo
	s_addk_i32 s1, 0x100
	s_cmp_ge_i32 s1, s0
	s_cbranch_scc1 .LBB566_19
.LBB566_15:                             ; =>This Inner Loop Header: Depth=1
	global_load_ushort v9, v[3:4], off
	global_load_ushort v10, v[5:6], off
	s_waitcnt vmcnt(1)
	v_lshlrev_b32_e32 v9, 16, v9
	s_waitcnt vmcnt(0)
	v_lshlrev_b32_e32 v10, 16, v10
	v_mul_f32_e32 v9, v10, v9
	v_and_b32_e32 v10, 0x7f800000, v9
	v_cmp_ne_u32_e32 vcc_lo, 0x7f800000, v10
                                        ; implicit-def: $vgpr10
	s_and_saveexec_b32 s5, vcc_lo
	s_xor_b32 s5, exec_lo, s5
; %bb.16:                               ;   in Loop: Header=BB566_15 Depth=1
	v_bfe_u32 v10, v9, 16, 1
	v_add3_u32 v10, v9, v10, 0x7fff
                                        ; implicit-def: $vgpr9
; %bb.17:                               ;   in Loop: Header=BB566_15 Depth=1
	s_andn2_saveexec_b32 s5, s5
	s_cbranch_execz .LBB566_14
; %bb.18:                               ;   in Loop: Header=BB566_15 Depth=1
	v_or_b32_e32 v10, 0x10000, v9
	v_cmp_eq_u32_sdwa vcc_lo, v9, v8 src0_sel:WORD_0 src1_sel:DWORD
	v_cndmask_b32_e32 v10, v10, v9, vcc_lo
	s_branch .LBB566_14
.LBB566_19:
	s_inst_prefetch 0x2
	v_add_nc_u32_e32 v3, s0, v0
	s_mov_b32 s5, exec_lo
	v_cmpx_gt_i32_e64 s22, v3
	s_cbranch_execz .LBB566_25
; %bb.20:
	v_mad_i64_i32 v[3:4], null, s4, v3, 0
	s_lshl_b64 s[10:11], s[10:11], 1
	s_add_u32 s1, s2, s10
	s_addc_u32 s4, s3, s11
	s_lshl_b64 s[2:3], s[8:9], 1
	s_add_u32 s2, s1, s2
	v_lshlrev_b64 v[3:4], 1, v[3:4]
	s_addc_u32 s3, s4, s3
	s_ashr_i32 s1, s0, 31
	s_lshl_b64 s[0:1], s[0:1], 1
	v_add_co_u32 v3, vcc_lo, s2, v3
	v_add_co_ci_u32_e64 v4, null, s3, v4, vcc_lo
	v_add_co_u32 v1, vcc_lo, v1, s0
	v_add_co_ci_u32_e64 v2, null, s1, v2, vcc_lo
	global_load_ushort v3, v[3:4], off
	global_load_ushort v1, v[1:2], off
	s_waitcnt vmcnt(1)
	v_lshlrev_b32_e32 v2, 16, v3
	s_waitcnt vmcnt(0)
	v_lshlrev_b32_e32 v1, 16, v1
	v_mul_f32_e32 v1, v1, v2
	v_and_b32_e32 v2, 0x7f800000, v1
	v_cmp_ne_u32_e32 vcc_lo, 0x7f800000, v2
                                        ; implicit-def: $vgpr2
	s_and_saveexec_b32 s0, vcc_lo
	s_xor_b32 s0, exec_lo, s0
; %bb.21:
	v_bfe_u32 v2, v1, 16, 1
	v_add3_u32 v2, v1, v2, 0x7fff
                                        ; implicit-def: $vgpr1
; %bb.22:
	s_andn2_saveexec_b32 s0, s0
; %bb.23:
	v_mov_b32_e32 v2, 0
	v_or_b32_e32 v3, 0x10000, v1
	v_cmp_eq_u32_sdwa vcc_lo, v1, v2 src0_sel:WORD_0 src1_sel:DWORD
	v_cndmask_b32_e32 v2, v3, v1, vcc_lo
; %bb.24:
	s_or_b32 exec_lo, exec_lo, s0
	v_and_b32_e32 v1, 0xffff0000, v2
	v_add_f32_e32 v7, v7, v1
.LBB566_25:
	s_or_b32 exec_lo, exec_lo, s5
	v_lshlrev_b32_e32 v1, 2, v0
	s_mov_b32 s0, exec_lo
	ds_write_b32 v1, v7
	s_waitcnt lgkmcnt(0)
	s_barrier
	buffer_gl0_inv
	v_cmpx_gt_u32_e32 0x80, v0
	s_cbranch_execz .LBB566_27
; %bb.26:
	ds_read2st64_b32 v[2:3], v1 offset1:2
	s_waitcnt lgkmcnt(0)
	v_add_f32_e32 v2, v3, v2
	ds_write_b32 v1, v2
.LBB566_27:
	s_or_b32 exec_lo, exec_lo, s0
	s_mov_b32 s0, exec_lo
	s_waitcnt lgkmcnt(0)
	s_barrier
	buffer_gl0_inv
	v_cmpx_gt_u32_e32 64, v0
	s_cbranch_execz .LBB566_29
; %bb.28:
	ds_read2st64_b32 v[2:3], v1 offset1:1
	s_waitcnt lgkmcnt(0)
	v_add_f32_e32 v2, v3, v2
	ds_write_b32 v1, v2
.LBB566_29:
	s_or_b32 exec_lo, exec_lo, s0
	s_mov_b32 s0, exec_lo
	s_waitcnt lgkmcnt(0)
	s_barrier
	buffer_gl0_inv
	v_cmpx_gt_u32_e32 32, v0
	s_cbranch_execz .LBB566_31
; %bb.30:
	ds_read2_b32 v[2:3], v1 offset1:32
	s_waitcnt lgkmcnt(0)
	v_add_f32_e32 v2, v3, v2
	ds_write_b32 v1, v2
.LBB566_31:
	s_or_b32 exec_lo, exec_lo, s0
	s_mov_b32 s0, exec_lo
	s_waitcnt lgkmcnt(0)
	s_barrier
	buffer_gl0_inv
	v_cmpx_gt_u32_e32 16, v0
	s_cbranch_execz .LBB566_33
; %bb.32:
	ds_read2_b32 v[2:3], v1 offset1:16
	s_waitcnt lgkmcnt(0)
	v_add_f32_e32 v2, v3, v2
	ds_write_b32 v1, v2
.LBB566_33:
	;; [unrolled: 13-line block ×5, first 2 shown]
	s_or_b32 exec_lo, exec_lo, s0
	v_cmp_eq_u32_e32 vcc_lo, 0, v0
	s_waitcnt lgkmcnt(0)
	s_barrier
	buffer_gl0_inv
	s_and_saveexec_b32 s0, vcc_lo
	s_cbranch_execz .LBB566_41
; %bb.40:
	v_mov_b32_e32 v2, 0
	ds_read_b64 v[0:1], v2
	s_waitcnt lgkmcnt(0)
	v_add_f32_e32 v0, v1, v0
	ds_write_b32 v2, v0
.LBB566_41:
	s_or_b32 exec_lo, exec_lo, s0
	s_waitcnt lgkmcnt(0)
	s_barrier
	buffer_gl0_inv
                                        ; implicit-def: $sgpr8
                                        ; implicit-def: $sgpr2_sgpr3
	s_and_saveexec_b32 s0, vcc_lo
	s_cbranch_execz .LBB566_61
; %bb.42:
	v_mov_b32_e32 v0, 0
	v_cmp_eq_f32_e64 s2, s21, 0
	ds_read_b32 v0, v0
	s_and_b32 vcc_lo, exec_lo, s2
	s_waitcnt lgkmcnt(0)
	v_mul_f32_e32 v0, s25, v0
	v_readfirstlane_b32 s1, v0
	s_cbranch_vccz .LBB566_45
; %bb.43:
	s_and_b32 s2, s1, 0x7f800000
	s_cmp_eq_u32 s2, 0x7f800000
	s_cbranch_scc1 .LBB566_46
; %bb.44:
	s_bfe_u32 s2, s1, 0x10010
	s_add_i32 s2, s1, s2
	s_add_i32 s4, s2, 0x7fff
	s_mov_b32 s2, 0
	s_branch .LBB566_47
.LBB566_45:
                                        ; implicit-def: $sgpr4
	s_mul_hi_i32 s3, s24, s6
	s_mul_i32 s2, s24, s6
	s_branch .LBB566_50
.LBB566_46:
	s_mov_b32 s2, -1
                                        ; implicit-def: $sgpr4
.LBB566_47:
	s_andn2_b32 vcc_lo, exec_lo, s2
	s_cbranch_vccnz .LBB566_49
; %bb.48:
	s_and_b32 s2, s1, 0xffff
	s_or_b32 s3, s1, 0x10000
	s_cmp_eq_u32 s2, 0
	s_cselect_b32 s4, s1, s3
.LBB566_49:
	s_mul_hi_i32 s3, s24, s6
	s_mul_i32 s2, s24, s6
	s_cbranch_execnz .LBB566_60
.LBB566_50:
	s_lshl_b64 s[4:5], s[2:3], 1
	v_mov_b32_e32 v0, 0
	s_add_u32 s4, s18, s4
	s_addc_u32 s5, s19, s5
	global_load_ushort v0, v0, s[4:5]
	s_waitcnt vmcnt(0)
	v_lshlrev_b32_e32 v0, 16, v0
	v_mul_f32_e32 v0, s21, v0
	v_and_b32_e32 v1, 0x7f800000, v0
	v_readfirstlane_b32 s4, v0
	v_cmp_eq_u32_e32 vcc_lo, 0x7f800000, v1
	s_cbranch_vccnz .LBB566_52
; %bb.51:
	s_bfe_u32 s5, s4, 0x10010
	s_mov_b32 s6, 0
	s_add_i32 s5, s4, s5
	s_addk_i32 s5, 0x7fff
	s_branch .LBB566_53
.LBB566_52:
	s_mov_b32 s6, -1
                                        ; implicit-def: $sgpr5
.LBB566_53:
	s_andn2_b32 vcc_lo, exec_lo, s6
	s_cbranch_vccnz .LBB566_55
; %bb.54:
	s_and_b32 s5, s4, 0xffff
	s_or_b32 s6, s4, 0x10000
	s_cmp_eq_u32 s5, 0
	s_cselect_b32 s5, s4, s6
.LBB566_55:
	s_and_b32 s4, s5, 0xffff0000
	v_add_f32_e64 v0, s1, s4
	v_and_b32_e32 v1, 0x7f800000, v0
	v_readfirstlane_b32 s1, v0
	v_cmp_eq_u32_e32 vcc_lo, 0x7f800000, v1
	s_cbranch_vccnz .LBB566_57
; %bb.56:
	s_bfe_u32 s4, s1, 0x10010
	s_mov_b32 s5, 0
	s_add_i32 s4, s1, s4
	s_addk_i32 s4, 0x7fff
	s_branch .LBB566_58
.LBB566_57:
	s_mov_b32 s5, -1
                                        ; implicit-def: $sgpr4
.LBB566_58:
	s_andn2_b32 vcc_lo, exec_lo, s5
	s_cbranch_vccnz .LBB566_60
; %bb.59:
	s_and_b32 s4, s1, 0xffff
	s_or_b32 s5, s1, 0x10000
	s_cmp_eq_u32 s4, 0
	s_cselect_b32 s4, s1, s5
.LBB566_60:
	s_lshr_b32 s8, s4, 16
	s_or_b32 s20, s20, exec_lo
.LBB566_61:
	s_or_b32 exec_lo, exec_lo, s0
.LBB566_62:
	s_and_saveexec_b32 s0, s20
	s_cbranch_execz .LBB566_64
; %bb.63:
	s_lshl_b64 s[0:1], s[2:3], 1
	v_mov_b32_e32 v0, 0
	v_mov_b32_e32 v1, s8
	s_add_u32 s0, s18, s0
	s_addc_u32 s1, s19, s1
	global_store_short v0, v1, s[0:1]
.LBB566_64:
	s_endpgm
	.section	.rodata,"a",@progbits
	.p2align	6, 0x0
	.amdhsa_kernel _ZL20rocblas_gemvt_kernelILb0ELi256E16rocblas_bfloat16PKfS0_EviiT2_lPKT1_lilS6_lilS3_lPT3_lili
		.amdhsa_group_segment_fixed_size 1024
		.amdhsa_private_segment_fixed_size 0
		.amdhsa_kernarg_size 140
		.amdhsa_user_sgpr_count 6
		.amdhsa_user_sgpr_private_segment_buffer 1
		.amdhsa_user_sgpr_dispatch_ptr 0
		.amdhsa_user_sgpr_queue_ptr 0
		.amdhsa_user_sgpr_kernarg_segment_ptr 1
		.amdhsa_user_sgpr_dispatch_id 0
		.amdhsa_user_sgpr_flat_scratch_init 0
		.amdhsa_user_sgpr_private_segment_size 0
		.amdhsa_wavefront_size32 1
		.amdhsa_uses_dynamic_stack 0
		.amdhsa_system_sgpr_private_segment_wavefront_offset 0
		.amdhsa_system_sgpr_workgroup_id_x 1
		.amdhsa_system_sgpr_workgroup_id_y 0
		.amdhsa_system_sgpr_workgroup_id_z 1
		.amdhsa_system_sgpr_workgroup_info 0
		.amdhsa_system_vgpr_workitem_id 0
		.amdhsa_next_free_vgpr 11
		.amdhsa_next_free_sgpr 26
		.amdhsa_reserve_vcc 1
		.amdhsa_reserve_flat_scratch 0
		.amdhsa_float_round_mode_32 0
		.amdhsa_float_round_mode_16_64 0
		.amdhsa_float_denorm_mode_32 3
		.amdhsa_float_denorm_mode_16_64 3
		.amdhsa_dx10_clamp 1
		.amdhsa_ieee_mode 1
		.amdhsa_fp16_overflow 0
		.amdhsa_workgroup_processor_mode 1
		.amdhsa_memory_ordered 1
		.amdhsa_forward_progress 1
		.amdhsa_shared_vgpr_count 0
		.amdhsa_exception_fp_ieee_invalid_op 0
		.amdhsa_exception_fp_denorm_src 0
		.amdhsa_exception_fp_ieee_div_zero 0
		.amdhsa_exception_fp_ieee_overflow 0
		.amdhsa_exception_fp_ieee_underflow 0
		.amdhsa_exception_fp_ieee_inexact 0
		.amdhsa_exception_int_div_zero 0
	.end_amdhsa_kernel
	.section	.text._ZL20rocblas_gemvt_kernelILb0ELi256E16rocblas_bfloat16PKfS0_EviiT2_lPKT1_lilS6_lilS3_lPT3_lili,"axG",@progbits,_ZL20rocblas_gemvt_kernelILb0ELi256E16rocblas_bfloat16PKfS0_EviiT2_lPKT1_lilS6_lilS3_lPT3_lili,comdat
.Lfunc_end566:
	.size	_ZL20rocblas_gemvt_kernelILb0ELi256E16rocblas_bfloat16PKfS0_EviiT2_lPKT1_lilS6_lilS3_lPT3_lili, .Lfunc_end566-_ZL20rocblas_gemvt_kernelILb0ELi256E16rocblas_bfloat16PKfS0_EviiT2_lPKT1_lilS6_lilS3_lPT3_lili
                                        ; -- End function
	.set _ZL20rocblas_gemvt_kernelILb0ELi256E16rocblas_bfloat16PKfS0_EviiT2_lPKT1_lilS6_lilS3_lPT3_lili.num_vgpr, 11
	.set _ZL20rocblas_gemvt_kernelILb0ELi256E16rocblas_bfloat16PKfS0_EviiT2_lPKT1_lilS6_lilS3_lPT3_lili.num_agpr, 0
	.set _ZL20rocblas_gemvt_kernelILb0ELi256E16rocblas_bfloat16PKfS0_EviiT2_lPKT1_lilS6_lilS3_lPT3_lili.numbered_sgpr, 26
	.set _ZL20rocblas_gemvt_kernelILb0ELi256E16rocblas_bfloat16PKfS0_EviiT2_lPKT1_lilS6_lilS3_lPT3_lili.num_named_barrier, 0
	.set _ZL20rocblas_gemvt_kernelILb0ELi256E16rocblas_bfloat16PKfS0_EviiT2_lPKT1_lilS6_lilS3_lPT3_lili.private_seg_size, 0
	.set _ZL20rocblas_gemvt_kernelILb0ELi256E16rocblas_bfloat16PKfS0_EviiT2_lPKT1_lilS6_lilS3_lPT3_lili.uses_vcc, 1
	.set _ZL20rocblas_gemvt_kernelILb0ELi256E16rocblas_bfloat16PKfS0_EviiT2_lPKT1_lilS6_lilS3_lPT3_lili.uses_flat_scratch, 0
	.set _ZL20rocblas_gemvt_kernelILb0ELi256E16rocblas_bfloat16PKfS0_EviiT2_lPKT1_lilS6_lilS3_lPT3_lili.has_dyn_sized_stack, 0
	.set _ZL20rocblas_gemvt_kernelILb0ELi256E16rocblas_bfloat16PKfS0_EviiT2_lPKT1_lilS6_lilS3_lPT3_lili.has_recursion, 0
	.set _ZL20rocblas_gemvt_kernelILb0ELi256E16rocblas_bfloat16PKfS0_EviiT2_lPKT1_lilS6_lilS3_lPT3_lili.has_indirect_call, 0
	.section	.AMDGPU.csdata,"",@progbits
; Kernel info:
; codeLenInByte = 2024
; TotalNumSgprs: 28
; NumVgprs: 11
; ScratchSize: 0
; MemoryBound: 0
; FloatMode: 240
; IeeeMode: 1
; LDSByteSize: 1024 bytes/workgroup (compile time only)
; SGPRBlocks: 0
; VGPRBlocks: 1
; NumSGPRsForWavesPerEU: 28
; NumVGPRsForWavesPerEU: 11
; Occupancy: 16
; WaveLimiterHint : 1
; COMPUTE_PGM_RSRC2:SCRATCH_EN: 0
; COMPUTE_PGM_RSRC2:USER_SGPR: 6
; COMPUTE_PGM_RSRC2:TRAP_HANDLER: 0
; COMPUTE_PGM_RSRC2:TGID_X_EN: 1
; COMPUTE_PGM_RSRC2:TGID_Y_EN: 0
; COMPUTE_PGM_RSRC2:TGID_Z_EN: 1
; COMPUTE_PGM_RSRC2:TIDIG_COMP_CNT: 0
	.section	.text._ZL20rocblas_gemvt_kernelILb0ELi256E16rocblas_bfloat16fS0_EviiT2_lPKT1_lilS4_lilS1_lPT3_lili,"axG",@progbits,_ZL20rocblas_gemvt_kernelILb0ELi256E16rocblas_bfloat16fS0_EviiT2_lPKT1_lilS4_lilS1_lPT3_lili,comdat
	.globl	_ZL20rocblas_gemvt_kernelILb0ELi256E16rocblas_bfloat16fS0_EviiT2_lPKT1_lilS4_lilS1_lPT3_lili ; -- Begin function _ZL20rocblas_gemvt_kernelILb0ELi256E16rocblas_bfloat16fS0_EviiT2_lPKT1_lilS4_lilS1_lPT3_lili
	.p2align	8
	.type	_ZL20rocblas_gemvt_kernelILb0ELi256E16rocblas_bfloat16fS0_EviiT2_lPKT1_lilS4_lilS1_lPT3_lili,@function
_ZL20rocblas_gemvt_kernelILb0ELi256E16rocblas_bfloat16fS0_EviiT2_lPKT1_lilS4_lilS1_lPT3_lili: ; @_ZL20rocblas_gemvt_kernelILb0ELi256E16rocblas_bfloat16fS0_EviiT2_lPKT1_lilS4_lilS1_lPT3_lili
; %bb.0:
	s_clause 0x1
	s_load_dword s19, s[4:5], 0x8
	s_load_dword s17, s[4:5], 0x58
	s_mov_b32 s16, 0
	s_waitcnt lgkmcnt(0)
	v_cmp_eq_f32_e64 s0, s19, 0
	v_cmp_eq_f32_e64 s1, s17, 1.0
	s_and_b32 s0, s0, s1
	s_and_b32 vcc_lo, exec_lo, s0
	s_cbranch_vccnz .LBB567_64
; %bb.1:
	s_clause 0x2
	s_load_dwordx2 s[8:9], s[4:5], 0x80
	s_load_dwordx4 s[0:3], s[4:5], 0x68
	s_load_dword s18, s[4:5], 0x78
	s_waitcnt lgkmcnt(0)
	s_mul_i32 s9, s9, s7
	s_mul_hi_u32 s10, s8, s7
	s_mul_i32 s8, s8, s7
	s_add_i32 s9, s10, s9
	v_cmp_neq_f32_e64 s10, s19, 0
	s_lshl_b64 s[8:9], s[8:9], 1
	s_add_u32 s8, s0, s8
	s_addc_u32 s9, s1, s9
	s_lshl_b64 s[0:1], s[2:3], 1
	s_add_u32 s14, s8, s0
	v_cmp_eq_u32_e64 s0, 0, v0
	s_addc_u32 s15, s9, s1
	s_and_b32 vcc_lo, exec_lo, s10
	s_cbranch_vccnz .LBB567_6
; %bb.2:
	s_mov_b32 s1, 0
                                        ; implicit-def: $sgpr8
                                        ; implicit-def: $sgpr2_sgpr3
	s_and_saveexec_b32 s9, s0
	s_cbranch_execz .LBB567_7
; %bb.3:
	v_cmp_eq_f32_e64 s0, s17, 0
	s_mov_b32 s8, 0
	s_mul_hi_i32 s3, s18, s6
	s_mul_i32 s2, s18, s6
	s_and_b32 vcc_lo, exec_lo, s0
	s_cbranch_vccnz .LBB567_11
; %bb.4:
	s_lshl_b64 s[10:11], s[2:3], 1
	v_mov_b32_e32 v1, 0
	s_add_u32 s10, s14, s10
	s_addc_u32 s11, s15, s11
	global_load_ushort v1, v1, s[10:11]
	s_waitcnt vmcnt(0)
	v_lshlrev_b32_e32 v1, 16, v1
	v_mul_f32_e32 v1, s17, v1
	v_and_b32_e32 v2, 0x7f800000, v1
	v_readfirstlane_b32 s0, v1
	v_cmp_eq_u32_e32 vcc_lo, 0x7f800000, v2
	s_cbranch_vccnz .LBB567_8
; %bb.5:
	s_bfe_u32 s8, s0, 0x10010
	s_add_i32 s8, s0, s8
	s_addk_i32 s8, 0x7fff
	s_cbranch_execz .LBB567_9
	s_branch .LBB567_10
.LBB567_6:
                                        ; implicit-def: $sgpr8
                                        ; implicit-def: $sgpr2_sgpr3
	s_cbranch_execnz .LBB567_12
	s_branch .LBB567_62
.LBB567_7:
	s_or_b32 exec_lo, exec_lo, s9
	s_and_b32 vcc_lo, exec_lo, s1
	s_cbranch_vccnz .LBB567_12
	s_branch .LBB567_62
.LBB567_8:
                                        ; implicit-def: $sgpr8
.LBB567_9:
	s_and_b32 s8, s0, 0xffff
	s_or_b32 s10, s0, 0x10000
	s_cmp_eq_u32 s8, 0
	s_cselect_b32 s8, s0, s10
.LBB567_10:
	s_lshr_b32 s8, s8, 16
.LBB567_11:
	s_mov_b32 s16, exec_lo
	s_or_b32 exec_lo, exec_lo, s9
	s_and_b32 vcc_lo, exec_lo, s1
	s_cbranch_vccz .LBB567_62
.LBB567_12:
	s_clause 0x6
	s_load_dwordx2 s[10:11], s[4:5], 0x50
	s_load_dwordx4 s[0:3], s[4:5], 0x30
	s_load_dword s20, s[4:5], 0x0
	s_load_dword s12, s[4:5], 0x28
	s_load_dwordx4 s[24:27], s[4:5], 0x18
	s_load_dwordx2 s[8:9], s[4:5], 0x40
	s_load_dword s4, s[4:5], 0x48
	v_mov_b32_e32 v7, 0
	s_waitcnt lgkmcnt(0)
	s_mul_i32 s5, s11, s7
	s_mul_i32 s1, s1, s7
	v_cmp_gt_i32_e32 vcc_lo, s20, v0
	s_mul_hi_u32 s21, s0, s7
	s_mul_i32 s0, s0, s7
	s_add_i32 s1, s21, s1
	s_mul_hi_u32 s11, s10, s7
	v_cndmask_b32_e32 v1, 0, v0, vcc_lo
	s_lshl_b64 s[0:1], s[0:1], 1
	s_add_i32 s11, s11, s5
	s_add_u32 s5, s24, s0
	s_mul_i32 s10, s10, s7
	v_lshlrev_b32_e32 v1, 1, v1
	s_addc_u32 s7, s25, s1
	s_lshl_b64 s[0:1], s[26:27], 1
	s_mul_hi_i32 s13, s12, s6
	s_add_u32 s5, s5, s0
	s_addc_u32 s7, s7, s1
	v_add_co_u32 v1, s5, s5, v1
	s_mul_i32 s12, s12, s6
	v_add_co_ci_u32_e64 v2, null, s7, 0, s5
	s_ashr_i32 s21, s20, 31
	s_lshl_b64 s[0:1], s[12:13], 1
	s_lshr_b32 s12, s21, 24
	v_add_co_u32 v1, vcc_lo, v1, s0
	s_add_i32 s5, s20, s12
	v_add_co_ci_u32_e64 v2, null, s1, v2, vcc_lo
	s_and_b32 s0, s5, 0xffffff00
	s_cmpk_lt_i32 s20, 0x100
	s_mov_b32 s1, 0
	s_cbranch_scc1 .LBB567_19
; %bb.13:
	v_mad_i64_i32 v[3:4], null, s4, v0, 0
	s_lshl_b64 s[22:23], s[8:9], 1
	s_ashr_i32 s5, s4, 31
	s_lshl_b64 s[12:13], s[10:11], 1
	s_add_u32 s7, s2, s22
	s_addc_u32 s21, s3, s23
	s_add_u32 s7, s7, s12
	v_lshlrev_b64 v[3:4], 1, v[3:4]
	s_addc_u32 s12, s21, s13
	v_mov_b32_e32 v6, v2
	v_mov_b32_e32 v8, 0
	;; [unrolled: 1-line block ×4, first 2 shown]
	v_add_co_u32 v3, vcc_lo, s7, v3
	v_add_co_ci_u32_e64 v4, null, s12, v4, vcc_lo
	s_lshl_b64 s[12:13], s[4:5], 9
	s_inst_prefetch 0x1
	s_branch .LBB567_15
	.p2align	6
.LBB567_14:                             ;   in Loop: Header=BB567_15 Depth=1
	s_or_b32 exec_lo, exec_lo, s5
	v_and_b32_e32 v9, 0xffff0000, v10
	v_add_co_u32 v3, vcc_lo, v3, s12
	v_add_co_ci_u32_e64 v4, null, s13, v4, vcc_lo
	v_add_co_u32 v5, vcc_lo, 0x200, v5
	v_add_f32_e32 v7, v7, v9
	v_add_co_ci_u32_e64 v6, null, 0, v6, vcc_lo
	s_addk_i32 s1, 0x100
	s_cmp_ge_i32 s1, s0
	s_cbranch_scc1 .LBB567_19
.LBB567_15:                             ; =>This Inner Loop Header: Depth=1
	global_load_ushort v9, v[3:4], off
	global_load_ushort v10, v[5:6], off
	s_waitcnt vmcnt(1)
	v_lshlrev_b32_e32 v9, 16, v9
	s_waitcnt vmcnt(0)
	v_lshlrev_b32_e32 v10, 16, v10
	v_mul_f32_e32 v9, v10, v9
	v_and_b32_e32 v10, 0x7f800000, v9
	v_cmp_ne_u32_e32 vcc_lo, 0x7f800000, v10
                                        ; implicit-def: $vgpr10
	s_and_saveexec_b32 s5, vcc_lo
	s_xor_b32 s5, exec_lo, s5
; %bb.16:                               ;   in Loop: Header=BB567_15 Depth=1
	v_bfe_u32 v10, v9, 16, 1
	v_add3_u32 v10, v9, v10, 0x7fff
                                        ; implicit-def: $vgpr9
; %bb.17:                               ;   in Loop: Header=BB567_15 Depth=1
	s_andn2_saveexec_b32 s5, s5
	s_cbranch_execz .LBB567_14
; %bb.18:                               ;   in Loop: Header=BB567_15 Depth=1
	v_or_b32_e32 v10, 0x10000, v9
	v_cmp_eq_u32_sdwa vcc_lo, v9, v8 src0_sel:WORD_0 src1_sel:DWORD
	v_cndmask_b32_e32 v10, v10, v9, vcc_lo
	s_branch .LBB567_14
.LBB567_19:
	s_inst_prefetch 0x2
	v_add_nc_u32_e32 v3, s0, v0
	s_mov_b32 s5, exec_lo
	v_cmpx_gt_i32_e64 s20, v3
	s_cbranch_execz .LBB567_25
; %bb.20:
	v_mad_i64_i32 v[3:4], null, s4, v3, 0
	s_lshl_b64 s[10:11], s[10:11], 1
	s_add_u32 s1, s2, s10
	s_addc_u32 s4, s3, s11
	s_lshl_b64 s[2:3], s[8:9], 1
	s_add_u32 s2, s1, s2
	v_lshlrev_b64 v[3:4], 1, v[3:4]
	s_addc_u32 s3, s4, s3
	s_ashr_i32 s1, s0, 31
	s_lshl_b64 s[0:1], s[0:1], 1
	v_add_co_u32 v3, vcc_lo, s2, v3
	v_add_co_ci_u32_e64 v4, null, s3, v4, vcc_lo
	v_add_co_u32 v1, vcc_lo, v1, s0
	v_add_co_ci_u32_e64 v2, null, s1, v2, vcc_lo
	global_load_ushort v3, v[3:4], off
	global_load_ushort v1, v[1:2], off
	s_waitcnt vmcnt(1)
	v_lshlrev_b32_e32 v2, 16, v3
	s_waitcnt vmcnt(0)
	v_lshlrev_b32_e32 v1, 16, v1
	v_mul_f32_e32 v1, v1, v2
	v_and_b32_e32 v2, 0x7f800000, v1
	v_cmp_ne_u32_e32 vcc_lo, 0x7f800000, v2
                                        ; implicit-def: $vgpr2
	s_and_saveexec_b32 s0, vcc_lo
	s_xor_b32 s0, exec_lo, s0
; %bb.21:
	v_bfe_u32 v2, v1, 16, 1
	v_add3_u32 v2, v1, v2, 0x7fff
                                        ; implicit-def: $vgpr1
; %bb.22:
	s_andn2_saveexec_b32 s0, s0
; %bb.23:
	v_mov_b32_e32 v2, 0
	v_or_b32_e32 v3, 0x10000, v1
	v_cmp_eq_u32_sdwa vcc_lo, v1, v2 src0_sel:WORD_0 src1_sel:DWORD
	v_cndmask_b32_e32 v2, v3, v1, vcc_lo
; %bb.24:
	s_or_b32 exec_lo, exec_lo, s0
	v_and_b32_e32 v1, 0xffff0000, v2
	v_add_f32_e32 v7, v7, v1
.LBB567_25:
	s_or_b32 exec_lo, exec_lo, s5
	v_lshlrev_b32_e32 v1, 2, v0
	s_mov_b32 s0, exec_lo
	ds_write_b32 v1, v7
	s_waitcnt lgkmcnt(0)
	s_barrier
	buffer_gl0_inv
	v_cmpx_gt_u32_e32 0x80, v0
	s_cbranch_execz .LBB567_27
; %bb.26:
	ds_read2st64_b32 v[2:3], v1 offset1:2
	s_waitcnt lgkmcnt(0)
	v_add_f32_e32 v2, v3, v2
	ds_write_b32 v1, v2
.LBB567_27:
	s_or_b32 exec_lo, exec_lo, s0
	s_mov_b32 s0, exec_lo
	s_waitcnt lgkmcnt(0)
	s_barrier
	buffer_gl0_inv
	v_cmpx_gt_u32_e32 64, v0
	s_cbranch_execz .LBB567_29
; %bb.28:
	ds_read2st64_b32 v[2:3], v1 offset1:1
	s_waitcnt lgkmcnt(0)
	v_add_f32_e32 v2, v3, v2
	ds_write_b32 v1, v2
.LBB567_29:
	s_or_b32 exec_lo, exec_lo, s0
	s_mov_b32 s0, exec_lo
	s_waitcnt lgkmcnt(0)
	s_barrier
	buffer_gl0_inv
	v_cmpx_gt_u32_e32 32, v0
	s_cbranch_execz .LBB567_31
; %bb.30:
	ds_read2_b32 v[2:3], v1 offset1:32
	s_waitcnt lgkmcnt(0)
	v_add_f32_e32 v2, v3, v2
	ds_write_b32 v1, v2
.LBB567_31:
	s_or_b32 exec_lo, exec_lo, s0
	s_mov_b32 s0, exec_lo
	s_waitcnt lgkmcnt(0)
	s_barrier
	buffer_gl0_inv
	v_cmpx_gt_u32_e32 16, v0
	s_cbranch_execz .LBB567_33
; %bb.32:
	ds_read2_b32 v[2:3], v1 offset1:16
	s_waitcnt lgkmcnt(0)
	v_add_f32_e32 v2, v3, v2
	ds_write_b32 v1, v2
.LBB567_33:
	;; [unrolled: 13-line block ×5, first 2 shown]
	s_or_b32 exec_lo, exec_lo, s0
	v_cmp_eq_u32_e32 vcc_lo, 0, v0
	s_waitcnt lgkmcnt(0)
	s_barrier
	buffer_gl0_inv
	s_and_saveexec_b32 s0, vcc_lo
	s_cbranch_execz .LBB567_41
; %bb.40:
	v_mov_b32_e32 v2, 0
	ds_read_b64 v[0:1], v2
	s_waitcnt lgkmcnt(0)
	v_add_f32_e32 v0, v1, v0
	ds_write_b32 v2, v0
.LBB567_41:
	s_or_b32 exec_lo, exec_lo, s0
	s_waitcnt lgkmcnt(0)
	s_barrier
	buffer_gl0_inv
                                        ; implicit-def: $sgpr8
                                        ; implicit-def: $sgpr2_sgpr3
	s_and_saveexec_b32 s0, vcc_lo
	s_cbranch_execz .LBB567_61
; %bb.42:
	v_mov_b32_e32 v0, 0
	v_cmp_eq_f32_e64 s2, s17, 0
	ds_read_b32 v0, v0
	s_and_b32 vcc_lo, exec_lo, s2
	s_waitcnt lgkmcnt(0)
	v_mul_f32_e32 v0, s19, v0
	v_readfirstlane_b32 s1, v0
	s_cbranch_vccz .LBB567_45
; %bb.43:
	s_and_b32 s2, s1, 0x7f800000
	s_cmp_eq_u32 s2, 0x7f800000
	s_cbranch_scc1 .LBB567_46
; %bb.44:
	s_bfe_u32 s2, s1, 0x10010
	s_add_i32 s2, s1, s2
	s_add_i32 s4, s2, 0x7fff
	s_mov_b32 s2, 0
	s_branch .LBB567_47
.LBB567_45:
                                        ; implicit-def: $sgpr4
	s_mul_hi_i32 s3, s18, s6
	s_mul_i32 s2, s18, s6
	s_branch .LBB567_50
.LBB567_46:
	s_mov_b32 s2, -1
                                        ; implicit-def: $sgpr4
.LBB567_47:
	s_andn2_b32 vcc_lo, exec_lo, s2
	s_cbranch_vccnz .LBB567_49
; %bb.48:
	s_and_b32 s2, s1, 0xffff
	s_or_b32 s3, s1, 0x10000
	s_cmp_eq_u32 s2, 0
	s_cselect_b32 s4, s1, s3
.LBB567_49:
	s_mul_hi_i32 s3, s18, s6
	s_mul_i32 s2, s18, s6
	s_cbranch_execnz .LBB567_60
.LBB567_50:
	s_lshl_b64 s[4:5], s[2:3], 1
	v_mov_b32_e32 v0, 0
	s_add_u32 s4, s14, s4
	s_addc_u32 s5, s15, s5
	global_load_ushort v0, v0, s[4:5]
	s_waitcnt vmcnt(0)
	v_lshlrev_b32_e32 v0, 16, v0
	v_mul_f32_e32 v0, s17, v0
	v_and_b32_e32 v1, 0x7f800000, v0
	v_readfirstlane_b32 s4, v0
	v_cmp_eq_u32_e32 vcc_lo, 0x7f800000, v1
	s_cbranch_vccnz .LBB567_52
; %bb.51:
	s_bfe_u32 s5, s4, 0x10010
	s_mov_b32 s6, 0
	s_add_i32 s5, s4, s5
	s_addk_i32 s5, 0x7fff
	s_branch .LBB567_53
.LBB567_52:
	s_mov_b32 s6, -1
                                        ; implicit-def: $sgpr5
.LBB567_53:
	s_andn2_b32 vcc_lo, exec_lo, s6
	s_cbranch_vccnz .LBB567_55
; %bb.54:
	s_and_b32 s5, s4, 0xffff
	s_or_b32 s6, s4, 0x10000
	s_cmp_eq_u32 s5, 0
	s_cselect_b32 s5, s4, s6
.LBB567_55:
	s_and_b32 s4, s5, 0xffff0000
	v_add_f32_e64 v0, s1, s4
	v_and_b32_e32 v1, 0x7f800000, v0
	v_readfirstlane_b32 s1, v0
	v_cmp_eq_u32_e32 vcc_lo, 0x7f800000, v1
	s_cbranch_vccnz .LBB567_57
; %bb.56:
	s_bfe_u32 s4, s1, 0x10010
	s_mov_b32 s5, 0
	s_add_i32 s4, s1, s4
	s_addk_i32 s4, 0x7fff
	s_branch .LBB567_58
.LBB567_57:
	s_mov_b32 s5, -1
                                        ; implicit-def: $sgpr4
.LBB567_58:
	s_andn2_b32 vcc_lo, exec_lo, s5
	s_cbranch_vccnz .LBB567_60
; %bb.59:
	s_and_b32 s4, s1, 0xffff
	s_or_b32 s5, s1, 0x10000
	s_cmp_eq_u32 s4, 0
	s_cselect_b32 s4, s1, s5
.LBB567_60:
	s_lshr_b32 s8, s4, 16
	s_or_b32 s16, s16, exec_lo
.LBB567_61:
	s_or_b32 exec_lo, exec_lo, s0
.LBB567_62:
	s_and_saveexec_b32 s0, s16
	s_cbranch_execz .LBB567_64
; %bb.63:
	s_lshl_b64 s[0:1], s[2:3], 1
	v_mov_b32_e32 v0, 0
	v_mov_b32_e32 v1, s8
	s_add_u32 s0, s14, s0
	s_addc_u32 s1, s15, s1
	global_store_short v0, v1, s[0:1]
.LBB567_64:
	s_endpgm
	.section	.rodata,"a",@progbits
	.p2align	6, 0x0
	.amdhsa_kernel _ZL20rocblas_gemvt_kernelILb0ELi256E16rocblas_bfloat16fS0_EviiT2_lPKT1_lilS4_lilS1_lPT3_lili
		.amdhsa_group_segment_fixed_size 1024
		.amdhsa_private_segment_fixed_size 0
		.amdhsa_kernarg_size 140
		.amdhsa_user_sgpr_count 6
		.amdhsa_user_sgpr_private_segment_buffer 1
		.amdhsa_user_sgpr_dispatch_ptr 0
		.amdhsa_user_sgpr_queue_ptr 0
		.amdhsa_user_sgpr_kernarg_segment_ptr 1
		.amdhsa_user_sgpr_dispatch_id 0
		.amdhsa_user_sgpr_flat_scratch_init 0
		.amdhsa_user_sgpr_private_segment_size 0
		.amdhsa_wavefront_size32 1
		.amdhsa_uses_dynamic_stack 0
		.amdhsa_system_sgpr_private_segment_wavefront_offset 0
		.amdhsa_system_sgpr_workgroup_id_x 1
		.amdhsa_system_sgpr_workgroup_id_y 0
		.amdhsa_system_sgpr_workgroup_id_z 1
		.amdhsa_system_sgpr_workgroup_info 0
		.amdhsa_system_vgpr_workitem_id 0
		.amdhsa_next_free_vgpr 11
		.amdhsa_next_free_sgpr 28
		.amdhsa_reserve_vcc 1
		.amdhsa_reserve_flat_scratch 0
		.amdhsa_float_round_mode_32 0
		.amdhsa_float_round_mode_16_64 0
		.amdhsa_float_denorm_mode_32 3
		.amdhsa_float_denorm_mode_16_64 3
		.amdhsa_dx10_clamp 1
		.amdhsa_ieee_mode 1
		.amdhsa_fp16_overflow 0
		.amdhsa_workgroup_processor_mode 1
		.amdhsa_memory_ordered 1
		.amdhsa_forward_progress 1
		.amdhsa_shared_vgpr_count 0
		.amdhsa_exception_fp_ieee_invalid_op 0
		.amdhsa_exception_fp_denorm_src 0
		.amdhsa_exception_fp_ieee_div_zero 0
		.amdhsa_exception_fp_ieee_overflow 0
		.amdhsa_exception_fp_ieee_underflow 0
		.amdhsa_exception_fp_ieee_inexact 0
		.amdhsa_exception_int_div_zero 0
	.end_amdhsa_kernel
	.section	.text._ZL20rocblas_gemvt_kernelILb0ELi256E16rocblas_bfloat16fS0_EviiT2_lPKT1_lilS4_lilS1_lPT3_lili,"axG",@progbits,_ZL20rocblas_gemvt_kernelILb0ELi256E16rocblas_bfloat16fS0_EviiT2_lPKT1_lilS4_lilS1_lPT3_lili,comdat
.Lfunc_end567:
	.size	_ZL20rocblas_gemvt_kernelILb0ELi256E16rocblas_bfloat16fS0_EviiT2_lPKT1_lilS4_lilS1_lPT3_lili, .Lfunc_end567-_ZL20rocblas_gemvt_kernelILb0ELi256E16rocblas_bfloat16fS0_EviiT2_lPKT1_lilS4_lilS1_lPT3_lili
                                        ; -- End function
	.set _ZL20rocblas_gemvt_kernelILb0ELi256E16rocblas_bfloat16fS0_EviiT2_lPKT1_lilS4_lilS1_lPT3_lili.num_vgpr, 11
	.set _ZL20rocblas_gemvt_kernelILb0ELi256E16rocblas_bfloat16fS0_EviiT2_lPKT1_lilS4_lilS1_lPT3_lili.num_agpr, 0
	.set _ZL20rocblas_gemvt_kernelILb0ELi256E16rocblas_bfloat16fS0_EviiT2_lPKT1_lilS4_lilS1_lPT3_lili.numbered_sgpr, 28
	.set _ZL20rocblas_gemvt_kernelILb0ELi256E16rocblas_bfloat16fS0_EviiT2_lPKT1_lilS4_lilS1_lPT3_lili.num_named_barrier, 0
	.set _ZL20rocblas_gemvt_kernelILb0ELi256E16rocblas_bfloat16fS0_EviiT2_lPKT1_lilS4_lilS1_lPT3_lili.private_seg_size, 0
	.set _ZL20rocblas_gemvt_kernelILb0ELi256E16rocblas_bfloat16fS0_EviiT2_lPKT1_lilS4_lilS1_lPT3_lili.uses_vcc, 1
	.set _ZL20rocblas_gemvt_kernelILb0ELi256E16rocblas_bfloat16fS0_EviiT2_lPKT1_lilS4_lilS1_lPT3_lili.uses_flat_scratch, 0
	.set _ZL20rocblas_gemvt_kernelILb0ELi256E16rocblas_bfloat16fS0_EviiT2_lPKT1_lilS4_lilS1_lPT3_lili.has_dyn_sized_stack, 0
	.set _ZL20rocblas_gemvt_kernelILb0ELi256E16rocblas_bfloat16fS0_EviiT2_lPKT1_lilS4_lilS1_lPT3_lili.has_recursion, 0
	.set _ZL20rocblas_gemvt_kernelILb0ELi256E16rocblas_bfloat16fS0_EviiT2_lPKT1_lilS4_lilS1_lPT3_lili.has_indirect_call, 0
	.section	.AMDGPU.csdata,"",@progbits
; Kernel info:
; codeLenInByte = 2024
; TotalNumSgprs: 30
; NumVgprs: 11
; ScratchSize: 0
; MemoryBound: 0
; FloatMode: 240
; IeeeMode: 1
; LDSByteSize: 1024 bytes/workgroup (compile time only)
; SGPRBlocks: 0
; VGPRBlocks: 1
; NumSGPRsForWavesPerEU: 30
; NumVGPRsForWavesPerEU: 11
; Occupancy: 16
; WaveLimiterHint : 1
; COMPUTE_PGM_RSRC2:SCRATCH_EN: 0
; COMPUTE_PGM_RSRC2:USER_SGPR: 6
; COMPUTE_PGM_RSRC2:TRAP_HANDLER: 0
; COMPUTE_PGM_RSRC2:TGID_X_EN: 1
; COMPUTE_PGM_RSRC2:TGID_Y_EN: 0
; COMPUTE_PGM_RSRC2:TGID_Z_EN: 1
; COMPUTE_PGM_RSRC2:TIDIG_COMP_CNT: 0
	.section	.text._ZL32rocblas_gemvt_warp_reduce_kernelILb0ELi1024Ei16rocblas_bfloat16PKfS0_EviiT3_lPKT2_lT1_lS6_lS7_lS3_lPT4_lS7_li,"axG",@progbits,_ZL32rocblas_gemvt_warp_reduce_kernelILb0ELi1024Ei16rocblas_bfloat16PKfS0_EviiT3_lPKT2_lT1_lS6_lS7_lS3_lPT4_lS7_li,comdat
	.globl	_ZL32rocblas_gemvt_warp_reduce_kernelILb0ELi1024Ei16rocblas_bfloat16PKfS0_EviiT3_lPKT2_lT1_lS6_lS7_lS3_lPT4_lS7_li ; -- Begin function _ZL32rocblas_gemvt_warp_reduce_kernelILb0ELi1024Ei16rocblas_bfloat16PKfS0_EviiT3_lPKT2_lT1_lS6_lS7_lS3_lPT4_lS7_li
	.p2align	8
	.type	_ZL32rocblas_gemvt_warp_reduce_kernelILb0ELi1024Ei16rocblas_bfloat16PKfS0_EviiT3_lPKT2_lT1_lS6_lS7_lS3_lPT4_lS7_li,@function
_ZL32rocblas_gemvt_warp_reduce_kernelILb0ELi1024Ei16rocblas_bfloat16PKfS0_EviiT3_lPKT2_lT1_lS6_lS7_lS3_lPT4_lS7_li: ; @_ZL32rocblas_gemvt_warp_reduce_kernelILb0ELi1024Ei16rocblas_bfloat16PKfS0_EviiT3_lPKT2_lT1_lS6_lS7_lS3_lPT4_lS7_li
; %bb.0:
	s_clause 0x1
	s_load_dwordx8 s[8:15], s[4:5], 0x8
	s_load_dwordx8 s[16:23], s[4:5], 0x50
	s_waitcnt lgkmcnt(0)
	s_mul_i32 s1, s11, s7
	s_mul_hi_u32 s2, s10, s7
	s_mul_i32 s0, s10, s7
	s_add_i32 s1, s2, s1
	s_mul_i32 s2, s21, s7
	s_lshl_b64 s[0:1], s[0:1], 2
	s_mul_hi_u32 s3, s20, s7
	s_add_u32 s0, s8, s0
	s_addc_u32 s1, s9, s1
	s_add_i32 s3, s3, s2
	s_mul_i32 s2, s20, s7
	s_mov_b32 s9, 0
	s_lshl_b64 s[2:3], s[2:3], 2
	s_add_u32 s2, s18, s2
	s_addc_u32 s3, s19, s3
	s_load_dword s18, s[0:1], 0x0
	s_load_dword s10, s[2:3], 0x0
	s_waitcnt lgkmcnt(0)
	v_cmp_eq_f32_e64 s0, s18, 0
	v_cmp_eq_f32_e64 s1, s10, 1.0
	s_and_b32 s0, s0, s1
	s_and_b32 vcc_lo, exec_lo, s0
	s_cbranch_vccnz .LBB568_56
; %bb.1:
	s_clause 0x2
	s_load_dwordx2 s[0:1], s[4:5], 0x80
	s_load_dwordx2 s[2:3], s[4:5], 0x70
	s_load_dword s11, s[4:5], 0x78
	v_cmp_neq_f32_e64 s19, s18, 0
	s_waitcnt lgkmcnt(0)
	s_mul_i32 s1, s1, s7
	s_mul_hi_u32 s8, s0, s7
	s_mul_i32 s0, s0, s7
	s_add_i32 s1, s8, s1
	s_lshl_b64 s[0:1], s[0:1], 1
	s_add_u32 s0, s22, s0
	s_addc_u32 s8, s23, s1
	s_lshl_b64 s[2:3], s[2:3], 1
	s_add_u32 s1, s0, s2
	v_cmp_eq_u32_e64 s0, 0, v0
	s_addc_u32 s8, s8, s3
	s_and_b32 vcc_lo, exec_lo, s19
	s_cbranch_vccnz .LBB568_6
; %bb.2:
	s_mov_b32 s19, 0
                                        ; implicit-def: $sgpr21
                                        ; implicit-def: $sgpr2_sgpr3
	s_and_saveexec_b32 s20, s0
	s_cbranch_execz .LBB568_7
; %bb.3:
	v_cmp_eq_f32_e64 s0, s10, 0
	s_mul_i32 s2, s11, s6
	s_mov_b32 s21, 0
	s_ashr_i32 s3, s2, 31
	s_and_b32 vcc_lo, exec_lo, s0
	s_cbranch_vccnz .LBB568_12
; %bb.4:
	s_lshl_b64 s[22:23], s[2:3], 1
	v_mov_b32_e32 v1, 0
	s_add_u32 s22, s1, s22
	s_addc_u32 s23, s8, s23
	global_load_ushort v1, v1, s[22:23]
	s_waitcnt vmcnt(0)
	v_lshlrev_b32_e32 v1, 16, v1
	v_mul_f32_e32 v1, s10, v1
	v_and_b32_e32 v2, 0x7f800000, v1
	v_readfirstlane_b32 s0, v1
	v_cmp_eq_u32_e32 vcc_lo, 0x7f800000, v2
	s_cbranch_vccnz .LBB568_9
; %bb.5:
	s_bfe_u32 s9, s0, 0x10010
	s_add_i32 s9, s0, s9
	s_addk_i32 s9, 0x7fff
	s_andn2_b32 vcc_lo, exec_lo, s21
	s_cbranch_vccz .LBB568_10
	s_branch .LBB568_11
.LBB568_6:
                                        ; implicit-def: $sgpr21
                                        ; implicit-def: $sgpr2_sgpr3
	s_cbranch_execz .LBB568_8
	s_branch .LBB568_13
.LBB568_7:
	s_or_b32 exec_lo, exec_lo, s20
	s_and_b32 vcc_lo, exec_lo, s19
	s_cbranch_vccnz .LBB568_13
.LBB568_8:
	v_mov_b32_e32 v1, s21
	s_and_saveexec_b32 s0, s9
	s_cbranch_execnz .LBB568_55
	s_branch .LBB568_56
.LBB568_9:
                                        ; implicit-def: $sgpr9
.LBB568_10:
	s_and_b32 s9, s0, 0xffff
	s_or_b32 s21, s0, 0x10000
	s_cmp_eq_u32 s9, 0
	s_cselect_b32 s9, s0, s21
.LBB568_11:
	s_lshr_b32 s21, s9, 16
.LBB568_12:
	s_mov_b32 s9, exec_lo
	s_or_b32 exec_lo, exec_lo, s20
	s_and_b32 vcc_lo, exec_lo, s19
	s_cbranch_vccz .LBB568_8
.LBB568_13:
	s_clause 0x3
	s_load_dwordx4 s[20:23], s[4:5], 0x30
	s_load_dwordx2 s[24:25], s[4:5], 0x40
	s_load_dword s3, s[4:5], 0x0
	s_load_dword s0, s[4:5], 0x28
	s_mul_i32 s2, s17, s7
	s_mul_hi_u32 s17, s16, s7
	s_mul_i32 s16, s16, s7
	s_add_i32 s17, s17, s2
	s_load_dword s4, s[4:5], 0x48
	s_lshl_b64 s[16:17], s[16:17], 1
	v_mov_b32_e32 v7, 0
	s_waitcnt lgkmcnt(0)
	s_add_u32 s2, s22, s16
	s_addc_u32 s22, s23, s17
	v_cmp_gt_i32_e32 vcc_lo, s3, v0
	s_lshl_b64 s[16:17], s[24:25], 1
	s_mul_i32 s19, s21, s7
	s_mul_hi_u32 s21, s20, s7
	s_add_u32 s5, s2, s16
	v_cndmask_b32_e32 v1, 0, v0, vcc_lo
	s_mul_i32 s20, s20, s7
	s_addc_u32 s7, s22, s17
	s_add_i32 s21, s21, s19
	s_lshl_b64 s[16:17], s[20:21], 1
	s_mul_i32 s20, s0, s6
	s_add_u32 s0, s12, s16
	v_lshlrev_b32_e32 v1, 1, v1
	s_addc_u32 s2, s13, s17
	s_lshl_b64 s[12:13], s[14:15], 1
	s_add_u32 s0, s0, s12
	s_addc_u32 s2, s2, s13
	v_add_co_u32 v1, s0, s0, v1
	s_ashr_i32 s12, s3, 31
	s_ashr_i32 s21, s20, 31
	v_add_co_ci_u32_e64 v2, null, s2, 0, s0
	s_lshr_b32 s0, s12, 22
	s_lshl_b64 s[12:13], s[20:21], 1
	s_add_i32 s0, s3, s0
	v_add_co_u32 v1, vcc_lo, v1, s12
	v_add_co_ci_u32_e64 v2, null, s13, v2, vcc_lo
	s_and_b32 s2, s0, 0xfffffc00
	s_mov_b32 s13, 0
	s_mov_b32 s12, exec_lo
	v_cmpx_gt_i32_e64 s2, v0
	s_cbranch_execz .LBB568_21
; %bb.14:
	v_mul_lo_u32 v3, v0, s4
	v_mov_b32_e32 v6, v2
	v_mov_b32_e32 v8, 0
	;; [unrolled: 1-line block ×5, first 2 shown]
	s_lshl_b32 s14, s4, 10
	s_branch .LBB568_16
.LBB568_15:                             ;   in Loop: Header=BB568_16 Depth=1
	s_or_b32 exec_lo, exec_lo, s0
	v_add_nc_u32_e32 v9, 0x400, v9
	v_and_b32_e32 v4, 0xffff0000, v10
	v_add_co_u32 v5, s0, 0x800, v5
	v_add_nc_u32_e32 v3, s14, v3
	v_cmp_le_i32_e32 vcc_lo, s2, v9
	v_add_f32_e32 v7, v7, v4
	v_add_co_ci_u32_e64 v6, null, 0, v6, s0
	s_or_b32 s13, vcc_lo, s13
	s_andn2_b32 exec_lo, exec_lo, s13
	s_cbranch_execz .LBB568_20
.LBB568_16:                             ; =>This Inner Loop Header: Depth=1
	v_ashrrev_i32_e32 v4, 31, v3
	v_lshlrev_b64 v[10:11], 1, v[3:4]
	v_add_co_u32 v10, vcc_lo, s5, v10
	v_add_co_ci_u32_e64 v11, null, s7, v11, vcc_lo
	global_load_ushort v4, v[5:6], off
	global_load_ushort v10, v[10:11], off
	s_waitcnt vmcnt(1)
	v_lshlrev_b32_e32 v4, 16, v4
	s_waitcnt vmcnt(0)
	v_lshlrev_b32_e32 v10, 16, v10
	v_mul_f32_e32 v4, v4, v10
	v_and_b32_e32 v10, 0x7f800000, v4
	v_cmp_ne_u32_e32 vcc_lo, 0x7f800000, v10
                                        ; implicit-def: $vgpr10
	s_and_saveexec_b32 s0, vcc_lo
	s_xor_b32 s0, exec_lo, s0
; %bb.17:                               ;   in Loop: Header=BB568_16 Depth=1
	v_bfe_u32 v10, v4, 16, 1
	v_add3_u32 v10, v4, v10, 0x7fff
                                        ; implicit-def: $vgpr4
; %bb.18:                               ;   in Loop: Header=BB568_16 Depth=1
	s_andn2_saveexec_b32 s0, s0
	s_cbranch_execz .LBB568_15
; %bb.19:                               ;   in Loop: Header=BB568_16 Depth=1
	v_or_b32_e32 v10, 0x10000, v4
	v_cmp_eq_u32_sdwa vcc_lo, v4, v8 src0_sel:WORD_0 src1_sel:DWORD
	v_cndmask_b32_e32 v10, v10, v4, vcc_lo
	s_branch .LBB568_15
.LBB568_20:
	s_or_b32 exec_lo, exec_lo, s13
.LBB568_21:
	s_or_b32 exec_lo, exec_lo, s12
	v_or_b32_e32 v3, s2, v0
	s_mov_b32 s0, exec_lo
	v_cmpx_gt_i32_e64 s3, v3
	s_cbranch_execz .LBB568_27
; %bb.22:
	v_mul_lo_u32 v3, s4, v3
	s_ashr_i32 s3, s2, 31
	s_lshl_b64 s[2:3], s[2:3], 1
	v_ashrrev_i32_e32 v4, 31, v3
	v_lshlrev_b64 v[3:4], 1, v[3:4]
	v_add_co_u32 v3, vcc_lo, s5, v3
	v_add_co_ci_u32_e64 v4, null, s7, v4, vcc_lo
	v_add_co_u32 v1, vcc_lo, v1, s2
	v_add_co_ci_u32_e64 v2, null, s3, v2, vcc_lo
	global_load_ushort v3, v[3:4], off
	global_load_ushort v1, v[1:2], off
	s_waitcnt vmcnt(1)
	v_lshlrev_b32_e32 v2, 16, v3
	s_waitcnt vmcnt(0)
	v_lshlrev_b32_e32 v1, 16, v1
	v_mul_f32_e32 v1, v1, v2
	v_and_b32_e32 v2, 0x7f800000, v1
	v_cmp_ne_u32_e32 vcc_lo, 0x7f800000, v2
                                        ; implicit-def: $vgpr2
	s_and_saveexec_b32 s2, vcc_lo
	s_xor_b32 s2, exec_lo, s2
; %bb.23:
	v_bfe_u32 v2, v1, 16, 1
	v_add3_u32 v2, v1, v2, 0x7fff
                                        ; implicit-def: $vgpr1
; %bb.24:
	s_andn2_saveexec_b32 s2, s2
; %bb.25:
	v_mov_b32_e32 v2, 0
	v_or_b32_e32 v3, 0x10000, v1
	v_cmp_eq_u32_sdwa vcc_lo, v1, v2 src0_sel:WORD_0 src1_sel:DWORD
	v_cndmask_b32_e32 v2, v3, v1, vcc_lo
; %bb.26:
	s_or_b32 exec_lo, exec_lo, s2
	v_and_b32_e32 v1, 0xffff0000, v2
	v_add_f32_e32 v7, v7, v1
.LBB568_27:
	s_or_b32 exec_lo, exec_lo, s0
	v_and_b32_e32 v8, 31, v0
	v_cmp_gt_u32_e32 vcc_lo, 32, v0
	v_lshlrev_b32_e32 v1, 2, v8
	s_and_saveexec_b32 s0, vcc_lo
; %bb.28:
	v_mov_b32_e32 v2, 0
	ds_write_b32 v1, v2
; %bb.29:
	s_or_b32 exec_lo, exec_lo, s0
	v_mbcnt_lo_u32_b32 v6, -1, 0
	s_mov_b32 s2, exec_lo
	s_waitcnt lgkmcnt(0)
	s_barrier
	buffer_gl0_inv
	v_lshl_or_b32 v2, v6, 2, 64
	v_cmp_gt_u32_e64 s0, 24, v6
	ds_bpermute_b32 v4, v2, v7
	v_cndmask_b32_e64 v3, 0, 8, s0
	v_cmp_gt_u32_e64 s0, 28, v6
	v_add_lshl_u32 v3, v3, v6, 2
	s_waitcnt lgkmcnt(0)
	v_add_f32_e32 v5, v7, v4
	v_cndmask_b32_e64 v4, 0, 4, s0
	v_cmp_gt_u32_e64 s0, 30, v6
	ds_bpermute_b32 v7, v3, v5
	v_add_lshl_u32 v4, v4, v6, 2
	s_waitcnt lgkmcnt(0)
	v_add_f32_e32 v7, v5, v7
	v_cndmask_b32_e64 v5, 0, 2, s0
	v_cmp_ne_u32_e64 s0, 31, v6
	ds_bpermute_b32 v9, v4, v7
	v_add_lshl_u32 v5, v5, v6, 2
	v_add_co_ci_u32_e64 v6, null, 0, v6, s0
	v_lshlrev_b32_e32 v6, 2, v6
	s_waitcnt lgkmcnt(0)
	v_add_f32_e32 v7, v7, v9
	ds_bpermute_b32 v9, v5, v7
	s_waitcnt lgkmcnt(0)
	v_add_f32_e32 v7, v7, v9
	ds_bpermute_b32 v9, v6, v7
	v_cmpx_eq_u32_e32 0, v8
	s_cbranch_execz .LBB568_31
; %bb.30:
	v_lshrrev_b32_e32 v8, 3, v0
	s_waitcnt lgkmcnt(0)
	v_add_f32_e32 v7, v7, v9
	v_and_b32_e32 v8, 0x7c, v8
	ds_write_b32 v8, v7
.LBB568_31:
	s_or_b32 exec_lo, exec_lo, s2
	v_mov_b32_e32 v7, 0
	s_waitcnt lgkmcnt(0)
	s_barrier
	buffer_gl0_inv
	s_and_saveexec_b32 s0, vcc_lo
; %bb.32:
	ds_read_b32 v7, v1
; %bb.33:
	s_or_b32 exec_lo, exec_lo, s0
	s_and_saveexec_b32 s0, vcc_lo
	s_cbranch_execz .LBB568_35
; %bb.34:
	s_waitcnt lgkmcnt(0)
	ds_bpermute_b32 v1, v2, v7
	s_waitcnt lgkmcnt(0)
	v_add_f32_e32 v1, v7, v1
	ds_bpermute_b32 v2, v3, v1
	s_waitcnt lgkmcnt(0)
	v_add_f32_e32 v1, v1, v2
	;; [unrolled: 3-line block ×5, first 2 shown]
.LBB568_35:
	s_or_b32 exec_lo, exec_lo, s0
	s_mov_b32 s0, exec_lo
                                        ; implicit-def: $vgpr1
                                        ; implicit-def: $sgpr2_sgpr3
	v_cmpx_eq_u32_e32 0, v0
	s_cbranch_execz .LBB568_54
; %bb.36:
	v_cmp_eq_f32_e64 s2, s10, 0
	s_waitcnt lgkmcnt(0)
	v_mul_f32_e32 v0, s18, v7
	s_and_b32 vcc_lo, exec_lo, s2
	s_cbranch_vccz .LBB568_42
; %bb.37:
	v_and_b32_e32 v1, 0x7f800000, v0
	v_cmp_ne_u32_e32 vcc_lo, 0x7f800000, v1
                                        ; implicit-def: $vgpr1
	s_and_saveexec_b32 s2, vcc_lo
	s_xor_b32 s2, exec_lo, s2
; %bb.38:
	v_bfe_u32 v1, v0, 16, 1
	v_add3_u32 v1, v0, v1, 0x7fff
; %bb.39:
	s_andn2_saveexec_b32 s2, s2
; %bb.40:
	v_mov_b32_e32 v1, 0
	v_or_b32_e32 v2, 0x10000, v0
	v_cmp_eq_u32_sdwa vcc_lo, v0, v1 src0_sel:WORD_0 src1_sel:DWORD
	v_cndmask_b32_e32 v1, v2, v0, vcc_lo
; %bb.41:
	s_or_b32 exec_lo, exec_lo, s2
	s_mul_i32 s2, s11, s6
	s_cbranch_execz .LBB568_43
	s_branch .LBB568_53
.LBB568_42:
                                        ; implicit-def: $vgpr1
	s_mul_i32 s2, s11, s6
.LBB568_43:
	s_ashr_i32 s3, s2, 31
	v_mov_b32_e32 v1, 0
	s_lshl_b64 s[4:5], s[2:3], 1
	s_add_u32 s4, s1, s4
	s_addc_u32 s5, s8, s5
	global_load_ushort v1, v1, s[4:5]
	s_waitcnt vmcnt(0)
	v_lshlrev_b32_e32 v1, 16, v1
	v_mul_f32_e32 v1, s10, v1
	v_and_b32_e32 v2, 0x7f800000, v1
	v_readfirstlane_b32 s3, v1
	v_cmp_eq_u32_e32 vcc_lo, 0x7f800000, v2
	s_cbranch_vccnz .LBB568_45
; %bb.44:
	s_bfe_u32 s4, s3, 0x10010
	s_mov_b32 s5, 0
	s_add_i32 s4, s3, s4
	s_addk_i32 s4, 0x7fff
	s_branch .LBB568_46
.LBB568_45:
	s_mov_b32 s5, -1
                                        ; implicit-def: $sgpr4
.LBB568_46:
	s_andn2_b32 vcc_lo, exec_lo, s5
	s_cbranch_vccnz .LBB568_48
; %bb.47:
	s_and_b32 s4, s3, 0xffff
	s_or_b32 s5, s3, 0x10000
	s_cmp_eq_u32 s4, 0
	s_cselect_b32 s4, s3, s5
.LBB568_48:
	s_and_b32 s3, s4, 0xffff0000
	v_add_f32_e32 v0, s3, v0
	v_and_b32_e32 v1, 0x7f800000, v0
	v_cmp_ne_u32_e32 vcc_lo, 0x7f800000, v1
                                        ; implicit-def: $vgpr1
	s_and_saveexec_b32 s3, vcc_lo
	s_xor_b32 s3, exec_lo, s3
; %bb.49:
	v_bfe_u32 v1, v0, 16, 1
	v_add3_u32 v1, v0, v1, 0x7fff
                                        ; implicit-def: $vgpr0
; %bb.50:
	s_andn2_saveexec_b32 s3, s3
; %bb.51:
	v_mov_b32_e32 v1, 0
	v_or_b32_e32 v2, 0x10000, v0
	v_cmp_eq_u32_sdwa vcc_lo, v0, v1 src0_sel:WORD_0 src1_sel:DWORD
	v_cndmask_b32_e32 v1, v2, v0, vcc_lo
; %bb.52:
	s_or_b32 exec_lo, exec_lo, s3
.LBB568_53:
	v_lshrrev_b32_e32 v1, 16, v1
	s_ashr_i32 s3, s2, 31
	s_or_b32 s9, s9, exec_lo
.LBB568_54:
	s_or_b32 exec_lo, exec_lo, s0
	s_and_saveexec_b32 s0, s9
	s_cbranch_execz .LBB568_56
.LBB568_55:
	s_lshl_b64 s[2:3], s[2:3], 1
	v_mov_b32_e32 v0, 0
	s_add_u32 s0, s1, s2
	s_addc_u32 s1, s8, s3
	global_store_short v0, v1, s[0:1]
.LBB568_56:
	s_endpgm
	.section	.rodata,"a",@progbits
	.p2align	6, 0x0
	.amdhsa_kernel _ZL32rocblas_gemvt_warp_reduce_kernelILb0ELi1024Ei16rocblas_bfloat16PKfS0_EviiT3_lPKT2_lT1_lS6_lS7_lS3_lPT4_lS7_li
		.amdhsa_group_segment_fixed_size 128
		.amdhsa_private_segment_fixed_size 0
		.amdhsa_kernarg_size 140
		.amdhsa_user_sgpr_count 6
		.amdhsa_user_sgpr_private_segment_buffer 1
		.amdhsa_user_sgpr_dispatch_ptr 0
		.amdhsa_user_sgpr_queue_ptr 0
		.amdhsa_user_sgpr_kernarg_segment_ptr 1
		.amdhsa_user_sgpr_dispatch_id 0
		.amdhsa_user_sgpr_flat_scratch_init 0
		.amdhsa_user_sgpr_private_segment_size 0
		.amdhsa_wavefront_size32 1
		.amdhsa_uses_dynamic_stack 0
		.amdhsa_system_sgpr_private_segment_wavefront_offset 0
		.amdhsa_system_sgpr_workgroup_id_x 1
		.amdhsa_system_sgpr_workgroup_id_y 0
		.amdhsa_system_sgpr_workgroup_id_z 1
		.amdhsa_system_sgpr_workgroup_info 0
		.amdhsa_system_vgpr_workitem_id 0
		.amdhsa_next_free_vgpr 12
		.amdhsa_next_free_sgpr 26
		.amdhsa_reserve_vcc 1
		.amdhsa_reserve_flat_scratch 0
		.amdhsa_float_round_mode_32 0
		.amdhsa_float_round_mode_16_64 0
		.amdhsa_float_denorm_mode_32 3
		.amdhsa_float_denorm_mode_16_64 3
		.amdhsa_dx10_clamp 1
		.amdhsa_ieee_mode 1
		.amdhsa_fp16_overflow 0
		.amdhsa_workgroup_processor_mode 1
		.amdhsa_memory_ordered 1
		.amdhsa_forward_progress 1
		.amdhsa_shared_vgpr_count 0
		.amdhsa_exception_fp_ieee_invalid_op 0
		.amdhsa_exception_fp_denorm_src 0
		.amdhsa_exception_fp_ieee_div_zero 0
		.amdhsa_exception_fp_ieee_overflow 0
		.amdhsa_exception_fp_ieee_underflow 0
		.amdhsa_exception_fp_ieee_inexact 0
		.amdhsa_exception_int_div_zero 0
	.end_amdhsa_kernel
	.section	.text._ZL32rocblas_gemvt_warp_reduce_kernelILb0ELi1024Ei16rocblas_bfloat16PKfS0_EviiT3_lPKT2_lT1_lS6_lS7_lS3_lPT4_lS7_li,"axG",@progbits,_ZL32rocblas_gemvt_warp_reduce_kernelILb0ELi1024Ei16rocblas_bfloat16PKfS0_EviiT3_lPKT2_lT1_lS6_lS7_lS3_lPT4_lS7_li,comdat
.Lfunc_end568:
	.size	_ZL32rocblas_gemvt_warp_reduce_kernelILb0ELi1024Ei16rocblas_bfloat16PKfS0_EviiT3_lPKT2_lT1_lS6_lS7_lS3_lPT4_lS7_li, .Lfunc_end568-_ZL32rocblas_gemvt_warp_reduce_kernelILb0ELi1024Ei16rocblas_bfloat16PKfS0_EviiT3_lPKT2_lT1_lS6_lS7_lS3_lPT4_lS7_li
                                        ; -- End function
	.set _ZL32rocblas_gemvt_warp_reduce_kernelILb0ELi1024Ei16rocblas_bfloat16PKfS0_EviiT3_lPKT2_lT1_lS6_lS7_lS3_lPT4_lS7_li.num_vgpr, 12
	.set _ZL32rocblas_gemvt_warp_reduce_kernelILb0ELi1024Ei16rocblas_bfloat16PKfS0_EviiT3_lPKT2_lT1_lS6_lS7_lS3_lPT4_lS7_li.num_agpr, 0
	.set _ZL32rocblas_gemvt_warp_reduce_kernelILb0ELi1024Ei16rocblas_bfloat16PKfS0_EviiT3_lPKT2_lT1_lS6_lS7_lS3_lPT4_lS7_li.numbered_sgpr, 26
	.set _ZL32rocblas_gemvt_warp_reduce_kernelILb0ELi1024Ei16rocblas_bfloat16PKfS0_EviiT3_lPKT2_lT1_lS6_lS7_lS3_lPT4_lS7_li.num_named_barrier, 0
	.set _ZL32rocblas_gemvt_warp_reduce_kernelILb0ELi1024Ei16rocblas_bfloat16PKfS0_EviiT3_lPKT2_lT1_lS6_lS7_lS3_lPT4_lS7_li.private_seg_size, 0
	.set _ZL32rocblas_gemvt_warp_reduce_kernelILb0ELi1024Ei16rocblas_bfloat16PKfS0_EviiT3_lPKT2_lT1_lS6_lS7_lS3_lPT4_lS7_li.uses_vcc, 1
	.set _ZL32rocblas_gemvt_warp_reduce_kernelILb0ELi1024Ei16rocblas_bfloat16PKfS0_EviiT3_lPKT2_lT1_lS6_lS7_lS3_lPT4_lS7_li.uses_flat_scratch, 0
	.set _ZL32rocblas_gemvt_warp_reduce_kernelILb0ELi1024Ei16rocblas_bfloat16PKfS0_EviiT3_lPKT2_lT1_lS6_lS7_lS3_lPT4_lS7_li.has_dyn_sized_stack, 0
	.set _ZL32rocblas_gemvt_warp_reduce_kernelILb0ELi1024Ei16rocblas_bfloat16PKfS0_EviiT3_lPKT2_lT1_lS6_lS7_lS3_lPT4_lS7_li.has_recursion, 0
	.set _ZL32rocblas_gemvt_warp_reduce_kernelILb0ELi1024Ei16rocblas_bfloat16PKfS0_EviiT3_lPKT2_lT1_lS6_lS7_lS3_lPT4_lS7_li.has_indirect_call, 0
	.section	.AMDGPU.csdata,"",@progbits
; Kernel info:
; codeLenInByte = 1916
; TotalNumSgprs: 28
; NumVgprs: 12
; ScratchSize: 0
; MemoryBound: 0
; FloatMode: 240
; IeeeMode: 1
; LDSByteSize: 128 bytes/workgroup (compile time only)
; SGPRBlocks: 0
; VGPRBlocks: 1
; NumSGPRsForWavesPerEU: 28
; NumVGPRsForWavesPerEU: 12
; Occupancy: 16
; WaveLimiterHint : 1
; COMPUTE_PGM_RSRC2:SCRATCH_EN: 0
; COMPUTE_PGM_RSRC2:USER_SGPR: 6
; COMPUTE_PGM_RSRC2:TRAP_HANDLER: 0
; COMPUTE_PGM_RSRC2:TGID_X_EN: 1
; COMPUTE_PGM_RSRC2:TGID_Y_EN: 0
; COMPUTE_PGM_RSRC2:TGID_Z_EN: 1
; COMPUTE_PGM_RSRC2:TIDIG_COMP_CNT: 0
	.section	.text._ZL32rocblas_gemvt_warp_reduce_kernelILb0ELi1024El16rocblas_bfloat16PKfS0_EviiT3_lPKT2_lT1_lS6_lS7_lS3_lPT4_lS7_li,"axG",@progbits,_ZL32rocblas_gemvt_warp_reduce_kernelILb0ELi1024El16rocblas_bfloat16PKfS0_EviiT3_lPKT2_lT1_lS6_lS7_lS3_lPT4_lS7_li,comdat
	.globl	_ZL32rocblas_gemvt_warp_reduce_kernelILb0ELi1024El16rocblas_bfloat16PKfS0_EviiT3_lPKT2_lT1_lS6_lS7_lS3_lPT4_lS7_li ; -- Begin function _ZL32rocblas_gemvt_warp_reduce_kernelILb0ELi1024El16rocblas_bfloat16PKfS0_EviiT3_lPKT2_lT1_lS6_lS7_lS3_lPT4_lS7_li
	.p2align	8
	.type	_ZL32rocblas_gemvt_warp_reduce_kernelILb0ELi1024El16rocblas_bfloat16PKfS0_EviiT3_lPKT2_lT1_lS6_lS7_lS3_lPT4_lS7_li,@function
_ZL32rocblas_gemvt_warp_reduce_kernelILb0ELi1024El16rocblas_bfloat16PKfS0_EviiT3_lPKT2_lT1_lS6_lS7_lS3_lPT4_lS7_li: ; @_ZL32rocblas_gemvt_warp_reduce_kernelILb0ELi1024El16rocblas_bfloat16PKfS0_EviiT3_lPKT2_lT1_lS6_lS7_lS3_lPT4_lS7_li
; %bb.0:
	s_clause 0x1
	s_load_dwordx16 s[36:51], s[4:5], 0x8
	s_load_dwordx16 s[8:23], s[4:5], 0x48
	s_waitcnt lgkmcnt(0)
	s_mul_i32 s1, s39, s7
	s_mul_hi_u32 s2, s38, s7
	s_mul_i32 s0, s38, s7
	s_add_i32 s1, s2, s1
	s_mul_i32 s2, s15, s7
	s_lshl_b64 s[0:1], s[0:1], 2
	s_mul_hi_u32 s3, s14, s7
	s_add_u32 s0, s36, s0
	s_addc_u32 s1, s37, s1
	s_add_i32 s3, s3, s2
	s_mul_i32 s2, s14, s7
	s_lshl_b64 s[2:3], s[2:3], 2
	s_add_u32 s2, s12, s2
	s_addc_u32 s3, s13, s3
	s_load_dword s15, s[0:1], 0x0
	s_load_dword s14, s[2:3], 0x0
	s_mov_b32 s13, 0
	s_waitcnt lgkmcnt(0)
	v_cmp_eq_f32_e64 s0, s15, 0
	v_cmp_eq_f32_e64 s1, s14, 1.0
	s_and_b32 s0, s0, s1
	s_and_b32 vcc_lo, exec_lo, s0
	s_cbranch_vccnz .LBB569_57
; %bb.1:
	s_mul_i32 s1, s23, s7
	s_mul_hi_u32 s2, s22, s7
	s_mul_i32 s0, s22, s7
	s_add_i32 s1, s2, s1
	v_cmp_neq_f32_e64 s22, s15, 0
	s_lshl_b64 s[0:1], s[0:1], 1
	s_add_u32 s0, s16, s0
	s_addc_u32 s12, s17, s1
	s_lshl_b64 s[2:3], s[18:19], 1
	s_add_u32 s1, s0, s2
	v_cmp_eq_u32_e64 s0, 0, v0
	s_addc_u32 s12, s12, s3
	s_and_b32 vcc_lo, exec_lo, s22
	s_cbranch_vccnz .LBB569_6
; %bb.2:
	s_mov_b32 s16, 0
                                        ; implicit-def: $sgpr18
                                        ; implicit-def: $sgpr2_sgpr3
	s_and_saveexec_b32 s17, s0
	s_cbranch_execz .LBB569_7
; %bb.3:
	s_ashr_i32 s0, s6, 31
	v_cmp_eq_f32_e64 s13, s14, 0
	s_mul_hi_u32 s2, s20, s6
	s_mul_i32 s0, s20, s0
	s_mov_b32 s18, 0
	s_add_i32 s0, s2, s0
	s_mul_i32 s2, s21, s6
	s_and_b32 vcc_lo, exec_lo, s13
	s_add_i32 s3, s0, s2
	s_mul_i32 s2, s20, s6
	s_cbranch_vccnz .LBB569_12
; %bb.4:
	s_lshl_b64 s[18:19], s[2:3], 1
	v_mov_b32_e32 v1, 0
	s_add_u32 s18, s1, s18
	s_addc_u32 s19, s12, s19
	global_load_ushort v1, v1, s[18:19]
	s_waitcnt vmcnt(0)
	v_lshlrev_b32_e32 v1, 16, v1
	v_mul_f32_e32 v1, s14, v1
	v_and_b32_e32 v2, 0x7f800000, v1
	v_readfirstlane_b32 s0, v1
	v_cmp_eq_u32_e32 vcc_lo, 0x7f800000, v2
	s_cbranch_vccnz .LBB569_9
; %bb.5:
	s_bfe_u32 s13, s0, 0x10010
	s_add_i32 s13, s0, s13
	s_addk_i32 s13, 0x7fff
	s_cbranch_execz .LBB569_10
	s_branch .LBB569_11
.LBB569_6:
                                        ; implicit-def: $sgpr18
                                        ; implicit-def: $sgpr2_sgpr3
	s_cbranch_execz .LBB569_8
	s_branch .LBB569_13
.LBB569_7:
	s_or_b32 exec_lo, exec_lo, s17
	s_and_b32 vcc_lo, exec_lo, s16
	s_cbranch_vccnz .LBB569_13
.LBB569_8:
	v_mov_b32_e32 v1, s18
	s_and_saveexec_b32 s0, s13
	s_cbranch_execnz .LBB569_56
	s_branch .LBB569_57
.LBB569_9:
                                        ; implicit-def: $sgpr13
.LBB569_10:
	s_and_b32 s13, s0, 0xffff
	s_or_b32 s18, s0, 0x10000
	s_cmp_eq_u32 s13, 0
	s_cselect_b32 s13, s0, s18
.LBB569_11:
	s_lshr_b32 s18, s13, 16
.LBB569_12:
	s_mov_b32 s13, exec_lo
	s_or_b32 exec_lo, exec_lo, s17
	s_and_b32 vcc_lo, exec_lo, s16
	s_cbranch_vccz .LBB569_8
.LBB569_13:
	s_load_dword s5, s[4:5], 0x0
	s_mul_i32 s0, s11, s7
	s_mul_i32 s3, s47, s7
	s_mul_hi_u32 s11, s46, s7
	s_mul_i32 s2, s46, s7
	s_add_i32 s3, s11, s3
	s_mul_hi_u32 s4, s10, s7
	s_lshl_b64 s[16:17], s[2:3], 1
	s_add_i32 s3, s4, s0
	s_add_u32 s0, s40, s16
	s_addc_u32 s2, s41, s17
	s_lshl_b64 s[16:17], s[42:43], 1
	s_mul_hi_u32 s4, s44, s6
	s_add_u32 s0, s0, s16
	s_addc_u32 s2, s2, s17
	s_ashr_i32 s16, s6, 31
	s_mul_i32 s11, s45, s6
	s_mul_i32 s17, s44, s16
	;; [unrolled: 1-line block ×3, first 2 shown]
	s_add_i32 s4, s4, s17
	s_waitcnt lgkmcnt(0)
	v_cmp_gt_i32_e32 vcc_lo, s5, v0
	s_add_i32 s19, s4, s11
	s_ashr_i32 s4, s5, 31
	s_lshl_b64 s[18:19], s[18:19], 1
	s_lshr_b32 s4, s4, 22
	v_cndmask_b32_e32 v1, 0, v0, vcc_lo
	v_mov_b32_e32 v7, 0
	s_add_i32 s4, s5, s4
	s_mov_b32 s17, 0
	s_and_b32 s4, s4, 0xfffffc00
	v_lshlrev_b32_e32 v1, 1, v1
	v_add_co_u32 v1, s0, s0, v1
	v_add_co_ci_u32_e64 v2, null, s2, 0, s0
	s_mul_i32 s2, s10, s7
	v_add_co_u32 v1, vcc_lo, v1, s18
	v_add_co_ci_u32_e64 v2, null, s19, v2, vcc_lo
	s_mov_b32 s7, exec_lo
	v_cmpx_gt_i32_e64 s4, v0
	s_cbranch_execz .LBB569_21
; %bb.14:
	v_mad_u64_u32 v[5:6], null, s8, v0, 0
	s_lshl_b64 s[18:19], s[50:51], 1
	s_lshl_b64 s[10:11], s[2:3], 1
	s_add_u32 s0, s48, s18
	s_addc_u32 s18, s49, s19
	s_add_u32 s0, s0, s10
	s_addc_u32 s10, s18, s11
	v_mov_b32_e32 v3, v6
	v_mov_b32_e32 v8, 0
	;; [unrolled: 1-line block ×4, first 2 shown]
	v_mad_u64_u32 v[3:4], null, s9, v0, v[3:4]
	v_mov_b32_e32 v6, v3
	v_mov_b32_e32 v4, v2
	;; [unrolled: 1-line block ×3, first 2 shown]
	v_lshlrev_b64 v[5:6], 1, v[5:6]
	v_add_co_u32 v5, vcc_lo, s0, v5
	v_add_co_ci_u32_e64 v6, null, s10, v6, vcc_lo
	s_lshl_b64 s[10:11], s[8:9], 11
	s_inst_prefetch 0x1
	s_branch .LBB569_16
	.p2align	6
.LBB569_15:                             ;   in Loop: Header=BB569_16 Depth=1
	s_or_b32 exec_lo, exec_lo, s0
	v_add_nc_u32_e32 v9, 0x400, v9
	v_and_b32_e32 v10, 0xffff0000, v11
	v_add_co_u32 v3, vcc_lo, 0x800, v3
	v_add_co_ci_u32_e64 v4, null, 0, v4, vcc_lo
	v_cmp_le_i32_e32 vcc_lo, s4, v9
	v_add_co_u32 v5, s0, v5, s10
	v_add_f32_e32 v7, v7, v10
	v_add_co_ci_u32_e64 v6, null, s11, v6, s0
	s_or_b32 s17, vcc_lo, s17
	s_andn2_b32 exec_lo, exec_lo, s17
	s_cbranch_execz .LBB569_20
.LBB569_16:                             ; =>This Inner Loop Header: Depth=1
	global_load_ushort v10, v[5:6], off
	global_load_ushort v11, v[3:4], off
	s_waitcnt vmcnt(1)
	v_lshlrev_b32_e32 v10, 16, v10
	s_waitcnt vmcnt(0)
	v_lshlrev_b32_e32 v11, 16, v11
	v_mul_f32_e32 v10, v11, v10
	v_and_b32_e32 v11, 0x7f800000, v10
	v_cmp_ne_u32_e32 vcc_lo, 0x7f800000, v11
                                        ; implicit-def: $vgpr11
	s_and_saveexec_b32 s0, vcc_lo
	s_xor_b32 s0, exec_lo, s0
; %bb.17:                               ;   in Loop: Header=BB569_16 Depth=1
	v_bfe_u32 v11, v10, 16, 1
	v_add3_u32 v11, v10, v11, 0x7fff
                                        ; implicit-def: $vgpr10
; %bb.18:                               ;   in Loop: Header=BB569_16 Depth=1
	s_andn2_saveexec_b32 s0, s0
	s_cbranch_execz .LBB569_15
; %bb.19:                               ;   in Loop: Header=BB569_16 Depth=1
	v_or_b32_e32 v11, 0x10000, v10
	v_cmp_eq_u32_sdwa vcc_lo, v10, v8 src0_sel:WORD_0 src1_sel:DWORD
	v_cndmask_b32_e32 v11, v11, v10, vcc_lo
	s_branch .LBB569_15
.LBB569_20:
	s_inst_prefetch 0x2
	s_or_b32 exec_lo, exec_lo, s17
.LBB569_21:
	s_or_b32 exec_lo, exec_lo, s7
	v_or_b32_e32 v3, s4, v0
	s_mov_b32 s0, exec_lo
	v_cmpx_gt_i32_e64 s5, v3
	s_cbranch_execz .LBB569_27
; %bb.22:
	v_ashrrev_i32_e32 v5, 31, v3
	v_mul_lo_u32 v6, s9, v3
	v_mad_u64_u32 v[3:4], null, s8, v3, 0
	s_lshl_b64 s[2:3], s[2:3], 1
	v_mul_lo_u32 v5, s8, v5
	s_add_u32 s5, s48, s2
	s_addc_u32 s7, s49, s3
	s_lshl_b64 s[2:3], s[50:51], 1
	s_add_u32 s8, s5, s2
	s_addc_u32 s7, s7, s3
	s_ashr_i32 s5, s4, 31
	v_add3_u32 v4, v4, v5, v6
	s_lshl_b64 s[2:3], s[4:5], 1
	v_lshlrev_b64 v[3:4], 1, v[3:4]
	v_add_co_u32 v3, vcc_lo, s8, v3
	v_add_co_ci_u32_e64 v4, null, s7, v4, vcc_lo
	v_add_co_u32 v1, vcc_lo, v1, s2
	v_add_co_ci_u32_e64 v2, null, s3, v2, vcc_lo
	global_load_ushort v3, v[3:4], off
	global_load_ushort v1, v[1:2], off
	s_waitcnt vmcnt(1)
	v_lshlrev_b32_e32 v2, 16, v3
	s_waitcnt vmcnt(0)
	v_lshlrev_b32_e32 v1, 16, v1
	v_mul_f32_e32 v1, v1, v2
	v_and_b32_e32 v2, 0x7f800000, v1
	v_cmp_ne_u32_e32 vcc_lo, 0x7f800000, v2
                                        ; implicit-def: $vgpr2
	s_and_saveexec_b32 s2, vcc_lo
	s_xor_b32 s2, exec_lo, s2
; %bb.23:
	v_bfe_u32 v2, v1, 16, 1
	v_add3_u32 v2, v1, v2, 0x7fff
                                        ; implicit-def: $vgpr1
; %bb.24:
	s_andn2_saveexec_b32 s2, s2
; %bb.25:
	v_mov_b32_e32 v2, 0
	v_or_b32_e32 v3, 0x10000, v1
	v_cmp_eq_u32_sdwa vcc_lo, v1, v2 src0_sel:WORD_0 src1_sel:DWORD
	v_cndmask_b32_e32 v2, v3, v1, vcc_lo
; %bb.26:
	s_or_b32 exec_lo, exec_lo, s2
	v_and_b32_e32 v1, 0xffff0000, v2
	v_add_f32_e32 v7, v7, v1
.LBB569_27:
	s_or_b32 exec_lo, exec_lo, s0
	v_and_b32_e32 v8, 31, v0
	v_cmp_gt_u32_e32 vcc_lo, 32, v0
	v_lshlrev_b32_e32 v1, 2, v8
	s_and_saveexec_b32 s0, vcc_lo
; %bb.28:
	v_mov_b32_e32 v2, 0
	ds_write_b32 v1, v2
; %bb.29:
	s_or_b32 exec_lo, exec_lo, s0
	v_mbcnt_lo_u32_b32 v6, -1, 0
	s_mov_b32 s2, exec_lo
	s_waitcnt lgkmcnt(0)
	s_barrier
	buffer_gl0_inv
	v_lshl_or_b32 v2, v6, 2, 64
	v_cmp_gt_u32_e64 s0, 24, v6
	ds_bpermute_b32 v4, v2, v7
	v_cndmask_b32_e64 v3, 0, 8, s0
	v_cmp_gt_u32_e64 s0, 28, v6
	v_add_lshl_u32 v3, v3, v6, 2
	s_waitcnt lgkmcnt(0)
	v_add_f32_e32 v5, v7, v4
	v_cndmask_b32_e64 v4, 0, 4, s0
	v_cmp_gt_u32_e64 s0, 30, v6
	ds_bpermute_b32 v7, v3, v5
	v_add_lshl_u32 v4, v4, v6, 2
	s_waitcnt lgkmcnt(0)
	v_add_f32_e32 v7, v5, v7
	v_cndmask_b32_e64 v5, 0, 2, s0
	v_cmp_ne_u32_e64 s0, 31, v6
	ds_bpermute_b32 v9, v4, v7
	v_add_lshl_u32 v5, v5, v6, 2
	v_add_co_ci_u32_e64 v6, null, 0, v6, s0
	v_lshlrev_b32_e32 v6, 2, v6
	s_waitcnt lgkmcnt(0)
	v_add_f32_e32 v7, v7, v9
	ds_bpermute_b32 v9, v5, v7
	s_waitcnt lgkmcnt(0)
	v_add_f32_e32 v7, v7, v9
	ds_bpermute_b32 v9, v6, v7
	v_cmpx_eq_u32_e32 0, v8
	s_cbranch_execz .LBB569_31
; %bb.30:
	v_lshrrev_b32_e32 v8, 3, v0
	s_waitcnt lgkmcnt(0)
	v_add_f32_e32 v7, v7, v9
	v_and_b32_e32 v8, 0x7c, v8
	ds_write_b32 v8, v7
.LBB569_31:
	s_or_b32 exec_lo, exec_lo, s2
	v_mov_b32_e32 v7, 0
	s_waitcnt lgkmcnt(0)
	s_barrier
	buffer_gl0_inv
	s_and_saveexec_b32 s0, vcc_lo
; %bb.32:
	ds_read_b32 v7, v1
; %bb.33:
	s_or_b32 exec_lo, exec_lo, s0
	s_and_saveexec_b32 s0, vcc_lo
	s_cbranch_execz .LBB569_35
; %bb.34:
	s_waitcnt lgkmcnt(0)
	ds_bpermute_b32 v1, v2, v7
	s_waitcnt lgkmcnt(0)
	v_add_f32_e32 v1, v7, v1
	ds_bpermute_b32 v2, v3, v1
	s_waitcnt lgkmcnt(0)
	v_add_f32_e32 v1, v1, v2
	;; [unrolled: 3-line block ×5, first 2 shown]
.LBB569_35:
	s_or_b32 exec_lo, exec_lo, s0
	s_mov_b32 s0, exec_lo
                                        ; implicit-def: $vgpr1
                                        ; implicit-def: $sgpr2_sgpr3
	v_cmpx_eq_u32_e32 0, v0
	s_cbranch_execz .LBB569_55
; %bb.36:
	v_cmp_eq_f32_e64 s2, s14, 0
	s_waitcnt lgkmcnt(0)
	v_mul_f32_e32 v0, s15, v7
	s_and_b32 vcc_lo, exec_lo, s2
	s_cbranch_vccz .LBB569_42
; %bb.37:
	v_and_b32_e32 v1, 0x7f800000, v0
	v_cmp_ne_u32_e32 vcc_lo, 0x7f800000, v1
                                        ; implicit-def: $vgpr1
	s_and_saveexec_b32 s2, vcc_lo
	s_xor_b32 s2, exec_lo, s2
; %bb.38:
	v_bfe_u32 v1, v0, 16, 1
	v_add3_u32 v1, v0, v1, 0x7fff
; %bb.39:
	s_andn2_saveexec_b32 s2, s2
; %bb.40:
	v_mov_b32_e32 v1, 0
	v_or_b32_e32 v2, 0x10000, v0
	v_cmp_eq_u32_sdwa vcc_lo, v0, v1 src0_sel:WORD_0 src1_sel:DWORD
	v_cndmask_b32_e32 v1, v2, v0, vcc_lo
; %bb.41:
	s_or_b32 exec_lo, exec_lo, s2
	s_mov_b32 s2, 0
	s_branch .LBB569_43
.LBB569_42:
	s_mov_b32 s2, -1
                                        ; implicit-def: $vgpr1
.LBB569_43:
	s_mul_i32 s4, s20, s16
	s_mul_hi_u32 s5, s20, s6
	s_andn2_b32 vcc_lo, exec_lo, s2
	s_mul_i32 s7, s21, s6
	s_mul_i32 s2, s20, s6
	s_cbranch_vccnz .LBB569_54
; %bb.44:
	s_add_i32 s3, s5, s4
	v_mov_b32_e32 v1, 0
	s_add_i32 s3, s3, s7
	s_lshl_b64 s[8:9], s[2:3], 1
	s_add_u32 s8, s1, s8
	s_addc_u32 s9, s12, s9
	global_load_ushort v1, v1, s[8:9]
	s_waitcnt vmcnt(0)
	v_lshlrev_b32_e32 v1, 16, v1
	v_mul_f32_e32 v1, s14, v1
	v_and_b32_e32 v2, 0x7f800000, v1
	v_readfirstlane_b32 s3, v1
	v_cmp_eq_u32_e32 vcc_lo, 0x7f800000, v2
	s_cbranch_vccnz .LBB569_46
; %bb.45:
	s_bfe_u32 s6, s3, 0x10010
	s_mov_b32 s8, 0
	s_add_i32 s6, s3, s6
	s_addk_i32 s6, 0x7fff
	s_branch .LBB569_47
.LBB569_46:
	s_mov_b32 s8, -1
                                        ; implicit-def: $sgpr6
.LBB569_47:
	s_andn2_b32 vcc_lo, exec_lo, s8
	s_cbranch_vccnz .LBB569_49
; %bb.48:
	s_and_b32 s6, s3, 0xffff
	s_or_b32 s8, s3, 0x10000
	s_cmp_eq_u32 s6, 0
	s_cselect_b32 s6, s3, s8
.LBB569_49:
	s_and_b32 s3, s6, 0xffff0000
	v_add_f32_e32 v0, s3, v0
	v_and_b32_e32 v1, 0x7f800000, v0
	v_cmp_ne_u32_e32 vcc_lo, 0x7f800000, v1
                                        ; implicit-def: $vgpr1
	s_and_saveexec_b32 s3, vcc_lo
	s_xor_b32 s3, exec_lo, s3
; %bb.50:
	v_bfe_u32 v1, v0, 16, 1
	v_add3_u32 v1, v0, v1, 0x7fff
                                        ; implicit-def: $vgpr0
; %bb.51:
	s_andn2_saveexec_b32 s3, s3
; %bb.52:
	v_mov_b32_e32 v1, 0
	v_or_b32_e32 v2, 0x10000, v0
	v_cmp_eq_u32_sdwa vcc_lo, v0, v1 src0_sel:WORD_0 src1_sel:DWORD
	v_cndmask_b32_e32 v1, v2, v0, vcc_lo
; %bb.53:
	s_or_b32 exec_lo, exec_lo, s3
.LBB569_54:
	v_lshrrev_b32_e32 v1, 16, v1
	s_add_i32 s3, s5, s4
	s_or_b32 s13, s13, exec_lo
	s_add_i32 s3, s3, s7
.LBB569_55:
	s_or_b32 exec_lo, exec_lo, s0
	s_and_saveexec_b32 s0, s13
	s_cbranch_execz .LBB569_57
.LBB569_56:
	s_lshl_b64 s[2:3], s[2:3], 1
	v_mov_b32_e32 v0, 0
	s_add_u32 s0, s1, s2
	s_addc_u32 s1, s12, s3
	global_store_short v0, v1, s[0:1]
.LBB569_57:
	s_endpgm
	.section	.rodata,"a",@progbits
	.p2align	6, 0x0
	.amdhsa_kernel _ZL32rocblas_gemvt_warp_reduce_kernelILb0ELi1024El16rocblas_bfloat16PKfS0_EviiT3_lPKT2_lT1_lS6_lS7_lS3_lPT4_lS7_li
		.amdhsa_group_segment_fixed_size 128
		.amdhsa_private_segment_fixed_size 0
		.amdhsa_kernarg_size 140
		.amdhsa_user_sgpr_count 6
		.amdhsa_user_sgpr_private_segment_buffer 1
		.amdhsa_user_sgpr_dispatch_ptr 0
		.amdhsa_user_sgpr_queue_ptr 0
		.amdhsa_user_sgpr_kernarg_segment_ptr 1
		.amdhsa_user_sgpr_dispatch_id 0
		.amdhsa_user_sgpr_flat_scratch_init 0
		.amdhsa_user_sgpr_private_segment_size 0
		.amdhsa_wavefront_size32 1
		.amdhsa_uses_dynamic_stack 0
		.amdhsa_system_sgpr_private_segment_wavefront_offset 0
		.amdhsa_system_sgpr_workgroup_id_x 1
		.amdhsa_system_sgpr_workgroup_id_y 0
		.amdhsa_system_sgpr_workgroup_id_z 1
		.amdhsa_system_sgpr_workgroup_info 0
		.amdhsa_system_vgpr_workitem_id 0
		.amdhsa_next_free_vgpr 12
		.amdhsa_next_free_sgpr 52
		.amdhsa_reserve_vcc 1
		.amdhsa_reserve_flat_scratch 0
		.amdhsa_float_round_mode_32 0
		.amdhsa_float_round_mode_16_64 0
		.amdhsa_float_denorm_mode_32 3
		.amdhsa_float_denorm_mode_16_64 3
		.amdhsa_dx10_clamp 1
		.amdhsa_ieee_mode 1
		.amdhsa_fp16_overflow 0
		.amdhsa_workgroup_processor_mode 1
		.amdhsa_memory_ordered 1
		.amdhsa_forward_progress 1
		.amdhsa_shared_vgpr_count 0
		.amdhsa_exception_fp_ieee_invalid_op 0
		.amdhsa_exception_fp_denorm_src 0
		.amdhsa_exception_fp_ieee_div_zero 0
		.amdhsa_exception_fp_ieee_overflow 0
		.amdhsa_exception_fp_ieee_underflow 0
		.amdhsa_exception_fp_ieee_inexact 0
		.amdhsa_exception_int_div_zero 0
	.end_amdhsa_kernel
	.section	.text._ZL32rocblas_gemvt_warp_reduce_kernelILb0ELi1024El16rocblas_bfloat16PKfS0_EviiT3_lPKT2_lT1_lS6_lS7_lS3_lPT4_lS7_li,"axG",@progbits,_ZL32rocblas_gemvt_warp_reduce_kernelILb0ELi1024El16rocblas_bfloat16PKfS0_EviiT3_lPKT2_lT1_lS6_lS7_lS3_lPT4_lS7_li,comdat
.Lfunc_end569:
	.size	_ZL32rocblas_gemvt_warp_reduce_kernelILb0ELi1024El16rocblas_bfloat16PKfS0_EviiT3_lPKT2_lT1_lS6_lS7_lS3_lPT4_lS7_li, .Lfunc_end569-_ZL32rocblas_gemvt_warp_reduce_kernelILb0ELi1024El16rocblas_bfloat16PKfS0_EviiT3_lPKT2_lT1_lS6_lS7_lS3_lPT4_lS7_li
                                        ; -- End function
	.set _ZL32rocblas_gemvt_warp_reduce_kernelILb0ELi1024El16rocblas_bfloat16PKfS0_EviiT3_lPKT2_lT1_lS6_lS7_lS3_lPT4_lS7_li.num_vgpr, 12
	.set _ZL32rocblas_gemvt_warp_reduce_kernelILb0ELi1024El16rocblas_bfloat16PKfS0_EviiT3_lPKT2_lT1_lS6_lS7_lS3_lPT4_lS7_li.num_agpr, 0
	.set _ZL32rocblas_gemvt_warp_reduce_kernelILb0ELi1024El16rocblas_bfloat16PKfS0_EviiT3_lPKT2_lT1_lS6_lS7_lS3_lPT4_lS7_li.numbered_sgpr, 52
	.set _ZL32rocblas_gemvt_warp_reduce_kernelILb0ELi1024El16rocblas_bfloat16PKfS0_EviiT3_lPKT2_lT1_lS6_lS7_lS3_lPT4_lS7_li.num_named_barrier, 0
	.set _ZL32rocblas_gemvt_warp_reduce_kernelILb0ELi1024El16rocblas_bfloat16PKfS0_EviiT3_lPKT2_lT1_lS6_lS7_lS3_lPT4_lS7_li.private_seg_size, 0
	.set _ZL32rocblas_gemvt_warp_reduce_kernelILb0ELi1024El16rocblas_bfloat16PKfS0_EviiT3_lPKT2_lT1_lS6_lS7_lS3_lPT4_lS7_li.uses_vcc, 1
	.set _ZL32rocblas_gemvt_warp_reduce_kernelILb0ELi1024El16rocblas_bfloat16PKfS0_EviiT3_lPKT2_lT1_lS6_lS7_lS3_lPT4_lS7_li.uses_flat_scratch, 0
	.set _ZL32rocblas_gemvt_warp_reduce_kernelILb0ELi1024El16rocblas_bfloat16PKfS0_EviiT3_lPKT2_lT1_lS6_lS7_lS3_lPT4_lS7_li.has_dyn_sized_stack, 0
	.set _ZL32rocblas_gemvt_warp_reduce_kernelILb0ELi1024El16rocblas_bfloat16PKfS0_EviiT3_lPKT2_lT1_lS6_lS7_lS3_lPT4_lS7_li.has_recursion, 0
	.set _ZL32rocblas_gemvt_warp_reduce_kernelILb0ELi1024El16rocblas_bfloat16PKfS0_EviiT3_lPKT2_lT1_lS6_lS7_lS3_lPT4_lS7_li.has_indirect_call, 0
	.section	.AMDGPU.csdata,"",@progbits
; Kernel info:
; codeLenInByte = 2048
; TotalNumSgprs: 54
; NumVgprs: 12
; ScratchSize: 0
; MemoryBound: 0
; FloatMode: 240
; IeeeMode: 1
; LDSByteSize: 128 bytes/workgroup (compile time only)
; SGPRBlocks: 0
; VGPRBlocks: 1
; NumSGPRsForWavesPerEU: 54
; NumVGPRsForWavesPerEU: 12
; Occupancy: 16
; WaveLimiterHint : 0
; COMPUTE_PGM_RSRC2:SCRATCH_EN: 0
; COMPUTE_PGM_RSRC2:USER_SGPR: 6
; COMPUTE_PGM_RSRC2:TRAP_HANDLER: 0
; COMPUTE_PGM_RSRC2:TGID_X_EN: 1
; COMPUTE_PGM_RSRC2:TGID_Y_EN: 0
; COMPUTE_PGM_RSRC2:TGID_Z_EN: 1
; COMPUTE_PGM_RSRC2:TIDIG_COMP_CNT: 0
	.section	.text._ZL32rocblas_gemvt_warp_reduce_kernelILb0ELi1024Ei16rocblas_bfloat16fS0_EviiT3_lPKT2_lT1_lS4_lS5_lS1_lPT4_lS5_li,"axG",@progbits,_ZL32rocblas_gemvt_warp_reduce_kernelILb0ELi1024Ei16rocblas_bfloat16fS0_EviiT3_lPKT2_lT1_lS4_lS5_lS1_lPT4_lS5_li,comdat
	.globl	_ZL32rocblas_gemvt_warp_reduce_kernelILb0ELi1024Ei16rocblas_bfloat16fS0_EviiT3_lPKT2_lT1_lS4_lS5_lS1_lPT4_lS5_li ; -- Begin function _ZL32rocblas_gemvt_warp_reduce_kernelILb0ELi1024Ei16rocblas_bfloat16fS0_EviiT3_lPKT2_lT1_lS4_lS5_lS1_lPT4_lS5_li
	.p2align	8
	.type	_ZL32rocblas_gemvt_warp_reduce_kernelILb0ELi1024Ei16rocblas_bfloat16fS0_EviiT3_lPKT2_lT1_lS4_lS5_lS1_lPT4_lS5_li,@function
_ZL32rocblas_gemvt_warp_reduce_kernelILb0ELi1024Ei16rocblas_bfloat16fS0_EviiT3_lPKT2_lT1_lS4_lS5_lS1_lPT4_lS5_li: ; @_ZL32rocblas_gemvt_warp_reduce_kernelILb0ELi1024Ei16rocblas_bfloat16fS0_EviiT3_lPKT2_lT1_lS4_lS5_lS1_lPT4_lS5_li
; %bb.0:
	s_clause 0x1
	s_load_dword s13, s[4:5], 0x8
	s_load_dword s11, s[4:5], 0x58
	s_mov_b32 s10, 0
	s_waitcnt lgkmcnt(0)
	v_cmp_eq_f32_e64 s0, s13, 0
	v_cmp_eq_f32_e64 s1, s11, 1.0
	s_and_b32 s0, s0, s1
	s_and_b32 vcc_lo, exec_lo, s0
	s_cbranch_vccnz .LBB570_56
; %bb.1:
	s_clause 0x2
	s_load_dwordx2 s[8:9], s[4:5], 0x80
	s_load_dwordx4 s[0:3], s[4:5], 0x68
	s_load_dword s12, s[4:5], 0x78
	s_waitcnt lgkmcnt(0)
	s_mul_i32 s9, s9, s7
	s_mul_hi_u32 s14, s8, s7
	s_mul_i32 s8, s8, s7
	s_add_i32 s9, s14, s9
	v_cmp_neq_f32_e64 s14, s13, 0
	s_lshl_b64 s[8:9], s[8:9], 1
	s_add_u32 s8, s0, s8
	s_addc_u32 s9, s1, s9
	s_lshl_b64 s[0:1], s[2:3], 1
	s_add_u32 s8, s8, s0
	v_cmp_eq_u32_e64 s0, 0, v0
	s_addc_u32 s9, s9, s1
	s_and_b32 vcc_lo, exec_lo, s14
	s_cbranch_vccnz .LBB570_6
; %bb.2:
	s_mov_b32 s1, 0
                                        ; implicit-def: $sgpr15
                                        ; implicit-def: $sgpr2_sgpr3
	s_and_saveexec_b32 s14, s0
	s_cbranch_execz .LBB570_7
; %bb.3:
	v_cmp_eq_f32_e64 s0, s11, 0
	s_mul_i32 s2, s12, s6
	s_mov_b32 s15, 0
	s_ashr_i32 s3, s2, 31
	s_and_b32 vcc_lo, exec_lo, s0
	s_cbranch_vccnz .LBB570_12
; %bb.4:
	s_lshl_b64 s[16:17], s[2:3], 1
	v_mov_b32_e32 v1, 0
	s_add_u32 s16, s8, s16
	s_addc_u32 s17, s9, s17
	global_load_ushort v1, v1, s[16:17]
	s_waitcnt vmcnt(0)
	v_lshlrev_b32_e32 v1, 16, v1
	v_mul_f32_e32 v1, s11, v1
	v_and_b32_e32 v2, 0x7f800000, v1
	v_readfirstlane_b32 s0, v1
	v_cmp_eq_u32_e32 vcc_lo, 0x7f800000, v2
	s_cbranch_vccnz .LBB570_9
; %bb.5:
	s_bfe_u32 s10, s0, 0x10010
	s_add_i32 s10, s0, s10
	s_addk_i32 s10, 0x7fff
	s_andn2_b32 vcc_lo, exec_lo, s15
	s_cbranch_vccz .LBB570_10
	s_branch .LBB570_11
.LBB570_6:
                                        ; implicit-def: $sgpr15
                                        ; implicit-def: $sgpr2_sgpr3
	s_cbranch_execz .LBB570_8
	s_branch .LBB570_13
.LBB570_7:
	s_or_b32 exec_lo, exec_lo, s14
	s_and_b32 vcc_lo, exec_lo, s1
	s_cbranch_vccnz .LBB570_13
.LBB570_8:
	v_mov_b32_e32 v1, s15
	s_and_saveexec_b32 s0, s10
	s_cbranch_execnz .LBB570_55
	s_branch .LBB570_56
.LBB570_9:
                                        ; implicit-def: $sgpr10
.LBB570_10:
	s_and_b32 s10, s0, 0xffff
	s_or_b32 s15, s0, 0x10000
	s_cmp_eq_u32 s10, 0
	s_cselect_b32 s10, s0, s15
.LBB570_11:
	s_lshr_b32 s15, s10, 16
.LBB570_12:
	s_mov_b32 s10, exec_lo
	s_or_b32 exec_lo, exec_lo, s14
	s_and_b32 vcc_lo, exec_lo, s1
	s_cbranch_vccz .LBB570_8
.LBB570_13:
	s_clause 0x6
	s_load_dwordx2 s[20:21], s[4:5], 0x50
	s_load_dwordx4 s[16:19], s[4:5], 0x30
	s_load_dwordx2 s[22:23], s[4:5], 0x40
	s_load_dword s14, s[4:5], 0x0
	s_load_dwordx4 s[0:3], s[4:5], 0x18
	s_load_dword s15, s[4:5], 0x28
	s_load_dword s4, s[4:5], 0x48
	v_mov_b32_e32 v7, 0
	s_waitcnt lgkmcnt(0)
	s_mul_i32 s5, s21, s7
	s_mul_hi_u32 s21, s20, s7
	s_mul_i32 s20, s20, s7
	s_add_i32 s21, s21, s5
	v_cmp_gt_i32_e32 vcc_lo, s14, v0
	s_lshl_b64 s[20:21], s[20:21], 1
	s_mul_i32 s17, s17, s7
	s_add_u32 s5, s18, s20
	s_addc_u32 s20, s19, s21
	s_lshl_b64 s[18:19], s[22:23], 1
	s_mul_hi_u32 s24, s16, s7
	s_add_u32 s5, s5, s18
	v_cndmask_b32_e32 v1, 0, v0, vcc_lo
	s_mul_i32 s16, s16, s7
	s_addc_u32 s7, s20, s19
	s_add_i32 s17, s24, s17
	s_mul_i32 s18, s15, s6
	s_lshl_b64 s[16:17], s[16:17], 1
	v_lshlrev_b32_e32 v1, 1, v1
	s_add_u32 s15, s0, s16
	s_addc_u32 s16, s1, s17
	s_lshl_b64 s[0:1], s[2:3], 1
	s_mov_b32 s3, 0
	s_add_u32 s0, s15, s0
	s_addc_u32 s1, s16, s1
	v_add_co_u32 v1, s0, s0, v1
	s_ashr_i32 s19, s18, 31
	v_add_co_ci_u32_e64 v2, null, s1, 0, s0
	s_lshl_b64 s[0:1], s[18:19], 1
	s_ashr_i32 s2, s14, 31
	v_add_co_u32 v1, vcc_lo, v1, s0
	s_lshr_b32 s2, s2, 22
	v_add_co_ci_u32_e64 v2, null, s1, v2, vcc_lo
	s_add_i32 s2, s14, s2
	s_mov_b32 s1, exec_lo
	s_and_b32 s2, s2, 0xfffffc00
	v_cmpx_gt_i32_e64 s2, v0
	s_cbranch_execz .LBB570_21
; %bb.14:
	v_mul_lo_u32 v3, v0, s4
	v_mov_b32_e32 v6, v2
	v_mov_b32_e32 v8, 0
	;; [unrolled: 1-line block ×5, first 2 shown]
	s_lshl_b32 s15, s4, 10
	s_branch .LBB570_16
.LBB570_15:                             ;   in Loop: Header=BB570_16 Depth=1
	s_or_b32 exec_lo, exec_lo, s0
	v_add_nc_u32_e32 v9, 0x400, v9
	v_and_b32_e32 v4, 0xffff0000, v10
	v_add_co_u32 v5, s0, 0x800, v5
	v_add_nc_u32_e32 v3, s15, v3
	v_cmp_le_i32_e32 vcc_lo, s2, v9
	v_add_f32_e32 v7, v7, v4
	v_add_co_ci_u32_e64 v6, null, 0, v6, s0
	s_or_b32 s3, vcc_lo, s3
	s_andn2_b32 exec_lo, exec_lo, s3
	s_cbranch_execz .LBB570_20
.LBB570_16:                             ; =>This Inner Loop Header: Depth=1
	v_ashrrev_i32_e32 v4, 31, v3
	v_lshlrev_b64 v[10:11], 1, v[3:4]
	v_add_co_u32 v10, vcc_lo, s5, v10
	v_add_co_ci_u32_e64 v11, null, s7, v11, vcc_lo
	global_load_ushort v4, v[5:6], off
	global_load_ushort v10, v[10:11], off
	s_waitcnt vmcnt(1)
	v_lshlrev_b32_e32 v4, 16, v4
	s_waitcnt vmcnt(0)
	v_lshlrev_b32_e32 v10, 16, v10
	v_mul_f32_e32 v4, v4, v10
	v_and_b32_e32 v10, 0x7f800000, v4
	v_cmp_ne_u32_e32 vcc_lo, 0x7f800000, v10
                                        ; implicit-def: $vgpr10
	s_and_saveexec_b32 s0, vcc_lo
	s_xor_b32 s0, exec_lo, s0
; %bb.17:                               ;   in Loop: Header=BB570_16 Depth=1
	v_bfe_u32 v10, v4, 16, 1
	v_add3_u32 v10, v4, v10, 0x7fff
                                        ; implicit-def: $vgpr4
; %bb.18:                               ;   in Loop: Header=BB570_16 Depth=1
	s_andn2_saveexec_b32 s0, s0
	s_cbranch_execz .LBB570_15
; %bb.19:                               ;   in Loop: Header=BB570_16 Depth=1
	v_or_b32_e32 v10, 0x10000, v4
	v_cmp_eq_u32_sdwa vcc_lo, v4, v8 src0_sel:WORD_0 src1_sel:DWORD
	v_cndmask_b32_e32 v10, v10, v4, vcc_lo
	s_branch .LBB570_15
.LBB570_20:
	s_or_b32 exec_lo, exec_lo, s3
.LBB570_21:
	s_or_b32 exec_lo, exec_lo, s1
	v_or_b32_e32 v3, s2, v0
	s_mov_b32 s0, exec_lo
	v_cmpx_gt_i32_e64 s14, v3
	s_cbranch_execz .LBB570_27
; %bb.22:
	v_mul_lo_u32 v3, s4, v3
	s_ashr_i32 s3, s2, 31
	s_lshl_b64 s[2:3], s[2:3], 1
	v_ashrrev_i32_e32 v4, 31, v3
	v_lshlrev_b64 v[3:4], 1, v[3:4]
	v_add_co_u32 v3, vcc_lo, s5, v3
	v_add_co_ci_u32_e64 v4, null, s7, v4, vcc_lo
	v_add_co_u32 v1, vcc_lo, v1, s2
	v_add_co_ci_u32_e64 v2, null, s3, v2, vcc_lo
	global_load_ushort v3, v[3:4], off
	global_load_ushort v1, v[1:2], off
	s_waitcnt vmcnt(1)
	v_lshlrev_b32_e32 v2, 16, v3
	s_waitcnt vmcnt(0)
	v_lshlrev_b32_e32 v1, 16, v1
	v_mul_f32_e32 v1, v1, v2
	v_and_b32_e32 v2, 0x7f800000, v1
	v_cmp_ne_u32_e32 vcc_lo, 0x7f800000, v2
                                        ; implicit-def: $vgpr2
	s_and_saveexec_b32 s1, vcc_lo
	s_xor_b32 s1, exec_lo, s1
; %bb.23:
	v_bfe_u32 v2, v1, 16, 1
	v_add3_u32 v2, v1, v2, 0x7fff
                                        ; implicit-def: $vgpr1
; %bb.24:
	s_andn2_saveexec_b32 s1, s1
; %bb.25:
	v_mov_b32_e32 v2, 0
	v_or_b32_e32 v3, 0x10000, v1
	v_cmp_eq_u32_sdwa vcc_lo, v1, v2 src0_sel:WORD_0 src1_sel:DWORD
	v_cndmask_b32_e32 v2, v3, v1, vcc_lo
; %bb.26:
	s_or_b32 exec_lo, exec_lo, s1
	v_and_b32_e32 v1, 0xffff0000, v2
	v_add_f32_e32 v7, v7, v1
.LBB570_27:
	s_or_b32 exec_lo, exec_lo, s0
	v_and_b32_e32 v8, 31, v0
	v_cmp_gt_u32_e32 vcc_lo, 32, v0
	v_lshlrev_b32_e32 v1, 2, v8
	s_and_saveexec_b32 s0, vcc_lo
; %bb.28:
	v_mov_b32_e32 v2, 0
	ds_write_b32 v1, v2
; %bb.29:
	s_or_b32 exec_lo, exec_lo, s0
	v_mbcnt_lo_u32_b32 v6, -1, 0
	s_mov_b32 s1, exec_lo
	s_waitcnt lgkmcnt(0)
	s_barrier
	buffer_gl0_inv
	v_lshl_or_b32 v2, v6, 2, 64
	v_cmp_gt_u32_e64 s0, 24, v6
	ds_bpermute_b32 v4, v2, v7
	v_cndmask_b32_e64 v3, 0, 8, s0
	v_cmp_gt_u32_e64 s0, 28, v6
	v_add_lshl_u32 v3, v3, v6, 2
	s_waitcnt lgkmcnt(0)
	v_add_f32_e32 v5, v7, v4
	v_cndmask_b32_e64 v4, 0, 4, s0
	v_cmp_gt_u32_e64 s0, 30, v6
	ds_bpermute_b32 v7, v3, v5
	v_add_lshl_u32 v4, v4, v6, 2
	s_waitcnt lgkmcnt(0)
	v_add_f32_e32 v7, v5, v7
	v_cndmask_b32_e64 v5, 0, 2, s0
	v_cmp_ne_u32_e64 s0, 31, v6
	ds_bpermute_b32 v9, v4, v7
	v_add_lshl_u32 v5, v5, v6, 2
	v_add_co_ci_u32_e64 v6, null, 0, v6, s0
	v_lshlrev_b32_e32 v6, 2, v6
	s_waitcnt lgkmcnt(0)
	v_add_f32_e32 v7, v7, v9
	ds_bpermute_b32 v9, v5, v7
	s_waitcnt lgkmcnt(0)
	v_add_f32_e32 v7, v7, v9
	ds_bpermute_b32 v9, v6, v7
	v_cmpx_eq_u32_e32 0, v8
	s_cbranch_execz .LBB570_31
; %bb.30:
	v_lshrrev_b32_e32 v8, 3, v0
	s_waitcnt lgkmcnt(0)
	v_add_f32_e32 v7, v7, v9
	v_and_b32_e32 v8, 0x7c, v8
	ds_write_b32 v8, v7
.LBB570_31:
	s_or_b32 exec_lo, exec_lo, s1
	v_mov_b32_e32 v7, 0
	s_waitcnt lgkmcnt(0)
	s_barrier
	buffer_gl0_inv
	s_and_saveexec_b32 s0, vcc_lo
; %bb.32:
	ds_read_b32 v7, v1
; %bb.33:
	s_or_b32 exec_lo, exec_lo, s0
	s_and_saveexec_b32 s0, vcc_lo
	s_cbranch_execz .LBB570_35
; %bb.34:
	s_waitcnt lgkmcnt(0)
	ds_bpermute_b32 v1, v2, v7
	s_waitcnt lgkmcnt(0)
	v_add_f32_e32 v1, v7, v1
	ds_bpermute_b32 v2, v3, v1
	s_waitcnt lgkmcnt(0)
	v_add_f32_e32 v1, v1, v2
	;; [unrolled: 3-line block ×5, first 2 shown]
.LBB570_35:
	s_or_b32 exec_lo, exec_lo, s0
	s_mov_b32 s0, exec_lo
                                        ; implicit-def: $vgpr1
                                        ; implicit-def: $sgpr2_sgpr3
	v_cmpx_eq_u32_e32 0, v0
	s_cbranch_execz .LBB570_54
; %bb.36:
	v_cmp_eq_f32_e64 s1, s11, 0
	s_waitcnt lgkmcnt(0)
	v_mul_f32_e32 v0, s13, v7
	s_and_b32 vcc_lo, exec_lo, s1
	s_cbranch_vccz .LBB570_42
; %bb.37:
	v_and_b32_e32 v1, 0x7f800000, v0
	v_cmp_ne_u32_e32 vcc_lo, 0x7f800000, v1
                                        ; implicit-def: $vgpr1
	s_and_saveexec_b32 s1, vcc_lo
	s_xor_b32 s1, exec_lo, s1
; %bb.38:
	v_bfe_u32 v1, v0, 16, 1
	v_add3_u32 v1, v0, v1, 0x7fff
; %bb.39:
	s_andn2_saveexec_b32 s1, s1
; %bb.40:
	v_mov_b32_e32 v1, 0
	v_or_b32_e32 v2, 0x10000, v0
	v_cmp_eq_u32_sdwa vcc_lo, v0, v1 src0_sel:WORD_0 src1_sel:DWORD
	v_cndmask_b32_e32 v1, v2, v0, vcc_lo
; %bb.41:
	s_or_b32 exec_lo, exec_lo, s1
	s_mul_i32 s2, s12, s6
	s_cbranch_execz .LBB570_43
	s_branch .LBB570_53
.LBB570_42:
                                        ; implicit-def: $vgpr1
	s_mul_i32 s2, s12, s6
.LBB570_43:
	s_ashr_i32 s3, s2, 31
	v_mov_b32_e32 v1, 0
	s_lshl_b64 s[4:5], s[2:3], 1
	s_add_u32 s4, s8, s4
	s_addc_u32 s5, s9, s5
	global_load_ushort v1, v1, s[4:5]
	s_waitcnt vmcnt(0)
	v_lshlrev_b32_e32 v1, 16, v1
	v_mul_f32_e32 v1, s11, v1
	v_and_b32_e32 v2, 0x7f800000, v1
	v_readfirstlane_b32 s1, v1
	v_cmp_eq_u32_e32 vcc_lo, 0x7f800000, v2
	s_cbranch_vccnz .LBB570_45
; %bb.44:
	s_bfe_u32 s3, s1, 0x10010
	s_mov_b32 s4, 0
	s_add_i32 s3, s1, s3
	s_addk_i32 s3, 0x7fff
	s_branch .LBB570_46
.LBB570_45:
	s_mov_b32 s4, -1
                                        ; implicit-def: $sgpr3
.LBB570_46:
	s_andn2_b32 vcc_lo, exec_lo, s4
	s_cbranch_vccnz .LBB570_48
; %bb.47:
	s_and_b32 s3, s1, 0xffff
	s_or_b32 s4, s1, 0x10000
	s_cmp_eq_u32 s3, 0
	s_cselect_b32 s3, s1, s4
.LBB570_48:
	s_and_b32 s1, s3, 0xffff0000
	v_add_f32_e32 v0, s1, v0
	v_and_b32_e32 v1, 0x7f800000, v0
	v_cmp_ne_u32_e32 vcc_lo, 0x7f800000, v1
                                        ; implicit-def: $vgpr1
	s_and_saveexec_b32 s1, vcc_lo
	s_xor_b32 s1, exec_lo, s1
; %bb.49:
	v_bfe_u32 v1, v0, 16, 1
	v_add3_u32 v1, v0, v1, 0x7fff
                                        ; implicit-def: $vgpr0
; %bb.50:
	s_andn2_saveexec_b32 s1, s1
; %bb.51:
	v_mov_b32_e32 v1, 0
	v_or_b32_e32 v2, 0x10000, v0
	v_cmp_eq_u32_sdwa vcc_lo, v0, v1 src0_sel:WORD_0 src1_sel:DWORD
	v_cndmask_b32_e32 v1, v2, v0, vcc_lo
; %bb.52:
	s_or_b32 exec_lo, exec_lo, s1
.LBB570_53:
	v_lshrrev_b32_e32 v1, 16, v1
	s_ashr_i32 s3, s2, 31
	s_or_b32 s10, s10, exec_lo
.LBB570_54:
	s_or_b32 exec_lo, exec_lo, s0
	s_and_saveexec_b32 s0, s10
	s_cbranch_execz .LBB570_56
.LBB570_55:
	s_lshl_b64 s[0:1], s[2:3], 1
	v_mov_b32_e32 v0, 0
	s_add_u32 s0, s8, s0
	s_addc_u32 s1, s9, s1
	global_store_short v0, v1, s[0:1]
.LBB570_56:
	s_endpgm
	.section	.rodata,"a",@progbits
	.p2align	6, 0x0
	.amdhsa_kernel _ZL32rocblas_gemvt_warp_reduce_kernelILb0ELi1024Ei16rocblas_bfloat16fS0_EviiT3_lPKT2_lT1_lS4_lS5_lS1_lPT4_lS5_li
		.amdhsa_group_segment_fixed_size 128
		.amdhsa_private_segment_fixed_size 0
		.amdhsa_kernarg_size 140
		.amdhsa_user_sgpr_count 6
		.amdhsa_user_sgpr_private_segment_buffer 1
		.amdhsa_user_sgpr_dispatch_ptr 0
		.amdhsa_user_sgpr_queue_ptr 0
		.amdhsa_user_sgpr_kernarg_segment_ptr 1
		.amdhsa_user_sgpr_dispatch_id 0
		.amdhsa_user_sgpr_flat_scratch_init 0
		.amdhsa_user_sgpr_private_segment_size 0
		.amdhsa_wavefront_size32 1
		.amdhsa_uses_dynamic_stack 0
		.amdhsa_system_sgpr_private_segment_wavefront_offset 0
		.amdhsa_system_sgpr_workgroup_id_x 1
		.amdhsa_system_sgpr_workgroup_id_y 0
		.amdhsa_system_sgpr_workgroup_id_z 1
		.amdhsa_system_sgpr_workgroup_info 0
		.amdhsa_system_vgpr_workitem_id 0
		.amdhsa_next_free_vgpr 12
		.amdhsa_next_free_sgpr 25
		.amdhsa_reserve_vcc 1
		.amdhsa_reserve_flat_scratch 0
		.amdhsa_float_round_mode_32 0
		.amdhsa_float_round_mode_16_64 0
		.amdhsa_float_denorm_mode_32 3
		.amdhsa_float_denorm_mode_16_64 3
		.amdhsa_dx10_clamp 1
		.amdhsa_ieee_mode 1
		.amdhsa_fp16_overflow 0
		.amdhsa_workgroup_processor_mode 1
		.amdhsa_memory_ordered 1
		.amdhsa_forward_progress 1
		.amdhsa_shared_vgpr_count 0
		.amdhsa_exception_fp_ieee_invalid_op 0
		.amdhsa_exception_fp_denorm_src 0
		.amdhsa_exception_fp_ieee_div_zero 0
		.amdhsa_exception_fp_ieee_overflow 0
		.amdhsa_exception_fp_ieee_underflow 0
		.amdhsa_exception_fp_ieee_inexact 0
		.amdhsa_exception_int_div_zero 0
	.end_amdhsa_kernel
	.section	.text._ZL32rocblas_gemvt_warp_reduce_kernelILb0ELi1024Ei16rocblas_bfloat16fS0_EviiT3_lPKT2_lT1_lS4_lS5_lS1_lPT4_lS5_li,"axG",@progbits,_ZL32rocblas_gemvt_warp_reduce_kernelILb0ELi1024Ei16rocblas_bfloat16fS0_EviiT3_lPKT2_lT1_lS4_lS5_lS1_lPT4_lS5_li,comdat
.Lfunc_end570:
	.size	_ZL32rocblas_gemvt_warp_reduce_kernelILb0ELi1024Ei16rocblas_bfloat16fS0_EviiT3_lPKT2_lT1_lS4_lS5_lS1_lPT4_lS5_li, .Lfunc_end570-_ZL32rocblas_gemvt_warp_reduce_kernelILb0ELi1024Ei16rocblas_bfloat16fS0_EviiT3_lPKT2_lT1_lS4_lS5_lS1_lPT4_lS5_li
                                        ; -- End function
	.set _ZL32rocblas_gemvt_warp_reduce_kernelILb0ELi1024Ei16rocblas_bfloat16fS0_EviiT3_lPKT2_lT1_lS4_lS5_lS1_lPT4_lS5_li.num_vgpr, 12
	.set _ZL32rocblas_gemvt_warp_reduce_kernelILb0ELi1024Ei16rocblas_bfloat16fS0_EviiT3_lPKT2_lT1_lS4_lS5_lS1_lPT4_lS5_li.num_agpr, 0
	.set _ZL32rocblas_gemvt_warp_reduce_kernelILb0ELi1024Ei16rocblas_bfloat16fS0_EviiT3_lPKT2_lT1_lS4_lS5_lS1_lPT4_lS5_li.numbered_sgpr, 25
	.set _ZL32rocblas_gemvt_warp_reduce_kernelILb0ELi1024Ei16rocblas_bfloat16fS0_EviiT3_lPKT2_lT1_lS4_lS5_lS1_lPT4_lS5_li.num_named_barrier, 0
	.set _ZL32rocblas_gemvt_warp_reduce_kernelILb0ELi1024Ei16rocblas_bfloat16fS0_EviiT3_lPKT2_lT1_lS4_lS5_lS1_lPT4_lS5_li.private_seg_size, 0
	.set _ZL32rocblas_gemvt_warp_reduce_kernelILb0ELi1024Ei16rocblas_bfloat16fS0_EviiT3_lPKT2_lT1_lS4_lS5_lS1_lPT4_lS5_li.uses_vcc, 1
	.set _ZL32rocblas_gemvt_warp_reduce_kernelILb0ELi1024Ei16rocblas_bfloat16fS0_EviiT3_lPKT2_lT1_lS4_lS5_lS1_lPT4_lS5_li.uses_flat_scratch, 0
	.set _ZL32rocblas_gemvt_warp_reduce_kernelILb0ELi1024Ei16rocblas_bfloat16fS0_EviiT3_lPKT2_lT1_lS4_lS5_lS1_lPT4_lS5_li.has_dyn_sized_stack, 0
	.set _ZL32rocblas_gemvt_warp_reduce_kernelILb0ELi1024Ei16rocblas_bfloat16fS0_EviiT3_lPKT2_lT1_lS4_lS5_lS1_lPT4_lS5_li.has_recursion, 0
	.set _ZL32rocblas_gemvt_warp_reduce_kernelILb0ELi1024Ei16rocblas_bfloat16fS0_EviiT3_lPKT2_lT1_lS4_lS5_lS1_lPT4_lS5_li.has_indirect_call, 0
	.section	.AMDGPU.csdata,"",@progbits
; Kernel info:
; codeLenInByte = 1856
; TotalNumSgprs: 27
; NumVgprs: 12
; ScratchSize: 0
; MemoryBound: 0
; FloatMode: 240
; IeeeMode: 1
; LDSByteSize: 128 bytes/workgroup (compile time only)
; SGPRBlocks: 0
; VGPRBlocks: 1
; NumSGPRsForWavesPerEU: 27
; NumVGPRsForWavesPerEU: 12
; Occupancy: 16
; WaveLimiterHint : 1
; COMPUTE_PGM_RSRC2:SCRATCH_EN: 0
; COMPUTE_PGM_RSRC2:USER_SGPR: 6
; COMPUTE_PGM_RSRC2:TRAP_HANDLER: 0
; COMPUTE_PGM_RSRC2:TGID_X_EN: 1
; COMPUTE_PGM_RSRC2:TGID_Y_EN: 0
; COMPUTE_PGM_RSRC2:TGID_Z_EN: 1
; COMPUTE_PGM_RSRC2:TIDIG_COMP_CNT: 0
	.section	.text._ZL32rocblas_gemvt_warp_reduce_kernelILb0ELi1024El16rocblas_bfloat16fS0_EviiT3_lPKT2_lT1_lS4_lS5_lS1_lPT4_lS5_li,"axG",@progbits,_ZL32rocblas_gemvt_warp_reduce_kernelILb0ELi1024El16rocblas_bfloat16fS0_EviiT3_lPKT2_lT1_lS4_lS5_lS1_lPT4_lS5_li,comdat
	.globl	_ZL32rocblas_gemvt_warp_reduce_kernelILb0ELi1024El16rocblas_bfloat16fS0_EviiT3_lPKT2_lT1_lS4_lS5_lS1_lPT4_lS5_li ; -- Begin function _ZL32rocblas_gemvt_warp_reduce_kernelILb0ELi1024El16rocblas_bfloat16fS0_EviiT3_lPKT2_lT1_lS4_lS5_lS1_lPT4_lS5_li
	.p2align	8
	.type	_ZL32rocblas_gemvt_warp_reduce_kernelILb0ELi1024El16rocblas_bfloat16fS0_EviiT3_lPKT2_lT1_lS4_lS5_lS1_lPT4_lS5_li,@function
_ZL32rocblas_gemvt_warp_reduce_kernelILb0ELi1024El16rocblas_bfloat16fS0_EviiT3_lPKT2_lT1_lS4_lS5_lS1_lPT4_lS5_li: ; @_ZL32rocblas_gemvt_warp_reduce_kernelILb0ELi1024El16rocblas_bfloat16fS0_EviiT3_lPKT2_lT1_lS4_lS5_lS1_lPT4_lS5_li
; %bb.0:
	s_clause 0x1
	s_load_dword s30, s[4:5], 0x8
	s_load_dword s29, s[4:5], 0x58
	s_mov_b32 s28, 0
	s_waitcnt lgkmcnt(0)
	v_cmp_eq_f32_e64 s0, s30, 0
	v_cmp_eq_f32_e64 s1, s29, 1.0
	s_and_b32 s0, s0, s1
	s_and_b32 vcc_lo, exec_lo, s0
	s_cbranch_vccnz .LBB571_57
; %bb.1:
	s_load_dwordx8 s[20:27], s[4:5], 0x68
	v_cmp_neq_f32_e64 s8, s30, 0
	s_waitcnt lgkmcnt(0)
	s_mul_i32 s1, s27, s7
	s_mul_hi_u32 s2, s26, s7
	s_mul_i32 s0, s26, s7
	s_add_i32 s1, s2, s1
	s_lshl_b64 s[0:1], s[0:1], 1
	s_add_u32 s0, s20, s0
	s_addc_u32 s9, s21, s1
	s_lshl_b64 s[2:3], s[22:23], 1
	s_add_u32 s1, s0, s2
	v_cmp_eq_u32_e64 s0, 0, v0
	s_addc_u32 s26, s9, s3
	s_and_b32 vcc_lo, exec_lo, s8
	s_cbranch_vccnz .LBB571_6
; %bb.2:
	s_mov_b32 s8, 0
                                        ; implicit-def: $sgpr10
                                        ; implicit-def: $sgpr2_sgpr3
	s_and_saveexec_b32 s9, s0
	s_cbranch_execz .LBB571_7
; %bb.3:
	s_ashr_i32 s0, s6, 31
	v_cmp_eq_f32_e64 s11, s29, 0
	s_mul_hi_u32 s2, s24, s6
	s_mul_i32 s0, s24, s0
	s_mov_b32 s10, 0
	s_add_i32 s0, s2, s0
	s_mul_i32 s2, s25, s6
	s_and_b32 vcc_lo, exec_lo, s11
	s_add_i32 s3, s0, s2
	s_mul_i32 s2, s24, s6
	s_cbranch_vccnz .LBB571_12
; %bb.4:
	s_lshl_b64 s[10:11], s[2:3], 1
	v_mov_b32_e32 v1, 0
	s_add_u32 s10, s1, s10
	s_addc_u32 s11, s26, s11
	global_load_ushort v1, v1, s[10:11]
	s_waitcnt vmcnt(0)
	v_lshlrev_b32_e32 v1, 16, v1
	v_mul_f32_e32 v1, s29, v1
	v_and_b32_e32 v2, 0x7f800000, v1
	v_readfirstlane_b32 s0, v1
	v_cmp_eq_u32_e32 vcc_lo, 0x7f800000, v2
	s_cbranch_vccnz .LBB571_9
; %bb.5:
	s_bfe_u32 s10, s0, 0x10010
	s_add_i32 s10, s0, s10
	s_addk_i32 s10, 0x7fff
	s_cbranch_execz .LBB571_10
	s_branch .LBB571_11
.LBB571_6:
                                        ; implicit-def: $sgpr10
                                        ; implicit-def: $sgpr2_sgpr3
	s_cbranch_execz .LBB571_8
	s_branch .LBB571_13
.LBB571_7:
	s_or_b32 exec_lo, exec_lo, s9
	s_and_b32 vcc_lo, exec_lo, s8
	s_cbranch_vccnz .LBB571_13
.LBB571_8:
	v_mov_b32_e32 v1, s10
	s_and_saveexec_b32 s0, s28
	s_cbranch_execnz .LBB571_56
	s_branch .LBB571_57
.LBB571_9:
                                        ; implicit-def: $sgpr10
.LBB571_10:
	s_and_b32 s10, s0, 0xffff
	s_or_b32 s11, s0, 0x10000
	s_cmp_eq_u32 s10, 0
	s_cselect_b32 s10, s0, s11
.LBB571_11:
	s_lshr_b32 s10, s10, 16
.LBB571_12:
	s_mov_b32 s28, exec_lo
	s_or_b32 exec_lo, exec_lo, s9
	s_and_b32 vcc_lo, exec_lo, s8
	s_cbranch_vccz .LBB571_8
.LBB571_13:
	s_clause 0x1
	s_load_dwordx16 s[8:23], s[4:5], 0x18
	s_load_dword s5, s[4:5], 0x0
	v_mov_b32_e32 v7, 0
	s_waitcnt lgkmcnt(0)
	s_mul_i32 s3, s15, s7
	v_cmp_gt_i32_e32 vcc_lo, s5, v0
	s_mul_hi_u32 s15, s14, s7
	s_mul_i32 s2, s14, s7
	s_add_i32 s3, s15, s3
	s_mul_i32 s0, s23, s7
	v_cndmask_b32_e32 v1, 0, v0, vcc_lo
	s_mul_hi_u32 s4, s22, s7
	s_lshl_b64 s[34:35], s[2:3], 1
	s_add_i32 s3, s4, s0
	s_add_u32 s0, s8, s34
	v_lshlrev_b32_e32 v1, 1, v1
	s_addc_u32 s2, s9, s35
	s_lshl_b64 s[8:9], s[10:11], 1
	s_mul_hi_u32 s23, s12, s6
	s_add_u32 s0, s0, s8
	s_addc_u32 s2, s2, s9
	s_ashr_i32 s10, s6, 31
	v_add_co_u32 v1, s0, s0, v1
	v_add_co_ci_u32_e64 v2, null, s2, 0, s0
	s_mul_i32 s0, s12, s10
	s_mul_i32 s13, s13, s6
	s_add_i32 s0, s23, s0
	s_mul_i32 s14, s12, s6
	s_add_i32 s15, s0, s13
	s_ashr_i32 s4, s5, 31
	s_lshl_b64 s[8:9], s[14:15], 1
	s_lshr_b32 s2, s4, 22
	v_add_co_u32 v1, vcc_lo, v1, s8
	v_add_co_ci_u32_e64 v2, null, s9, v2, vcc_lo
	s_add_i32 s2, s5, s2
	s_mov_b32 s11, 0
	s_and_b32 s4, s2, 0xfffffc00
	s_mul_i32 s2, s22, s7
	s_mov_b32 s7, exec_lo
	v_cmpx_gt_i32_e64 s4, v0
	s_cbranch_execz .LBB571_21
; %bb.14:
	v_mad_u64_u32 v[5:6], null, s20, v0, 0
	s_lshl_b64 s[12:13], s[18:19], 1
	s_lshl_b64 s[8:9], s[2:3], 1
	s_add_u32 s0, s16, s12
	s_addc_u32 s12, s17, s13
	s_add_u32 s0, s0, s8
	s_addc_u32 s8, s12, s9
	v_mov_b32_e32 v3, v6
	v_mov_b32_e32 v8, 0
	;; [unrolled: 1-line block ×4, first 2 shown]
	v_mad_u64_u32 v[3:4], null, s21, v0, v[3:4]
	v_mov_b32_e32 v6, v3
	v_mov_b32_e32 v4, v2
	;; [unrolled: 1-line block ×3, first 2 shown]
	v_lshlrev_b64 v[5:6], 1, v[5:6]
	v_add_co_u32 v5, vcc_lo, s0, v5
	v_add_co_ci_u32_e64 v6, null, s8, v6, vcc_lo
	s_lshl_b64 s[8:9], s[20:21], 11
	s_inst_prefetch 0x1
	s_branch .LBB571_16
	.p2align	6
.LBB571_15:                             ;   in Loop: Header=BB571_16 Depth=1
	s_or_b32 exec_lo, exec_lo, s0
	v_add_nc_u32_e32 v9, 0x400, v9
	v_and_b32_e32 v10, 0xffff0000, v11
	v_add_co_u32 v3, vcc_lo, 0x800, v3
	v_add_co_ci_u32_e64 v4, null, 0, v4, vcc_lo
	v_cmp_le_i32_e32 vcc_lo, s4, v9
	v_add_co_u32 v5, s0, v5, s8
	v_add_f32_e32 v7, v7, v10
	v_add_co_ci_u32_e64 v6, null, s9, v6, s0
	s_or_b32 s11, vcc_lo, s11
	s_andn2_b32 exec_lo, exec_lo, s11
	s_cbranch_execz .LBB571_20
.LBB571_16:                             ; =>This Inner Loop Header: Depth=1
	global_load_ushort v10, v[5:6], off
	global_load_ushort v11, v[3:4], off
	s_waitcnt vmcnt(1)
	v_lshlrev_b32_e32 v10, 16, v10
	s_waitcnt vmcnt(0)
	v_lshlrev_b32_e32 v11, 16, v11
	v_mul_f32_e32 v10, v11, v10
	v_and_b32_e32 v11, 0x7f800000, v10
	v_cmp_ne_u32_e32 vcc_lo, 0x7f800000, v11
                                        ; implicit-def: $vgpr11
	s_and_saveexec_b32 s0, vcc_lo
	s_xor_b32 s0, exec_lo, s0
; %bb.17:                               ;   in Loop: Header=BB571_16 Depth=1
	v_bfe_u32 v11, v10, 16, 1
	v_add3_u32 v11, v10, v11, 0x7fff
                                        ; implicit-def: $vgpr10
; %bb.18:                               ;   in Loop: Header=BB571_16 Depth=1
	s_andn2_saveexec_b32 s0, s0
	s_cbranch_execz .LBB571_15
; %bb.19:                               ;   in Loop: Header=BB571_16 Depth=1
	v_or_b32_e32 v11, 0x10000, v10
	v_cmp_eq_u32_sdwa vcc_lo, v10, v8 src0_sel:WORD_0 src1_sel:DWORD
	v_cndmask_b32_e32 v11, v11, v10, vcc_lo
	s_branch .LBB571_15
.LBB571_20:
	s_inst_prefetch 0x2
	s_or_b32 exec_lo, exec_lo, s11
.LBB571_21:
	s_or_b32 exec_lo, exec_lo, s7
	v_or_b32_e32 v3, s4, v0
	s_mov_b32 s0, exec_lo
	v_cmpx_gt_i32_e64 s5, v3
	s_cbranch_execz .LBB571_27
; %bb.22:
	v_ashrrev_i32_e32 v5, 31, v3
	v_mul_lo_u32 v6, s21, v3
	v_mad_u64_u32 v[3:4], null, s20, v3, 0
	s_lshl_b64 s[2:3], s[2:3], 1
	v_mul_lo_u32 v5, s20, v5
	s_add_u32 s5, s16, s2
	s_addc_u32 s7, s17, s3
	s_lshl_b64 s[2:3], s[18:19], 1
	s_add_u32 s8, s5, s2
	s_addc_u32 s7, s7, s3
	s_ashr_i32 s5, s4, 31
	v_add3_u32 v4, v4, v5, v6
	s_lshl_b64 s[2:3], s[4:5], 1
	v_lshlrev_b64 v[3:4], 1, v[3:4]
	v_add_co_u32 v3, vcc_lo, s8, v3
	v_add_co_ci_u32_e64 v4, null, s7, v4, vcc_lo
	v_add_co_u32 v1, vcc_lo, v1, s2
	v_add_co_ci_u32_e64 v2, null, s3, v2, vcc_lo
	global_load_ushort v3, v[3:4], off
	global_load_ushort v1, v[1:2], off
	s_waitcnt vmcnt(1)
	v_lshlrev_b32_e32 v2, 16, v3
	s_waitcnt vmcnt(0)
	v_lshlrev_b32_e32 v1, 16, v1
	v_mul_f32_e32 v1, v1, v2
	v_and_b32_e32 v2, 0x7f800000, v1
	v_cmp_ne_u32_e32 vcc_lo, 0x7f800000, v2
                                        ; implicit-def: $vgpr2
	s_and_saveexec_b32 s2, vcc_lo
	s_xor_b32 s2, exec_lo, s2
; %bb.23:
	v_bfe_u32 v2, v1, 16, 1
	v_add3_u32 v2, v1, v2, 0x7fff
                                        ; implicit-def: $vgpr1
; %bb.24:
	s_andn2_saveexec_b32 s2, s2
; %bb.25:
	v_mov_b32_e32 v2, 0
	v_or_b32_e32 v3, 0x10000, v1
	v_cmp_eq_u32_sdwa vcc_lo, v1, v2 src0_sel:WORD_0 src1_sel:DWORD
	v_cndmask_b32_e32 v2, v3, v1, vcc_lo
; %bb.26:
	s_or_b32 exec_lo, exec_lo, s2
	v_and_b32_e32 v1, 0xffff0000, v2
	v_add_f32_e32 v7, v7, v1
.LBB571_27:
	s_or_b32 exec_lo, exec_lo, s0
	v_and_b32_e32 v8, 31, v0
	v_cmp_gt_u32_e32 vcc_lo, 32, v0
	v_lshlrev_b32_e32 v1, 2, v8
	s_and_saveexec_b32 s0, vcc_lo
; %bb.28:
	v_mov_b32_e32 v2, 0
	ds_write_b32 v1, v2
; %bb.29:
	s_or_b32 exec_lo, exec_lo, s0
	v_mbcnt_lo_u32_b32 v6, -1, 0
	s_mov_b32 s2, exec_lo
	s_waitcnt lgkmcnt(0)
	s_barrier
	buffer_gl0_inv
	v_lshl_or_b32 v2, v6, 2, 64
	v_cmp_gt_u32_e64 s0, 24, v6
	ds_bpermute_b32 v4, v2, v7
	v_cndmask_b32_e64 v3, 0, 8, s0
	v_cmp_gt_u32_e64 s0, 28, v6
	v_add_lshl_u32 v3, v3, v6, 2
	s_waitcnt lgkmcnt(0)
	v_add_f32_e32 v5, v7, v4
	v_cndmask_b32_e64 v4, 0, 4, s0
	v_cmp_gt_u32_e64 s0, 30, v6
	ds_bpermute_b32 v7, v3, v5
	v_add_lshl_u32 v4, v4, v6, 2
	s_waitcnt lgkmcnt(0)
	v_add_f32_e32 v7, v5, v7
	v_cndmask_b32_e64 v5, 0, 2, s0
	v_cmp_ne_u32_e64 s0, 31, v6
	ds_bpermute_b32 v9, v4, v7
	v_add_lshl_u32 v5, v5, v6, 2
	v_add_co_ci_u32_e64 v6, null, 0, v6, s0
	v_lshlrev_b32_e32 v6, 2, v6
	s_waitcnt lgkmcnt(0)
	v_add_f32_e32 v7, v7, v9
	ds_bpermute_b32 v9, v5, v7
	s_waitcnt lgkmcnt(0)
	v_add_f32_e32 v7, v7, v9
	ds_bpermute_b32 v9, v6, v7
	v_cmpx_eq_u32_e32 0, v8
	s_cbranch_execz .LBB571_31
; %bb.30:
	v_lshrrev_b32_e32 v8, 3, v0
	s_waitcnt lgkmcnt(0)
	v_add_f32_e32 v7, v7, v9
	v_and_b32_e32 v8, 0x7c, v8
	ds_write_b32 v8, v7
.LBB571_31:
	s_or_b32 exec_lo, exec_lo, s2
	v_mov_b32_e32 v7, 0
	s_waitcnt lgkmcnt(0)
	s_barrier
	buffer_gl0_inv
	s_and_saveexec_b32 s0, vcc_lo
; %bb.32:
	ds_read_b32 v7, v1
; %bb.33:
	s_or_b32 exec_lo, exec_lo, s0
	s_and_saveexec_b32 s0, vcc_lo
	s_cbranch_execz .LBB571_35
; %bb.34:
	s_waitcnt lgkmcnt(0)
	ds_bpermute_b32 v1, v2, v7
	s_waitcnt lgkmcnt(0)
	v_add_f32_e32 v1, v7, v1
	ds_bpermute_b32 v2, v3, v1
	s_waitcnt lgkmcnt(0)
	v_add_f32_e32 v1, v1, v2
	;; [unrolled: 3-line block ×5, first 2 shown]
.LBB571_35:
	s_or_b32 exec_lo, exec_lo, s0
	s_mov_b32 s0, exec_lo
                                        ; implicit-def: $vgpr1
                                        ; implicit-def: $sgpr2_sgpr3
	v_cmpx_eq_u32_e32 0, v0
	s_cbranch_execz .LBB571_55
; %bb.36:
	v_cmp_eq_f32_e64 s2, s29, 0
	s_waitcnt lgkmcnt(0)
	v_mul_f32_e32 v0, s30, v7
	s_and_b32 vcc_lo, exec_lo, s2
	s_cbranch_vccz .LBB571_42
; %bb.37:
	v_and_b32_e32 v1, 0x7f800000, v0
	v_cmp_ne_u32_e32 vcc_lo, 0x7f800000, v1
                                        ; implicit-def: $vgpr1
	s_and_saveexec_b32 s2, vcc_lo
	s_xor_b32 s2, exec_lo, s2
; %bb.38:
	v_bfe_u32 v1, v0, 16, 1
	v_add3_u32 v1, v0, v1, 0x7fff
; %bb.39:
	s_andn2_saveexec_b32 s2, s2
; %bb.40:
	v_mov_b32_e32 v1, 0
	v_or_b32_e32 v2, 0x10000, v0
	v_cmp_eq_u32_sdwa vcc_lo, v0, v1 src0_sel:WORD_0 src1_sel:DWORD
	v_cndmask_b32_e32 v1, v2, v0, vcc_lo
; %bb.41:
	s_or_b32 exec_lo, exec_lo, s2
	s_mov_b32 s2, 0
	s_branch .LBB571_43
.LBB571_42:
	s_mov_b32 s2, -1
                                        ; implicit-def: $vgpr1
.LBB571_43:
	s_mul_i32 s4, s24, s10
	s_mul_hi_u32 s5, s24, s6
	s_andn2_b32 vcc_lo, exec_lo, s2
	s_mul_i32 s7, s25, s6
	s_mul_i32 s2, s24, s6
	s_cbranch_vccnz .LBB571_54
; %bb.44:
	s_add_i32 s3, s5, s4
	v_mov_b32_e32 v1, 0
	s_add_i32 s3, s3, s7
	s_lshl_b64 s[8:9], s[2:3], 1
	s_add_u32 s8, s1, s8
	s_addc_u32 s9, s26, s9
	global_load_ushort v1, v1, s[8:9]
	s_waitcnt vmcnt(0)
	v_lshlrev_b32_e32 v1, 16, v1
	v_mul_f32_e32 v1, s29, v1
	v_and_b32_e32 v2, 0x7f800000, v1
	v_readfirstlane_b32 s3, v1
	v_cmp_eq_u32_e32 vcc_lo, 0x7f800000, v2
	s_cbranch_vccnz .LBB571_46
; %bb.45:
	s_bfe_u32 s6, s3, 0x10010
	s_mov_b32 s8, 0
	s_add_i32 s6, s3, s6
	s_addk_i32 s6, 0x7fff
	s_branch .LBB571_47
.LBB571_46:
	s_mov_b32 s8, -1
                                        ; implicit-def: $sgpr6
.LBB571_47:
	s_andn2_b32 vcc_lo, exec_lo, s8
	s_cbranch_vccnz .LBB571_49
; %bb.48:
	s_and_b32 s6, s3, 0xffff
	s_or_b32 s8, s3, 0x10000
	s_cmp_eq_u32 s6, 0
	s_cselect_b32 s6, s3, s8
.LBB571_49:
	s_and_b32 s3, s6, 0xffff0000
	v_add_f32_e32 v0, s3, v0
	v_and_b32_e32 v1, 0x7f800000, v0
	v_cmp_ne_u32_e32 vcc_lo, 0x7f800000, v1
                                        ; implicit-def: $vgpr1
	s_and_saveexec_b32 s3, vcc_lo
	s_xor_b32 s3, exec_lo, s3
; %bb.50:
	v_bfe_u32 v1, v0, 16, 1
	v_add3_u32 v1, v0, v1, 0x7fff
                                        ; implicit-def: $vgpr0
; %bb.51:
	s_andn2_saveexec_b32 s3, s3
; %bb.52:
	v_mov_b32_e32 v1, 0
	v_or_b32_e32 v2, 0x10000, v0
	v_cmp_eq_u32_sdwa vcc_lo, v0, v1 src0_sel:WORD_0 src1_sel:DWORD
	v_cndmask_b32_e32 v1, v2, v0, vcc_lo
; %bb.53:
	s_or_b32 exec_lo, exec_lo, s3
.LBB571_54:
	v_lshrrev_b32_e32 v1, 16, v1
	s_add_i32 s3, s5, s4
	s_or_b32 s28, s28, exec_lo
	s_add_i32 s3, s3, s7
.LBB571_55:
	s_or_b32 exec_lo, exec_lo, s0
	s_and_saveexec_b32 s0, s28
	s_cbranch_execz .LBB571_57
.LBB571_56:
	s_lshl_b64 s[2:3], s[2:3], 1
	v_mov_b32_e32 v0, 0
	s_add_u32 s0, s1, s2
	s_addc_u32 s1, s26, s3
	global_store_short v0, v1, s[0:1]
.LBB571_57:
	s_endpgm
	.section	.rodata,"a",@progbits
	.p2align	6, 0x0
	.amdhsa_kernel _ZL32rocblas_gemvt_warp_reduce_kernelILb0ELi1024El16rocblas_bfloat16fS0_EviiT3_lPKT2_lT1_lS4_lS5_lS1_lPT4_lS5_li
		.amdhsa_group_segment_fixed_size 128
		.amdhsa_private_segment_fixed_size 0
		.amdhsa_kernarg_size 140
		.amdhsa_user_sgpr_count 6
		.amdhsa_user_sgpr_private_segment_buffer 1
		.amdhsa_user_sgpr_dispatch_ptr 0
		.amdhsa_user_sgpr_queue_ptr 0
		.amdhsa_user_sgpr_kernarg_segment_ptr 1
		.amdhsa_user_sgpr_dispatch_id 0
		.amdhsa_user_sgpr_flat_scratch_init 0
		.amdhsa_user_sgpr_private_segment_size 0
		.amdhsa_wavefront_size32 1
		.amdhsa_uses_dynamic_stack 0
		.amdhsa_system_sgpr_private_segment_wavefront_offset 0
		.amdhsa_system_sgpr_workgroup_id_x 1
		.amdhsa_system_sgpr_workgroup_id_y 0
		.amdhsa_system_sgpr_workgroup_id_z 1
		.amdhsa_system_sgpr_workgroup_info 0
		.amdhsa_system_vgpr_workitem_id 0
		.amdhsa_next_free_vgpr 12
		.amdhsa_next_free_sgpr 36
		.amdhsa_reserve_vcc 1
		.amdhsa_reserve_flat_scratch 0
		.amdhsa_float_round_mode_32 0
		.amdhsa_float_round_mode_16_64 0
		.amdhsa_float_denorm_mode_32 3
		.amdhsa_float_denorm_mode_16_64 3
		.amdhsa_dx10_clamp 1
		.amdhsa_ieee_mode 1
		.amdhsa_fp16_overflow 0
		.amdhsa_workgroup_processor_mode 1
		.amdhsa_memory_ordered 1
		.amdhsa_forward_progress 1
		.amdhsa_shared_vgpr_count 0
		.amdhsa_exception_fp_ieee_invalid_op 0
		.amdhsa_exception_fp_denorm_src 0
		.amdhsa_exception_fp_ieee_div_zero 0
		.amdhsa_exception_fp_ieee_overflow 0
		.amdhsa_exception_fp_ieee_underflow 0
		.amdhsa_exception_fp_ieee_inexact 0
		.amdhsa_exception_int_div_zero 0
	.end_amdhsa_kernel
	.section	.text._ZL32rocblas_gemvt_warp_reduce_kernelILb0ELi1024El16rocblas_bfloat16fS0_EviiT3_lPKT2_lT1_lS4_lS5_lS1_lPT4_lS5_li,"axG",@progbits,_ZL32rocblas_gemvt_warp_reduce_kernelILb0ELi1024El16rocblas_bfloat16fS0_EviiT3_lPKT2_lT1_lS4_lS5_lS1_lPT4_lS5_li,comdat
.Lfunc_end571:
	.size	_ZL32rocblas_gemvt_warp_reduce_kernelILb0ELi1024El16rocblas_bfloat16fS0_EviiT3_lPKT2_lT1_lS4_lS5_lS1_lPT4_lS5_li, .Lfunc_end571-_ZL32rocblas_gemvt_warp_reduce_kernelILb0ELi1024El16rocblas_bfloat16fS0_EviiT3_lPKT2_lT1_lS4_lS5_lS1_lPT4_lS5_li
                                        ; -- End function
	.set _ZL32rocblas_gemvt_warp_reduce_kernelILb0ELi1024El16rocblas_bfloat16fS0_EviiT3_lPKT2_lT1_lS4_lS5_lS1_lPT4_lS5_li.num_vgpr, 12
	.set _ZL32rocblas_gemvt_warp_reduce_kernelILb0ELi1024El16rocblas_bfloat16fS0_EviiT3_lPKT2_lT1_lS4_lS5_lS1_lPT4_lS5_li.num_agpr, 0
	.set _ZL32rocblas_gemvt_warp_reduce_kernelILb0ELi1024El16rocblas_bfloat16fS0_EviiT3_lPKT2_lT1_lS4_lS5_lS1_lPT4_lS5_li.numbered_sgpr, 36
	.set _ZL32rocblas_gemvt_warp_reduce_kernelILb0ELi1024El16rocblas_bfloat16fS0_EviiT3_lPKT2_lT1_lS4_lS5_lS1_lPT4_lS5_li.num_named_barrier, 0
	.set _ZL32rocblas_gemvt_warp_reduce_kernelILb0ELi1024El16rocblas_bfloat16fS0_EviiT3_lPKT2_lT1_lS4_lS5_lS1_lPT4_lS5_li.private_seg_size, 0
	.set _ZL32rocblas_gemvt_warp_reduce_kernelILb0ELi1024El16rocblas_bfloat16fS0_EviiT3_lPKT2_lT1_lS4_lS5_lS1_lPT4_lS5_li.uses_vcc, 1
	.set _ZL32rocblas_gemvt_warp_reduce_kernelILb0ELi1024El16rocblas_bfloat16fS0_EviiT3_lPKT2_lT1_lS4_lS5_lS1_lPT4_lS5_li.uses_flat_scratch, 0
	.set _ZL32rocblas_gemvt_warp_reduce_kernelILb0ELi1024El16rocblas_bfloat16fS0_EviiT3_lPKT2_lT1_lS4_lS5_lS1_lPT4_lS5_li.has_dyn_sized_stack, 0
	.set _ZL32rocblas_gemvt_warp_reduce_kernelILb0ELi1024El16rocblas_bfloat16fS0_EviiT3_lPKT2_lT1_lS4_lS5_lS1_lPT4_lS5_li.has_recursion, 0
	.set _ZL32rocblas_gemvt_warp_reduce_kernelILb0ELi1024El16rocblas_bfloat16fS0_EviiT3_lPKT2_lT1_lS4_lS5_lS1_lPT4_lS5_li.has_indirect_call, 0
	.section	.AMDGPU.csdata,"",@progbits
; Kernel info:
; codeLenInByte = 1984
; TotalNumSgprs: 38
; NumVgprs: 12
; ScratchSize: 0
; MemoryBound: 0
; FloatMode: 240
; IeeeMode: 1
; LDSByteSize: 128 bytes/workgroup (compile time only)
; SGPRBlocks: 0
; VGPRBlocks: 1
; NumSGPRsForWavesPerEU: 38
; NumVGPRsForWavesPerEU: 12
; Occupancy: 16
; WaveLimiterHint : 1
; COMPUTE_PGM_RSRC2:SCRATCH_EN: 0
; COMPUTE_PGM_RSRC2:USER_SGPR: 6
; COMPUTE_PGM_RSRC2:TRAP_HANDLER: 0
; COMPUTE_PGM_RSRC2:TGID_X_EN: 1
; COMPUTE_PGM_RSRC2:TGID_Y_EN: 0
; COMPUTE_PGM_RSRC2:TGID_Z_EN: 1
; COMPUTE_PGM_RSRC2:TIDIG_COMP_CNT: 0
	.section	.text._ZL22rocblas_gemvtsm_kernelILb1ELi256E16rocblas_bfloat16PKfS0_EviiT2_lPKT1_lilS6_lilS3_lPT3_lil,"axG",@progbits,_ZL22rocblas_gemvtsm_kernelILb1ELi256E16rocblas_bfloat16PKfS0_EviiT2_lPKT1_lilS6_lilS3_lPT3_lil,comdat
	.globl	_ZL22rocblas_gemvtsm_kernelILb1ELi256E16rocblas_bfloat16PKfS0_EviiT2_lPKT1_lilS6_lilS3_lPT3_lil ; -- Begin function _ZL22rocblas_gemvtsm_kernelILb1ELi256E16rocblas_bfloat16PKfS0_EviiT2_lPKT1_lilS6_lilS3_lPT3_lil
	.p2align	8
	.type	_ZL22rocblas_gemvtsm_kernelILb1ELi256E16rocblas_bfloat16PKfS0_EviiT2_lPKT1_lilS6_lilS3_lPT3_lil,@function
_ZL22rocblas_gemvtsm_kernelILb1ELi256E16rocblas_bfloat16PKfS0_EviiT2_lPKT1_lilS6_lilS3_lPT3_lil: ; @_ZL22rocblas_gemvtsm_kernelILb1ELi256E16rocblas_bfloat16PKfS0_EviiT2_lPKT1_lilS6_lilS3_lPT3_lil
; %bb.0:
	s_clause 0x1
	s_load_dwordx8 s[8:15], s[4:5], 0x8
	s_load_dwordx8 s[16:23], s[4:5], 0x50
	s_waitcnt lgkmcnt(0)
	s_mul_i32 s1, s11, s6
	s_mul_hi_u32 s2, s10, s6
	s_mul_i32 s0, s10, s6
	s_add_i32 s1, s2, s1
	s_mul_i32 s2, s21, s6
	s_lshl_b64 s[0:1], s[0:1], 2
	s_mul_hi_u32 s3, s20, s6
	s_add_u32 s0, s8, s0
	s_addc_u32 s1, s9, s1
	s_add_i32 s3, s3, s2
	s_mul_i32 s2, s20, s6
	s_lshl_b64 s[2:3], s[2:3], 2
	s_add_u32 s2, s18, s2
	s_addc_u32 s3, s19, s3
	s_load_dword s26, s[0:1], 0x0
	s_load_dword s7, s[2:3], 0x0
	s_waitcnt lgkmcnt(0)
	v_cmp_eq_f32_e64 s0, s26, 0
	v_cmp_eq_f32_e64 s1, s7, 1.0
	s_and_b32 s0, s0, s1
	s_and_b32 vcc_lo, exec_lo, s0
	s_cbranch_vccnz .LBB572_70
; %bb.1:
	s_clause 0x3
	s_load_dwordx2 s[0:1], s[4:5], 0x80
	s_load_dwordx2 s[18:19], s[4:5], 0x70
	s_load_dword s8, s[4:5], 0x78
	s_load_dwordx2 s[10:11], s[4:5], 0x0
	v_cmp_neq_f32_e64 s2, s26, 0
	s_and_b32 vcc_lo, exec_lo, s2
	s_waitcnt lgkmcnt(0)
	s_mul_i32 s1, s1, s6
	s_mul_hi_u32 s2, s0, s6
	s_mul_i32 s20, s0, s6
	s_add_i32 s21, s2, s1
	s_cbranch_vccnz .LBB572_9
; %bb.2:
	s_cmp_gt_i32 s11, 0
	v_cmp_neq_f32_e64 s0, s7, 0
	s_cselect_b32 s2, -1, 0
	v_cndmask_b32_e64 v1, 0, 1, s2
	s_and_b32 vcc_lo, exec_lo, s0
	v_cmp_ne_u32_e64 s0, 1, v1
	s_cbranch_vccnz .LBB572_10
; %bb.3:
	s_and_b32 vcc_lo, exec_lo, s0
	s_cbranch_vccnz .LBB572_8
; %bb.4:
	v_mad_i64_i32 v[1:2], null, s8, v0, 0
	s_lshl_b64 s[24:25], s[18:19], 1
	s_ashr_i32 s9, s8, 31
	s_lshl_b64 s[0:1], s[20:21], 1
	s_add_u32 s3, s22, s24
	s_addc_u32 s24, s23, s25
	s_add_u32 s0, s3, s0
	v_lshlrev_b64 v[1:2], 1, v[1:2]
	s_addc_u32 s1, s24, s1
	v_mov_b32_e32 v3, 0
	s_mov_b32 s3, 0
	v_add_co_u32 v1, vcc_lo, s0, v1
	v_add_co_ci_u32_e64 v2, null, s1, v2, vcc_lo
	s_lshl_b64 s[0:1], s[8:9], 9
	s_branch .LBB572_6
.LBB572_5:                              ;   in Loop: Header=BB572_6 Depth=1
	s_or_b32 exec_lo, exec_lo, s9
	v_add_co_u32 v1, vcc_lo, v1, s0
	v_add_co_ci_u32_e64 v2, null, s1, v2, vcc_lo
	s_addk_i32 s3, 0x100
	s_cmp_ge_i32 s3, s11
	s_cbranch_scc1 .LBB572_8
.LBB572_6:                              ; =>This Inner Loop Header: Depth=1
	v_add_nc_u32_e32 v4, s3, v0
	s_mov_b32 s9, exec_lo
	v_cmpx_gt_i32_e64 s11, v4
	s_cbranch_execz .LBB572_5
; %bb.7:                                ;   in Loop: Header=BB572_6 Depth=1
	global_store_short v[1:2], v3, off
	s_branch .LBB572_5
.LBB572_8:
	s_cbranch_execz .LBB572_11
	s_branch .LBB572_20
.LBB572_9:
	s_branch .LBB572_21
.LBB572_10:
.LBB572_11:
	s_andn2_b32 vcc_lo, exec_lo, s2
	s_cbranch_vccnz .LBB572_20
; %bb.12:
	v_mad_i64_i32 v[1:2], null, s8, v0, 0
	s_lshl_b64 s[2:3], s[18:19], 1
	s_ashr_i32 s9, s8, 31
	s_lshl_b64 s[0:1], s[20:21], 1
	s_add_u32 s2, s22, s2
	s_addc_u32 s3, s23, s3
	s_add_u32 s0, s2, s0
	v_lshlrev_b64 v[1:2], 1, v[1:2]
	s_addc_u32 s1, s3, s1
	v_mov_b32_e32 v3, 0
	s_mov_b32 s2, 0
	v_add_co_u32 v1, vcc_lo, s0, v1
	v_add_co_ci_u32_e64 v2, null, s1, v2, vcc_lo
	s_lshl_b64 s[0:1], s[8:9], 9
	s_inst_prefetch 0x1
	s_branch .LBB572_15
	.p2align	6
.LBB572_13:                             ;   in Loop: Header=BB572_15 Depth=1
	s_or_b32 exec_lo, exec_lo, s9
	global_store_short_d16_hi v[1:2], v5, off
.LBB572_14:                             ;   in Loop: Header=BB572_15 Depth=1
	s_or_b32 exec_lo, exec_lo, s3
	v_add_co_u32 v1, vcc_lo, v1, s0
	v_add_co_ci_u32_e64 v2, null, s1, v2, vcc_lo
	s_addk_i32 s2, 0x100
	s_cmp_ge_i32 s2, s11
	s_cbranch_scc1 .LBB572_20
.LBB572_15:                             ; =>This Inner Loop Header: Depth=1
	v_add_nc_u32_e32 v4, s2, v0
	s_mov_b32 s3, exec_lo
	v_cmpx_gt_i32_e64 s11, v4
	s_cbranch_execz .LBB572_14
; %bb.16:                               ;   in Loop: Header=BB572_15 Depth=1
	global_load_ushort v4, v[1:2], off
	s_waitcnt vmcnt(0)
	v_lshlrev_b32_e32 v4, 16, v4
	v_mul_f32_e32 v4, s7, v4
	v_and_b32_e32 v5, 0x7f800000, v4
	v_cmp_ne_u32_e32 vcc_lo, 0x7f800000, v5
                                        ; implicit-def: $vgpr5
	s_and_saveexec_b32 s9, vcc_lo
	s_xor_b32 s9, exec_lo, s9
; %bb.17:                               ;   in Loop: Header=BB572_15 Depth=1
	v_bfe_u32 v5, v4, 16, 1
	v_add3_u32 v5, v4, v5, 0x7fff
                                        ; implicit-def: $vgpr4
; %bb.18:                               ;   in Loop: Header=BB572_15 Depth=1
	s_andn2_saveexec_b32 s9, s9
	s_cbranch_execz .LBB572_13
; %bb.19:                               ;   in Loop: Header=BB572_15 Depth=1
	v_or_b32_e32 v5, 0x10000, v4
	v_cmp_eq_u32_sdwa vcc_lo, v4, v3 src0_sel:WORD_0 src1_sel:DWORD
	v_cndmask_b32_e32 v5, v5, v4, vcc_lo
	s_branch .LBB572_13
.LBB572_20:
	s_inst_prefetch 0x2
	s_cbranch_execnz .LBB572_70
.LBB572_21:
	s_clause 0x1
	s_load_dwordx4 s[0:3], s[4:5], 0x30
	s_load_dwordx2 s[24:25], s[4:5], 0x40
	s_mov_b32 s9, exec_lo
	v_cmpx_gt_i32_e64 s10, v0
	s_cbranch_execz .LBB572_27
; %bb.22:
	s_load_dword s27, s[4:5], 0x48
	s_mul_i32 s17, s17, s6
	s_mul_hi_u32 s28, s16, s6
	s_mul_i32 s16, s16, s6
	s_add_i32 s17, s28, s17
	s_lshl_b64 s[16:17], s[16:17], 1
	s_waitcnt lgkmcnt(0)
	s_add_u32 s16, s2, s16
	s_addc_u32 s17, s3, s17
	s_lshl_b64 s[2:3], s[24:25], 1
	s_add_u32 s2, s16, s2
	s_addc_u32 s3, s17, s3
	v_mad_i64_i32 v[1:2], null, s27, v0, 0
	v_lshlrev_b64 v[1:2], 1, v[1:2]
	v_add_co_u32 v1, vcc_lo, s2, v1
	v_add_co_ci_u32_e64 v2, null, s3, v2, vcc_lo
	global_load_ushort v1, v[1:2], off
	s_waitcnt vmcnt(0)
	v_lshlrev_b32_e32 v1, 16, v1
	v_mul_f32_e32 v1, s26, v1
	v_and_b32_e32 v2, 0x7f800000, v1
	v_cmp_ne_u32_e32 vcc_lo, 0x7f800000, v2
                                        ; implicit-def: $vgpr2
	s_and_saveexec_b32 s2, vcc_lo
	s_xor_b32 s2, exec_lo, s2
; %bb.23:
	v_bfe_u32 v2, v1, 16, 1
	v_add3_u32 v2, v1, v2, 0x7fff
                                        ; implicit-def: $vgpr1
; %bb.24:
	s_andn2_saveexec_b32 s2, s2
; %bb.25:
	v_mov_b32_e32 v2, 0
	v_or_b32_e32 v3, 0x10000, v1
	v_cmp_eq_u32_sdwa vcc_lo, v1, v2 src0_sel:WORD_0 src1_sel:DWORD
	v_cndmask_b32_e32 v2, v3, v1, vcc_lo
; %bb.26:
	s_or_b32 exec_lo, exec_lo, s2
	v_and_b32_e32 v1, 0xffff0000, v2
	v_lshlrev_b32_e32 v2, 2, v0
	ds_write_b32 v2, v1
.LBB572_27:
	s_or_b32 exec_lo, exec_lo, s9
	s_cmp_lt_i32 s11, 1
	s_waitcnt lgkmcnt(0)
	s_waitcnt_vscnt null, 0x0
	s_barrier
	buffer_gl0_inv
	s_cbranch_scc1 .LBB572_70
; %bb.28:
	s_load_dword s24, s[4:5], 0x28
	s_lshl_b64 s[2:3], s[20:21], 1
	s_mul_i32 s1, s1, s6
	s_mul_hi_u32 s20, s0, s6
	s_mul_i32 s0, s0, s6
	s_add_u32 s6, s22, s2
	s_addc_u32 s9, s23, s3
	s_lshl_b64 s[4:5], s[18:19], 1
	v_cmp_neq_f32_e64 s2, s7, 0
	s_add_u32 s3, s6, s4
	s_addc_u32 s4, s9, s5
	s_ashr_i32 s5, s8, 31
	v_mov_b32_e32 v9, 0
	s_waitcnt lgkmcnt(0)
	s_ashr_i32 s25, s24, 31
	s_cmp_gt_i32 s10, 0
	v_mad_i64_i32 v[1:2], null, s24, v0, 0
	s_cselect_b32 s6, -1, 0
	s_and_b32 s9, s10, 3
	s_cmp_gt_u32 s10, 3
	s_cselect_b32 s16, -1, 0
	s_and_b32 s10, s10, 0x7ffffffc
	s_cmp_lg_u32 s9, 0
	v_lshlrev_b64 v[1:2], 1, v[1:2]
	s_cselect_b32 s17, -1, 0
	s_add_i32 s1, s20, s1
	s_lshl_b64 s[14:15], s[14:15], 1
	s_lshl_b64 s[0:1], s[0:1], 1
	s_add_u32 s12, s12, s14
	s_addc_u32 s13, s13, s15
	s_add_u32 s0, s12, s0
	s_addc_u32 s1, s13, s1
	v_add_co_u32 v7, vcc_lo, s0, v1
	v_add_co_ci_u32_e64 v8, null, s1, v2, vcc_lo
	s_mov_b32 s12, 0
	v_add_co_u32 v1, vcc_lo, v7, 4
	v_add_co_ci_u32_e64 v2, null, 0, v8, vcc_lo
	s_lshl_b64 s[0:1], s[24:25], 9
	s_branch .LBB572_31
.LBB572_29:                             ;   in Loop: Header=BB572_31 Depth=1
	s_or_b32 exec_lo, exec_lo, s14
	v_add_co_u32 v3, vcc_lo, s3, v3
	v_add_co_ci_u32_e64 v4, null, s4, v4, vcc_lo
	global_store_short_d16_hi v[3:4], v5, off
.LBB572_30:                             ;   in Loop: Header=BB572_31 Depth=1
	s_or_b32 exec_lo, exec_lo, s13
	v_add_co_u32 v1, vcc_lo, v1, s0
	v_add_co_ci_u32_e64 v2, null, s1, v2, vcc_lo
	v_add_co_u32 v7, vcc_lo, v7, s0
	v_add_co_ci_u32_e64 v8, null, s1, v8, vcc_lo
	s_addk_i32 s12, 0x100
	s_cmp_ge_i32 s12, s11
	s_cbranch_scc1 .LBB572_70
.LBB572_31:                             ; =>This Loop Header: Depth=1
                                        ;     Child Loop BB572_42 Depth 2
                                        ;     Child Loop BB572_62 Depth 2
	v_add_nc_u32_e32 v3, s12, v0
	s_mov_b32 s13, exec_lo
	v_cmpx_gt_i32_e64 s11, v3
	s_cbranch_execz .LBB572_30
; %bb.32:                               ;   in Loop: Header=BB572_31 Depth=1
	v_mad_u64_u32 v[4:5], null, v3, s8, 0
	s_andn2_b32 vcc_lo, exec_lo, s2
	v_mad_u64_u32 v[5:6], null, v3, s5, v[5:6]
	v_lshlrev_b64 v[3:4], 1, v[4:5]
	s_cbranch_vccnz .LBB572_38
; %bb.33:                               ;   in Loop: Header=BB572_31 Depth=1
	v_add_co_u32 v5, vcc_lo, s3, v3
	v_add_co_ci_u32_e64 v6, null, s4, v4, vcc_lo
	global_load_ushort v5, v[5:6], off
	s_waitcnt vmcnt(0)
	v_lshlrev_b32_e32 v5, 16, v5
	v_mul_f32_e32 v5, s7, v5
	v_and_b32_e32 v6, 0x7f800000, v5
	v_cmp_ne_u32_e32 vcc_lo, 0x7f800000, v6
                                        ; implicit-def: $vgpr6
	s_and_saveexec_b32 s14, vcc_lo
	s_xor_b32 s14, exec_lo, s14
; %bb.34:                               ;   in Loop: Header=BB572_31 Depth=1
	v_bfe_u32 v6, v5, 16, 1
	v_add3_u32 v6, v5, v6, 0x7fff
                                        ; implicit-def: $vgpr5
; %bb.35:                               ;   in Loop: Header=BB572_31 Depth=1
	s_andn2_saveexec_b32 s14, s14
; %bb.36:                               ;   in Loop: Header=BB572_31 Depth=1
	v_or_b32_e32 v6, 0x10000, v5
	v_cmp_eq_u32_sdwa vcc_lo, v5, v9 src0_sel:WORD_0 src1_sel:DWORD
	v_cndmask_b32_e32 v6, v6, v5, vcc_lo
; %bb.37:                               ;   in Loop: Header=BB572_31 Depth=1
	s_or_b32 exec_lo, exec_lo, s14
	v_and_b32_e32 v5, 0xffff0000, v6
	v_cvt_i32_f32_e32 v5, v5
	v_cvt_f32_i32_e32 v10, v5
	s_andn2_b32 vcc_lo, exec_lo, s6
	s_cbranch_vccz .LBB572_39
	s_branch .LBB572_66
.LBB572_38:                             ;   in Loop: Header=BB572_31 Depth=1
	v_mov_b32_e32 v10, 0
	s_andn2_b32 vcc_lo, exec_lo, s6
	s_cbranch_vccnz .LBB572_66
.LBB572_39:                             ;   in Loop: Header=BB572_31 Depth=1
	s_andn2_b32 vcc_lo, exec_lo, s16
	s_mov_b32 s14, 0
	s_cbranch_vccnz .LBB572_59
; %bb.40:                               ;   in Loop: Header=BB572_31 Depth=1
	v_mov_b32_e32 v6, v2
	v_mov_b32_e32 v5, v1
	s_mov_b32 s15, 0
	s_branch .LBB572_42
.LBB572_41:                             ;   in Loop: Header=BB572_42 Depth=2
	s_or_b32 exec_lo, exec_lo, s18
	v_and_b32_e32 v11, 0xffff0000, v11
	v_and_b32_e32 v12, 0xffff0000, v12
	v_add_co_u32 v5, vcc_lo, v5, 8
	v_add_co_ci_u32_e64 v6, null, 0, v6, vcc_lo
	v_add_f32_e32 v10, v10, v11
	v_and_b32_e32 v11, 0xffff0000, v13
	s_add_i32 s15, s15, 4
	s_add_i32 s14, s14, 16
	s_cmp_eq_u32 s10, s15
	v_add_f32_e32 v10, v10, v12
	v_and_b32_e32 v12, 0xffff0000, v14
	v_add_f32_e32 v10, v10, v11
	v_add_f32_e32 v10, v10, v12
	s_cbranch_scc1 .LBB572_58
.LBB572_42:                             ;   Parent Loop BB572_31 Depth=1
                                        ; =>  This Inner Loop Header: Depth=2
	global_load_ushort v11, v[5:6], off offset:-4
	v_mov_b32_e32 v12, s14
	ds_read_b32 v12, v12
	s_waitcnt vmcnt(0)
	v_lshlrev_b32_e32 v11, 16, v11
	s_waitcnt lgkmcnt(0)
	v_mul_f32_e32 v12, v12, v11
	v_and_b32_e32 v11, 0x7f800000, v12
	v_cmp_ne_u32_e32 vcc_lo, 0x7f800000, v11
                                        ; implicit-def: $vgpr11
	s_and_saveexec_b32 s18, vcc_lo
	s_xor_b32 s18, exec_lo, s18
; %bb.43:                               ;   in Loop: Header=BB572_42 Depth=2
	v_bfe_u32 v11, v12, 16, 1
	v_add3_u32 v11, v12, v11, 0x7fff
                                        ; implicit-def: $vgpr12
; %bb.44:                               ;   in Loop: Header=BB572_42 Depth=2
	s_andn2_saveexec_b32 s18, s18
; %bb.45:                               ;   in Loop: Header=BB572_42 Depth=2
	v_or_b32_e32 v11, 0x10000, v12
	v_cmp_eq_u32_sdwa vcc_lo, v12, v9 src0_sel:WORD_0 src1_sel:DWORD
	v_cndmask_b32_e32 v11, v11, v12, vcc_lo
; %bb.46:                               ;   in Loop: Header=BB572_42 Depth=2
	s_or_b32 exec_lo, exec_lo, s18
	global_load_ushort v12, v[5:6], off offset:-2
	v_mov_b32_e32 v13, s14
	ds_read_b32 v13, v13 offset:4
	s_waitcnt vmcnt(0)
	v_lshlrev_b32_e32 v12, 16, v12
	s_waitcnt lgkmcnt(0)
	v_mul_f32_e32 v13, v13, v12
	v_and_b32_e32 v12, 0x7f800000, v13
	v_cmp_ne_u32_e32 vcc_lo, 0x7f800000, v12
                                        ; implicit-def: $vgpr12
	s_and_saveexec_b32 s18, vcc_lo
	s_xor_b32 s18, exec_lo, s18
; %bb.47:                               ;   in Loop: Header=BB572_42 Depth=2
	v_bfe_u32 v12, v13, 16, 1
	v_add3_u32 v12, v13, v12, 0x7fff
                                        ; implicit-def: $vgpr13
; %bb.48:                               ;   in Loop: Header=BB572_42 Depth=2
	s_andn2_saveexec_b32 s18, s18
; %bb.49:                               ;   in Loop: Header=BB572_42 Depth=2
	v_or_b32_e32 v12, 0x10000, v13
	v_cmp_eq_u32_sdwa vcc_lo, v13, v9 src0_sel:WORD_0 src1_sel:DWORD
	v_cndmask_b32_e32 v12, v12, v13, vcc_lo
; %bb.50:                               ;   in Loop: Header=BB572_42 Depth=2
	s_or_b32 exec_lo, exec_lo, s18
	global_load_ushort v13, v[5:6], off
	v_mov_b32_e32 v14, s14
	ds_read_b32 v14, v14 offset:8
	s_waitcnt vmcnt(0)
	v_lshlrev_b32_e32 v13, 16, v13
	s_waitcnt lgkmcnt(0)
	v_mul_f32_e32 v14, v14, v13
	v_and_b32_e32 v13, 0x7f800000, v14
	v_cmp_ne_u32_e32 vcc_lo, 0x7f800000, v13
                                        ; implicit-def: $vgpr13
	s_and_saveexec_b32 s18, vcc_lo
	s_xor_b32 s18, exec_lo, s18
; %bb.51:                               ;   in Loop: Header=BB572_42 Depth=2
	v_bfe_u32 v13, v14, 16, 1
	v_add3_u32 v13, v14, v13, 0x7fff
                                        ; implicit-def: $vgpr14
; %bb.52:                               ;   in Loop: Header=BB572_42 Depth=2
	s_andn2_saveexec_b32 s18, s18
; %bb.53:                               ;   in Loop: Header=BB572_42 Depth=2
	v_or_b32_e32 v13, 0x10000, v14
	v_cmp_eq_u32_sdwa vcc_lo, v14, v9 src0_sel:WORD_0 src1_sel:DWORD
	v_cndmask_b32_e32 v13, v13, v14, vcc_lo
; %bb.54:                               ;   in Loop: Header=BB572_42 Depth=2
	s_or_b32 exec_lo, exec_lo, s18
	global_load_ushort v14, v[5:6], off offset:2
	v_mov_b32_e32 v15, s14
	ds_read_b32 v15, v15 offset:12
	s_waitcnt vmcnt(0)
	v_lshlrev_b32_e32 v14, 16, v14
	s_waitcnt lgkmcnt(0)
	v_mul_f32_e32 v15, v15, v14
	v_and_b32_e32 v14, 0x7f800000, v15
	v_cmp_ne_u32_e32 vcc_lo, 0x7f800000, v14
                                        ; implicit-def: $vgpr14
	s_and_saveexec_b32 s18, vcc_lo
	s_xor_b32 s18, exec_lo, s18
; %bb.55:                               ;   in Loop: Header=BB572_42 Depth=2
	v_bfe_u32 v14, v15, 16, 1
	v_add3_u32 v14, v15, v14, 0x7fff
                                        ; implicit-def: $vgpr15
; %bb.56:                               ;   in Loop: Header=BB572_42 Depth=2
	s_andn2_saveexec_b32 s18, s18
	s_cbranch_execz .LBB572_41
; %bb.57:                               ;   in Loop: Header=BB572_42 Depth=2
	v_or_b32_e32 v14, 0x10000, v15
	v_cmp_eq_u32_sdwa vcc_lo, v15, v9 src0_sel:WORD_0 src1_sel:DWORD
	v_cndmask_b32_e32 v14, v14, v15, vcc_lo
	s_branch .LBB572_41
.LBB572_58:                             ;   in Loop: Header=BB572_31 Depth=1
	s_mov_b32 s14, s10
.LBB572_59:                             ;   in Loop: Header=BB572_31 Depth=1
	s_andn2_b32 vcc_lo, exec_lo, s17
	s_cbranch_vccnz .LBB572_66
; %bb.60:                               ;   in Loop: Header=BB572_31 Depth=1
	s_lshl_b32 s15, s14, 1
	s_lshl_b32 s14, s14, 2
	v_add_co_u32 v5, vcc_lo, v7, s15
	v_add_co_ci_u32_e64 v6, null, 0, v8, vcc_lo
	s_mov_b32 s15, s9
	s_inst_prefetch 0x1
	s_branch .LBB572_62
	.p2align	6
.LBB572_61:                             ;   in Loop: Header=BB572_62 Depth=2
	s_or_b32 exec_lo, exec_lo, s18
	v_and_b32_e32 v11, 0xffff0000, v12
	v_add_co_u32 v5, vcc_lo, v5, 2
	v_add_co_ci_u32_e64 v6, null, 0, v6, vcc_lo
	v_add_f32_e32 v10, v10, v11
	s_add_i32 s15, s15, -1
	s_add_i32 s14, s14, 4
	s_cmp_lg_u32 s15, 0
	s_cbranch_scc0 .LBB572_66
.LBB572_62:                             ;   Parent Loop BB572_31 Depth=1
                                        ; =>  This Inner Loop Header: Depth=2
	global_load_ushort v11, v[5:6], off
	v_mov_b32_e32 v12, s14
	ds_read_b32 v12, v12
	s_waitcnt vmcnt(0)
	v_lshlrev_b32_e32 v11, 16, v11
	s_waitcnt lgkmcnt(0)
	v_mul_f32_e32 v11, v12, v11
	v_and_b32_e32 v12, 0x7f800000, v11
	v_cmp_ne_u32_e32 vcc_lo, 0x7f800000, v12
                                        ; implicit-def: $vgpr12
	s_and_saveexec_b32 s18, vcc_lo
	s_xor_b32 s18, exec_lo, s18
; %bb.63:                               ;   in Loop: Header=BB572_62 Depth=2
	v_bfe_u32 v12, v11, 16, 1
	v_add3_u32 v12, v11, v12, 0x7fff
                                        ; implicit-def: $vgpr11
; %bb.64:                               ;   in Loop: Header=BB572_62 Depth=2
	s_andn2_saveexec_b32 s18, s18
	s_cbranch_execz .LBB572_61
; %bb.65:                               ;   in Loop: Header=BB572_62 Depth=2
	v_or_b32_e32 v12, 0x10000, v11
	v_cmp_eq_u32_sdwa vcc_lo, v11, v9 src0_sel:WORD_0 src1_sel:DWORD
	v_cndmask_b32_e32 v12, v12, v11, vcc_lo
	s_branch .LBB572_61
.LBB572_66:                             ;   in Loop: Header=BB572_31 Depth=1
	s_inst_prefetch 0x2
	v_and_b32_e32 v5, 0x7f800000, v10
	v_cmp_ne_u32_e32 vcc_lo, 0x7f800000, v5
                                        ; implicit-def: $vgpr5
	s_and_saveexec_b32 s14, vcc_lo
	s_xor_b32 s14, exec_lo, s14
; %bb.67:                               ;   in Loop: Header=BB572_31 Depth=1
	v_bfe_u32 v5, v10, 16, 1
	v_add3_u32 v5, v10, v5, 0x7fff
                                        ; implicit-def: $vgpr10
; %bb.68:                               ;   in Loop: Header=BB572_31 Depth=1
	s_andn2_saveexec_b32 s14, s14
	s_cbranch_execz .LBB572_29
; %bb.69:                               ;   in Loop: Header=BB572_31 Depth=1
	v_or_b32_e32 v5, 0x10000, v10
	v_cmp_eq_u32_sdwa vcc_lo, v10, v9 src0_sel:WORD_0 src1_sel:DWORD
	v_cndmask_b32_e32 v5, v5, v10, vcc_lo
	s_branch .LBB572_29
.LBB572_70:
	s_endpgm
	.section	.rodata,"a",@progbits
	.p2align	6, 0x0
	.amdhsa_kernel _ZL22rocblas_gemvtsm_kernelILb1ELi256E16rocblas_bfloat16PKfS0_EviiT2_lPKT1_lilS6_lilS3_lPT3_lil
		.amdhsa_group_segment_fixed_size 256
		.amdhsa_private_segment_fixed_size 0
		.amdhsa_kernarg_size 136
		.amdhsa_user_sgpr_count 6
		.amdhsa_user_sgpr_private_segment_buffer 1
		.amdhsa_user_sgpr_dispatch_ptr 0
		.amdhsa_user_sgpr_queue_ptr 0
		.amdhsa_user_sgpr_kernarg_segment_ptr 1
		.amdhsa_user_sgpr_dispatch_id 0
		.amdhsa_user_sgpr_flat_scratch_init 0
		.amdhsa_user_sgpr_private_segment_size 0
		.amdhsa_wavefront_size32 1
		.amdhsa_uses_dynamic_stack 0
		.amdhsa_system_sgpr_private_segment_wavefront_offset 0
		.amdhsa_system_sgpr_workgroup_id_x 1
		.amdhsa_system_sgpr_workgroup_id_y 0
		.amdhsa_system_sgpr_workgroup_id_z 0
		.amdhsa_system_sgpr_workgroup_info 0
		.amdhsa_system_vgpr_workitem_id 0
		.amdhsa_next_free_vgpr 16
		.amdhsa_next_free_sgpr 29
		.amdhsa_reserve_vcc 1
		.amdhsa_reserve_flat_scratch 0
		.amdhsa_float_round_mode_32 0
		.amdhsa_float_round_mode_16_64 0
		.amdhsa_float_denorm_mode_32 3
		.amdhsa_float_denorm_mode_16_64 3
		.amdhsa_dx10_clamp 1
		.amdhsa_ieee_mode 1
		.amdhsa_fp16_overflow 0
		.amdhsa_workgroup_processor_mode 1
		.amdhsa_memory_ordered 1
		.amdhsa_forward_progress 1
		.amdhsa_shared_vgpr_count 0
		.amdhsa_exception_fp_ieee_invalid_op 0
		.amdhsa_exception_fp_denorm_src 0
		.amdhsa_exception_fp_ieee_div_zero 0
		.amdhsa_exception_fp_ieee_overflow 0
		.amdhsa_exception_fp_ieee_underflow 0
		.amdhsa_exception_fp_ieee_inexact 0
		.amdhsa_exception_int_div_zero 0
	.end_amdhsa_kernel
	.section	.text._ZL22rocblas_gemvtsm_kernelILb1ELi256E16rocblas_bfloat16PKfS0_EviiT2_lPKT1_lilS6_lilS3_lPT3_lil,"axG",@progbits,_ZL22rocblas_gemvtsm_kernelILb1ELi256E16rocblas_bfloat16PKfS0_EviiT2_lPKT1_lilS6_lilS3_lPT3_lil,comdat
.Lfunc_end572:
	.size	_ZL22rocblas_gemvtsm_kernelILb1ELi256E16rocblas_bfloat16PKfS0_EviiT2_lPKT1_lilS6_lilS3_lPT3_lil, .Lfunc_end572-_ZL22rocblas_gemvtsm_kernelILb1ELi256E16rocblas_bfloat16PKfS0_EviiT2_lPKT1_lilS6_lilS3_lPT3_lil
                                        ; -- End function
	.set _ZL22rocblas_gemvtsm_kernelILb1ELi256E16rocblas_bfloat16PKfS0_EviiT2_lPKT1_lilS6_lilS3_lPT3_lil.num_vgpr, 16
	.set _ZL22rocblas_gemvtsm_kernelILb1ELi256E16rocblas_bfloat16PKfS0_EviiT2_lPKT1_lilS6_lilS3_lPT3_lil.num_agpr, 0
	.set _ZL22rocblas_gemvtsm_kernelILb1ELi256E16rocblas_bfloat16PKfS0_EviiT2_lPKT1_lilS6_lilS3_lPT3_lil.numbered_sgpr, 29
	.set _ZL22rocblas_gemvtsm_kernelILb1ELi256E16rocblas_bfloat16PKfS0_EviiT2_lPKT1_lilS6_lilS3_lPT3_lil.num_named_barrier, 0
	.set _ZL22rocblas_gemvtsm_kernelILb1ELi256E16rocblas_bfloat16PKfS0_EviiT2_lPKT1_lilS6_lilS3_lPT3_lil.private_seg_size, 0
	.set _ZL22rocblas_gemvtsm_kernelILb1ELi256E16rocblas_bfloat16PKfS0_EviiT2_lPKT1_lilS6_lilS3_lPT3_lil.uses_vcc, 1
	.set _ZL22rocblas_gemvtsm_kernelILb1ELi256E16rocblas_bfloat16PKfS0_EviiT2_lPKT1_lilS6_lilS3_lPT3_lil.uses_flat_scratch, 0
	.set _ZL22rocblas_gemvtsm_kernelILb1ELi256E16rocblas_bfloat16PKfS0_EviiT2_lPKT1_lilS6_lilS3_lPT3_lil.has_dyn_sized_stack, 0
	.set _ZL22rocblas_gemvtsm_kernelILb1ELi256E16rocblas_bfloat16PKfS0_EviiT2_lPKT1_lilS6_lilS3_lPT3_lil.has_recursion, 0
	.set _ZL22rocblas_gemvtsm_kernelILb1ELi256E16rocblas_bfloat16PKfS0_EviiT2_lPKT1_lilS6_lilS3_lPT3_lil.has_indirect_call, 0
	.section	.AMDGPU.csdata,"",@progbits
; Kernel info:
; codeLenInByte = 2292
; TotalNumSgprs: 31
; NumVgprs: 16
; ScratchSize: 0
; MemoryBound: 0
; FloatMode: 240
; IeeeMode: 1
; LDSByteSize: 256 bytes/workgroup (compile time only)
; SGPRBlocks: 0
; VGPRBlocks: 1
; NumSGPRsForWavesPerEU: 31
; NumVGPRsForWavesPerEU: 16
; Occupancy: 16
; WaveLimiterHint : 1
; COMPUTE_PGM_RSRC2:SCRATCH_EN: 0
; COMPUTE_PGM_RSRC2:USER_SGPR: 6
; COMPUTE_PGM_RSRC2:TRAP_HANDLER: 0
; COMPUTE_PGM_RSRC2:TGID_X_EN: 1
; COMPUTE_PGM_RSRC2:TGID_Y_EN: 0
; COMPUTE_PGM_RSRC2:TGID_Z_EN: 0
; COMPUTE_PGM_RSRC2:TIDIG_COMP_CNT: 0
	.section	.text._ZL22rocblas_gemvtsm_kernelILb1ELi256E16rocblas_bfloat16fS0_EviiT2_lPKT1_lilS4_lilS1_lPT3_lil,"axG",@progbits,_ZL22rocblas_gemvtsm_kernelILb1ELi256E16rocblas_bfloat16fS0_EviiT2_lPKT1_lilS4_lilS1_lPT3_lil,comdat
	.globl	_ZL22rocblas_gemvtsm_kernelILb1ELi256E16rocblas_bfloat16fS0_EviiT2_lPKT1_lilS4_lilS1_lPT3_lil ; -- Begin function _ZL22rocblas_gemvtsm_kernelILb1ELi256E16rocblas_bfloat16fS0_EviiT2_lPKT1_lilS4_lilS1_lPT3_lil
	.p2align	8
	.type	_ZL22rocblas_gemvtsm_kernelILb1ELi256E16rocblas_bfloat16fS0_EviiT2_lPKT1_lilS4_lilS1_lPT3_lil,@function
_ZL22rocblas_gemvtsm_kernelILb1ELi256E16rocblas_bfloat16fS0_EviiT2_lPKT1_lilS4_lilS1_lPT3_lil: ; @_ZL22rocblas_gemvtsm_kernelILb1ELi256E16rocblas_bfloat16fS0_EviiT2_lPKT1_lilS4_lilS1_lPT3_lil
; %bb.0:
	s_clause 0x1
	s_load_dwordx4 s[8:11], s[4:5], 0x0
	s_load_dword s7, s[4:5], 0x58
	s_waitcnt lgkmcnt(0)
	v_cmp_eq_f32_e64 s0, s10, 0
	v_cmp_eq_f32_e64 s1, s7, 1.0
	s_and_b32 s0, s0, s1
	s_and_b32 vcc_lo, exec_lo, s0
	s_cbranch_vccnz .LBB573_70
; %bb.1:
	s_clause 0x2
	s_load_dwordx2 s[0:1], s[4:5], 0x80
	s_load_dwordx4 s[12:15], s[4:5], 0x68
	s_load_dword s20, s[4:5], 0x78
	v_cmp_neq_f32_e64 s2, s10, 0
	s_and_b32 vcc_lo, exec_lo, s2
	s_waitcnt lgkmcnt(0)
	s_mul_i32 s1, s1, s6
	s_mul_hi_u32 s2, s0, s6
	s_mul_i32 s22, s0, s6
	s_add_i32 s23, s2, s1
	s_cbranch_vccnz .LBB573_9
; %bb.2:
	s_cmp_gt_i32 s9, 0
	v_cmp_neq_f32_e64 s0, s7, 0
	s_cselect_b32 s2, -1, 0
	v_cndmask_b32_e64 v1, 0, 1, s2
	s_and_b32 vcc_lo, exec_lo, s0
	v_cmp_ne_u32_e64 s0, 1, v1
	s_cbranch_vccnz .LBB573_10
; %bb.3:
	s_and_b32 vcc_lo, exec_lo, s0
	s_cbranch_vccnz .LBB573_8
; %bb.4:
	v_mad_i64_i32 v[1:2], null, s20, v0, 0
	s_lshl_b64 s[16:17], s[14:15], 1
	s_ashr_i32 s21, s20, 31
	s_lshl_b64 s[0:1], s[22:23], 1
	s_add_u32 s3, s12, s16
	s_addc_u32 s11, s13, s17
	s_add_u32 s0, s3, s0
	v_lshlrev_b64 v[1:2], 1, v[1:2]
	s_addc_u32 s1, s11, s1
	v_mov_b32_e32 v3, 0
	s_mov_b32 s3, 0
	v_add_co_u32 v1, vcc_lo, s0, v1
	v_add_co_ci_u32_e64 v2, null, s1, v2, vcc_lo
	s_lshl_b64 s[0:1], s[20:21], 9
	s_branch .LBB573_6
.LBB573_5:                              ;   in Loop: Header=BB573_6 Depth=1
	s_or_b32 exec_lo, exec_lo, s11
	v_add_co_u32 v1, vcc_lo, v1, s0
	v_add_co_ci_u32_e64 v2, null, s1, v2, vcc_lo
	s_addk_i32 s3, 0x100
	s_cmp_ge_i32 s3, s9
	s_cbranch_scc1 .LBB573_8
.LBB573_6:                              ; =>This Inner Loop Header: Depth=1
	v_add_nc_u32_e32 v4, s3, v0
	s_mov_b32 s11, exec_lo
	v_cmpx_gt_i32_e64 s9, v4
	s_cbranch_execz .LBB573_5
; %bb.7:                                ;   in Loop: Header=BB573_6 Depth=1
	global_store_short v[1:2], v3, off
	s_branch .LBB573_5
.LBB573_8:
	s_cbranch_execz .LBB573_11
	s_branch .LBB573_20
.LBB573_9:
	s_branch .LBB573_21
.LBB573_10:
.LBB573_11:
	s_andn2_b32 vcc_lo, exec_lo, s2
	s_cbranch_vccnz .LBB573_20
; %bb.12:
	v_mad_i64_i32 v[1:2], null, s20, v0, 0
	s_lshl_b64 s[2:3], s[14:15], 1
	s_ashr_i32 s21, s20, 31
	s_lshl_b64 s[0:1], s[22:23], 1
	s_add_u32 s2, s12, s2
	s_addc_u32 s3, s13, s3
	s_add_u32 s0, s2, s0
	v_lshlrev_b64 v[1:2], 1, v[1:2]
	s_addc_u32 s1, s3, s1
	v_mov_b32_e32 v3, 0
	s_mov_b32 s2, 0
	v_add_co_u32 v1, vcc_lo, s0, v1
	v_add_co_ci_u32_e64 v2, null, s1, v2, vcc_lo
	s_lshl_b64 s[0:1], s[20:21], 9
	s_inst_prefetch 0x1
	s_branch .LBB573_15
	.p2align	6
.LBB573_13:                             ;   in Loop: Header=BB573_15 Depth=1
	s_or_b32 exec_lo, exec_lo, s11
	global_store_short_d16_hi v[1:2], v5, off
.LBB573_14:                             ;   in Loop: Header=BB573_15 Depth=1
	s_or_b32 exec_lo, exec_lo, s3
	v_add_co_u32 v1, vcc_lo, v1, s0
	v_add_co_ci_u32_e64 v2, null, s1, v2, vcc_lo
	s_addk_i32 s2, 0x100
	s_cmp_ge_i32 s2, s9
	s_cbranch_scc1 .LBB573_20
.LBB573_15:                             ; =>This Inner Loop Header: Depth=1
	v_add_nc_u32_e32 v4, s2, v0
	s_mov_b32 s3, exec_lo
	v_cmpx_gt_i32_e64 s9, v4
	s_cbranch_execz .LBB573_14
; %bb.16:                               ;   in Loop: Header=BB573_15 Depth=1
	global_load_ushort v4, v[1:2], off
	s_waitcnt vmcnt(0)
	v_lshlrev_b32_e32 v4, 16, v4
	v_mul_f32_e32 v4, s7, v4
	v_and_b32_e32 v5, 0x7f800000, v4
	v_cmp_ne_u32_e32 vcc_lo, 0x7f800000, v5
                                        ; implicit-def: $vgpr5
	s_and_saveexec_b32 s11, vcc_lo
	s_xor_b32 s11, exec_lo, s11
; %bb.17:                               ;   in Loop: Header=BB573_15 Depth=1
	v_bfe_u32 v5, v4, 16, 1
	v_add3_u32 v5, v4, v5, 0x7fff
                                        ; implicit-def: $vgpr4
; %bb.18:                               ;   in Loop: Header=BB573_15 Depth=1
	s_andn2_saveexec_b32 s11, s11
	s_cbranch_execz .LBB573_13
; %bb.19:                               ;   in Loop: Header=BB573_15 Depth=1
	v_or_b32_e32 v5, 0x10000, v4
	v_cmp_eq_u32_sdwa vcc_lo, v4, v3 src0_sel:WORD_0 src1_sel:DWORD
	v_cndmask_b32_e32 v5, v5, v4, vcc_lo
	s_branch .LBB573_13
.LBB573_20:
	s_inst_prefetch 0x2
	s_cbranch_execnz .LBB573_70
.LBB573_21:
	s_clause 0x1
	s_load_dwordx4 s[0:3], s[4:5], 0x30
	s_load_dwordx2 s[16:17], s[4:5], 0x40
	s_mov_b32 s11, exec_lo
	v_cmpx_gt_i32_e64 s8, v0
	s_cbranch_execz .LBB573_27
; %bb.22:
	s_clause 0x1
	s_load_dwordx2 s[18:19], s[4:5], 0x50
	s_load_dword s21, s[4:5], 0x48
	s_waitcnt lgkmcnt(0)
	s_mul_i32 s19, s19, s6
	v_mad_i64_i32 v[1:2], null, s21, v0, 0
	s_mul_hi_u32 s24, s18, s6
	s_mul_i32 s18, s18, s6
	s_add_i32 s19, s24, s19
	s_lshl_b64 s[18:19], s[18:19], 1
	s_add_u32 s18, s2, s18
	v_lshlrev_b64 v[1:2], 1, v[1:2]
	s_addc_u32 s19, s3, s19
	s_lshl_b64 s[2:3], s[16:17], 1
	s_add_u32 s2, s18, s2
	s_addc_u32 s3, s19, s3
	v_add_co_u32 v1, vcc_lo, s2, v1
	v_add_co_ci_u32_e64 v2, null, s3, v2, vcc_lo
	global_load_ushort v1, v[1:2], off
	s_waitcnt vmcnt(0)
	v_lshlrev_b32_e32 v1, 16, v1
	v_mul_f32_e32 v1, s10, v1
	v_and_b32_e32 v2, 0x7f800000, v1
	v_cmp_ne_u32_e32 vcc_lo, 0x7f800000, v2
                                        ; implicit-def: $vgpr2
	s_and_saveexec_b32 s2, vcc_lo
	s_xor_b32 s2, exec_lo, s2
; %bb.23:
	v_bfe_u32 v2, v1, 16, 1
	v_add3_u32 v2, v1, v2, 0x7fff
                                        ; implicit-def: $vgpr1
; %bb.24:
	s_andn2_saveexec_b32 s2, s2
; %bb.25:
	v_mov_b32_e32 v2, 0
	v_or_b32_e32 v3, 0x10000, v1
	v_cmp_eq_u32_sdwa vcc_lo, v1, v2 src0_sel:WORD_0 src1_sel:DWORD
	v_cndmask_b32_e32 v2, v3, v1, vcc_lo
; %bb.26:
	s_or_b32 exec_lo, exec_lo, s2
	v_and_b32_e32 v1, 0xffff0000, v2
	v_lshlrev_b32_e32 v2, 2, v0
	ds_write_b32 v2, v1
.LBB573_27:
	s_or_b32 exec_lo, exec_lo, s11
	s_cmp_lt_i32 s9, 1
	s_waitcnt lgkmcnt(0)
	s_waitcnt_vscnt null, 0x0
	s_barrier
	buffer_gl0_inv
	s_cbranch_scc1 .LBB573_70
; %bb.28:
	s_clause 0x1
	s_load_dword s24, s[4:5], 0x28
	s_load_dwordx4 s[16:19], s[4:5], 0x18
	s_lshl_b64 s[2:3], s[22:23], 1
	s_mul_i32 s1, s1, s6
	s_mul_hi_u32 s21, s0, s6
	s_mul_i32 s0, s0, s6
	s_add_u32 s6, s12, s2
	s_addc_u32 s10, s13, s3
	s_lshl_b64 s[4:5], s[14:15], 1
	v_cmp_neq_f32_e64 s2, s7, 0
	s_add_u32 s3, s6, s4
	s_addc_u32 s4, s10, s5
	s_ashr_i32 s5, s20, 31
	v_mov_b32_e32 v9, 0
	s_waitcnt lgkmcnt(0)
	s_ashr_i32 s25, s24, 31
	s_cmp_gt_i32 s8, 0
	v_mad_i64_i32 v[1:2], null, s24, v0, 0
	s_cselect_b32 s6, -1, 0
	s_and_b32 s10, s8, 3
	s_cmp_gt_u32 s8, 3
	s_cselect_b32 s11, -1, 0
	s_and_b32 s8, s8, 0x7ffffffc
	s_cmp_lg_u32 s10, 0
	v_lshlrev_b64 v[1:2], 1, v[1:2]
	s_cselect_b32 s12, -1, 0
	s_add_i32 s1, s21, s1
	s_lshl_b64 s[14:15], s[18:19], 1
	s_lshl_b64 s[0:1], s[0:1], 1
	s_add_u32 s13, s16, s14
	s_addc_u32 s14, s17, s15
	s_add_u32 s0, s13, s0
	s_addc_u32 s1, s14, s1
	v_add_co_u32 v7, vcc_lo, s0, v1
	v_add_co_ci_u32_e64 v8, null, s1, v2, vcc_lo
	s_mov_b32 s13, 0
	v_add_co_u32 v1, vcc_lo, v7, 4
	v_add_co_ci_u32_e64 v2, null, 0, v8, vcc_lo
	s_lshl_b64 s[0:1], s[24:25], 9
	s_branch .LBB573_31
.LBB573_29:                             ;   in Loop: Header=BB573_31 Depth=1
	s_or_b32 exec_lo, exec_lo, s15
	v_add_co_u32 v3, vcc_lo, s3, v3
	v_add_co_ci_u32_e64 v4, null, s4, v4, vcc_lo
	global_store_short_d16_hi v[3:4], v5, off
.LBB573_30:                             ;   in Loop: Header=BB573_31 Depth=1
	s_or_b32 exec_lo, exec_lo, s14
	v_add_co_u32 v1, vcc_lo, v1, s0
	v_add_co_ci_u32_e64 v2, null, s1, v2, vcc_lo
	v_add_co_u32 v7, vcc_lo, v7, s0
	v_add_co_ci_u32_e64 v8, null, s1, v8, vcc_lo
	s_addk_i32 s13, 0x100
	s_cmp_ge_i32 s13, s9
	s_cbranch_scc1 .LBB573_70
.LBB573_31:                             ; =>This Loop Header: Depth=1
                                        ;     Child Loop BB573_42 Depth 2
                                        ;     Child Loop BB573_62 Depth 2
	v_add_nc_u32_e32 v3, s13, v0
	s_mov_b32 s14, exec_lo
	v_cmpx_gt_i32_e64 s9, v3
	s_cbranch_execz .LBB573_30
; %bb.32:                               ;   in Loop: Header=BB573_31 Depth=1
	v_mad_u64_u32 v[4:5], null, v3, s20, 0
	s_andn2_b32 vcc_lo, exec_lo, s2
	v_mad_u64_u32 v[5:6], null, v3, s5, v[5:6]
	v_lshlrev_b64 v[3:4], 1, v[4:5]
	s_cbranch_vccnz .LBB573_38
; %bb.33:                               ;   in Loop: Header=BB573_31 Depth=1
	v_add_co_u32 v5, vcc_lo, s3, v3
	v_add_co_ci_u32_e64 v6, null, s4, v4, vcc_lo
	global_load_ushort v5, v[5:6], off
	s_waitcnt vmcnt(0)
	v_lshlrev_b32_e32 v5, 16, v5
	v_mul_f32_e32 v5, s7, v5
	v_and_b32_e32 v6, 0x7f800000, v5
	v_cmp_ne_u32_e32 vcc_lo, 0x7f800000, v6
                                        ; implicit-def: $vgpr6
	s_and_saveexec_b32 s15, vcc_lo
	s_xor_b32 s15, exec_lo, s15
; %bb.34:                               ;   in Loop: Header=BB573_31 Depth=1
	v_bfe_u32 v6, v5, 16, 1
	v_add3_u32 v6, v5, v6, 0x7fff
                                        ; implicit-def: $vgpr5
; %bb.35:                               ;   in Loop: Header=BB573_31 Depth=1
	s_andn2_saveexec_b32 s15, s15
; %bb.36:                               ;   in Loop: Header=BB573_31 Depth=1
	v_or_b32_e32 v6, 0x10000, v5
	v_cmp_eq_u32_sdwa vcc_lo, v5, v9 src0_sel:WORD_0 src1_sel:DWORD
	v_cndmask_b32_e32 v6, v6, v5, vcc_lo
; %bb.37:                               ;   in Loop: Header=BB573_31 Depth=1
	s_or_b32 exec_lo, exec_lo, s15
	v_and_b32_e32 v5, 0xffff0000, v6
	v_cvt_i32_f32_e32 v5, v5
	v_cvt_f32_i32_e32 v10, v5
	s_andn2_b32 vcc_lo, exec_lo, s6
	s_cbranch_vccz .LBB573_39
	s_branch .LBB573_66
.LBB573_38:                             ;   in Loop: Header=BB573_31 Depth=1
	v_mov_b32_e32 v10, 0
	s_andn2_b32 vcc_lo, exec_lo, s6
	s_cbranch_vccnz .LBB573_66
.LBB573_39:                             ;   in Loop: Header=BB573_31 Depth=1
	s_andn2_b32 vcc_lo, exec_lo, s11
	s_mov_b32 s15, 0
	s_cbranch_vccnz .LBB573_59
; %bb.40:                               ;   in Loop: Header=BB573_31 Depth=1
	v_mov_b32_e32 v6, v2
	v_mov_b32_e32 v5, v1
	s_mov_b32 s16, 0
	s_branch .LBB573_42
.LBB573_41:                             ;   in Loop: Header=BB573_42 Depth=2
	s_or_b32 exec_lo, exec_lo, s17
	v_and_b32_e32 v11, 0xffff0000, v11
	v_and_b32_e32 v12, 0xffff0000, v12
	v_add_co_u32 v5, vcc_lo, v5, 8
	v_add_co_ci_u32_e64 v6, null, 0, v6, vcc_lo
	v_add_f32_e32 v10, v10, v11
	v_and_b32_e32 v11, 0xffff0000, v13
	s_add_i32 s16, s16, 4
	s_add_i32 s15, s15, 16
	s_cmp_eq_u32 s8, s16
	v_add_f32_e32 v10, v10, v12
	v_and_b32_e32 v12, 0xffff0000, v14
	v_add_f32_e32 v10, v10, v11
	v_add_f32_e32 v10, v10, v12
	s_cbranch_scc1 .LBB573_58
.LBB573_42:                             ;   Parent Loop BB573_31 Depth=1
                                        ; =>  This Inner Loop Header: Depth=2
	global_load_ushort v11, v[5:6], off offset:-4
	v_mov_b32_e32 v12, s15
	ds_read_b32 v12, v12
	s_waitcnt vmcnt(0)
	v_lshlrev_b32_e32 v11, 16, v11
	s_waitcnt lgkmcnt(0)
	v_mul_f32_e32 v12, v12, v11
	v_and_b32_e32 v11, 0x7f800000, v12
	v_cmp_ne_u32_e32 vcc_lo, 0x7f800000, v11
                                        ; implicit-def: $vgpr11
	s_and_saveexec_b32 s17, vcc_lo
	s_xor_b32 s17, exec_lo, s17
; %bb.43:                               ;   in Loop: Header=BB573_42 Depth=2
	v_bfe_u32 v11, v12, 16, 1
	v_add3_u32 v11, v12, v11, 0x7fff
                                        ; implicit-def: $vgpr12
; %bb.44:                               ;   in Loop: Header=BB573_42 Depth=2
	s_andn2_saveexec_b32 s17, s17
; %bb.45:                               ;   in Loop: Header=BB573_42 Depth=2
	v_or_b32_e32 v11, 0x10000, v12
	v_cmp_eq_u32_sdwa vcc_lo, v12, v9 src0_sel:WORD_0 src1_sel:DWORD
	v_cndmask_b32_e32 v11, v11, v12, vcc_lo
; %bb.46:                               ;   in Loop: Header=BB573_42 Depth=2
	s_or_b32 exec_lo, exec_lo, s17
	global_load_ushort v12, v[5:6], off offset:-2
	v_mov_b32_e32 v13, s15
	ds_read_b32 v13, v13 offset:4
	s_waitcnt vmcnt(0)
	v_lshlrev_b32_e32 v12, 16, v12
	s_waitcnt lgkmcnt(0)
	v_mul_f32_e32 v13, v13, v12
	v_and_b32_e32 v12, 0x7f800000, v13
	v_cmp_ne_u32_e32 vcc_lo, 0x7f800000, v12
                                        ; implicit-def: $vgpr12
	s_and_saveexec_b32 s17, vcc_lo
	s_xor_b32 s17, exec_lo, s17
; %bb.47:                               ;   in Loop: Header=BB573_42 Depth=2
	v_bfe_u32 v12, v13, 16, 1
	v_add3_u32 v12, v13, v12, 0x7fff
                                        ; implicit-def: $vgpr13
; %bb.48:                               ;   in Loop: Header=BB573_42 Depth=2
	s_andn2_saveexec_b32 s17, s17
; %bb.49:                               ;   in Loop: Header=BB573_42 Depth=2
	v_or_b32_e32 v12, 0x10000, v13
	v_cmp_eq_u32_sdwa vcc_lo, v13, v9 src0_sel:WORD_0 src1_sel:DWORD
	v_cndmask_b32_e32 v12, v12, v13, vcc_lo
; %bb.50:                               ;   in Loop: Header=BB573_42 Depth=2
	s_or_b32 exec_lo, exec_lo, s17
	global_load_ushort v13, v[5:6], off
	v_mov_b32_e32 v14, s15
	ds_read_b32 v14, v14 offset:8
	s_waitcnt vmcnt(0)
	v_lshlrev_b32_e32 v13, 16, v13
	s_waitcnt lgkmcnt(0)
	v_mul_f32_e32 v14, v14, v13
	v_and_b32_e32 v13, 0x7f800000, v14
	v_cmp_ne_u32_e32 vcc_lo, 0x7f800000, v13
                                        ; implicit-def: $vgpr13
	s_and_saveexec_b32 s17, vcc_lo
	s_xor_b32 s17, exec_lo, s17
; %bb.51:                               ;   in Loop: Header=BB573_42 Depth=2
	v_bfe_u32 v13, v14, 16, 1
	v_add3_u32 v13, v14, v13, 0x7fff
                                        ; implicit-def: $vgpr14
; %bb.52:                               ;   in Loop: Header=BB573_42 Depth=2
	s_andn2_saveexec_b32 s17, s17
; %bb.53:                               ;   in Loop: Header=BB573_42 Depth=2
	v_or_b32_e32 v13, 0x10000, v14
	v_cmp_eq_u32_sdwa vcc_lo, v14, v9 src0_sel:WORD_0 src1_sel:DWORD
	v_cndmask_b32_e32 v13, v13, v14, vcc_lo
; %bb.54:                               ;   in Loop: Header=BB573_42 Depth=2
	s_or_b32 exec_lo, exec_lo, s17
	global_load_ushort v14, v[5:6], off offset:2
	v_mov_b32_e32 v15, s15
	ds_read_b32 v15, v15 offset:12
	s_waitcnt vmcnt(0)
	v_lshlrev_b32_e32 v14, 16, v14
	s_waitcnt lgkmcnt(0)
	v_mul_f32_e32 v15, v15, v14
	v_and_b32_e32 v14, 0x7f800000, v15
	v_cmp_ne_u32_e32 vcc_lo, 0x7f800000, v14
                                        ; implicit-def: $vgpr14
	s_and_saveexec_b32 s17, vcc_lo
	s_xor_b32 s17, exec_lo, s17
; %bb.55:                               ;   in Loop: Header=BB573_42 Depth=2
	v_bfe_u32 v14, v15, 16, 1
	v_add3_u32 v14, v15, v14, 0x7fff
                                        ; implicit-def: $vgpr15
; %bb.56:                               ;   in Loop: Header=BB573_42 Depth=2
	s_andn2_saveexec_b32 s17, s17
	s_cbranch_execz .LBB573_41
; %bb.57:                               ;   in Loop: Header=BB573_42 Depth=2
	v_or_b32_e32 v14, 0x10000, v15
	v_cmp_eq_u32_sdwa vcc_lo, v15, v9 src0_sel:WORD_0 src1_sel:DWORD
	v_cndmask_b32_e32 v14, v14, v15, vcc_lo
	s_branch .LBB573_41
.LBB573_58:                             ;   in Loop: Header=BB573_31 Depth=1
	s_mov_b32 s15, s8
.LBB573_59:                             ;   in Loop: Header=BB573_31 Depth=1
	s_andn2_b32 vcc_lo, exec_lo, s12
	s_cbranch_vccnz .LBB573_66
; %bb.60:                               ;   in Loop: Header=BB573_31 Depth=1
	s_lshl_b32 s16, s15, 1
	s_lshl_b32 s15, s15, 2
	v_add_co_u32 v5, vcc_lo, v7, s16
	v_add_co_ci_u32_e64 v6, null, 0, v8, vcc_lo
	s_mov_b32 s16, s10
	s_inst_prefetch 0x1
	s_branch .LBB573_62
	.p2align	6
.LBB573_61:                             ;   in Loop: Header=BB573_62 Depth=2
	s_or_b32 exec_lo, exec_lo, s17
	v_and_b32_e32 v11, 0xffff0000, v12
	v_add_co_u32 v5, vcc_lo, v5, 2
	v_add_co_ci_u32_e64 v6, null, 0, v6, vcc_lo
	v_add_f32_e32 v10, v10, v11
	s_add_i32 s16, s16, -1
	s_add_i32 s15, s15, 4
	s_cmp_lg_u32 s16, 0
	s_cbranch_scc0 .LBB573_66
.LBB573_62:                             ;   Parent Loop BB573_31 Depth=1
                                        ; =>  This Inner Loop Header: Depth=2
	global_load_ushort v11, v[5:6], off
	v_mov_b32_e32 v12, s15
	ds_read_b32 v12, v12
	s_waitcnt vmcnt(0)
	v_lshlrev_b32_e32 v11, 16, v11
	s_waitcnt lgkmcnt(0)
	v_mul_f32_e32 v11, v12, v11
	v_and_b32_e32 v12, 0x7f800000, v11
	v_cmp_ne_u32_e32 vcc_lo, 0x7f800000, v12
                                        ; implicit-def: $vgpr12
	s_and_saveexec_b32 s17, vcc_lo
	s_xor_b32 s17, exec_lo, s17
; %bb.63:                               ;   in Loop: Header=BB573_62 Depth=2
	v_bfe_u32 v12, v11, 16, 1
	v_add3_u32 v12, v11, v12, 0x7fff
                                        ; implicit-def: $vgpr11
; %bb.64:                               ;   in Loop: Header=BB573_62 Depth=2
	s_andn2_saveexec_b32 s17, s17
	s_cbranch_execz .LBB573_61
; %bb.65:                               ;   in Loop: Header=BB573_62 Depth=2
	v_or_b32_e32 v12, 0x10000, v11
	v_cmp_eq_u32_sdwa vcc_lo, v11, v9 src0_sel:WORD_0 src1_sel:DWORD
	v_cndmask_b32_e32 v12, v12, v11, vcc_lo
	s_branch .LBB573_61
.LBB573_66:                             ;   in Loop: Header=BB573_31 Depth=1
	s_inst_prefetch 0x2
	v_and_b32_e32 v5, 0x7f800000, v10
	v_cmp_ne_u32_e32 vcc_lo, 0x7f800000, v5
                                        ; implicit-def: $vgpr5
	s_and_saveexec_b32 s15, vcc_lo
	s_xor_b32 s15, exec_lo, s15
; %bb.67:                               ;   in Loop: Header=BB573_31 Depth=1
	v_bfe_u32 v5, v10, 16, 1
	v_add3_u32 v5, v10, v5, 0x7fff
                                        ; implicit-def: $vgpr10
; %bb.68:                               ;   in Loop: Header=BB573_31 Depth=1
	s_andn2_saveexec_b32 s15, s15
	s_cbranch_execz .LBB573_29
; %bb.69:                               ;   in Loop: Header=BB573_31 Depth=1
	v_or_b32_e32 v5, 0x10000, v10
	v_cmp_eq_u32_sdwa vcc_lo, v10, v9 src0_sel:WORD_0 src1_sel:DWORD
	v_cndmask_b32_e32 v5, v5, v10, vcc_lo
	s_branch .LBB573_29
.LBB573_70:
	s_endpgm
	.section	.rodata,"a",@progbits
	.p2align	6, 0x0
	.amdhsa_kernel _ZL22rocblas_gemvtsm_kernelILb1ELi256E16rocblas_bfloat16fS0_EviiT2_lPKT1_lilS4_lilS1_lPT3_lil
		.amdhsa_group_segment_fixed_size 256
		.amdhsa_private_segment_fixed_size 0
		.amdhsa_kernarg_size 136
		.amdhsa_user_sgpr_count 6
		.amdhsa_user_sgpr_private_segment_buffer 1
		.amdhsa_user_sgpr_dispatch_ptr 0
		.amdhsa_user_sgpr_queue_ptr 0
		.amdhsa_user_sgpr_kernarg_segment_ptr 1
		.amdhsa_user_sgpr_dispatch_id 0
		.amdhsa_user_sgpr_flat_scratch_init 0
		.amdhsa_user_sgpr_private_segment_size 0
		.amdhsa_wavefront_size32 1
		.amdhsa_uses_dynamic_stack 0
		.amdhsa_system_sgpr_private_segment_wavefront_offset 0
		.amdhsa_system_sgpr_workgroup_id_x 1
		.amdhsa_system_sgpr_workgroup_id_y 0
		.amdhsa_system_sgpr_workgroup_id_z 0
		.amdhsa_system_sgpr_workgroup_info 0
		.amdhsa_system_vgpr_workitem_id 0
		.amdhsa_next_free_vgpr 16
		.amdhsa_next_free_sgpr 26
		.amdhsa_reserve_vcc 1
		.amdhsa_reserve_flat_scratch 0
		.amdhsa_float_round_mode_32 0
		.amdhsa_float_round_mode_16_64 0
		.amdhsa_float_denorm_mode_32 3
		.amdhsa_float_denorm_mode_16_64 3
		.amdhsa_dx10_clamp 1
		.amdhsa_ieee_mode 1
		.amdhsa_fp16_overflow 0
		.amdhsa_workgroup_processor_mode 1
		.amdhsa_memory_ordered 1
		.amdhsa_forward_progress 1
		.amdhsa_shared_vgpr_count 0
		.amdhsa_exception_fp_ieee_invalid_op 0
		.amdhsa_exception_fp_denorm_src 0
		.amdhsa_exception_fp_ieee_div_zero 0
		.amdhsa_exception_fp_ieee_overflow 0
		.amdhsa_exception_fp_ieee_underflow 0
		.amdhsa_exception_fp_ieee_inexact 0
		.amdhsa_exception_int_div_zero 0
	.end_amdhsa_kernel
	.section	.text._ZL22rocblas_gemvtsm_kernelILb1ELi256E16rocblas_bfloat16fS0_EviiT2_lPKT1_lilS4_lilS1_lPT3_lil,"axG",@progbits,_ZL22rocblas_gemvtsm_kernelILb1ELi256E16rocblas_bfloat16fS0_EviiT2_lPKT1_lilS4_lilS1_lPT3_lil,comdat
.Lfunc_end573:
	.size	_ZL22rocblas_gemvtsm_kernelILb1ELi256E16rocblas_bfloat16fS0_EviiT2_lPKT1_lilS4_lilS1_lPT3_lil, .Lfunc_end573-_ZL22rocblas_gemvtsm_kernelILb1ELi256E16rocblas_bfloat16fS0_EviiT2_lPKT1_lilS4_lilS1_lPT3_lil
                                        ; -- End function
	.set _ZL22rocblas_gemvtsm_kernelILb1ELi256E16rocblas_bfloat16fS0_EviiT2_lPKT1_lilS4_lilS1_lPT3_lil.num_vgpr, 16
	.set _ZL22rocblas_gemvtsm_kernelILb1ELi256E16rocblas_bfloat16fS0_EviiT2_lPKT1_lilS4_lilS1_lPT3_lil.num_agpr, 0
	.set _ZL22rocblas_gemvtsm_kernelILb1ELi256E16rocblas_bfloat16fS0_EviiT2_lPKT1_lilS4_lilS1_lPT3_lil.numbered_sgpr, 26
	.set _ZL22rocblas_gemvtsm_kernelILb1ELi256E16rocblas_bfloat16fS0_EviiT2_lPKT1_lilS4_lilS1_lPT3_lil.num_named_barrier, 0
	.set _ZL22rocblas_gemvtsm_kernelILb1ELi256E16rocblas_bfloat16fS0_EviiT2_lPKT1_lilS4_lilS1_lPT3_lil.private_seg_size, 0
	.set _ZL22rocblas_gemvtsm_kernelILb1ELi256E16rocblas_bfloat16fS0_EviiT2_lPKT1_lilS4_lilS1_lPT3_lil.uses_vcc, 1
	.set _ZL22rocblas_gemvtsm_kernelILb1ELi256E16rocblas_bfloat16fS0_EviiT2_lPKT1_lilS4_lilS1_lPT3_lil.uses_flat_scratch, 0
	.set _ZL22rocblas_gemvtsm_kernelILb1ELi256E16rocblas_bfloat16fS0_EviiT2_lPKT1_lilS4_lilS1_lPT3_lil.has_dyn_sized_stack, 0
	.set _ZL22rocblas_gemvtsm_kernelILb1ELi256E16rocblas_bfloat16fS0_EviiT2_lPKT1_lilS4_lilS1_lPT3_lil.has_recursion, 0
	.set _ZL22rocblas_gemvtsm_kernelILb1ELi256E16rocblas_bfloat16fS0_EviiT2_lPKT1_lilS4_lilS1_lPT3_lil.has_indirect_call, 0
	.section	.AMDGPU.csdata,"",@progbits
; Kernel info:
; codeLenInByte = 2228
; TotalNumSgprs: 28
; NumVgprs: 16
; ScratchSize: 0
; MemoryBound: 0
; FloatMode: 240
; IeeeMode: 1
; LDSByteSize: 256 bytes/workgroup (compile time only)
; SGPRBlocks: 0
; VGPRBlocks: 1
; NumSGPRsForWavesPerEU: 28
; NumVGPRsForWavesPerEU: 16
; Occupancy: 16
; WaveLimiterHint : 1
; COMPUTE_PGM_RSRC2:SCRATCH_EN: 0
; COMPUTE_PGM_RSRC2:USER_SGPR: 6
; COMPUTE_PGM_RSRC2:TRAP_HANDLER: 0
; COMPUTE_PGM_RSRC2:TGID_X_EN: 1
; COMPUTE_PGM_RSRC2:TGID_Y_EN: 0
; COMPUTE_PGM_RSRC2:TGID_Z_EN: 0
; COMPUTE_PGM_RSRC2:TIDIG_COMP_CNT: 0
	.section	.text._ZL23rocblas_gemvt_sn_kernelILb1ELi256ELi4Ei16rocblas_bfloat16PKffEviiT4_lPKT3_lilS6_lilPT5_i,"axG",@progbits,_ZL23rocblas_gemvt_sn_kernelILb1ELi256ELi4Ei16rocblas_bfloat16PKffEviiT4_lPKT3_lilS6_lilPT5_i,comdat
	.globl	_ZL23rocblas_gemvt_sn_kernelILb1ELi256ELi4Ei16rocblas_bfloat16PKffEviiT4_lPKT3_lilS6_lilPT5_i ; -- Begin function _ZL23rocblas_gemvt_sn_kernelILb1ELi256ELi4Ei16rocblas_bfloat16PKffEviiT4_lPKT3_lilS6_lilPT5_i
	.p2align	8
	.type	_ZL23rocblas_gemvt_sn_kernelILb1ELi256ELi4Ei16rocblas_bfloat16PKffEviiT4_lPKT3_lilS6_lilPT5_i,@function
_ZL23rocblas_gemvt_sn_kernelILb1ELi256ELi4Ei16rocblas_bfloat16PKffEviiT4_lPKT3_lilS6_lilPT5_i: ; @_ZL23rocblas_gemvt_sn_kernelILb1ELi256ELi4Ei16rocblas_bfloat16PKffEviiT4_lPKT3_lilS6_lilPT5_i
; %bb.0:
	s_clause 0x2
	s_load_dwordx8 s[8:15], s[4:5], 0x8
	s_load_dwordx2 s[16:17], s[4:5], 0x0
	s_load_dword s18, s[4:5], 0x68
	s_mov_b32 s19, 0
	s_waitcnt lgkmcnt(0)
	s_mul_i32 s1, s11, s7
	s_mul_hi_u32 s2, s10, s7
	s_mul_i32 s0, s10, s7
	s_add_i32 s1, s2, s1
	s_mul_i32 s2, s17, s7
	s_lshl_b64 s[0:1], s[0:1], 2
	s_add_u32 s0, s8, s0
	s_addc_u32 s1, s9, s1
	s_load_dword s30, s[0:1], 0x0
	s_load_dwordx4 s[8:11], s[4:5], 0x50
	s_ashr_i32 s22, s17, 31
	s_mul_hi_u32 s0, s17, s7
	s_mul_i32 s1, s22, s7
	s_add_i32 s0, s0, s1
	s_mul_hi_u32 s1, s2, s18
	s_mul_i32 s3, s0, s18
	s_mul_i32 s0, s2, s18
	s_add_i32 s1, s1, s3
	s_lshl_b64 s[0:1], s[0:1], 2
	s_waitcnt lgkmcnt(0)
	v_cmp_neq_f32_e64 s2, s30, 0
	s_add_u32 s36, s10, s0
	v_cmp_eq_u32_e64 s0, 0, v0
	s_addc_u32 s35, s11, s1
	s_and_b32 vcc_lo, exec_lo, s2
	s_cbranch_vccnz .LBB574_5
; %bb.1:
	s_cmp_gt_i32 s17, 0
	s_cselect_b32 s1, -1, 0
	s_and_b32 s0, s0, s1
	s_and_saveexec_b32 s10, s0
	s_cbranch_execz .LBB574_4
; %bb.2:
	s_mov_b32 s0, s7
	s_mov_b32 s7, 0
	v_mov_b32_e32 v1, 0
	s_lshl_b64 s[2:3], s[6:7], 2
	s_mov_b32 s7, s0
	s_add_u32 s0, s36, s2
	s_addc_u32 s1, s35, s3
	s_lshl_b64 s[2:3], s[18:19], 2
	s_mov_b32 s11, s17
.LBB574_3:                              ; =>This Inner Loop Header: Depth=1
	s_add_i32 s11, s11, -1
	global_store_dword v1, v1, s[0:1]
	s_add_u32 s0, s0, s2
	s_addc_u32 s1, s1, s3
	s_cmp_eq_u32 s11, 0
	s_cbranch_scc0 .LBB574_3
.LBB574_4:
	s_or_b32 exec_lo, exec_lo, s10
	s_cbranch_execz .LBB574_6
	s_branch .LBB574_80
.LBB574_5:
.LBB574_6:
	s_clause 0x1
	s_load_dwordx4 s[0:3], s[4:5], 0x30
	s_load_dwordx2 s[10:11], s[4:5], 0x40
	s_mul_i32 s9, s9, s7
	s_mul_hi_u32 s19, s8, s7
	s_mul_i32 s8, s8, s7
	s_add_i32 s9, s19, s9
	s_load_dword s19, s[4:5], 0x48
	s_lshl_b64 s[8:9], s[8:9], 1
	v_and_b32_e32 v10, 31, v0
	v_mbcnt_lo_u32_b32 v24, -1, 0
	v_lshrrev_b32_e32 v25, 3, v0
	s_waitcnt lgkmcnt(0)
	s_add_u32 s8, s2, s8
	s_addc_u32 s9, s3, s9
	s_lshl_b64 s[2:3], s[10:11], 1
	s_mul_i32 s1, s1, s7
	s_mul_hi_u32 s20, s0, s7
	s_add_u32 s31, s8, s2
	s_mul_i32 s0, s0, s7
	s_addc_u32 s33, s9, s3
	s_add_i32 s1, s20, s1
	s_load_dword s10, s[4:5], 0x28
	s_lshl_b64 s[20:21], s[0:1], 1
	v_cmp_gt_u32_e64 s0, 32, v0
	s_add_u32 s1, s12, s20
	s_addc_u32 s2, s13, s21
	s_lshl_b64 s[14:15], s[14:15], 1
	s_add_u32 s3, s1, s14
	s_addc_u32 s2, s2, s15
	s_lshl_b32 s1, s6, 10
	s_ashr_i32 s4, s16, 31
	v_lshl_or_b32 v1, v0, 2, s1
	s_lshr_b32 s4, s4, 30
	s_lshr_b32 s5, s22, 30
	s_add_i32 s4, s16, s4
	s_add_i32 s5, s17, s5
	v_ashrrev_i32_e32 v2, 31, v1
	s_and_b32 s4, s4, -4
	v_mul_lo_u32 v9, s19, v1
	s_sub_i32 s34, s16, s4
	v_cmp_gt_u32_e64 s1, 8, v0
	v_lshlrev_b64 v[11:12], 1, v[1:2]
	v_add_nc_u32_e32 v26, 4, v1
	v_add_nc_u32_e32 v27, s34, v1
	s_and_b32 s37, s5, -4
	s_cmp_lt_i32 s37, 1
	v_add_co_u32 v22, vcc_lo, s3, v11
	v_add_co_ci_u32_e64 v23, null, s2, v12, vcc_lo
	s_cbranch_scc1 .LBB574_55
; %bb.7:
	v_cmp_gt_u32_e32 vcc_lo, 24, v24
	v_mul_lo_u32 v13, s19, v1
	s_cmp_gt_i32 s34, 0
	s_mov_b32 s9, 0
	s_cselect_b32 s38, -1, 0
	v_cndmask_b32_e64 v2, 0, 8, vcc_lo
	v_cmp_gt_u32_e32 vcc_lo, 28, v24
	s_waitcnt lgkmcnt(0)
	s_lshl_b32 s39, s10, 2
	s_lshl_b32 s8, s10, 1
	v_ashrrev_i32_e32 v14, 31, v13
	v_add_lshl_u32 v29, v2, v24, 2
	v_cndmask_b32_e64 v3, 0, 4, vcc_lo
	v_cmp_gt_u32_e32 vcc_lo, 30, v24
	s_add_u32 s7, s20, s14
	v_lshlrev_b64 v[5:6], 1, v[13:14]
	s_addc_u32 s22, s21, s15
	v_add_lshl_u32 v30, v3, v24, 2
	v_cndmask_b32_e64 v1, 0, 2, vcc_lo
	v_cmp_ne_u32_e32 vcc_lo, 31, v24
	s_add_u32 s7, s12, s7
	s_addc_u32 s22, s13, s22
	v_cmp_ge_i32_e64 s2, s16, v26
	v_add_lshl_u32 v31, v1, v24, 2
	v_add_nc_u32_e32 v1, s19, v13
	v_add_co_ci_u32_e64 v4, null, 0, v24, vcc_lo
	v_add_co_u32 v14, vcc_lo, s31, v5
	v_add_nc_u32_e32 v3, s19, v1
	v_ashrrev_i32_e32 v2, 31, v1
	v_lshlrev_b32_e32 v32, 2, v4
	v_add_co_ci_u32_e64 v15, null, s33, v6, vcc_lo
	v_add_nc_u32_e32 v7, s19, v3
	v_lshlrev_b64 v[1:2], 1, v[1:2]
	v_ashrrev_i32_e32 v4, 31, v3
	v_mov_b32_e32 v5, 0
	v_cmp_ge_i32_e64 s3, s16, v27
	v_ashrrev_i32_e32 v8, 31, v7
	v_lshl_or_b32 v28, v24, 2, 64
	v_lshlrev_b64 v[3:4], 1, v[3:4]
	v_add_co_u32 v16, vcc_lo, s31, v1
	v_add_co_ci_u32_e64 v17, null, s33, v2, vcc_lo
	v_lshlrev_b64 v[1:2], 1, v[7:8]
	v_add_co_u32 v18, vcc_lo, s31, v3
	v_mov_b32_e32 v6, v5
	v_mov_b32_e32 v7, v5
	v_mov_b32_e32 v8, v5
	v_add_co_ci_u32_e64 v19, null, s33, v4, vcc_lo
	v_add_co_u32 v20, vcc_lo, s31, v1
	v_add_co_ci_u32_e64 v21, null, s33, v2, vcc_lo
	v_add_co_u32 v35, vcc_lo, s7, v11
	v_mov_b32_e32 v1, v5
	v_cmp_eq_u32_e64 s4, 0, v10
	v_lshlrev_b32_e32 v33, 2, v10
	v_and_b32_e32 v34, 28, v25
	v_cmp_eq_u32_e64 s5, 0, v0
	v_add_co_ci_u32_e64 v36, null, s22, v12, vcc_lo
	v_mov_b32_e32 v2, v6
	v_mov_b32_e32 v3, v7
	v_mov_b32_e32 v4, v8
	s_mov_b32 s11, s9
	s_mul_i32 s40, s10, 3
	s_mov_b32 s41, s9
	s_mov_b32 s22, s9
	s_mov_b64 s[24:25], s[8:9]
	s_mov_b64 s[26:27], s[10:11]
	s_mov_b32 s11, 0
	s_branch .LBB574_9
.LBB574_8:                              ;   in Loop: Header=BB574_9 Depth=1
	s_or_b32 exec_lo, exec_lo, s7
	s_add_i32 s11, s11, 4
	s_add_u32 s26, s26, s39
	s_addc_u32 s27, s27, 0
	s_add_u32 s24, s24, s39
	s_addc_u32 s25, s25, 0
	;; [unrolled: 2-line block ×3, first 2 shown]
	s_add_i32 s22, s22, s39
	s_cmp_ge_i32 s11, s37
	s_cbranch_scc1 .LBB574_56
.LBB574_9:                              ; =>This Loop Header: Depth=1
                                        ;     Child Loop BB574_40 Depth 2
                                        ;     Child Loop BB574_43 Depth 2
                                        ; implicit-def: $vgpr8
                                        ; implicit-def: $vgpr37
                                        ; implicit-def: $vgpr38
                                        ; implicit-def: $vgpr39
	s_and_saveexec_b32 s7, s2
	s_xor_b32 s7, exec_lo, s7
	s_cbranch_execnz .LBB574_36
; %bb.10:                               ;   in Loop: Header=BB574_9 Depth=1
	s_andn2_saveexec_b32 s42, s7
	s_cbranch_execnz .LBB574_37
.LBB574_11:                             ;   in Loop: Header=BB574_9 Depth=1
	s_or_b32 exec_lo, exec_lo, s42
	s_and_saveexec_b32 s7, s0
.LBB574_12:                             ;   in Loop: Header=BB574_9 Depth=1
	ds_write_b32 v33, v5
.LBB574_13:                             ;   in Loop: Header=BB574_9 Depth=1
	s_or_b32 exec_lo, exec_lo, s7
	ds_bpermute_b32 v6, v28, v39
	s_waitcnt lgkmcnt(0)
	s_waitcnt_vscnt null, 0x0
	s_barrier
	buffer_gl0_inv
	v_add_f32_e32 v6, v39, v6
	ds_bpermute_b32 v7, v29, v6
	s_waitcnt lgkmcnt(0)
	v_add_f32_e32 v6, v6, v7
	ds_bpermute_b32 v7, v30, v6
	s_waitcnt lgkmcnt(0)
	;; [unrolled: 3-line block ×3, first 2 shown]
	v_add_f32_e32 v6, v6, v7
	ds_bpermute_b32 v7, v32, v6
	s_and_saveexec_b32 s7, s4
	s_cbranch_execz .LBB574_15
; %bb.14:                               ;   in Loop: Header=BB574_9 Depth=1
	s_waitcnt lgkmcnt(0)
	v_add_f32_e32 v6, v6, v7
	ds_write_b32 v34, v6
.LBB574_15:                             ;   in Loop: Header=BB574_9 Depth=1
	s_or_b32 exec_lo, exec_lo, s7
	v_mov_b32_e32 v6, 0
	s_waitcnt lgkmcnt(0)
	s_barrier
	buffer_gl0_inv
	s_and_saveexec_b32 s7, s1
	s_cbranch_execnz .LBB574_44
; %bb.16:                               ;   in Loop: Header=BB574_9 Depth=1
	s_or_b32 exec_lo, exec_lo, s7
	s_and_saveexec_b32 s7, s0
	s_cbranch_execnz .LBB574_45
.LBB574_17:                             ;   in Loop: Header=BB574_9 Depth=1
	s_or_b32 exec_lo, exec_lo, s7
	s_and_saveexec_b32 s7, s0
.LBB574_18:                             ;   in Loop: Header=BB574_9 Depth=1
	ds_write_b32 v33, v5
.LBB574_19:                             ;   in Loop: Header=BB574_9 Depth=1
	s_or_b32 exec_lo, exec_lo, s7
	ds_bpermute_b32 v7, v28, v38
	s_waitcnt lgkmcnt(0)
	s_barrier
	buffer_gl0_inv
	v_add_f32_e32 v7, v38, v7
	ds_bpermute_b32 v38, v29, v7
	s_waitcnt lgkmcnt(0)
	v_add_f32_e32 v7, v7, v38
	ds_bpermute_b32 v38, v30, v7
	s_waitcnt lgkmcnt(0)
	;; [unrolled: 3-line block ×3, first 2 shown]
	v_add_f32_e32 v7, v7, v38
	ds_bpermute_b32 v38, v32, v7
	s_and_saveexec_b32 s7, s4
	s_cbranch_execz .LBB574_21
; %bb.20:                               ;   in Loop: Header=BB574_9 Depth=1
	s_waitcnt lgkmcnt(0)
	v_add_f32_e32 v7, v7, v38
	ds_write_b32 v34, v7
.LBB574_21:                             ;   in Loop: Header=BB574_9 Depth=1
	s_or_b32 exec_lo, exec_lo, s7
	v_mov_b32_e32 v7, 0
	s_waitcnt lgkmcnt(0)
	s_barrier
	buffer_gl0_inv
	s_and_saveexec_b32 s7, s1
	s_cbranch_execnz .LBB574_46
; %bb.22:                               ;   in Loop: Header=BB574_9 Depth=1
	s_or_b32 exec_lo, exec_lo, s7
	s_and_saveexec_b32 s7, s0
	s_cbranch_execnz .LBB574_47
.LBB574_23:                             ;   in Loop: Header=BB574_9 Depth=1
	s_or_b32 exec_lo, exec_lo, s7
	s_and_saveexec_b32 s7, s0
.LBB574_24:                             ;   in Loop: Header=BB574_9 Depth=1
	ds_write_b32 v33, v5
.LBB574_25:                             ;   in Loop: Header=BB574_9 Depth=1
	s_or_b32 exec_lo, exec_lo, s7
	ds_bpermute_b32 v38, v28, v37
	s_waitcnt lgkmcnt(0)
	s_barrier
	buffer_gl0_inv
	v_add_f32_e32 v37, v37, v38
	ds_bpermute_b32 v38, v29, v37
	s_waitcnt lgkmcnt(0)
	v_add_f32_e32 v37, v37, v38
	ds_bpermute_b32 v38, v30, v37
	s_waitcnt lgkmcnt(0)
	;; [unrolled: 3-line block ×3, first 2 shown]
	v_add_f32_e32 v37, v37, v38
	ds_bpermute_b32 v38, v32, v37
	s_and_saveexec_b32 s7, s4
	s_cbranch_execz .LBB574_27
; %bb.26:                               ;   in Loop: Header=BB574_9 Depth=1
	s_waitcnt lgkmcnt(0)
	v_add_f32_e32 v37, v37, v38
	ds_write_b32 v34, v37
.LBB574_27:                             ;   in Loop: Header=BB574_9 Depth=1
	s_or_b32 exec_lo, exec_lo, s7
	v_mov_b32_e32 v37, 0
	s_waitcnt lgkmcnt(0)
	s_barrier
	buffer_gl0_inv
	s_and_saveexec_b32 s7, s1
	s_cbranch_execnz .LBB574_48
; %bb.28:                               ;   in Loop: Header=BB574_9 Depth=1
	s_or_b32 exec_lo, exec_lo, s7
	s_and_saveexec_b32 s7, s0
	s_cbranch_execnz .LBB574_49
.LBB574_29:                             ;   in Loop: Header=BB574_9 Depth=1
	s_or_b32 exec_lo, exec_lo, s7
	s_and_saveexec_b32 s7, s0
.LBB574_30:                             ;   in Loop: Header=BB574_9 Depth=1
	ds_write_b32 v33, v5
.LBB574_31:                             ;   in Loop: Header=BB574_9 Depth=1
	s_or_b32 exec_lo, exec_lo, s7
	ds_bpermute_b32 v38, v28, v8
	s_waitcnt lgkmcnt(0)
	s_barrier
	buffer_gl0_inv
	v_add_f32_e32 v8, v8, v38
	ds_bpermute_b32 v38, v29, v8
	s_waitcnt lgkmcnt(0)
	v_add_f32_e32 v8, v8, v38
	ds_bpermute_b32 v38, v30, v8
	s_waitcnt lgkmcnt(0)
	;; [unrolled: 3-line block ×3, first 2 shown]
	v_add_f32_e32 v8, v8, v38
	ds_bpermute_b32 v38, v32, v8
	s_and_saveexec_b32 s7, s4
	s_cbranch_execz .LBB574_33
; %bb.32:                               ;   in Loop: Header=BB574_9 Depth=1
	s_waitcnt lgkmcnt(0)
	v_add_f32_e32 v8, v8, v38
	ds_write_b32 v34, v8
.LBB574_33:                             ;   in Loop: Header=BB574_9 Depth=1
	s_or_b32 exec_lo, exec_lo, s7
	v_mov_b32_e32 v8, 0
	s_waitcnt lgkmcnt(0)
	s_barrier
	buffer_gl0_inv
	s_and_saveexec_b32 s7, s1
	s_cbranch_execnz .LBB574_50
; %bb.34:                               ;   in Loop: Header=BB574_9 Depth=1
	s_or_b32 exec_lo, exec_lo, s7
	s_and_saveexec_b32 s7, s0
	s_cbranch_execnz .LBB574_51
.LBB574_35:                             ;   in Loop: Header=BB574_9 Depth=1
	s_or_b32 exec_lo, exec_lo, s7
	s_and_saveexec_b32 s7, s5
	s_cbranch_execz .LBB574_8
	s_branch .LBB574_52
.LBB574_36:                             ;   in Loop: Header=BB574_9 Depth=1
	s_mul_i32 s28, s11, s10
	s_ashr_i32 s29, s28, 31
	s_add_i32 s42, s28, s10
	s_lshl_b64 s[28:29], s[28:29], 1
	s_ashr_i32 s43, s42, 31
	v_add_co_u32 v1, vcc_lo, v22, s28
	v_add_co_ci_u32_e64 v2, null, s29, v23, vcc_lo
	s_lshl_b64 s[28:29], s[42:43], 1
	v_add_co_u32 v3, vcc_lo, v22, s28
	s_add_i32 s28, s42, s10
	v_add_co_ci_u32_e64 v4, null, s29, v23, vcc_lo
	s_ashr_i32 s29, s28, 31
	s_add_i32 s42, s28, s10
	s_lshl_b64 s[28:29], s[28:29], 1
	s_clause 0x1
	global_load_dwordx2 v[6:7], v[1:2], off
	global_load_dwordx2 v[37:38], v[3:4], off
	s_ashr_i32 s43, s42, 31
	v_add_co_u32 v1, vcc_lo, v22, s28
	v_add_co_ci_u32_e64 v2, null, s29, v23, vcc_lo
	s_lshl_b64 s[28:29], s[42:43], 1
	s_waitcnt lgkmcnt(0)
	s_clause 0x2
	global_load_ushort v8, v[14:15], off
	global_load_ushort v43, v[16:17], off
	;; [unrolled: 1-line block ×3, first 2 shown]
	v_add_co_u32 v3, vcc_lo, v22, s28
	v_add_co_ci_u32_e64 v4, null, s29, v23, vcc_lo
	s_clause 0x1
	global_load_dwordx2 v[39:40], v[1:2], off
	global_load_dwordx2 v[41:42], v[3:4], off
	global_load_ushort v4, v[20:21], off
	s_waitcnt vmcnt(6)
	v_and_b32_e32 v45, 0xffff0000, v37
	v_lshlrev_b32_e32 v46, 16, v38
	v_and_b32_e32 v47, 0xffff0000, v38
	s_waitcnt vmcnt(5)
	v_lshlrev_b32_e32 v1, 16, v8
	v_lshlrev_b32_e32 v8, 16, v6
	s_waitcnt vmcnt(3)
	v_lshlrev_b32_e32 v3, 16, v44
	v_lshlrev_b32_e32 v44, 16, v37
	;; [unrolled: 1-line block ×3, first 2 shown]
	v_and_b32_e32 v6, 0xffff0000, v6
	v_lshlrev_b32_e32 v43, 16, v7
	s_waitcnt vmcnt(2)
	v_lshlrev_b32_e32 v37, 16, v39
	s_waitcnt vmcnt(1)
	v_lshlrev_b32_e32 v50, 16, v41
	v_and_b32_e32 v48, 0xffff0000, v39
	v_fma_f32 v39, v1, v8, 0
	v_and_b32_e32 v41, 0xffff0000, v41
	v_fma_f32 v38, v1, v44, 0
	v_fma_f32 v37, v1, v37, 0
	;; [unrolled: 1-line block ×3, first 2 shown]
	v_lshlrev_b32_e32 v49, 16, v40
	v_fmac_f32_e32 v39, v2, v6
	v_fmac_f32_e32 v38, v2, v45
	;; [unrolled: 1-line block ×4, first 2 shown]
	v_lshlrev_b32_e32 v6, 16, v42
	v_and_b32_e32 v7, 0xffff0000, v7
	v_and_b32_e32 v40, 0xffff0000, v40
	;; [unrolled: 1-line block ×3, first 2 shown]
	s_waitcnt vmcnt(0)
	v_lshlrev_b32_e32 v4, 16, v4
	v_fmac_f32_e32 v39, v3, v43
	v_fmac_f32_e32 v38, v3, v46
	;; [unrolled: 1-line block ×8, first 2 shown]
	s_andn2_saveexec_b32 s42, s7
	s_cbranch_execz .LBB574_11
.LBB574_37:                             ;   in Loop: Header=BB574_9 Depth=1
	s_waitcnt lgkmcnt(0)
	v_mov_b32_e32 v8, 0
	v_mov_b32_e32 v37, 0
	;; [unrolled: 1-line block ×4, first 2 shown]
	s_and_saveexec_b32 s43, s3
	s_cbranch_execz .LBB574_54
; %bb.38:                               ;   in Loop: Header=BB574_9 Depth=1
	s_andn2_b32 vcc_lo, exec_lo, s38
	s_cbranch_vccnz .LBB574_41
; %bb.39:                               ;   in Loop: Header=BB574_9 Depth=1
	v_mov_b32_e32 v6, v13
	s_mov_b64 s[28:29], 0
	.p2align	6
.LBB574_40:                             ;   Parent Loop BB574_9 Depth=1
                                        ; =>  This Inner Loop Header: Depth=2
	v_ashrrev_i32_e32 v7, 31, v6
	s_cmp_eq_u32 s28, 3
	v_lshlrev_b64 v[7:8], 1, v[6:7]
	v_add_nc_u32_e32 v6, s19, v6
	v_add_co_u32 v7, vcc_lo, s31, v7
	v_add_co_ci_u32_e64 v8, null, s33, v8, vcc_lo
	s_cselect_b32 vcc_lo, -1, 0
	s_cmp_eq_u32 s28, 2
	s_cselect_b32 s7, -1, 0
	global_load_ushort v7, v[7:8], off
	s_cmp_eq_u32 s28, 1
	s_cselect_b32 s8, -1, 0
	s_cmp_eq_u32 s28, 0
	s_waitcnt vmcnt(0)
	v_lshlrev_b32_e32 v7, 16, v7
	v_cndmask_b32_e32 v4, v4, v7, vcc_lo
	s_cselect_b32 vcc_lo, -1, 0
	v_cndmask_b32_e64 v3, v3, v7, s7
	v_cndmask_b32_e64 v2, v2, v7, s8
	v_cndmask_b32_e32 v1, v1, v7, vcc_lo
	s_add_u32 s28, s28, 1
	s_addc_u32 s29, s29, 0
	s_cmp_eq_u32 s34, s28
	s_cbranch_scc0 .LBB574_40
.LBB574_41:                             ;   in Loop: Header=BB574_9 Depth=1
	s_andn2_b32 vcc_lo, exec_lo, s38
	s_cbranch_vccnz .LBB574_53
; %bb.42:                               ;   in Loop: Header=BB574_9 Depth=1
	s_ashr_i32 s23, s22, 31
	v_mov_b32_e32 v39, 0
	s_lshl_b64 s[28:29], s[22:23], 1
	v_mov_b32_e32 v38, 0
	v_add_co_u32 v6, vcc_lo, v35, s28
	v_add_co_ci_u32_e64 v7, null, s29, v36, vcc_lo
	v_mov_b32_e32 v37, 0
	v_mov_b32_e32 v8, 0
	s_mov_b64 s[28:29], 0
.LBB574_43:                             ;   Parent Loop BB574_9 Depth=1
                                        ; =>  This Inner Loop Header: Depth=2
	s_cmp_eq_u32 s28, 1
	s_cselect_b32 vcc_lo, -1, 0
	s_cmp_eq_u32 s28, 2
	v_cndmask_b32_e32 v40, v1, v2, vcc_lo
	s_cselect_b32 vcc_lo, -1, 0
	s_cmp_eq_u32 s28, 3
	v_cndmask_b32_e32 v46, v40, v3, vcc_lo
	s_cselect_b32 vcc_lo, -1, 0
	s_add_i32 s44, s26, s28
	s_add_i32 s46, s24, s28
	s_ashr_i32 s45, s44, 31
	s_add_i32 s48, s40, s28
	s_ashr_i32 s47, s46, 31
	s_lshl_b64 s[44:45], s[44:45], 1
	s_ashr_i32 s49, s48, 31
	s_lshl_b64 s[46:47], s[46:47], 1
	v_add_co_u32 v40, s7, v22, s44
	s_lshl_b64 s[48:49], s[48:49], 1
	v_add_co_ci_u32_e64 v41, null, s45, v23, s7
	v_add_co_u32 v42, s7, v22, s46
	v_add_co_ci_u32_e64 v43, null, s47, v23, s7
	v_add_co_u32 v44, s7, v22, s48
	v_add_co_ci_u32_e64 v45, null, s49, v23, s7
	global_load_ushort v47, v[6:7], off
	s_clause 0x2
	global_load_ushort v40, v[40:41], off
	global_load_ushort v41, v[42:43], off
	global_load_ushort v42, v[44:45], off
	v_cndmask_b32_e32 v43, v46, v4, vcc_lo
	v_add_co_u32 v6, s7, v6, 2
	v_add_co_ci_u32_e64 v7, null, 0, v7, s7
	s_add_u32 s28, s28, 1
	s_addc_u32 s29, s29, 0
	s_cmp_lg_u32 s34, s28
	s_waitcnt vmcnt(3)
	v_lshlrev_b32_e32 v44, 16, v47
	s_waitcnt vmcnt(2)
	v_lshlrev_b32_e32 v40, 16, v40
	;; [unrolled: 2-line block ×4, first 2 shown]
	v_fmac_f32_e32 v39, v43, v44
	v_fmac_f32_e32 v38, v43, v40
	;; [unrolled: 1-line block ×4, first 2 shown]
	s_cbranch_scc1 .LBB574_43
	s_branch .LBB574_54
.LBB574_44:                             ;   in Loop: Header=BB574_9 Depth=1
	ds_read_b32 v6, v33
	s_or_b32 exec_lo, exec_lo, s7
	s_and_saveexec_b32 s7, s0
	s_cbranch_execz .LBB574_17
.LBB574_45:                             ;   in Loop: Header=BB574_9 Depth=1
	s_waitcnt lgkmcnt(0)
	ds_bpermute_b32 v7, v30, v6
	s_waitcnt lgkmcnt(0)
	v_add_f32_e32 v6, v6, v7
	ds_bpermute_b32 v7, v31, v6
	s_waitcnt lgkmcnt(0)
	v_add_f32_e32 v6, v6, v7
	;; [unrolled: 3-line block ×3, first 2 shown]
	s_or_b32 exec_lo, exec_lo, s7
	s_and_saveexec_b32 s7, s0
	s_cbranch_execnz .LBB574_18
	s_branch .LBB574_19
.LBB574_46:                             ;   in Loop: Header=BB574_9 Depth=1
	ds_read_b32 v7, v33
	s_or_b32 exec_lo, exec_lo, s7
	s_and_saveexec_b32 s7, s0
	s_cbranch_execz .LBB574_23
.LBB574_47:                             ;   in Loop: Header=BB574_9 Depth=1
	s_waitcnt lgkmcnt(0)
	ds_bpermute_b32 v38, v30, v7
	s_waitcnt lgkmcnt(0)
	v_add_f32_e32 v7, v7, v38
	ds_bpermute_b32 v38, v31, v7
	s_waitcnt lgkmcnt(0)
	v_add_f32_e32 v7, v7, v38
	;; [unrolled: 3-line block ×3, first 2 shown]
	s_or_b32 exec_lo, exec_lo, s7
	s_and_saveexec_b32 s7, s0
	s_cbranch_execnz .LBB574_24
	s_branch .LBB574_25
.LBB574_48:                             ;   in Loop: Header=BB574_9 Depth=1
	ds_read_b32 v37, v33
	s_or_b32 exec_lo, exec_lo, s7
	s_and_saveexec_b32 s7, s0
	s_cbranch_execz .LBB574_29
.LBB574_49:                             ;   in Loop: Header=BB574_9 Depth=1
	s_waitcnt lgkmcnt(0)
	ds_bpermute_b32 v38, v30, v37
	s_waitcnt lgkmcnt(0)
	v_add_f32_e32 v37, v37, v38
	ds_bpermute_b32 v38, v31, v37
	s_waitcnt lgkmcnt(0)
	v_add_f32_e32 v37, v37, v38
	;; [unrolled: 3-line block ×3, first 2 shown]
	s_or_b32 exec_lo, exec_lo, s7
	s_and_saveexec_b32 s7, s0
	s_cbranch_execnz .LBB574_30
	s_branch .LBB574_31
.LBB574_50:                             ;   in Loop: Header=BB574_9 Depth=1
	ds_read_b32 v8, v33
	s_or_b32 exec_lo, exec_lo, s7
	s_and_saveexec_b32 s7, s0
	s_cbranch_execz .LBB574_35
.LBB574_51:                             ;   in Loop: Header=BB574_9 Depth=1
	s_waitcnt lgkmcnt(0)
	ds_bpermute_b32 v38, v30, v8
	s_waitcnt lgkmcnt(0)
	v_add_f32_e32 v8, v8, v38
	ds_bpermute_b32 v38, v31, v8
	s_waitcnt lgkmcnt(0)
	v_add_f32_e32 v8, v8, v38
	;; [unrolled: 3-line block ×3, first 2 shown]
	s_or_b32 exec_lo, exec_lo, s7
	s_and_saveexec_b32 s7, s5
	s_cbranch_execz .LBB574_8
.LBB574_52:                             ;   in Loop: Header=BB574_9 Depth=1
	s_mul_i32 s8, s11, s18
	v_mul_f32_e32 v6, s30, v6
	s_add_i32 s8, s8, s6
	v_mul_f32_e32 v7, s30, v7
	s_lshl_b64 s[28:29], s[8:9], 2
	v_mul_f32_e32 v37, s30, v37
	s_add_u32 s28, s36, s28
	s_addc_u32 s29, s35, s29
	s_add_i32 s8, s8, s18
	global_store_dword v5, v6, s[28:29]
	s_lshl_b64 s[42:43], s[8:9], 2
	s_waitcnt lgkmcnt(0)
	v_mul_f32_e32 v6, s30, v8
	s_add_u32 s42, s36, s42
	s_addc_u32 s43, s35, s43
	s_add_i32 s8, s8, s18
	global_store_dword v5, v7, s[42:43]
	s_lshl_b64 s[44:45], s[8:9], 2
	s_add_u32 s28, s36, s44
	s_addc_u32 s29, s35, s45
	s_add_i32 s8, s8, s18
	s_lshl_b64 s[44:45], s[8:9], 2
	s_add_u32 s42, s36, s44
	s_addc_u32 s43, s35, s45
	global_store_dword v5, v37, s[28:29]
	global_store_dword v5, v6, s[42:43]
	s_branch .LBB574_8
.LBB574_53:                             ;   in Loop: Header=BB574_9 Depth=1
	v_mov_b32_e32 v8, 0
	v_mov_b32_e32 v37, 0
	;; [unrolled: 1-line block ×4, first 2 shown]
.LBB574_54:                             ;   in Loop: Header=BB574_9 Depth=1
	s_or_b32 exec_lo, exec_lo, s43
	s_or_b32 exec_lo, exec_lo, s42
	s_and_saveexec_b32 s7, s0
	s_cbranch_execnz .LBB574_12
	s_branch .LBB574_13
.LBB574_55:
	v_mov_b32_e32 v1, 0
	s_mov_b32 s11, 0
	v_mov_b32_e32 v2, v1
	v_mov_b32_e32 v3, v1
	;; [unrolled: 1-line block ×3, first 2 shown]
.LBB574_56:
	s_cmp_ge_i32 s11, s17
	s_cbranch_scc1 .LBB574_80
; %bb.57:
	v_cmp_gt_u32_e32 vcc_lo, 24, v24
	v_lshlrev_b32_e32 v17, 2, v10
	v_cmp_eq_u32_e64 s3, 0, v10
	v_ashrrev_i32_e32 v10, 31, v9
	v_cmp_ge_i32_e64 s0, s16, v26
	v_cndmask_b32_e64 v5, 0, 8, vcc_lo
	v_cmp_gt_u32_e32 vcc_lo, 28, v24
	v_lshl_or_b32 v18, v24, 2, 64
	v_lshlrev_b64 v[13:14], 1, v[9:10]
	v_cmp_ge_i32_e64 s1, s16, v27
	v_add_lshl_u32 v19, v5, v24, 2
	v_cndmask_b32_e64 v6, 0, 4, vcc_lo
	v_cmp_gt_u32_e32 vcc_lo, 30, v24
	v_add_nc_u32_e32 v5, s19, v9
	s_cmp_gt_i32 s34, 0
	s_mov_b32 s7, 0
	v_add_lshl_u32 v20, v6, v24, 2
	v_cndmask_b32_e64 v7, 0, 2, vcc_lo
	v_cmp_ne_u32_e32 vcc_lo, 31, v24
	v_ashrrev_i32_e32 v6, 31, v5
	s_cselect_b32 s16, -1, 0
	s_lshl_b64 s[8:9], s[6:7], 2
	v_add_lshl_u32 v21, v7, v24, 2
	v_add_nc_u32_e32 v7, s19, v5
	s_waitcnt lgkmcnt(0)
	v_add_co_ci_u32_e64 v8, null, 0, v24, vcc_lo
	v_lshlrev_b64 v[15:16], 1, v[5:6]
	v_add_co_u32 v5, vcc_lo, s31, v13
	v_add_nc_u32_e32 v26, s19, v7
	v_lshlrev_b32_e32 v24, 2, v8
	v_ashrrev_i32_e32 v8, 31, v7
	v_add_co_ci_u32_e64 v6, null, s33, v14, vcc_lo
	v_ashrrev_i32_e32 v27, 31, v26
	s_add_u32 s22, s36, s8
	v_lshlrev_b64 v[13:14], 1, v[7:8]
	v_add_co_u32 v7, vcc_lo, s31, v15
	v_add_co_ci_u32_e64 v8, null, s33, v16, vcc_lo
	v_lshlrev_b64 v[15:16], 1, v[26:27]
	s_addc_u32 s23, s35, s9
	v_add_co_u32 v13, vcc_lo, s31, v13
	s_add_u32 s6, s20, s14
	s_addc_u32 s8, s21, s15
	v_add_co_ci_u32_e64 v14, null, s33, v14, vcc_lo
	v_add_co_u32 v15, vcc_lo, s31, v15
	s_add_u32 s6, s12, s6
	v_cmp_gt_u32_e64 s2, 32, v0
	v_cmp_gt_u32_e64 s4, 8, v0
	v_cmp_eq_u32_e64 s5, 0, v0
	v_add_co_ci_u32_e64 v16, null, s33, v16, vcc_lo
	s_addc_u32 s8, s13, s8
	v_add_co_u32 v0, vcc_lo, s6, v11
	v_and_b32_e32 v25, 28, v25
	v_add_co_ci_u32_e64 v12, null, s8, v12, vcc_lo
	v_mov_b32_e32 v26, 0
	s_mul_i32 s12, s11, s10
	s_branch .LBB574_59
.LBB574_58:                             ;   in Loop: Header=BB574_59 Depth=1
	s_or_b32 exec_lo, exec_lo, s6
	s_add_i32 s11, s11, 1
	s_add_i32 s12, s12, s10
	s_cmp_ge_i32 s11, s17
	s_cbranch_scc1 .LBB574_80
.LBB574_59:                             ; =>This Loop Header: Depth=1
                                        ;     Child Loop BB574_72 Depth 2
                                        ;     Child Loop BB574_75 Depth 2
	v_mov_b32_e32 v27, s7
	s_and_saveexec_b32 s6, s0
	s_xor_b32 s6, exec_lo, s6
	s_cbranch_execnz .LBB574_68
; %bb.60:                               ;   in Loop: Header=BB574_59 Depth=1
	s_andn2_saveexec_b32 s20, s6
	s_cbranch_execnz .LBB574_69
.LBB574_61:                             ;   in Loop: Header=BB574_59 Depth=1
	s_or_b32 exec_lo, exec_lo, s20
	s_and_saveexec_b32 s6, s2
.LBB574_62:                             ;   in Loop: Header=BB574_59 Depth=1
	ds_write_b32 v17, v26
.LBB574_63:                             ;   in Loop: Header=BB574_59 Depth=1
	s_or_b32 exec_lo, exec_lo, s6
	s_waitcnt lgkmcnt(0)
	ds_bpermute_b32 v10, v18, v27
	s_waitcnt lgkmcnt(0)
	s_waitcnt_vscnt null, 0x0
	s_barrier
	buffer_gl0_inv
	v_add_f32_e32 v10, v27, v10
	ds_bpermute_b32 v11, v19, v10
	s_waitcnt lgkmcnt(0)
	v_add_f32_e32 v10, v10, v11
	ds_bpermute_b32 v11, v20, v10
	s_waitcnt lgkmcnt(0)
	;; [unrolled: 3-line block ×3, first 2 shown]
	v_add_f32_e32 v10, v10, v11
	ds_bpermute_b32 v11, v24, v10
	s_and_saveexec_b32 s6, s3
	s_cbranch_execz .LBB574_65
; %bb.64:                               ;   in Loop: Header=BB574_59 Depth=1
	s_waitcnt lgkmcnt(0)
	v_add_f32_e32 v10, v10, v11
	ds_write_b32 v25, v10
.LBB574_65:                             ;   in Loop: Header=BB574_59 Depth=1
	s_or_b32 exec_lo, exec_lo, s6
	v_mov_b32_e32 v10, 0
	s_waitcnt lgkmcnt(0)
	s_barrier
	buffer_gl0_inv
	s_and_saveexec_b32 s6, s4
	s_cbranch_execnz .LBB574_77
; %bb.66:                               ;   in Loop: Header=BB574_59 Depth=1
	s_or_b32 exec_lo, exec_lo, s6
	s_and_saveexec_b32 s6, s2
	s_cbranch_execnz .LBB574_78
.LBB574_67:                             ;   in Loop: Header=BB574_59 Depth=1
	s_or_b32 exec_lo, exec_lo, s6
	s_and_saveexec_b32 s6, s5
	s_cbranch_execz .LBB574_58
	s_branch .LBB574_79
.LBB574_68:                             ;   in Loop: Header=BB574_59 Depth=1
	s_mul_i32 s8, s11, s10
	s_ashr_i32 s9, s8, 31
	s_lshl_b64 s[8:9], s[8:9], 1
	v_add_co_u32 v1, vcc_lo, v22, s8
	v_add_co_ci_u32_e64 v2, null, s9, v23, vcc_lo
	global_load_ushort v3, v[5:6], off
	s_waitcnt lgkmcnt(0)
	global_load_dwordx2 v[10:11], v[1:2], off
	s_clause 0x2
	global_load_ushort v2, v[7:8], off
	global_load_ushort v4, v[13:14], off
	;; [unrolled: 1-line block ×3, first 2 shown]
	s_waitcnt vmcnt(4)
	v_lshlrev_b32_e32 v1, 16, v3
	s_waitcnt vmcnt(3)
	v_lshlrev_b32_e32 v3, 16, v10
	;; [unrolled: 2-line block ×3, first 2 shown]
	v_and_b32_e32 v10, 0xffff0000, v10
	v_fma_f32 v27, v1, v3, 0
	s_waitcnt vmcnt(1)
	v_lshlrev_b32_e32 v3, 16, v4
	s_waitcnt vmcnt(0)
	v_lshlrev_b32_e32 v4, 16, v28
	v_fmac_f32_e32 v27, v2, v10
	v_lshlrev_b32_e32 v10, 16, v11
	v_and_b32_e32 v11, 0xffff0000, v11
	v_fmac_f32_e32 v27, v3, v10
	v_fmac_f32_e32 v27, v4, v11
	s_andn2_saveexec_b32 s20, s6
	s_cbranch_execz .LBB574_61
.LBB574_69:                             ;   in Loop: Header=BB574_59 Depth=1
	s_and_saveexec_b32 s21, s1
	s_cbranch_execz .LBB574_76
; %bb.70:                               ;   in Loop: Header=BB574_59 Depth=1
	s_andn2_b32 vcc_lo, exec_lo, s16
	s_cbranch_vccnz .LBB574_73
; %bb.71:                               ;   in Loop: Header=BB574_59 Depth=1
	s_waitcnt lgkmcnt(0)
	v_mov_b32_e32 v10, v9
	s_mov_b64 s[14:15], 0
	.p2align	6
.LBB574_72:                             ;   Parent Loop BB574_59 Depth=1
                                        ; =>  This Inner Loop Header: Depth=2
	v_ashrrev_i32_e32 v11, 31, v10
	s_cmp_eq_u32 s14, 3
	v_lshlrev_b64 v[28:29], 1, v[10:11]
	v_add_nc_u32_e32 v10, s19, v10
	v_add_co_u32 v28, vcc_lo, s31, v28
	v_add_co_ci_u32_e64 v29, null, s33, v29, vcc_lo
	s_cselect_b32 vcc_lo, -1, 0
	s_cmp_eq_u32 s14, 2
	s_cselect_b32 s6, -1, 0
	global_load_ushort v11, v[28:29], off
	s_cmp_eq_u32 s14, 1
	s_cselect_b32 s8, -1, 0
	s_cmp_eq_u32 s14, 0
	s_waitcnt vmcnt(0)
	v_lshlrev_b32_e32 v11, 16, v11
	v_cndmask_b32_e32 v4, v4, v11, vcc_lo
	s_cselect_b32 vcc_lo, -1, 0
	v_cndmask_b32_e64 v3, v3, v11, s6
	v_cndmask_b32_e64 v2, v2, v11, s8
	v_cndmask_b32_e32 v1, v1, v11, vcc_lo
	s_add_u32 s14, s14, 1
	s_addc_u32 s15, s15, 0
	s_cmp_eq_u32 s34, s14
	s_cbranch_scc0 .LBB574_72
.LBB574_73:                             ;   in Loop: Header=BB574_59 Depth=1
	s_andn2_b32 vcc_lo, exec_lo, s16
	s_cbranch_vccnz .LBB574_76
; %bb.74:                               ;   in Loop: Header=BB574_59 Depth=1
	s_ashr_i32 s13, s12, 31
	s_lshl_b64 s[8:9], s[12:13], 1
	s_waitcnt lgkmcnt(0)
	v_add_co_u32 v10, vcc_lo, v0, s8
	v_add_co_ci_u32_e64 v11, null, s9, v12, vcc_lo
	s_mov_b64 s[8:9], 0
	.p2align	6
.LBB574_75:                             ;   Parent Loop BB574_59 Depth=1
                                        ; =>  This Inner Loop Header: Depth=2
	global_load_ushort v28, v[10:11], off
	s_cmp_eq_u32 s8, 1
	s_cselect_b32 vcc_lo, -1, 0
	s_cmp_eq_u32 s8, 2
	v_cndmask_b32_e32 v29, v1, v2, vcc_lo
	s_cselect_b32 vcc_lo, -1, 0
	s_cmp_eq_u32 s8, 3
	v_cndmask_b32_e32 v29, v29, v3, vcc_lo
	s_cselect_b32 vcc_lo, -1, 0
	s_add_u32 s8, s8, 1
	s_addc_u32 s9, s9, 0
	s_cmp_lg_u32 s34, s8
	v_cndmask_b32_e32 v29, v29, v4, vcc_lo
	v_add_co_u32 v10, vcc_lo, v10, 2
	v_add_co_ci_u32_e64 v11, null, 0, v11, vcc_lo
	s_waitcnt vmcnt(0)
	v_lshlrev_b32_e32 v28, 16, v28
	v_fmac_f32_e32 v27, v29, v28
	s_cbranch_scc1 .LBB574_75
.LBB574_76:                             ;   in Loop: Header=BB574_59 Depth=1
	s_or_b32 exec_lo, exec_lo, s21
	s_or_b32 exec_lo, exec_lo, s20
	s_and_saveexec_b32 s6, s2
	s_cbranch_execnz .LBB574_62
	s_branch .LBB574_63
.LBB574_77:                             ;   in Loop: Header=BB574_59 Depth=1
	ds_read_b32 v10, v17
	s_or_b32 exec_lo, exec_lo, s6
	s_and_saveexec_b32 s6, s2
	s_cbranch_execz .LBB574_67
.LBB574_78:                             ;   in Loop: Header=BB574_59 Depth=1
	s_waitcnt lgkmcnt(0)
	ds_bpermute_b32 v11, v20, v10
	s_waitcnt lgkmcnt(0)
	v_add_f32_e32 v10, v10, v11
	ds_bpermute_b32 v11, v21, v10
	s_waitcnt lgkmcnt(0)
	v_add_f32_e32 v10, v10, v11
	;; [unrolled: 3-line block ×3, first 2 shown]
	s_or_b32 exec_lo, exec_lo, s6
	s_and_saveexec_b32 s6, s5
	s_cbranch_execz .LBB574_58
.LBB574_79:                             ;   in Loop: Header=BB574_59 Depth=1
	s_mul_hi_u32 s9, s11, s18
	s_mul_i32 s8, s11, s18
	s_waitcnt lgkmcnt(0)
	v_mul_f32_e32 v10, s30, v10
	s_lshl_b64 s[8:9], s[8:9], 2
	s_add_u32 s8, s22, s8
	s_addc_u32 s9, s23, s9
	global_store_dword v26, v10, s[8:9]
	s_branch .LBB574_58
.LBB574_80:
	s_endpgm
	.section	.rodata,"a",@progbits
	.p2align	6, 0x0
	.amdhsa_kernel _ZL23rocblas_gemvt_sn_kernelILb1ELi256ELi4Ei16rocblas_bfloat16PKffEviiT4_lPKT3_lilS6_lilPT5_i
		.amdhsa_group_segment_fixed_size 128
		.amdhsa_private_segment_fixed_size 0
		.amdhsa_kernarg_size 360
		.amdhsa_user_sgpr_count 6
		.amdhsa_user_sgpr_private_segment_buffer 1
		.amdhsa_user_sgpr_dispatch_ptr 0
		.amdhsa_user_sgpr_queue_ptr 0
		.amdhsa_user_sgpr_kernarg_segment_ptr 1
		.amdhsa_user_sgpr_dispatch_id 0
		.amdhsa_user_sgpr_flat_scratch_init 0
		.amdhsa_user_sgpr_private_segment_size 0
		.amdhsa_wavefront_size32 1
		.amdhsa_uses_dynamic_stack 0
		.amdhsa_system_sgpr_private_segment_wavefront_offset 0
		.amdhsa_system_sgpr_workgroup_id_x 1
		.amdhsa_system_sgpr_workgroup_id_y 0
		.amdhsa_system_sgpr_workgroup_id_z 1
		.amdhsa_system_sgpr_workgroup_info 0
		.amdhsa_system_vgpr_workitem_id 0
		.amdhsa_next_free_vgpr 51
		.amdhsa_next_free_sgpr 50
		.amdhsa_reserve_vcc 1
		.amdhsa_reserve_flat_scratch 0
		.amdhsa_float_round_mode_32 0
		.amdhsa_float_round_mode_16_64 0
		.amdhsa_float_denorm_mode_32 3
		.amdhsa_float_denorm_mode_16_64 3
		.amdhsa_dx10_clamp 1
		.amdhsa_ieee_mode 1
		.amdhsa_fp16_overflow 0
		.amdhsa_workgroup_processor_mode 1
		.amdhsa_memory_ordered 1
		.amdhsa_forward_progress 1
		.amdhsa_shared_vgpr_count 0
		.amdhsa_exception_fp_ieee_invalid_op 0
		.amdhsa_exception_fp_denorm_src 0
		.amdhsa_exception_fp_ieee_div_zero 0
		.amdhsa_exception_fp_ieee_overflow 0
		.amdhsa_exception_fp_ieee_underflow 0
		.amdhsa_exception_fp_ieee_inexact 0
		.amdhsa_exception_int_div_zero 0
	.end_amdhsa_kernel
	.section	.text._ZL23rocblas_gemvt_sn_kernelILb1ELi256ELi4Ei16rocblas_bfloat16PKffEviiT4_lPKT3_lilS6_lilPT5_i,"axG",@progbits,_ZL23rocblas_gemvt_sn_kernelILb1ELi256ELi4Ei16rocblas_bfloat16PKffEviiT4_lPKT3_lilS6_lilPT5_i,comdat
.Lfunc_end574:
	.size	_ZL23rocblas_gemvt_sn_kernelILb1ELi256ELi4Ei16rocblas_bfloat16PKffEviiT4_lPKT3_lilS6_lilPT5_i, .Lfunc_end574-_ZL23rocblas_gemvt_sn_kernelILb1ELi256ELi4Ei16rocblas_bfloat16PKffEviiT4_lPKT3_lilS6_lilPT5_i
                                        ; -- End function
	.set _ZL23rocblas_gemvt_sn_kernelILb1ELi256ELi4Ei16rocblas_bfloat16PKffEviiT4_lPKT3_lilS6_lilPT5_i.num_vgpr, 51
	.set _ZL23rocblas_gemvt_sn_kernelILb1ELi256ELi4Ei16rocblas_bfloat16PKffEviiT4_lPKT3_lilS6_lilPT5_i.num_agpr, 0
	.set _ZL23rocblas_gemvt_sn_kernelILb1ELi256ELi4Ei16rocblas_bfloat16PKffEviiT4_lPKT3_lilS6_lilPT5_i.numbered_sgpr, 50
	.set _ZL23rocblas_gemvt_sn_kernelILb1ELi256ELi4Ei16rocblas_bfloat16PKffEviiT4_lPKT3_lilS6_lilPT5_i.num_named_barrier, 0
	.set _ZL23rocblas_gemvt_sn_kernelILb1ELi256ELi4Ei16rocblas_bfloat16PKffEviiT4_lPKT3_lilS6_lilPT5_i.private_seg_size, 0
	.set _ZL23rocblas_gemvt_sn_kernelILb1ELi256ELi4Ei16rocblas_bfloat16PKffEviiT4_lPKT3_lilS6_lilPT5_i.uses_vcc, 1
	.set _ZL23rocblas_gemvt_sn_kernelILb1ELi256ELi4Ei16rocblas_bfloat16PKffEviiT4_lPKT3_lilS6_lilPT5_i.uses_flat_scratch, 0
	.set _ZL23rocblas_gemvt_sn_kernelILb1ELi256ELi4Ei16rocblas_bfloat16PKffEviiT4_lPKT3_lilS6_lilPT5_i.has_dyn_sized_stack, 0
	.set _ZL23rocblas_gemvt_sn_kernelILb1ELi256ELi4Ei16rocblas_bfloat16PKffEviiT4_lPKT3_lilS6_lilPT5_i.has_recursion, 0
	.set _ZL23rocblas_gemvt_sn_kernelILb1ELi256ELi4Ei16rocblas_bfloat16PKffEviiT4_lPKT3_lilS6_lilPT5_i.has_indirect_call, 0
	.section	.AMDGPU.csdata,"",@progbits
; Kernel info:
; codeLenInByte = 4268
; TotalNumSgprs: 52
; NumVgprs: 51
; ScratchSize: 0
; MemoryBound: 0
; FloatMode: 240
; IeeeMode: 1
; LDSByteSize: 128 bytes/workgroup (compile time only)
; SGPRBlocks: 0
; VGPRBlocks: 6
; NumSGPRsForWavesPerEU: 52
; NumVGPRsForWavesPerEU: 51
; Occupancy: 16
; WaveLimiterHint : 1
; COMPUTE_PGM_RSRC2:SCRATCH_EN: 0
; COMPUTE_PGM_RSRC2:USER_SGPR: 6
; COMPUTE_PGM_RSRC2:TRAP_HANDLER: 0
; COMPUTE_PGM_RSRC2:TGID_X_EN: 1
; COMPUTE_PGM_RSRC2:TGID_Y_EN: 0
; COMPUTE_PGM_RSRC2:TGID_Z_EN: 1
; COMPUTE_PGM_RSRC2:TIDIG_COMP_CNT: 0
	.section	.text._ZL23rocblas_gemvt_sn_kernelILb1ELi256ELi4El16rocblas_bfloat16PKffEviiT4_lPKT3_lilS6_lilPT5_i,"axG",@progbits,_ZL23rocblas_gemvt_sn_kernelILb1ELi256ELi4El16rocblas_bfloat16PKffEviiT4_lPKT3_lilS6_lilPT5_i,comdat
	.globl	_ZL23rocblas_gemvt_sn_kernelILb1ELi256ELi4El16rocblas_bfloat16PKffEviiT4_lPKT3_lilS6_lilPT5_i ; -- Begin function _ZL23rocblas_gemvt_sn_kernelILb1ELi256ELi4El16rocblas_bfloat16PKffEviiT4_lPKT3_lilS6_lilPT5_i
	.p2align	8
	.type	_ZL23rocblas_gemvt_sn_kernelILb1ELi256ELi4El16rocblas_bfloat16PKffEviiT4_lPKT3_lilS6_lilPT5_i,@function
_ZL23rocblas_gemvt_sn_kernelILb1ELi256ELi4El16rocblas_bfloat16PKffEviiT4_lPKT3_lilS6_lilPT5_i: ; @_ZL23rocblas_gemvt_sn_kernelILb1ELi256ELi4El16rocblas_bfloat16PKffEviiT4_lPKT3_lilS6_lilPT5_i
; %bb.0:
	s_clause 0x2
	s_load_dwordx8 s[8:15], s[4:5], 0x8
	s_load_dwordx2 s[20:21], s[4:5], 0x0
	s_load_dword s22, s[4:5], 0x68
	s_mov_b32 s23, 0
	s_waitcnt lgkmcnt(0)
	s_mul_i32 s1, s11, s7
	s_mul_hi_u32 s2, s10, s7
	s_mul_i32 s0, s10, s7
	s_add_i32 s1, s2, s1
	s_mul_i32 s2, s21, s7
	s_lshl_b64 s[0:1], s[0:1], 2
	s_add_u32 s0, s8, s0
	s_addc_u32 s1, s9, s1
	s_load_dword s33, s[0:1], 0x0
	s_load_dwordx4 s[16:19], s[4:5], 0x50
	s_ashr_i32 s30, s21, 31
	s_mul_hi_u32 s0, s21, s7
	s_mul_i32 s1, s30, s7
	s_add_i32 s0, s0, s1
	s_mul_hi_u32 s1, s2, s22
	s_mul_i32 s3, s0, s22
	s_mul_i32 s0, s2, s22
	s_add_i32 s1, s1, s3
	s_lshl_b64 s[0:1], s[0:1], 2
	s_waitcnt lgkmcnt(0)
	v_cmp_neq_f32_e64 s2, s33, 0
	s_add_u32 s42, s18, s0
	v_cmp_eq_u32_e64 s0, 0, v0
	s_addc_u32 s43, s19, s1
	s_and_b32 vcc_lo, exec_lo, s2
	s_cbranch_vccnz .LBB575_5
; %bb.1:
	s_cmp_gt_i32 s21, 0
	s_cselect_b32 s1, -1, 0
	s_and_b32 s0, s0, s1
	s_and_saveexec_b32 s8, s0
	s_cbranch_execz .LBB575_4
; %bb.2:
	s_mov_b32 s0, s7
	s_mov_b32 s7, 0
	v_mov_b32_e32 v1, 0
	s_lshl_b64 s[2:3], s[6:7], 2
	s_mov_b32 s7, s0
	s_add_u32 s0, s42, s2
	s_addc_u32 s1, s43, s3
	s_lshl_b64 s[2:3], s[22:23], 2
	s_mov_b32 s9, s21
.LBB575_3:                              ; =>This Inner Loop Header: Depth=1
	s_add_i32 s9, s9, -1
	global_store_dword v1, v1, s[0:1]
	s_add_u32 s0, s0, s2
	s_addc_u32 s1, s1, s3
	s_cmp_eq_u32 s9, 0
	s_cbranch_scc0 .LBB575_3
.LBB575_4:
	s_or_b32 exec_lo, exec_lo, s8
	s_cbranch_execz .LBB575_6
	s_branch .LBB575_80
.LBB575_5:
.LBB575_6:
	s_clause 0x3
	s_load_dword s18, s[4:5], 0x28
	s_load_dword s24, s[4:5], 0x48
	s_load_dwordx4 s[8:11], s[4:5], 0x30
	s_load_dwordx2 s[0:1], s[4:5], 0x40
	s_mul_i32 s3, s17, s7
	s_mul_hi_u32 s4, s16, s7
	s_mul_i32 s2, s16, s7
	s_add_i32 s3, s4, s3
	v_and_b32_e32 v26, 31, v0
	s_lshl_b64 s[16:17], s[2:3], 1
	v_mbcnt_lo_u32_b32 v29, -1, 0
	v_lshrrev_b32_e32 v31, 3, v0
	s_waitcnt lgkmcnt(0)
	s_ashr_i32 s19, s18, 31
	s_ashr_i32 s25, s24, 31
	s_add_u32 s5, s10, s16
	s_mul_i32 s3, s9, s7
	s_addc_u32 s9, s11, s17
	s_lshl_b64 s[28:29], s[0:1], 1
	s_mul_hi_u32 s4, s8, s7
	s_add_u32 s44, s5, s28
	s_mul_i32 s2, s8, s7
	s_addc_u32 s45, s9, s29
	s_add_i32 s3, s4, s3
	v_cmp_gt_u32_e64 s0, 32, v0
	s_lshl_b64 s[26:27], s[2:3], 1
	v_cmp_gt_u32_e64 s1, 8, v0
	s_add_u32 s2, s12, s26
	s_addc_u32 s3, s13, s27
	s_lshl_b64 s[14:15], s[14:15], 1
	s_add_u32 s2, s2, s14
	s_addc_u32 s3, s3, s15
	s_lshl_b32 s4, s6, 10
	s_ashr_i32 s5, s20, 31
	v_lshl_or_b32 v13, v0, 2, s4
	s_lshr_b32 s4, s30, 30
	s_lshr_b32 s5, s5, 30
	s_add_i32 s4, s21, s4
	s_add_i32 s5, s20, s5
	v_ashrrev_i32_e32 v14, 31, v13
	s_and_b32 s46, s4, -4
	s_and_b32 s4, s5, -4
	v_add_nc_u32_e32 v32, 4, v13
	s_sub_i32 s23, s20, s4
	v_lshlrev_b64 v[11:12], 1, v[13:14]
	v_or_b32_e32 v30, 1, v13
	v_or_b32_e32 v28, 2, v13
	v_add_nc_u32_e32 v33, s23, v13
	v_or_b32_e32 v27, 3, v13
	s_cmp_lt_i32 s46, 1
	v_add_co_u32 v9, vcc_lo, s2, v11
	v_add_co_ci_u32_e64 v10, null, s3, v12, vcc_lo
	s_cbranch_scc1 .LBB575_55
; %bb.7:
	v_cmp_gt_u32_e32 vcc_lo, 24, v29
	v_mad_i64_i32 v[5:6], null, s24, v28, 0
	v_mad_i64_i32 v[7:8], null, s24, v27, 0
	v_cndmask_b32_e64 v1, 0, 8, vcc_lo
	v_cmp_gt_u32_e32 vcc_lo, 28, v29
	s_cmp_gt_i32 s23, 0
	s_mov_b32 s7, 0
	v_lshlrev_b64 v[5:6], 1, v[5:6]
	v_add_lshl_u32 v35, v1, v29, 2
	v_cndmask_b32_e64 v2, 0, 4, vcc_lo
	v_cmp_gt_u32_e32 vcc_lo, 30, v29
	s_cselect_b32 s47, -1, 0
	s_lshl_b64 s[8:9], s[6:7], 2
	v_mov_b32_e32 v25, v10
	v_add_lshl_u32 v36, v2, v29, 2
	v_cndmask_b32_e64 v3, 0, 2, vcc_lo
	v_cmp_ne_u32_e32 vcc_lo, 31, v29
	v_mad_i64_i32 v[1:2], null, s24, v13, 0
	s_add_u32 s48, s42, s8
	v_add_lshl_u32 v37, v3, v29, 2
	v_add_co_ci_u32_e64 v4, null, 0, v29, vcc_lo
	s_addc_u32 s49, s43, s9
	s_add_u32 s8, s10, s28
	v_lshlrev_b64 v[1:2], 1, v[1:2]
	v_lshlrev_b32_e32 v38, 2, v4
	v_mad_i64_i32 v[3:4], null, s24, v30, 0
	s_addc_u32 s9, s11, s29
	s_add_u32 s8, s8, s16
	v_add_co_u32 v14, vcc_lo, s44, v1
	v_add_co_ci_u32_e64 v15, null, s45, v2, vcc_lo
	v_lshlrev_b64 v[3:4], 1, v[3:4]
	s_addc_u32 s9, s9, s17
	v_cmp_ge_i32_e64 s2, s20, v32
	v_cmp_ge_i32_e64 s3, s20, v33
	v_lshl_or_b32 v34, v29, 2, 64
	v_cmp_eq_u32_e64 s4, 0, v26
	v_add_co_u32 v16, vcc_lo, s44, v3
	v_add_co_ci_u32_e64 v17, null, s45, v4, vcc_lo
	v_lshlrev_b64 v[3:4], 1, v[7:8]
	v_add_co_u32 v18, vcc_lo, s44, v5
	v_mov_b32_e32 v5, 0
	v_add_co_ci_u32_e64 v19, null, s45, v6, vcc_lo
	v_add_co_u32 v20, vcc_lo, s44, v3
	v_mov_b32_e32 v6, v5
	v_mov_b32_e32 v7, v5
	;; [unrolled: 1-line block ×3, first 2 shown]
	v_add_co_ci_u32_e64 v21, null, s45, v4, vcc_lo
	v_add_co_u32 v22, vcc_lo, s8, v1
	v_add_co_ci_u32_e64 v23, null, s9, v2, vcc_lo
	v_mov_b32_e32 v1, v5
	v_lshlrev_b32_e32 v39, 2, v26
	v_and_b32_e32 v40, 28, v31
	v_cmp_eq_u32_e64 s5, 0, v0
	v_mov_b32_e32 v24, v9
	v_mov_b32_e32 v2, v6
	;; [unrolled: 1-line block ×4, first 2 shown]
	s_lshl_b64 s[30:31], s[24:25], 1
	s_lshl_b64 s[34:35], s[18:19], 3
	s_lshl_b64 s[36:37], s[18:19], 1
	s_lshl_b64 s[38:39], s[18:19], 2
	s_mul_hi_i32 s50, s18, 6
	s_mul_i32 s51, s18, 6
	s_branch .LBB575_9
.LBB575_8:                              ;   in Loop: Header=BB575_9 Depth=1
	s_or_b32 exec_lo, exec_lo, s8
	v_add_co_u32 v24, vcc_lo, v24, s34
	v_add_co_ci_u32_e64 v25, null, s35, v25, vcc_lo
	s_add_i32 s7, s7, 4
	s_cmp_ge_i32 s7, s46
	s_cbranch_scc1 .LBB575_56
.LBB575_9:                              ; =>This Loop Header: Depth=1
                                        ;     Child Loop BB575_40 Depth 2
                                        ;     Child Loop BB575_43 Depth 2
                                        ; implicit-def: $vgpr8
                                        ; implicit-def: $vgpr41
                                        ; implicit-def: $vgpr42
                                        ; implicit-def: $vgpr43
	s_and_saveexec_b32 s8, s2
	s_xor_b32 s8, exec_lo, s8
	s_cbranch_execnz .LBB575_36
; %bb.10:                               ;   in Loop: Header=BB575_9 Depth=1
	s_andn2_saveexec_b32 s52, s8
	s_cbranch_execnz .LBB575_37
.LBB575_11:                             ;   in Loop: Header=BB575_9 Depth=1
	s_or_b32 exec_lo, exec_lo, s52
	s_and_saveexec_b32 s8, s0
.LBB575_12:                             ;   in Loop: Header=BB575_9 Depth=1
	ds_write_b32 v39, v5
.LBB575_13:                             ;   in Loop: Header=BB575_9 Depth=1
	s_or_b32 exec_lo, exec_lo, s8
	ds_bpermute_b32 v6, v34, v43
	s_waitcnt lgkmcnt(0)
	s_waitcnt_vscnt null, 0x0
	s_barrier
	buffer_gl0_inv
	v_add_f32_e32 v6, v43, v6
	ds_bpermute_b32 v7, v35, v6
	s_waitcnt lgkmcnt(0)
	v_add_f32_e32 v6, v6, v7
	ds_bpermute_b32 v7, v36, v6
	s_waitcnt lgkmcnt(0)
	v_add_f32_e32 v6, v6, v7
	ds_bpermute_b32 v7, v37, v6
	s_waitcnt lgkmcnt(0)
	v_add_f32_e32 v6, v6, v7
	ds_bpermute_b32 v7, v38, v6
	s_and_saveexec_b32 s8, s4
	s_cbranch_execz .LBB575_15
; %bb.14:                               ;   in Loop: Header=BB575_9 Depth=1
	s_waitcnt lgkmcnt(0)
	v_add_f32_e32 v6, v6, v7
	ds_write_b32 v40, v6
.LBB575_15:                             ;   in Loop: Header=BB575_9 Depth=1
	s_or_b32 exec_lo, exec_lo, s8
	v_mov_b32_e32 v6, 0
	s_waitcnt lgkmcnt(0)
	s_barrier
	buffer_gl0_inv
	s_and_saveexec_b32 s8, s1
	s_cbranch_execnz .LBB575_44
; %bb.16:                               ;   in Loop: Header=BB575_9 Depth=1
	s_or_b32 exec_lo, exec_lo, s8
	s_and_saveexec_b32 s8, s0
	s_cbranch_execnz .LBB575_45
.LBB575_17:                             ;   in Loop: Header=BB575_9 Depth=1
	s_or_b32 exec_lo, exec_lo, s8
	s_and_saveexec_b32 s8, s0
.LBB575_18:                             ;   in Loop: Header=BB575_9 Depth=1
	ds_write_b32 v39, v5
.LBB575_19:                             ;   in Loop: Header=BB575_9 Depth=1
	s_or_b32 exec_lo, exec_lo, s8
	ds_bpermute_b32 v7, v34, v42
	s_waitcnt lgkmcnt(0)
	s_barrier
	buffer_gl0_inv
	v_add_f32_e32 v7, v42, v7
	ds_bpermute_b32 v42, v35, v7
	s_waitcnt lgkmcnt(0)
	v_add_f32_e32 v7, v7, v42
	ds_bpermute_b32 v42, v36, v7
	s_waitcnt lgkmcnt(0)
	v_add_f32_e32 v7, v7, v42
	ds_bpermute_b32 v42, v37, v7
	s_waitcnt lgkmcnt(0)
	v_add_f32_e32 v7, v7, v42
	ds_bpermute_b32 v42, v38, v7
	s_and_saveexec_b32 s8, s4
	s_cbranch_execz .LBB575_21
; %bb.20:                               ;   in Loop: Header=BB575_9 Depth=1
	s_waitcnt lgkmcnt(0)
	v_add_f32_e32 v7, v7, v42
	ds_write_b32 v40, v7
.LBB575_21:                             ;   in Loop: Header=BB575_9 Depth=1
	s_or_b32 exec_lo, exec_lo, s8
	v_mov_b32_e32 v7, 0
	s_waitcnt lgkmcnt(0)
	s_barrier
	buffer_gl0_inv
	s_and_saveexec_b32 s8, s1
	s_cbranch_execnz .LBB575_46
; %bb.22:                               ;   in Loop: Header=BB575_9 Depth=1
	s_or_b32 exec_lo, exec_lo, s8
	s_and_saveexec_b32 s8, s0
	s_cbranch_execnz .LBB575_47
.LBB575_23:                             ;   in Loop: Header=BB575_9 Depth=1
	s_or_b32 exec_lo, exec_lo, s8
	s_and_saveexec_b32 s8, s0
.LBB575_24:                             ;   in Loop: Header=BB575_9 Depth=1
	ds_write_b32 v39, v5
.LBB575_25:                             ;   in Loop: Header=BB575_9 Depth=1
	s_or_b32 exec_lo, exec_lo, s8
	ds_bpermute_b32 v42, v34, v41
	s_waitcnt lgkmcnt(0)
	s_barrier
	buffer_gl0_inv
	v_add_f32_e32 v41, v41, v42
	ds_bpermute_b32 v42, v35, v41
	s_waitcnt lgkmcnt(0)
	v_add_f32_e32 v41, v41, v42
	ds_bpermute_b32 v42, v36, v41
	s_waitcnt lgkmcnt(0)
	;; [unrolled: 3-line block ×3, first 2 shown]
	v_add_f32_e32 v41, v41, v42
	ds_bpermute_b32 v42, v38, v41
	s_and_saveexec_b32 s8, s4
	s_cbranch_execz .LBB575_27
; %bb.26:                               ;   in Loop: Header=BB575_9 Depth=1
	s_waitcnt lgkmcnt(0)
	v_add_f32_e32 v41, v41, v42
	ds_write_b32 v40, v41
.LBB575_27:                             ;   in Loop: Header=BB575_9 Depth=1
	s_or_b32 exec_lo, exec_lo, s8
	v_mov_b32_e32 v41, 0
	s_waitcnt lgkmcnt(0)
	s_barrier
	buffer_gl0_inv
	s_and_saveexec_b32 s8, s1
	s_cbranch_execnz .LBB575_48
; %bb.28:                               ;   in Loop: Header=BB575_9 Depth=1
	s_or_b32 exec_lo, exec_lo, s8
	s_and_saveexec_b32 s8, s0
	s_cbranch_execnz .LBB575_49
.LBB575_29:                             ;   in Loop: Header=BB575_9 Depth=1
	s_or_b32 exec_lo, exec_lo, s8
	s_and_saveexec_b32 s8, s0
.LBB575_30:                             ;   in Loop: Header=BB575_9 Depth=1
	ds_write_b32 v39, v5
.LBB575_31:                             ;   in Loop: Header=BB575_9 Depth=1
	s_or_b32 exec_lo, exec_lo, s8
	ds_bpermute_b32 v42, v34, v8
	s_waitcnt lgkmcnt(0)
	s_barrier
	buffer_gl0_inv
	v_add_f32_e32 v8, v8, v42
	ds_bpermute_b32 v42, v35, v8
	s_waitcnt lgkmcnt(0)
	v_add_f32_e32 v8, v8, v42
	ds_bpermute_b32 v42, v36, v8
	s_waitcnt lgkmcnt(0)
	;; [unrolled: 3-line block ×3, first 2 shown]
	v_add_f32_e32 v8, v8, v42
	ds_bpermute_b32 v42, v38, v8
	s_and_saveexec_b32 s8, s4
	s_cbranch_execz .LBB575_33
; %bb.32:                               ;   in Loop: Header=BB575_9 Depth=1
	s_waitcnt lgkmcnt(0)
	v_add_f32_e32 v8, v8, v42
	ds_write_b32 v40, v8
.LBB575_33:                             ;   in Loop: Header=BB575_9 Depth=1
	s_or_b32 exec_lo, exec_lo, s8
	v_mov_b32_e32 v8, 0
	s_waitcnt lgkmcnt(0)
	s_barrier
	buffer_gl0_inv
	s_and_saveexec_b32 s8, s1
	s_cbranch_execnz .LBB575_50
; %bb.34:                               ;   in Loop: Header=BB575_9 Depth=1
	s_or_b32 exec_lo, exec_lo, s8
	s_and_saveexec_b32 s8, s0
	s_cbranch_execnz .LBB575_51
.LBB575_35:                             ;   in Loop: Header=BB575_9 Depth=1
	s_or_b32 exec_lo, exec_lo, s8
	s_and_saveexec_b32 s8, s5
	s_cbranch_execz .LBB575_8
	s_branch .LBB575_52
.LBB575_36:                             ;   in Loop: Header=BB575_9 Depth=1
	s_mul_i32 s9, s7, s19
	s_mul_hi_u32 s41, s7, s18
	s_mul_i32 s40, s7, s18
	s_add_i32 s41, s41, s9
	s_or_b32 s9, s7, 1
	s_lshl_b64 s[40:41], s[40:41], 1
	v_add_co_u32 v1, vcc_lo, v9, s40
	v_add_co_ci_u32_e64 v2, null, s41, v10, vcc_lo
	s_mul_i32 s40, s9, s19
	s_mul_hi_u32 s41, s9, s18
	s_add_i32 s41, s41, s40
	s_mul_i32 s40, s9, s18
	s_or_b32 s9, s7, 2
	s_lshl_b64 s[40:41], s[40:41], 1
	global_load_dwordx2 v[6:7], v[1:2], off
	s_mul_i32 s52, s9, s19
	s_mul_hi_u32 s53, s9, s18
	v_add_co_u32 v1, vcc_lo, v9, s40
	v_add_co_ci_u32_e64 v2, null, s41, v10, vcc_lo
	s_add_i32 s41, s53, s52
	s_or_b32 s52, s7, 3
	s_mul_i32 s40, s9, s18
	s_mul_i32 s9, s52, s19
	s_mul_hi_u32 s53, s52, s18
	s_lshl_b64 s[40:41], s[40:41], 1
	s_add_i32 s53, s53, s9
	s_mul_i32 s52, s52, s18
	v_add_co_u32 v3, vcc_lo, v9, s40
	v_add_co_ci_u32_e64 v4, null, s41, v10, vcc_lo
	s_lshl_b64 s[40:41], s[52:53], 1
	s_waitcnt lgkmcnt(0)
	s_clause 0x3
	global_load_ushort v8, v[14:15], off
	global_load_ushort v49, v[16:17], off
	;; [unrolled: 1-line block ×4, first 2 shown]
	v_add_co_u32 v41, vcc_lo, v9, s40
	v_add_co_ci_u32_e64 v42, null, s41, v10, vcc_lo
	s_clause 0x2
	global_load_dwordx2 v[43:44], v[1:2], off
	global_load_dwordx2 v[45:46], v[3:4], off
	;; [unrolled: 1-line block ×3, first 2 shown]
	s_waitcnt vmcnt(6)
	v_lshlrev_b32_e32 v1, 16, v8
	v_lshlrev_b32_e32 v8, 16, v6
	s_waitcnt vmcnt(4)
	v_lshlrev_b32_e32 v3, 16, v50
	v_lshlrev_b32_e32 v2, 16, v49
	s_waitcnt vmcnt(3)
	v_lshlrev_b32_e32 v4, 16, v51
	v_and_b32_e32 v6, 0xffff0000, v6
	v_lshlrev_b32_e32 v49, 16, v7
	s_waitcnt vmcnt(2)
	v_lshlrev_b32_e32 v41, 16, v43
	s_waitcnt vmcnt(1)
	v_lshlrev_b32_e32 v50, 16, v45
	s_waitcnt vmcnt(0)
	v_and_b32_e32 v52, 0xffff0000, v47
	v_lshlrev_b32_e32 v47, 16, v47
	v_and_b32_e32 v51, 0xffff0000, v43
	v_and_b32_e32 v45, 0xffff0000, v45
	v_fma_f32 v43, v1, v8, 0
	v_fma_f32 v42, v1, v41, 0
	;; [unrolled: 1-line block ×4, first 2 shown]
	v_lshlrev_b32_e32 v53, 16, v44
	v_lshlrev_b32_e32 v54, 16, v46
	;; [unrolled: 1-line block ×3, first 2 shown]
	v_fmac_f32_e32 v43, v2, v6
	v_fmac_f32_e32 v42, v2, v51
	;; [unrolled: 1-line block ×4, first 2 shown]
	v_and_b32_e32 v7, 0xffff0000, v7
	v_and_b32_e32 v44, 0xffff0000, v44
	v_and_b32_e32 v46, 0xffff0000, v46
	v_and_b32_e32 v6, 0xffff0000, v48
	v_fmac_f32_e32 v43, v3, v49
	v_fmac_f32_e32 v42, v3, v53
	;; [unrolled: 1-line block ×8, first 2 shown]
	s_andn2_saveexec_b32 s52, s8
	s_cbranch_execz .LBB575_11
.LBB575_37:                             ;   in Loop: Header=BB575_9 Depth=1
	s_waitcnt lgkmcnt(0)
	v_mov_b32_e32 v8, 0
	v_mov_b32_e32 v41, 0
	;; [unrolled: 1-line block ×4, first 2 shown]
	s_and_saveexec_b32 s53, s3
	s_cbranch_execz .LBB575_54
; %bb.38:                               ;   in Loop: Header=BB575_9 Depth=1
	s_andn2_b32 vcc_lo, exec_lo, s47
	s_cbranch_vccnz .LBB575_41
; %bb.39:                               ;   in Loop: Header=BB575_9 Depth=1
	v_mov_b32_e32 v6, v22
	v_mov_b32_e32 v7, v23
	s_mov_b64 s[40:41], 0
	.p2align	6
.LBB575_40:                             ;   Parent Loop BB575_9 Depth=1
                                        ; =>  This Inner Loop Header: Depth=2
	global_load_ushort v8, v[6:7], off
	s_cmp_eq_u32 s40, 3
	v_add_co_u32 v6, vcc_lo, v6, s30
	v_add_co_ci_u32_e64 v7, null, s31, v7, vcc_lo
	s_cselect_b32 vcc_lo, -1, 0
	s_cmp_eq_u32 s40, 2
	s_cselect_b32 s8, -1, 0
	s_cmp_eq_u32 s40, 1
	s_cselect_b32 s9, -1, 0
	s_cmp_eq_u32 s40, 0
	s_waitcnt vmcnt(0)
	v_lshlrev_b32_e32 v8, 16, v8
	v_cndmask_b32_e32 v4, v4, v8, vcc_lo
	s_cselect_b32 vcc_lo, -1, 0
	v_cndmask_b32_e64 v3, v3, v8, s8
	v_cndmask_b32_e64 v2, v2, v8, s9
	v_cndmask_b32_e32 v1, v1, v8, vcc_lo
	s_add_u32 s40, s40, 1
	s_addc_u32 s41, s41, 0
	s_cmp_eq_u32 s23, s40
	s_cbranch_scc0 .LBB575_40
.LBB575_41:                             ;   in Loop: Header=BB575_9 Depth=1
	s_andn2_b32 vcc_lo, exec_lo, s47
	s_cbranch_vccnz .LBB575_53
; %bb.42:                               ;   in Loop: Header=BB575_9 Depth=1
	v_mov_b32_e32 v6, v24
	v_mov_b32_e32 v43, 0
	;; [unrolled: 1-line block ×6, first 2 shown]
	s_mov_b64 s[40:41], 0
	s_inst_prefetch 0x1
	.p2align	6
.LBB575_43:                             ;   Parent Loop BB575_9 Depth=1
                                        ; =>  This Inner Loop Header: Depth=2
	v_add_co_u32 v44, vcc_lo, v6, s36
	v_add_co_ci_u32_e64 v45, null, s37, v7, vcc_lo
	v_add_co_u32 v46, vcc_lo, v6, s38
	v_add_co_ci_u32_e64 v47, null, s39, v7, vcc_lo
	;; [unrolled: 2-line block ×3, first 2 shown]
	s_clause 0x3
	global_load_ushort v50, v[6:7], off
	global_load_ushort v44, v[44:45], off
	;; [unrolled: 1-line block ×4, first 2 shown]
	s_cmp_eq_u32 s40, 1
	v_add_co_u32 v6, s8, v6, 2
	s_cselect_b32 vcc_lo, -1, 0
	s_cmp_eq_u32 s40, 2
	v_cndmask_b32_e32 v47, v1, v2, vcc_lo
	s_cselect_b32 vcc_lo, -1, 0
	s_cmp_eq_u32 s40, 3
	v_add_co_ci_u32_e64 v7, null, 0, v7, s8
	v_cndmask_b32_e32 v47, v47, v3, vcc_lo
	s_cselect_b32 vcc_lo, -1, 0
	s_add_u32 s40, s40, 1
	s_addc_u32 s41, s41, 0
	s_cmp_lg_u32 s23, s40
	v_cndmask_b32_e32 v47, v47, v4, vcc_lo
	s_waitcnt vmcnt(3)
	v_lshlrev_b32_e32 v48, 16, v50
	s_waitcnt vmcnt(2)
	v_lshlrev_b32_e32 v44, 16, v44
	;; [unrolled: 2-line block ×4, first 2 shown]
	v_fmac_f32_e32 v43, v47, v48
	v_fmac_f32_e32 v42, v47, v44
	;; [unrolled: 1-line block ×4, first 2 shown]
	s_cbranch_scc1 .LBB575_43
	s_branch .LBB575_54
.LBB575_44:                             ;   in Loop: Header=BB575_9 Depth=1
	ds_read_b32 v6, v39
	s_or_b32 exec_lo, exec_lo, s8
	s_and_saveexec_b32 s8, s0
	s_cbranch_execz .LBB575_17
.LBB575_45:                             ;   in Loop: Header=BB575_9 Depth=1
	s_waitcnt lgkmcnt(0)
	ds_bpermute_b32 v7, v36, v6
	s_waitcnt lgkmcnt(0)
	v_add_f32_e32 v6, v6, v7
	ds_bpermute_b32 v7, v37, v6
	s_waitcnt lgkmcnt(0)
	v_add_f32_e32 v6, v6, v7
	;; [unrolled: 3-line block ×3, first 2 shown]
	s_or_b32 exec_lo, exec_lo, s8
	s_and_saveexec_b32 s8, s0
	s_cbranch_execnz .LBB575_18
	s_branch .LBB575_19
.LBB575_46:                             ;   in Loop: Header=BB575_9 Depth=1
	ds_read_b32 v7, v39
	s_or_b32 exec_lo, exec_lo, s8
	s_and_saveexec_b32 s8, s0
	s_cbranch_execz .LBB575_23
.LBB575_47:                             ;   in Loop: Header=BB575_9 Depth=1
	s_waitcnt lgkmcnt(0)
	ds_bpermute_b32 v42, v36, v7
	s_waitcnt lgkmcnt(0)
	v_add_f32_e32 v7, v7, v42
	ds_bpermute_b32 v42, v37, v7
	s_waitcnt lgkmcnt(0)
	v_add_f32_e32 v7, v7, v42
	ds_bpermute_b32 v42, v38, v7
	s_waitcnt lgkmcnt(0)
	v_add_f32_e32 v7, v7, v42
	s_or_b32 exec_lo, exec_lo, s8
	s_and_saveexec_b32 s8, s0
	s_cbranch_execnz .LBB575_24
	s_branch .LBB575_25
.LBB575_48:                             ;   in Loop: Header=BB575_9 Depth=1
	ds_read_b32 v41, v39
	s_or_b32 exec_lo, exec_lo, s8
	s_and_saveexec_b32 s8, s0
	s_cbranch_execz .LBB575_29
.LBB575_49:                             ;   in Loop: Header=BB575_9 Depth=1
	s_waitcnt lgkmcnt(0)
	ds_bpermute_b32 v42, v36, v41
	s_waitcnt lgkmcnt(0)
	v_add_f32_e32 v41, v41, v42
	ds_bpermute_b32 v42, v37, v41
	s_waitcnt lgkmcnt(0)
	v_add_f32_e32 v41, v41, v42
	;; [unrolled: 3-line block ×3, first 2 shown]
	s_or_b32 exec_lo, exec_lo, s8
	s_and_saveexec_b32 s8, s0
	s_cbranch_execnz .LBB575_30
	s_branch .LBB575_31
.LBB575_50:                             ;   in Loop: Header=BB575_9 Depth=1
	ds_read_b32 v8, v39
	s_or_b32 exec_lo, exec_lo, s8
	s_and_saveexec_b32 s8, s0
	s_cbranch_execz .LBB575_35
.LBB575_51:                             ;   in Loop: Header=BB575_9 Depth=1
	s_waitcnt lgkmcnt(0)
	ds_bpermute_b32 v42, v36, v8
	s_waitcnt lgkmcnt(0)
	v_add_f32_e32 v8, v8, v42
	ds_bpermute_b32 v42, v37, v8
	s_waitcnt lgkmcnt(0)
	v_add_f32_e32 v8, v8, v42
	;; [unrolled: 3-line block ×3, first 2 shown]
	s_or_b32 exec_lo, exec_lo, s8
	s_and_saveexec_b32 s8, s5
	s_cbranch_execz .LBB575_8
.LBB575_52:                             ;   in Loop: Header=BB575_9 Depth=1
	s_mul_hi_u32 s41, s7, s22
	s_mul_i32 s40, s7, s22
	v_mul_f32_e32 v6, s33, v6
	s_lshl_b64 s[40:41], s[40:41], 2
	v_mul_f32_e32 v7, s33, v7
	s_add_u32 s40, s48, s40
	s_addc_u32 s41, s49, s41
	s_or_b32 s9, s7, 1
	global_store_dword v5, v6, s[40:41]
	s_mul_hi_u32 s53, s9, s22
	s_mul_i32 s52, s9, s22
	v_mul_f32_e32 v6, s33, v41
	s_lshl_b64 s[52:53], s[52:53], 2
	s_waitcnt lgkmcnt(0)
	v_mul_f32_e32 v8, s33, v8
	s_add_u32 s52, s48, s52
	s_addc_u32 s53, s49, s53
	s_or_b32 s9, s7, 2
	global_store_dword v5, v7, s[52:53]
	s_mul_hi_u32 s55, s9, s22
	s_mul_i32 s54, s9, s22
	s_lshl_b64 s[54:55], s[54:55], 2
	s_add_u32 s40, s48, s54
	s_addc_u32 s41, s49, s55
	s_or_b32 s9, s7, 3
	s_mul_hi_u32 s55, s9, s22
	s_mul_i32 s54, s9, s22
	s_lshl_b64 s[54:55], s[54:55], 2
	s_add_u32 s52, s48, s54
	s_addc_u32 s53, s49, s55
	global_store_dword v5, v6, s[40:41]
	global_store_dword v5, v8, s[52:53]
	s_branch .LBB575_8
.LBB575_53:                             ;   in Loop: Header=BB575_9 Depth=1
	v_mov_b32_e32 v8, 0
	v_mov_b32_e32 v41, 0
	;; [unrolled: 1-line block ×4, first 2 shown]
.LBB575_54:                             ;   in Loop: Header=BB575_9 Depth=1
	s_inst_prefetch 0x2
	s_or_b32 exec_lo, exec_lo, s53
	s_or_b32 exec_lo, exec_lo, s52
	s_and_saveexec_b32 s8, s0
	s_cbranch_execnz .LBB575_12
	s_branch .LBB575_13
.LBB575_55:
	v_mov_b32_e32 v1, 0
	s_mov_b32 s7, 0
	v_mov_b32_e32 v2, v1
	v_mov_b32_e32 v3, v1
	;; [unrolled: 1-line block ×3, first 2 shown]
.LBB575_56:
	s_cmp_ge_i32 s7, s21
	s_cbranch_scc1 .LBB575_80
; %bb.57:
	v_cmp_gt_u32_e32 vcc_lo, 24, v29
	v_lshl_or_b32 v22, v29, 2, 64
	v_mad_i64_i32 v[15:16], null, s24, v27, 0
	s_cmp_gt_i32 s23, 0
	v_cndmask_b32_e64 v5, 0, 8, vcc_lo
	v_cmp_gt_u32_e32 vcc_lo, 28, v29
	s_mov_b32 s9, 0
	s_mov_b32 s8, s6
	v_cmp_ge_i32_e64 s0, s20, v32
	v_add_lshl_u32 v23, v5, v29, 2
	v_cndmask_b32_e64 v6, 0, 4, vcc_lo
	v_cmp_gt_u32_e32 vcc_lo, 30, v29
	v_cmp_ge_i32_e64 s1, s20, v33
	s_cselect_b32 s20, -1, 0
	s_lshl_b64 s[30:31], s[8:9], 2
	v_add_lshl_u32 v24, v6, v29, 2
	v_cndmask_b32_e64 v7, 0, 2, vcc_lo
	v_cmp_ne_u32_e32 vcc_lo, 31, v29
	v_mad_i64_i32 v[5:6], null, s24, v13, 0
	v_mad_i64_i32 v[13:14], null, s24, v28, 0
	s_waitcnt lgkmcnt(0)
	v_add_co_ci_u32_e64 v8, null, 0, v29, vcc_lo
	v_add_lshl_u32 v25, v7, v29, 2
	s_add_u32 s30, s42, s30
	v_lshlrev_b64 v[17:18], 1, v[5:6]
	v_lshlrev_b32_e32 v29, 2, v8
	v_mad_i64_i32 v[7:8], null, s24, v30, 0
	v_lshlrev_b64 v[13:14], 1, v[13:14]
	v_lshlrev_b64 v[15:16], 1, v[15:16]
	v_add_co_u32 v5, vcc_lo, s44, v17
	s_addc_u32 s31, s43, s31
	v_add_co_ci_u32_e64 v6, null, s45, v18, vcc_lo
	v_lshlrev_b64 v[7:8], 1, v[7:8]
	s_add_u32 s6, s10, s28
	s_addc_u32 s8, s11, s29
	s_mul_i32 s10, s19, s7
	s_mul_hi_u32 s11, s18, s7
	s_add_u32 s6, s6, s16
	v_add_co_u32 v7, vcc_lo, s44, v7
	v_add_co_ci_u32_e64 v8, null, s45, v8, vcc_lo
	v_add_co_u32 v13, vcc_lo, s44, v13
	s_addc_u32 s8, s8, s17
	s_add_i32 s11, s11, s10
	s_mul_i32 s10, s18, s7
	v_add_co_ci_u32_e64 v14, null, s45, v14, vcc_lo
	v_add_co_u32 v15, vcc_lo, s44, v15
	s_lshl_b64 s[16:17], s[10:11], 1
	v_add_co_ci_u32_e64 v16, null, s45, v16, vcc_lo
	v_add_co_u32 v17, vcc_lo, s6, v17
	s_lshl_b64 s[10:11], s[24:25], 1
	s_add_u32 s6, s26, s16
	v_add_co_ci_u32_e64 v18, null, s8, v18, vcc_lo
	s_addc_u32 s8, s27, s17
	s_add_u32 s6, s6, s14
	s_addc_u32 s8, s8, s15
	s_add_u32 s6, s12, s6
	s_addc_u32 s8, s13, s8
	v_add_co_u32 v11, vcc_lo, s6, v11
	v_cmp_gt_u32_e64 s2, 32, v0
	v_lshlrev_b32_e32 v21, 2, v26
	v_cmp_eq_u32_e64 s3, 0, v26
	v_and_b32_e32 v26, 28, v31
	v_cmp_gt_u32_e64 s4, 8, v0
	v_cmp_eq_u32_e64 s5, 0, v0
	v_add_co_ci_u32_e64 v12, null, s8, v12, vcc_lo
	v_mov_b32_e32 v0, 0
	s_lshl_b64 s[12:13], s[18:19], 1
	s_branch .LBB575_59
.LBB575_58:                             ;   in Loop: Header=BB575_59 Depth=1
	s_or_b32 exec_lo, exec_lo, s6
	v_add_co_u32 v11, vcc_lo, v11, s12
	v_add_co_ci_u32_e64 v12, null, s13, v12, vcc_lo
	s_add_i32 s7, s7, 1
	s_cmp_ge_i32 s7, s21
	s_cbranch_scc1 .LBB575_80
.LBB575_59:                             ; =>This Loop Header: Depth=1
                                        ;     Child Loop BB575_72 Depth 2
                                        ;     Child Loop BB575_75 Depth 2
	v_mov_b32_e32 v27, s9
	s_and_saveexec_b32 s6, s0
	s_xor_b32 s6, exec_lo, s6
	s_cbranch_execnz .LBB575_68
; %bb.60:                               ;   in Loop: Header=BB575_59 Depth=1
	s_andn2_saveexec_b32 s16, s6
	s_cbranch_execnz .LBB575_69
.LBB575_61:                             ;   in Loop: Header=BB575_59 Depth=1
	s_or_b32 exec_lo, exec_lo, s16
	s_and_saveexec_b32 s6, s2
.LBB575_62:                             ;   in Loop: Header=BB575_59 Depth=1
	ds_write_b32 v21, v0
.LBB575_63:                             ;   in Loop: Header=BB575_59 Depth=1
	s_or_b32 exec_lo, exec_lo, s6
	s_waitcnt lgkmcnt(0)
	ds_bpermute_b32 v19, v22, v27
	s_waitcnt lgkmcnt(0)
	s_waitcnt_vscnt null, 0x0
	s_barrier
	buffer_gl0_inv
	v_add_f32_e32 v19, v27, v19
	ds_bpermute_b32 v20, v23, v19
	s_waitcnt lgkmcnt(0)
	v_add_f32_e32 v19, v19, v20
	ds_bpermute_b32 v20, v24, v19
	s_waitcnt lgkmcnt(0)
	;; [unrolled: 3-line block ×3, first 2 shown]
	v_add_f32_e32 v19, v19, v20
	ds_bpermute_b32 v20, v29, v19
	s_and_saveexec_b32 s6, s3
	s_cbranch_execz .LBB575_65
; %bb.64:                               ;   in Loop: Header=BB575_59 Depth=1
	s_waitcnt lgkmcnt(0)
	v_add_f32_e32 v19, v19, v20
	ds_write_b32 v26, v19
.LBB575_65:                             ;   in Loop: Header=BB575_59 Depth=1
	s_or_b32 exec_lo, exec_lo, s6
	v_mov_b32_e32 v19, 0
	s_waitcnt lgkmcnt(0)
	s_barrier
	buffer_gl0_inv
	s_and_saveexec_b32 s6, s4
	s_cbranch_execnz .LBB575_77
; %bb.66:                               ;   in Loop: Header=BB575_59 Depth=1
	s_or_b32 exec_lo, exec_lo, s6
	s_and_saveexec_b32 s6, s2
	s_cbranch_execnz .LBB575_78
.LBB575_67:                             ;   in Loop: Header=BB575_59 Depth=1
	s_or_b32 exec_lo, exec_lo, s6
	s_and_saveexec_b32 s6, s5
	s_cbranch_execz .LBB575_58
	s_branch .LBB575_79
.LBB575_68:                             ;   in Loop: Header=BB575_59 Depth=1
	s_mul_i32 s8, s7, s19
	s_mul_hi_u32 s15, s7, s18
	s_mul_i32 s14, s7, s18
	s_add_i32 s15, s15, s8
	s_lshl_b64 s[14:15], s[14:15], 1
	v_add_co_u32 v1, vcc_lo, v9, s14
	v_add_co_ci_u32_e64 v2, null, s15, v10, vcc_lo
	global_load_ushort v3, v[5:6], off
	s_waitcnt lgkmcnt(0)
	global_load_dwordx2 v[19:20], v[1:2], off
	s_clause 0x2
	global_load_ushort v2, v[7:8], off
	global_load_ushort v4, v[13:14], off
	;; [unrolled: 1-line block ×3, first 2 shown]
	s_waitcnt vmcnt(4)
	v_lshlrev_b32_e32 v1, 16, v3
	s_waitcnt vmcnt(3)
	v_lshlrev_b32_e32 v3, 16, v19
	;; [unrolled: 2-line block ×3, first 2 shown]
	v_and_b32_e32 v19, 0xffff0000, v19
	v_fma_f32 v27, v1, v3, 0
	s_waitcnt vmcnt(1)
	v_lshlrev_b32_e32 v3, 16, v4
	s_waitcnt vmcnt(0)
	v_lshlrev_b32_e32 v4, 16, v28
	v_fmac_f32_e32 v27, v2, v19
	v_lshlrev_b32_e32 v19, 16, v20
	v_and_b32_e32 v20, 0xffff0000, v20
	v_fmac_f32_e32 v27, v3, v19
	v_fmac_f32_e32 v27, v4, v20
	s_andn2_saveexec_b32 s16, s6
	s_cbranch_execz .LBB575_61
.LBB575_69:                             ;   in Loop: Header=BB575_59 Depth=1
	s_and_saveexec_b32 s17, s1
	s_cbranch_execz .LBB575_76
; %bb.70:                               ;   in Loop: Header=BB575_59 Depth=1
	s_andn2_b32 vcc_lo, exec_lo, s20
	s_cbranch_vccnz .LBB575_73
; %bb.71:                               ;   in Loop: Header=BB575_59 Depth=1
	s_waitcnt lgkmcnt(0)
	v_mov_b32_e32 v20, v18
	v_mov_b32_e32 v19, v17
	s_mov_b64 s[14:15], 0
	.p2align	6
.LBB575_72:                             ;   Parent Loop BB575_59 Depth=1
                                        ; =>  This Inner Loop Header: Depth=2
	global_load_ushort v28, v[19:20], off
	s_cmp_eq_u32 s14, 3
	v_add_co_u32 v19, vcc_lo, v19, s10
	v_add_co_ci_u32_e64 v20, null, s11, v20, vcc_lo
	s_cselect_b32 vcc_lo, -1, 0
	s_cmp_eq_u32 s14, 2
	s_cselect_b32 s6, -1, 0
	s_cmp_eq_u32 s14, 1
	s_cselect_b32 s8, -1, 0
	s_cmp_eq_u32 s14, 0
	s_waitcnt vmcnt(0)
	v_lshlrev_b32_e32 v28, 16, v28
	v_cndmask_b32_e32 v4, v4, v28, vcc_lo
	s_cselect_b32 vcc_lo, -1, 0
	v_cndmask_b32_e64 v3, v3, v28, s6
	v_cndmask_b32_e64 v2, v2, v28, s8
	v_cndmask_b32_e32 v1, v1, v28, vcc_lo
	s_add_u32 s14, s14, 1
	s_addc_u32 s15, s15, 0
	s_cmp_eq_u32 s23, s14
	s_cbranch_scc0 .LBB575_72
.LBB575_73:                             ;   in Loop: Header=BB575_59 Depth=1
	s_andn2_b32 vcc_lo, exec_lo, s20
	s_cbranch_vccnz .LBB575_76
; %bb.74:                               ;   in Loop: Header=BB575_59 Depth=1
	s_waitcnt lgkmcnt(0)
	v_mov_b32_e32 v20, v12
	v_mov_b32_e32 v19, v11
	s_mov_b64 s[14:15], 0
	.p2align	6
.LBB575_75:                             ;   Parent Loop BB575_59 Depth=1
                                        ; =>  This Inner Loop Header: Depth=2
	global_load_ushort v28, v[19:20], off
	s_cmp_eq_u32 s14, 1
	s_cselect_b32 vcc_lo, -1, 0
	s_cmp_eq_u32 s14, 2
	v_cndmask_b32_e32 v30, v1, v2, vcc_lo
	s_cselect_b32 vcc_lo, -1, 0
	s_cmp_eq_u32 s14, 3
	v_cndmask_b32_e32 v30, v30, v3, vcc_lo
	s_cselect_b32 vcc_lo, -1, 0
	s_add_u32 s14, s14, 1
	s_addc_u32 s15, s15, 0
	s_cmp_lg_u32 s23, s14
	v_cndmask_b32_e32 v30, v30, v4, vcc_lo
	v_add_co_u32 v19, vcc_lo, v19, 2
	v_add_co_ci_u32_e64 v20, null, 0, v20, vcc_lo
	s_waitcnt vmcnt(0)
	v_lshlrev_b32_e32 v28, 16, v28
	v_fmac_f32_e32 v27, v30, v28
	s_cbranch_scc1 .LBB575_75
.LBB575_76:                             ;   in Loop: Header=BB575_59 Depth=1
	s_or_b32 exec_lo, exec_lo, s17
	s_or_b32 exec_lo, exec_lo, s16
	s_and_saveexec_b32 s6, s2
	s_cbranch_execnz .LBB575_62
	s_branch .LBB575_63
.LBB575_77:                             ;   in Loop: Header=BB575_59 Depth=1
	ds_read_b32 v19, v21
	s_or_b32 exec_lo, exec_lo, s6
	s_and_saveexec_b32 s6, s2
	s_cbranch_execz .LBB575_67
.LBB575_78:                             ;   in Loop: Header=BB575_59 Depth=1
	s_waitcnt lgkmcnt(0)
	ds_bpermute_b32 v20, v24, v19
	s_waitcnt lgkmcnt(0)
	v_add_f32_e32 v19, v19, v20
	ds_bpermute_b32 v20, v25, v19
	s_waitcnt lgkmcnt(0)
	v_add_f32_e32 v19, v19, v20
	;; [unrolled: 3-line block ×3, first 2 shown]
	s_or_b32 exec_lo, exec_lo, s6
	s_and_saveexec_b32 s6, s5
	s_cbranch_execz .LBB575_58
.LBB575_79:                             ;   in Loop: Header=BB575_59 Depth=1
	s_mul_hi_u32 s15, s7, s22
	s_mul_i32 s14, s7, s22
	s_waitcnt lgkmcnt(0)
	v_mul_f32_e32 v19, s33, v19
	s_lshl_b64 s[14:15], s[14:15], 2
	s_add_u32 s14, s30, s14
	s_addc_u32 s15, s31, s15
	global_store_dword v0, v19, s[14:15]
	s_branch .LBB575_58
.LBB575_80:
	s_endpgm
	.section	.rodata,"a",@progbits
	.p2align	6, 0x0
	.amdhsa_kernel _ZL23rocblas_gemvt_sn_kernelILb1ELi256ELi4El16rocblas_bfloat16PKffEviiT4_lPKT3_lilS6_lilPT5_i
		.amdhsa_group_segment_fixed_size 128
		.amdhsa_private_segment_fixed_size 0
		.amdhsa_kernarg_size 360
		.amdhsa_user_sgpr_count 6
		.amdhsa_user_sgpr_private_segment_buffer 1
		.amdhsa_user_sgpr_dispatch_ptr 0
		.amdhsa_user_sgpr_queue_ptr 0
		.amdhsa_user_sgpr_kernarg_segment_ptr 1
		.amdhsa_user_sgpr_dispatch_id 0
		.amdhsa_user_sgpr_flat_scratch_init 0
		.amdhsa_user_sgpr_private_segment_size 0
		.amdhsa_wavefront_size32 1
		.amdhsa_uses_dynamic_stack 0
		.amdhsa_system_sgpr_private_segment_wavefront_offset 0
		.amdhsa_system_sgpr_workgroup_id_x 1
		.amdhsa_system_sgpr_workgroup_id_y 0
		.amdhsa_system_sgpr_workgroup_id_z 1
		.amdhsa_system_sgpr_workgroup_info 0
		.amdhsa_system_vgpr_workitem_id 0
		.amdhsa_next_free_vgpr 55
		.amdhsa_next_free_sgpr 56
		.amdhsa_reserve_vcc 1
		.amdhsa_reserve_flat_scratch 0
		.amdhsa_float_round_mode_32 0
		.amdhsa_float_round_mode_16_64 0
		.amdhsa_float_denorm_mode_32 3
		.amdhsa_float_denorm_mode_16_64 3
		.amdhsa_dx10_clamp 1
		.amdhsa_ieee_mode 1
		.amdhsa_fp16_overflow 0
		.amdhsa_workgroup_processor_mode 1
		.amdhsa_memory_ordered 1
		.amdhsa_forward_progress 1
		.amdhsa_shared_vgpr_count 0
		.amdhsa_exception_fp_ieee_invalid_op 0
		.amdhsa_exception_fp_denorm_src 0
		.amdhsa_exception_fp_ieee_div_zero 0
		.amdhsa_exception_fp_ieee_overflow 0
		.amdhsa_exception_fp_ieee_underflow 0
		.amdhsa_exception_fp_ieee_inexact 0
		.amdhsa_exception_int_div_zero 0
	.end_amdhsa_kernel
	.section	.text._ZL23rocblas_gemvt_sn_kernelILb1ELi256ELi4El16rocblas_bfloat16PKffEviiT4_lPKT3_lilS6_lilPT5_i,"axG",@progbits,_ZL23rocblas_gemvt_sn_kernelILb1ELi256ELi4El16rocblas_bfloat16PKffEviiT4_lPKT3_lilS6_lilPT5_i,comdat
.Lfunc_end575:
	.size	_ZL23rocblas_gemvt_sn_kernelILb1ELi256ELi4El16rocblas_bfloat16PKffEviiT4_lPKT3_lilS6_lilPT5_i, .Lfunc_end575-_ZL23rocblas_gemvt_sn_kernelILb1ELi256ELi4El16rocblas_bfloat16PKffEviiT4_lPKT3_lilS6_lilPT5_i
                                        ; -- End function
	.set _ZL23rocblas_gemvt_sn_kernelILb1ELi256ELi4El16rocblas_bfloat16PKffEviiT4_lPKT3_lilS6_lilPT5_i.num_vgpr, 55
	.set _ZL23rocblas_gemvt_sn_kernelILb1ELi256ELi4El16rocblas_bfloat16PKffEviiT4_lPKT3_lilS6_lilPT5_i.num_agpr, 0
	.set _ZL23rocblas_gemvt_sn_kernelILb1ELi256ELi4El16rocblas_bfloat16PKffEviiT4_lPKT3_lilS6_lilPT5_i.numbered_sgpr, 56
	.set _ZL23rocblas_gemvt_sn_kernelILb1ELi256ELi4El16rocblas_bfloat16PKffEviiT4_lPKT3_lilS6_lilPT5_i.num_named_barrier, 0
	.set _ZL23rocblas_gemvt_sn_kernelILb1ELi256ELi4El16rocblas_bfloat16PKffEviiT4_lPKT3_lilS6_lilPT5_i.private_seg_size, 0
	.set _ZL23rocblas_gemvt_sn_kernelILb1ELi256ELi4El16rocblas_bfloat16PKffEviiT4_lPKT3_lilS6_lilPT5_i.uses_vcc, 1
	.set _ZL23rocblas_gemvt_sn_kernelILb1ELi256ELi4El16rocblas_bfloat16PKffEviiT4_lPKT3_lilS6_lilPT5_i.uses_flat_scratch, 0
	.set _ZL23rocblas_gemvt_sn_kernelILb1ELi256ELi4El16rocblas_bfloat16PKffEviiT4_lPKT3_lilS6_lilPT5_i.has_dyn_sized_stack, 0
	.set _ZL23rocblas_gemvt_sn_kernelILb1ELi256ELi4El16rocblas_bfloat16PKffEviiT4_lPKT3_lilS6_lilPT5_i.has_recursion, 0
	.set _ZL23rocblas_gemvt_sn_kernelILb1ELi256ELi4El16rocblas_bfloat16PKffEviiT4_lPKT3_lilS6_lilPT5_i.has_indirect_call, 0
	.section	.AMDGPU.csdata,"",@progbits
; Kernel info:
; codeLenInByte = 4396
; TotalNumSgprs: 58
; NumVgprs: 55
; ScratchSize: 0
; MemoryBound: 0
; FloatMode: 240
; IeeeMode: 1
; LDSByteSize: 128 bytes/workgroup (compile time only)
; SGPRBlocks: 0
; VGPRBlocks: 6
; NumSGPRsForWavesPerEU: 58
; NumVGPRsForWavesPerEU: 55
; Occupancy: 16
; WaveLimiterHint : 1
; COMPUTE_PGM_RSRC2:SCRATCH_EN: 0
; COMPUTE_PGM_RSRC2:USER_SGPR: 6
; COMPUTE_PGM_RSRC2:TRAP_HANDLER: 0
; COMPUTE_PGM_RSRC2:TGID_X_EN: 1
; COMPUTE_PGM_RSRC2:TGID_Y_EN: 0
; COMPUTE_PGM_RSRC2:TGID_Z_EN: 1
; COMPUTE_PGM_RSRC2:TIDIG_COMP_CNT: 0
	.section	.text._ZL23rocblas_gemvt_sn_kernelILb1ELi256ELi4Ei16rocblas_bfloat16ffEviiT4_lPKT3_lilS4_lilPT5_i,"axG",@progbits,_ZL23rocblas_gemvt_sn_kernelILb1ELi256ELi4Ei16rocblas_bfloat16ffEviiT4_lPKT3_lilS4_lilPT5_i,comdat
	.globl	_ZL23rocblas_gemvt_sn_kernelILb1ELi256ELi4Ei16rocblas_bfloat16ffEviiT4_lPKT3_lilS4_lilPT5_i ; -- Begin function _ZL23rocblas_gemvt_sn_kernelILb1ELi256ELi4Ei16rocblas_bfloat16ffEviiT4_lPKT3_lilS4_lilPT5_i
	.p2align	8
	.type	_ZL23rocblas_gemvt_sn_kernelILb1ELi256ELi4Ei16rocblas_bfloat16ffEviiT4_lPKT3_lilS4_lilPT5_i,@function
_ZL23rocblas_gemvt_sn_kernelILb1ELi256ELi4Ei16rocblas_bfloat16ffEviiT4_lPKT3_lilS4_lilPT5_i: ; @_ZL23rocblas_gemvt_sn_kernelILb1ELi256ELi4Ei16rocblas_bfloat16ffEviiT4_lPKT3_lilS4_lilPT5_i
; %bb.0:
	s_clause 0x2
	s_load_dwordx4 s[12:15], s[4:5], 0x0
	s_load_dword s20, s[4:5], 0x68
	s_load_dwordx4 s[8:11], s[4:5], 0x50
	s_mov_b32 s21, 0
	s_waitcnt lgkmcnt(0)
	s_ashr_i32 s24, s13, 31
	s_mul_hi_u32 s0, s13, s7
	s_mul_i32 s1, s24, s7
	s_mul_i32 s2, s13, s7
	s_add_i32 s0, s0, s1
	s_mul_hi_u32 s1, s2, s20
	s_mul_i32 s3, s0, s20
	s_mul_i32 s0, s2, s20
	s_add_i32 s1, s1, s3
	v_cmp_neq_f32_e64 s2, s14, 0
	s_lshl_b64 s[0:1], s[0:1], 2
	s_add_u32 s36, s10, s0
	v_cmp_eq_u32_e64 s0, 0, v0
	s_addc_u32 s35, s11, s1
	s_and_b32 vcc_lo, exec_lo, s2
	s_cbranch_vccnz .LBB576_5
; %bb.1:
	s_cmp_gt_i32 s13, 0
	s_cselect_b32 s1, -1, 0
	s_and_b32 s0, s0, s1
	s_and_saveexec_b32 s10, s0
	s_cbranch_execz .LBB576_4
; %bb.2:
	s_mov_b32 s0, s7
	s_mov_b32 s7, 0
	v_mov_b32_e32 v1, 0
	s_lshl_b64 s[2:3], s[6:7], 2
	s_mov_b32 s7, s0
	s_add_u32 s0, s36, s2
	s_addc_u32 s1, s35, s3
	s_lshl_b64 s[2:3], s[20:21], 2
	s_mov_b32 s11, s13
.LBB576_3:                              ; =>This Inner Loop Header: Depth=1
	s_add_i32 s11, s11, -1
	global_store_dword v1, v1, s[0:1]
	s_add_u32 s0, s0, s2
	s_addc_u32 s1, s1, s3
	s_cmp_eq_u32 s11, 0
	s_cbranch_scc0 .LBB576_3
.LBB576_4:
	s_or_b32 exec_lo, exec_lo, s10
	s_cbranch_execz .LBB576_6
	s_branch .LBB576_80
.LBB576_5:
.LBB576_6:
	s_clause 0x2
	s_load_dwordx4 s[0:3], s[4:5], 0x30
	s_load_dwordx2 s[22:23], s[4:5], 0x40
	s_load_dwordx4 s[16:19], s[4:5], 0x18
	s_mul_i32 s9, s9, s7
	s_mul_hi_u32 s10, s8, s7
	s_mul_i32 s8, s8, s7
	s_add_i32 s9, s10, s9
	s_clause 0x1
	s_load_dword s10, s[4:5], 0x28
	s_load_dword s33, s[4:5], 0x48
	s_lshl_b64 s[8:9], s[8:9], 1
	v_and_b32_e32 v10, 31, v0
	v_mbcnt_lo_u32_b32 v24, -1, 0
	v_lshrrev_b32_e32 v25, 3, v0
	s_waitcnt lgkmcnt(0)
	s_add_u32 s8, s2, s8
	s_addc_u32 s9, s3, s9
	s_lshl_b64 s[2:3], s[22:23], 1
	s_mul_i32 s1, s1, s7
	s_mul_hi_u32 s11, s0, s7
	s_add_u32 s15, s8, s2
	s_mul_i32 s0, s0, s7
	s_addc_u32 s21, s9, s3
	s_add_i32 s1, s11, s1
	s_lshl_b64 s[22:23], s[0:1], 1
	v_cmp_gt_u32_e64 s0, 32, v0
	s_add_u32 s1, s16, s22
	s_addc_u32 s2, s17, s23
	s_lshl_b64 s[18:19], s[18:19], 1
	s_add_u32 s3, s1, s18
	s_addc_u32 s2, s2, s19
	s_lshl_b32 s1, s6, 10
	s_ashr_i32 s4, s12, 31
	v_lshl_or_b32 v1, v0, 2, s1
	s_lshr_b32 s4, s4, 30
	s_lshr_b32 s5, s24, 30
	s_add_i32 s4, s12, s4
	s_add_i32 s5, s13, s5
	v_ashrrev_i32_e32 v2, 31, v1
	s_and_b32 s4, s4, -4
	v_mul_lo_u32 v9, s33, v1
	s_sub_i32 s34, s12, s4
	v_cmp_gt_u32_e64 s1, 8, v0
	v_lshlrev_b64 v[11:12], 1, v[1:2]
	v_add_nc_u32_e32 v26, 4, v1
	v_add_nc_u32_e32 v27, s34, v1
	s_and_b32 s37, s5, -4
	s_cmp_lt_i32 s37, 1
	v_add_co_u32 v22, vcc_lo, s3, v11
	v_add_co_ci_u32_e64 v23, null, s2, v12, vcc_lo
	s_cbranch_scc1 .LBB576_55
; %bb.7:
	v_cmp_gt_u32_e32 vcc_lo, 24, v24
	v_mul_lo_u32 v13, s33, v1
	s_cmp_gt_i32 s34, 0
	s_mov_b32 s9, 0
	s_cselect_b32 s38, -1, 0
	v_cndmask_b32_e64 v2, 0, 8, vcc_lo
	v_cmp_gt_u32_e32 vcc_lo, 28, v24
	s_lshl_b32 s39, s10, 2
	s_lshl_b32 s8, s10, 1
	v_ashrrev_i32_e32 v14, 31, v13
	v_add_lshl_u32 v29, v2, v24, 2
	v_cndmask_b32_e64 v3, 0, 4, vcc_lo
	v_cmp_gt_u32_e32 vcc_lo, 30, v24
	s_add_u32 s7, s22, s18
	v_lshlrev_b64 v[5:6], 1, v[13:14]
	s_addc_u32 s24, s23, s19
	v_add_lshl_u32 v30, v3, v24, 2
	v_cndmask_b32_e64 v1, 0, 2, vcc_lo
	v_cmp_ne_u32_e32 vcc_lo, 31, v24
	s_add_u32 s7, s16, s7
	s_addc_u32 s24, s17, s24
	v_cmp_ge_i32_e64 s2, s12, v26
	v_add_lshl_u32 v31, v1, v24, 2
	v_add_nc_u32_e32 v1, s33, v13
	v_add_co_ci_u32_e64 v4, null, 0, v24, vcc_lo
	v_add_co_u32 v14, vcc_lo, s15, v5
	v_add_nc_u32_e32 v3, s33, v1
	v_ashrrev_i32_e32 v2, 31, v1
	v_lshlrev_b32_e32 v32, 2, v4
	v_add_co_ci_u32_e64 v15, null, s21, v6, vcc_lo
	v_add_nc_u32_e32 v7, s33, v3
	v_lshlrev_b64 v[1:2], 1, v[1:2]
	v_ashrrev_i32_e32 v4, 31, v3
	v_mov_b32_e32 v5, 0
	v_cmp_ge_i32_e64 s3, s12, v27
	v_ashrrev_i32_e32 v8, 31, v7
	v_lshl_or_b32 v28, v24, 2, 64
	v_lshlrev_b64 v[3:4], 1, v[3:4]
	v_add_co_u32 v16, vcc_lo, s15, v1
	v_add_co_ci_u32_e64 v17, null, s21, v2, vcc_lo
	v_lshlrev_b64 v[1:2], 1, v[7:8]
	v_add_co_u32 v18, vcc_lo, s15, v3
	v_mov_b32_e32 v6, v5
	v_mov_b32_e32 v7, v5
	v_mov_b32_e32 v8, v5
	v_add_co_ci_u32_e64 v19, null, s21, v4, vcc_lo
	v_add_co_u32 v20, vcc_lo, s15, v1
	v_add_co_ci_u32_e64 v21, null, s21, v2, vcc_lo
	v_add_co_u32 v35, vcc_lo, s7, v11
	v_mov_b32_e32 v1, v5
	v_cmp_eq_u32_e64 s4, 0, v10
	v_lshlrev_b32_e32 v33, 2, v10
	v_and_b32_e32 v34, 28, v25
	v_cmp_eq_u32_e64 s5, 0, v0
	v_add_co_ci_u32_e64 v36, null, s24, v12, vcc_lo
	v_mov_b32_e32 v2, v6
	v_mov_b32_e32 v3, v7
	;; [unrolled: 1-line block ×3, first 2 shown]
	s_mov_b32 s11, s9
	s_mul_i32 s40, s10, 3
	s_mov_b32 s41, s9
	s_mov_b32 s24, s9
	s_mov_b64 s[26:27], s[8:9]
	s_mov_b64 s[28:29], s[10:11]
	s_mov_b32 s11, 0
	s_branch .LBB576_9
.LBB576_8:                              ;   in Loop: Header=BB576_9 Depth=1
	s_or_b32 exec_lo, exec_lo, s7
	s_add_i32 s11, s11, 4
	s_add_u32 s28, s28, s39
	s_addc_u32 s29, s29, 0
	s_add_u32 s26, s26, s39
	s_addc_u32 s27, s27, 0
	s_add_u32 s40, s40, s39
	s_addc_u32 s41, s41, 0
	s_add_i32 s24, s24, s39
	s_cmp_ge_i32 s11, s37
	s_cbranch_scc1 .LBB576_56
.LBB576_9:                              ; =>This Loop Header: Depth=1
                                        ;     Child Loop BB576_40 Depth 2
                                        ;     Child Loop BB576_43 Depth 2
                                        ; implicit-def: $vgpr8
                                        ; implicit-def: $vgpr37
                                        ; implicit-def: $vgpr38
                                        ; implicit-def: $vgpr39
	s_and_saveexec_b32 s7, s2
	s_xor_b32 s7, exec_lo, s7
	s_cbranch_execnz .LBB576_36
; %bb.10:                               ;   in Loop: Header=BB576_9 Depth=1
	s_andn2_saveexec_b32 s42, s7
	s_cbranch_execnz .LBB576_37
.LBB576_11:                             ;   in Loop: Header=BB576_9 Depth=1
	s_or_b32 exec_lo, exec_lo, s42
	s_and_saveexec_b32 s7, s0
.LBB576_12:                             ;   in Loop: Header=BB576_9 Depth=1
	ds_write_b32 v33, v5
.LBB576_13:                             ;   in Loop: Header=BB576_9 Depth=1
	s_or_b32 exec_lo, exec_lo, s7
	ds_bpermute_b32 v6, v28, v39
	s_waitcnt lgkmcnt(0)
	s_waitcnt_vscnt null, 0x0
	s_barrier
	buffer_gl0_inv
	v_add_f32_e32 v6, v39, v6
	ds_bpermute_b32 v7, v29, v6
	s_waitcnt lgkmcnt(0)
	v_add_f32_e32 v6, v6, v7
	ds_bpermute_b32 v7, v30, v6
	s_waitcnt lgkmcnt(0)
	;; [unrolled: 3-line block ×3, first 2 shown]
	v_add_f32_e32 v6, v6, v7
	ds_bpermute_b32 v7, v32, v6
	s_and_saveexec_b32 s7, s4
	s_cbranch_execz .LBB576_15
; %bb.14:                               ;   in Loop: Header=BB576_9 Depth=1
	s_waitcnt lgkmcnt(0)
	v_add_f32_e32 v6, v6, v7
	ds_write_b32 v34, v6
.LBB576_15:                             ;   in Loop: Header=BB576_9 Depth=1
	s_or_b32 exec_lo, exec_lo, s7
	v_mov_b32_e32 v6, 0
	s_waitcnt lgkmcnt(0)
	s_barrier
	buffer_gl0_inv
	s_and_saveexec_b32 s7, s1
	s_cbranch_execnz .LBB576_44
; %bb.16:                               ;   in Loop: Header=BB576_9 Depth=1
	s_or_b32 exec_lo, exec_lo, s7
	s_and_saveexec_b32 s7, s0
	s_cbranch_execnz .LBB576_45
.LBB576_17:                             ;   in Loop: Header=BB576_9 Depth=1
	s_or_b32 exec_lo, exec_lo, s7
	s_and_saveexec_b32 s7, s0
.LBB576_18:                             ;   in Loop: Header=BB576_9 Depth=1
	ds_write_b32 v33, v5
.LBB576_19:                             ;   in Loop: Header=BB576_9 Depth=1
	s_or_b32 exec_lo, exec_lo, s7
	ds_bpermute_b32 v7, v28, v38
	s_waitcnt lgkmcnt(0)
	s_barrier
	buffer_gl0_inv
	v_add_f32_e32 v7, v38, v7
	ds_bpermute_b32 v38, v29, v7
	s_waitcnt lgkmcnt(0)
	v_add_f32_e32 v7, v7, v38
	ds_bpermute_b32 v38, v30, v7
	s_waitcnt lgkmcnt(0)
	;; [unrolled: 3-line block ×3, first 2 shown]
	v_add_f32_e32 v7, v7, v38
	ds_bpermute_b32 v38, v32, v7
	s_and_saveexec_b32 s7, s4
	s_cbranch_execz .LBB576_21
; %bb.20:                               ;   in Loop: Header=BB576_9 Depth=1
	s_waitcnt lgkmcnt(0)
	v_add_f32_e32 v7, v7, v38
	ds_write_b32 v34, v7
.LBB576_21:                             ;   in Loop: Header=BB576_9 Depth=1
	s_or_b32 exec_lo, exec_lo, s7
	v_mov_b32_e32 v7, 0
	s_waitcnt lgkmcnt(0)
	s_barrier
	buffer_gl0_inv
	s_and_saveexec_b32 s7, s1
	s_cbranch_execnz .LBB576_46
; %bb.22:                               ;   in Loop: Header=BB576_9 Depth=1
	s_or_b32 exec_lo, exec_lo, s7
	s_and_saveexec_b32 s7, s0
	s_cbranch_execnz .LBB576_47
.LBB576_23:                             ;   in Loop: Header=BB576_9 Depth=1
	s_or_b32 exec_lo, exec_lo, s7
	s_and_saveexec_b32 s7, s0
.LBB576_24:                             ;   in Loop: Header=BB576_9 Depth=1
	ds_write_b32 v33, v5
.LBB576_25:                             ;   in Loop: Header=BB576_9 Depth=1
	s_or_b32 exec_lo, exec_lo, s7
	ds_bpermute_b32 v38, v28, v37
	s_waitcnt lgkmcnt(0)
	s_barrier
	buffer_gl0_inv
	v_add_f32_e32 v37, v37, v38
	ds_bpermute_b32 v38, v29, v37
	s_waitcnt lgkmcnt(0)
	v_add_f32_e32 v37, v37, v38
	ds_bpermute_b32 v38, v30, v37
	s_waitcnt lgkmcnt(0)
	;; [unrolled: 3-line block ×3, first 2 shown]
	v_add_f32_e32 v37, v37, v38
	ds_bpermute_b32 v38, v32, v37
	s_and_saveexec_b32 s7, s4
	s_cbranch_execz .LBB576_27
; %bb.26:                               ;   in Loop: Header=BB576_9 Depth=1
	s_waitcnt lgkmcnt(0)
	v_add_f32_e32 v37, v37, v38
	ds_write_b32 v34, v37
.LBB576_27:                             ;   in Loop: Header=BB576_9 Depth=1
	s_or_b32 exec_lo, exec_lo, s7
	v_mov_b32_e32 v37, 0
	s_waitcnt lgkmcnt(0)
	s_barrier
	buffer_gl0_inv
	s_and_saveexec_b32 s7, s1
	s_cbranch_execnz .LBB576_48
; %bb.28:                               ;   in Loop: Header=BB576_9 Depth=1
	s_or_b32 exec_lo, exec_lo, s7
	s_and_saveexec_b32 s7, s0
	s_cbranch_execnz .LBB576_49
.LBB576_29:                             ;   in Loop: Header=BB576_9 Depth=1
	s_or_b32 exec_lo, exec_lo, s7
	s_and_saveexec_b32 s7, s0
.LBB576_30:                             ;   in Loop: Header=BB576_9 Depth=1
	ds_write_b32 v33, v5
.LBB576_31:                             ;   in Loop: Header=BB576_9 Depth=1
	s_or_b32 exec_lo, exec_lo, s7
	ds_bpermute_b32 v38, v28, v8
	s_waitcnt lgkmcnt(0)
	s_barrier
	buffer_gl0_inv
	v_add_f32_e32 v8, v8, v38
	ds_bpermute_b32 v38, v29, v8
	s_waitcnt lgkmcnt(0)
	v_add_f32_e32 v8, v8, v38
	ds_bpermute_b32 v38, v30, v8
	s_waitcnt lgkmcnt(0)
	;; [unrolled: 3-line block ×3, first 2 shown]
	v_add_f32_e32 v8, v8, v38
	ds_bpermute_b32 v38, v32, v8
	s_and_saveexec_b32 s7, s4
	s_cbranch_execz .LBB576_33
; %bb.32:                               ;   in Loop: Header=BB576_9 Depth=1
	s_waitcnt lgkmcnt(0)
	v_add_f32_e32 v8, v8, v38
	ds_write_b32 v34, v8
.LBB576_33:                             ;   in Loop: Header=BB576_9 Depth=1
	s_or_b32 exec_lo, exec_lo, s7
	v_mov_b32_e32 v8, 0
	s_waitcnt lgkmcnt(0)
	s_barrier
	buffer_gl0_inv
	s_and_saveexec_b32 s7, s1
	s_cbranch_execnz .LBB576_50
; %bb.34:                               ;   in Loop: Header=BB576_9 Depth=1
	s_or_b32 exec_lo, exec_lo, s7
	s_and_saveexec_b32 s7, s0
	s_cbranch_execnz .LBB576_51
.LBB576_35:                             ;   in Loop: Header=BB576_9 Depth=1
	s_or_b32 exec_lo, exec_lo, s7
	s_and_saveexec_b32 s7, s5
	s_cbranch_execz .LBB576_8
	s_branch .LBB576_52
.LBB576_36:                             ;   in Loop: Header=BB576_9 Depth=1
	s_mul_i32 s30, s11, s10
	s_ashr_i32 s31, s30, 31
	s_add_i32 s42, s30, s10
	s_lshl_b64 s[30:31], s[30:31], 1
	s_ashr_i32 s43, s42, 31
	v_add_co_u32 v1, vcc_lo, v22, s30
	v_add_co_ci_u32_e64 v2, null, s31, v23, vcc_lo
	s_lshl_b64 s[30:31], s[42:43], 1
	v_add_co_u32 v3, vcc_lo, v22, s30
	s_add_i32 s30, s42, s10
	v_add_co_ci_u32_e64 v4, null, s31, v23, vcc_lo
	s_ashr_i32 s31, s30, 31
	s_add_i32 s42, s30, s10
	s_lshl_b64 s[30:31], s[30:31], 1
	s_clause 0x1
	global_load_dwordx2 v[6:7], v[1:2], off
	global_load_dwordx2 v[37:38], v[3:4], off
	s_ashr_i32 s43, s42, 31
	v_add_co_u32 v1, vcc_lo, v22, s30
	v_add_co_ci_u32_e64 v2, null, s31, v23, vcc_lo
	s_lshl_b64 s[30:31], s[42:43], 1
	s_waitcnt lgkmcnt(0)
	s_clause 0x2
	global_load_ushort v8, v[14:15], off
	global_load_ushort v43, v[16:17], off
	;; [unrolled: 1-line block ×3, first 2 shown]
	v_add_co_u32 v3, vcc_lo, v22, s30
	v_add_co_ci_u32_e64 v4, null, s31, v23, vcc_lo
	s_clause 0x1
	global_load_dwordx2 v[39:40], v[1:2], off
	global_load_dwordx2 v[41:42], v[3:4], off
	global_load_ushort v4, v[20:21], off
	s_waitcnt vmcnt(6)
	v_and_b32_e32 v45, 0xffff0000, v37
	v_lshlrev_b32_e32 v46, 16, v38
	v_and_b32_e32 v47, 0xffff0000, v38
	s_waitcnt vmcnt(5)
	v_lshlrev_b32_e32 v1, 16, v8
	v_lshlrev_b32_e32 v8, 16, v6
	s_waitcnt vmcnt(3)
	v_lshlrev_b32_e32 v3, 16, v44
	v_lshlrev_b32_e32 v44, 16, v37
	;; [unrolled: 1-line block ×3, first 2 shown]
	v_and_b32_e32 v6, 0xffff0000, v6
	v_lshlrev_b32_e32 v43, 16, v7
	s_waitcnt vmcnt(2)
	v_lshlrev_b32_e32 v37, 16, v39
	s_waitcnt vmcnt(1)
	v_lshlrev_b32_e32 v50, 16, v41
	v_and_b32_e32 v48, 0xffff0000, v39
	v_fma_f32 v39, v1, v8, 0
	v_and_b32_e32 v41, 0xffff0000, v41
	v_fma_f32 v38, v1, v44, 0
	v_fma_f32 v37, v1, v37, 0
	v_fma_f32 v8, v50, v1, 0
	v_lshlrev_b32_e32 v49, 16, v40
	v_fmac_f32_e32 v39, v2, v6
	v_fmac_f32_e32 v38, v2, v45
	;; [unrolled: 1-line block ×4, first 2 shown]
	v_lshlrev_b32_e32 v6, 16, v42
	v_and_b32_e32 v7, 0xffff0000, v7
	v_and_b32_e32 v40, 0xffff0000, v40
	;; [unrolled: 1-line block ×3, first 2 shown]
	s_waitcnt vmcnt(0)
	v_lshlrev_b32_e32 v4, 16, v4
	v_fmac_f32_e32 v39, v3, v43
	v_fmac_f32_e32 v38, v3, v46
	v_fmac_f32_e32 v37, v3, v49
	v_fmac_f32_e32 v8, v6, v3
	v_fmac_f32_e32 v39, v4, v7
	v_fmac_f32_e32 v38, v4, v47
	v_fmac_f32_e32 v37, v4, v40
	v_fmac_f32_e32 v8, v4, v44
	s_andn2_saveexec_b32 s42, s7
	s_cbranch_execz .LBB576_11
.LBB576_37:                             ;   in Loop: Header=BB576_9 Depth=1
	s_waitcnt lgkmcnt(0)
	v_mov_b32_e32 v8, 0
	v_mov_b32_e32 v37, 0
	;; [unrolled: 1-line block ×4, first 2 shown]
	s_and_saveexec_b32 s43, s3
	s_cbranch_execz .LBB576_54
; %bb.38:                               ;   in Loop: Header=BB576_9 Depth=1
	s_andn2_b32 vcc_lo, exec_lo, s38
	s_cbranch_vccnz .LBB576_41
; %bb.39:                               ;   in Loop: Header=BB576_9 Depth=1
	v_mov_b32_e32 v6, v13
	s_mov_b64 s[30:31], 0
	.p2align	6
.LBB576_40:                             ;   Parent Loop BB576_9 Depth=1
                                        ; =>  This Inner Loop Header: Depth=2
	v_ashrrev_i32_e32 v7, 31, v6
	s_cmp_eq_u32 s30, 3
	v_lshlrev_b64 v[7:8], 1, v[6:7]
	v_add_nc_u32_e32 v6, s33, v6
	v_add_co_u32 v7, vcc_lo, s15, v7
	v_add_co_ci_u32_e64 v8, null, s21, v8, vcc_lo
	s_cselect_b32 vcc_lo, -1, 0
	s_cmp_eq_u32 s30, 2
	s_cselect_b32 s7, -1, 0
	global_load_ushort v7, v[7:8], off
	s_cmp_eq_u32 s30, 1
	s_cselect_b32 s8, -1, 0
	s_cmp_eq_u32 s30, 0
	s_waitcnt vmcnt(0)
	v_lshlrev_b32_e32 v7, 16, v7
	v_cndmask_b32_e32 v4, v4, v7, vcc_lo
	s_cselect_b32 vcc_lo, -1, 0
	v_cndmask_b32_e64 v3, v3, v7, s7
	v_cndmask_b32_e64 v2, v2, v7, s8
	v_cndmask_b32_e32 v1, v1, v7, vcc_lo
	s_add_u32 s30, s30, 1
	s_addc_u32 s31, s31, 0
	s_cmp_eq_u32 s34, s30
	s_cbranch_scc0 .LBB576_40
.LBB576_41:                             ;   in Loop: Header=BB576_9 Depth=1
	s_andn2_b32 vcc_lo, exec_lo, s38
	s_cbranch_vccnz .LBB576_53
; %bb.42:                               ;   in Loop: Header=BB576_9 Depth=1
	s_ashr_i32 s25, s24, 31
	v_mov_b32_e32 v39, 0
	s_lshl_b64 s[30:31], s[24:25], 1
	v_mov_b32_e32 v38, 0
	v_add_co_u32 v6, vcc_lo, v35, s30
	v_add_co_ci_u32_e64 v7, null, s31, v36, vcc_lo
	v_mov_b32_e32 v37, 0
	v_mov_b32_e32 v8, 0
	s_mov_b64 s[30:31], 0
.LBB576_43:                             ;   Parent Loop BB576_9 Depth=1
                                        ; =>  This Inner Loop Header: Depth=2
	s_cmp_eq_u32 s30, 1
	s_cselect_b32 vcc_lo, -1, 0
	s_cmp_eq_u32 s30, 2
	v_cndmask_b32_e32 v40, v1, v2, vcc_lo
	s_cselect_b32 vcc_lo, -1, 0
	s_cmp_eq_u32 s30, 3
	v_cndmask_b32_e32 v46, v40, v3, vcc_lo
	s_cselect_b32 vcc_lo, -1, 0
	s_add_i32 s44, s28, s30
	s_add_i32 s46, s26, s30
	s_ashr_i32 s45, s44, 31
	s_add_i32 s48, s40, s30
	s_ashr_i32 s47, s46, 31
	s_lshl_b64 s[44:45], s[44:45], 1
	s_ashr_i32 s49, s48, 31
	s_lshl_b64 s[46:47], s[46:47], 1
	v_add_co_u32 v40, s7, v22, s44
	s_lshl_b64 s[48:49], s[48:49], 1
	v_add_co_ci_u32_e64 v41, null, s45, v23, s7
	v_add_co_u32 v42, s7, v22, s46
	v_add_co_ci_u32_e64 v43, null, s47, v23, s7
	v_add_co_u32 v44, s7, v22, s48
	v_add_co_ci_u32_e64 v45, null, s49, v23, s7
	global_load_ushort v47, v[6:7], off
	s_clause 0x2
	global_load_ushort v40, v[40:41], off
	global_load_ushort v41, v[42:43], off
	;; [unrolled: 1-line block ×3, first 2 shown]
	v_cndmask_b32_e32 v43, v46, v4, vcc_lo
	v_add_co_u32 v6, s7, v6, 2
	v_add_co_ci_u32_e64 v7, null, 0, v7, s7
	s_add_u32 s30, s30, 1
	s_addc_u32 s31, s31, 0
	s_cmp_lg_u32 s34, s30
	s_waitcnt vmcnt(3)
	v_lshlrev_b32_e32 v44, 16, v47
	s_waitcnt vmcnt(2)
	v_lshlrev_b32_e32 v40, 16, v40
	;; [unrolled: 2-line block ×4, first 2 shown]
	v_fmac_f32_e32 v39, v43, v44
	v_fmac_f32_e32 v38, v43, v40
	;; [unrolled: 1-line block ×4, first 2 shown]
	s_cbranch_scc1 .LBB576_43
	s_branch .LBB576_54
.LBB576_44:                             ;   in Loop: Header=BB576_9 Depth=1
	ds_read_b32 v6, v33
	s_or_b32 exec_lo, exec_lo, s7
	s_and_saveexec_b32 s7, s0
	s_cbranch_execz .LBB576_17
.LBB576_45:                             ;   in Loop: Header=BB576_9 Depth=1
	s_waitcnt lgkmcnt(0)
	ds_bpermute_b32 v7, v30, v6
	s_waitcnt lgkmcnt(0)
	v_add_f32_e32 v6, v6, v7
	ds_bpermute_b32 v7, v31, v6
	s_waitcnt lgkmcnt(0)
	v_add_f32_e32 v6, v6, v7
	;; [unrolled: 3-line block ×3, first 2 shown]
	s_or_b32 exec_lo, exec_lo, s7
	s_and_saveexec_b32 s7, s0
	s_cbranch_execnz .LBB576_18
	s_branch .LBB576_19
.LBB576_46:                             ;   in Loop: Header=BB576_9 Depth=1
	ds_read_b32 v7, v33
	s_or_b32 exec_lo, exec_lo, s7
	s_and_saveexec_b32 s7, s0
	s_cbranch_execz .LBB576_23
.LBB576_47:                             ;   in Loop: Header=BB576_9 Depth=1
	s_waitcnt lgkmcnt(0)
	ds_bpermute_b32 v38, v30, v7
	s_waitcnt lgkmcnt(0)
	v_add_f32_e32 v7, v7, v38
	ds_bpermute_b32 v38, v31, v7
	s_waitcnt lgkmcnt(0)
	v_add_f32_e32 v7, v7, v38
	;; [unrolled: 3-line block ×3, first 2 shown]
	s_or_b32 exec_lo, exec_lo, s7
	s_and_saveexec_b32 s7, s0
	s_cbranch_execnz .LBB576_24
	s_branch .LBB576_25
.LBB576_48:                             ;   in Loop: Header=BB576_9 Depth=1
	ds_read_b32 v37, v33
	s_or_b32 exec_lo, exec_lo, s7
	s_and_saveexec_b32 s7, s0
	s_cbranch_execz .LBB576_29
.LBB576_49:                             ;   in Loop: Header=BB576_9 Depth=1
	s_waitcnt lgkmcnt(0)
	ds_bpermute_b32 v38, v30, v37
	s_waitcnt lgkmcnt(0)
	v_add_f32_e32 v37, v37, v38
	ds_bpermute_b32 v38, v31, v37
	s_waitcnt lgkmcnt(0)
	v_add_f32_e32 v37, v37, v38
	;; [unrolled: 3-line block ×3, first 2 shown]
	s_or_b32 exec_lo, exec_lo, s7
	s_and_saveexec_b32 s7, s0
	s_cbranch_execnz .LBB576_30
	s_branch .LBB576_31
.LBB576_50:                             ;   in Loop: Header=BB576_9 Depth=1
	ds_read_b32 v8, v33
	s_or_b32 exec_lo, exec_lo, s7
	s_and_saveexec_b32 s7, s0
	s_cbranch_execz .LBB576_35
.LBB576_51:                             ;   in Loop: Header=BB576_9 Depth=1
	s_waitcnt lgkmcnt(0)
	ds_bpermute_b32 v38, v30, v8
	s_waitcnt lgkmcnt(0)
	v_add_f32_e32 v8, v8, v38
	ds_bpermute_b32 v38, v31, v8
	s_waitcnt lgkmcnt(0)
	v_add_f32_e32 v8, v8, v38
	;; [unrolled: 3-line block ×3, first 2 shown]
	s_or_b32 exec_lo, exec_lo, s7
	s_and_saveexec_b32 s7, s5
	s_cbranch_execz .LBB576_8
.LBB576_52:                             ;   in Loop: Header=BB576_9 Depth=1
	s_mul_i32 s8, s11, s20
	v_mul_f32_e32 v6, s14, v6
	s_add_i32 s8, s8, s6
	v_mul_f32_e32 v7, s14, v7
	s_lshl_b64 s[30:31], s[8:9], 2
	v_mul_f32_e32 v37, s14, v37
	s_add_u32 s30, s36, s30
	s_addc_u32 s31, s35, s31
	s_add_i32 s8, s8, s20
	global_store_dword v5, v6, s[30:31]
	s_lshl_b64 s[42:43], s[8:9], 2
	s_waitcnt lgkmcnt(0)
	v_mul_f32_e32 v6, s14, v8
	s_add_u32 s42, s36, s42
	s_addc_u32 s43, s35, s43
	s_add_i32 s8, s8, s20
	global_store_dword v5, v7, s[42:43]
	s_lshl_b64 s[44:45], s[8:9], 2
	s_add_u32 s30, s36, s44
	s_addc_u32 s31, s35, s45
	s_add_i32 s8, s8, s20
	s_lshl_b64 s[44:45], s[8:9], 2
	s_add_u32 s42, s36, s44
	s_addc_u32 s43, s35, s45
	global_store_dword v5, v37, s[30:31]
	global_store_dword v5, v6, s[42:43]
	s_branch .LBB576_8
.LBB576_53:                             ;   in Loop: Header=BB576_9 Depth=1
	v_mov_b32_e32 v8, 0
	v_mov_b32_e32 v37, 0
	;; [unrolled: 1-line block ×4, first 2 shown]
.LBB576_54:                             ;   in Loop: Header=BB576_9 Depth=1
	s_or_b32 exec_lo, exec_lo, s43
	s_or_b32 exec_lo, exec_lo, s42
	s_and_saveexec_b32 s7, s0
	s_cbranch_execnz .LBB576_12
	s_branch .LBB576_13
.LBB576_55:
	v_mov_b32_e32 v1, 0
	s_mov_b32 s11, 0
	v_mov_b32_e32 v2, v1
	v_mov_b32_e32 v3, v1
	;; [unrolled: 1-line block ×3, first 2 shown]
.LBB576_56:
	s_cmp_ge_i32 s11, s13
	s_cbranch_scc1 .LBB576_80
; %bb.57:
	v_cmp_gt_u32_e32 vcc_lo, 24, v24
	v_lshlrev_b32_e32 v17, 2, v10
	v_cmp_eq_u32_e64 s3, 0, v10
	v_ashrrev_i32_e32 v10, 31, v9
	v_cmp_ge_i32_e64 s0, s12, v26
	v_cndmask_b32_e64 v5, 0, 8, vcc_lo
	v_cmp_gt_u32_e32 vcc_lo, 28, v24
	v_lshl_or_b32 v18, v24, 2, 64
	v_lshlrev_b64 v[13:14], 1, v[9:10]
	v_cmp_ge_i32_e64 s1, s12, v27
	v_add_lshl_u32 v19, v5, v24, 2
	v_cndmask_b32_e64 v6, 0, 4, vcc_lo
	v_cmp_gt_u32_e32 vcc_lo, 30, v24
	v_add_nc_u32_e32 v5, s33, v9
	s_cmp_gt_i32 s34, 0
	s_mov_b32 s7, 0
	v_add_lshl_u32 v20, v6, v24, 2
	v_cndmask_b32_e64 v7, 0, 2, vcc_lo
	v_cmp_ne_u32_e32 vcc_lo, 31, v24
	v_ashrrev_i32_e32 v6, 31, v5
	s_cselect_b32 s12, -1, 0
	s_lshl_b64 s[8:9], s[6:7], 2
	v_add_lshl_u32 v21, v7, v24, 2
	v_add_nc_u32_e32 v7, s33, v5
	s_waitcnt lgkmcnt(0)
	v_add_co_ci_u32_e64 v8, null, 0, v24, vcc_lo
	v_lshlrev_b64 v[15:16], 1, v[5:6]
	v_add_co_u32 v5, vcc_lo, s15, v13
	v_add_nc_u32_e32 v26, s33, v7
	v_lshlrev_b32_e32 v24, 2, v8
	v_ashrrev_i32_e32 v8, 31, v7
	v_add_co_ci_u32_e64 v6, null, s21, v14, vcc_lo
	v_ashrrev_i32_e32 v27, 31, v26
	s_add_u32 s24, s36, s8
	v_lshlrev_b64 v[13:14], 1, v[7:8]
	v_add_co_u32 v7, vcc_lo, s15, v15
	v_add_co_ci_u32_e64 v8, null, s21, v16, vcc_lo
	v_lshlrev_b64 v[15:16], 1, v[26:27]
	s_addc_u32 s25, s35, s9
	v_add_co_u32 v13, vcc_lo, s15, v13
	s_add_u32 s6, s22, s18
	s_addc_u32 s8, s23, s19
	v_add_co_ci_u32_e64 v14, null, s21, v14, vcc_lo
	v_add_co_u32 v15, vcc_lo, s15, v15
	s_add_u32 s6, s16, s6
	v_cmp_gt_u32_e64 s2, 32, v0
	v_cmp_gt_u32_e64 s4, 8, v0
	v_cmp_eq_u32_e64 s5, 0, v0
	v_add_co_ci_u32_e64 v16, null, s21, v16, vcc_lo
	s_addc_u32 s8, s17, s8
	v_add_co_u32 v0, vcc_lo, s6, v11
	v_and_b32_e32 v25, 28, v25
	v_add_co_ci_u32_e64 v12, null, s8, v12, vcc_lo
	v_mov_b32_e32 v26, 0
	s_mul_i32 s16, s11, s10
	s_branch .LBB576_59
.LBB576_58:                             ;   in Loop: Header=BB576_59 Depth=1
	s_or_b32 exec_lo, exec_lo, s6
	s_add_i32 s11, s11, 1
	s_add_i32 s16, s16, s10
	s_cmp_ge_i32 s11, s13
	s_cbranch_scc1 .LBB576_80
.LBB576_59:                             ; =>This Loop Header: Depth=1
                                        ;     Child Loop BB576_72 Depth 2
                                        ;     Child Loop BB576_75 Depth 2
	v_mov_b32_e32 v27, s7
	s_and_saveexec_b32 s6, s0
	s_xor_b32 s6, exec_lo, s6
	s_cbranch_execnz .LBB576_68
; %bb.60:                               ;   in Loop: Header=BB576_59 Depth=1
	s_andn2_saveexec_b32 s22, s6
	s_cbranch_execnz .LBB576_69
.LBB576_61:                             ;   in Loop: Header=BB576_59 Depth=1
	s_or_b32 exec_lo, exec_lo, s22
	s_and_saveexec_b32 s6, s2
.LBB576_62:                             ;   in Loop: Header=BB576_59 Depth=1
	ds_write_b32 v17, v26
.LBB576_63:                             ;   in Loop: Header=BB576_59 Depth=1
	s_or_b32 exec_lo, exec_lo, s6
	s_waitcnt lgkmcnt(0)
	ds_bpermute_b32 v10, v18, v27
	s_waitcnt lgkmcnt(0)
	s_waitcnt_vscnt null, 0x0
	s_barrier
	buffer_gl0_inv
	v_add_f32_e32 v10, v27, v10
	ds_bpermute_b32 v11, v19, v10
	s_waitcnt lgkmcnt(0)
	v_add_f32_e32 v10, v10, v11
	ds_bpermute_b32 v11, v20, v10
	s_waitcnt lgkmcnt(0)
	;; [unrolled: 3-line block ×3, first 2 shown]
	v_add_f32_e32 v10, v10, v11
	ds_bpermute_b32 v11, v24, v10
	s_and_saveexec_b32 s6, s3
	s_cbranch_execz .LBB576_65
; %bb.64:                               ;   in Loop: Header=BB576_59 Depth=1
	s_waitcnt lgkmcnt(0)
	v_add_f32_e32 v10, v10, v11
	ds_write_b32 v25, v10
.LBB576_65:                             ;   in Loop: Header=BB576_59 Depth=1
	s_or_b32 exec_lo, exec_lo, s6
	v_mov_b32_e32 v10, 0
	s_waitcnt lgkmcnt(0)
	s_barrier
	buffer_gl0_inv
	s_and_saveexec_b32 s6, s4
	s_cbranch_execnz .LBB576_77
; %bb.66:                               ;   in Loop: Header=BB576_59 Depth=1
	s_or_b32 exec_lo, exec_lo, s6
	s_and_saveexec_b32 s6, s2
	s_cbranch_execnz .LBB576_78
.LBB576_67:                             ;   in Loop: Header=BB576_59 Depth=1
	s_or_b32 exec_lo, exec_lo, s6
	s_and_saveexec_b32 s6, s5
	s_cbranch_execz .LBB576_58
	s_branch .LBB576_79
.LBB576_68:                             ;   in Loop: Header=BB576_59 Depth=1
	s_mul_i32 s8, s11, s10
	s_ashr_i32 s9, s8, 31
	s_lshl_b64 s[8:9], s[8:9], 1
	v_add_co_u32 v1, vcc_lo, v22, s8
	v_add_co_ci_u32_e64 v2, null, s9, v23, vcc_lo
	global_load_ushort v3, v[5:6], off
	s_waitcnt lgkmcnt(0)
	global_load_dwordx2 v[10:11], v[1:2], off
	s_clause 0x2
	global_load_ushort v2, v[7:8], off
	global_load_ushort v4, v[13:14], off
	;; [unrolled: 1-line block ×3, first 2 shown]
	s_waitcnt vmcnt(4)
	v_lshlrev_b32_e32 v1, 16, v3
	s_waitcnt vmcnt(3)
	v_lshlrev_b32_e32 v3, 16, v10
	;; [unrolled: 2-line block ×3, first 2 shown]
	v_and_b32_e32 v10, 0xffff0000, v10
	v_fma_f32 v27, v1, v3, 0
	s_waitcnt vmcnt(1)
	v_lshlrev_b32_e32 v3, 16, v4
	s_waitcnt vmcnt(0)
	v_lshlrev_b32_e32 v4, 16, v28
	v_fmac_f32_e32 v27, v2, v10
	v_lshlrev_b32_e32 v10, 16, v11
	v_and_b32_e32 v11, 0xffff0000, v11
	v_fmac_f32_e32 v27, v3, v10
	v_fmac_f32_e32 v27, v4, v11
	s_andn2_saveexec_b32 s22, s6
	s_cbranch_execz .LBB576_61
.LBB576_69:                             ;   in Loop: Header=BB576_59 Depth=1
	s_and_saveexec_b32 s23, s1
	s_cbranch_execz .LBB576_76
; %bb.70:                               ;   in Loop: Header=BB576_59 Depth=1
	s_andn2_b32 vcc_lo, exec_lo, s12
	s_cbranch_vccnz .LBB576_73
; %bb.71:                               ;   in Loop: Header=BB576_59 Depth=1
	s_waitcnt lgkmcnt(0)
	v_mov_b32_e32 v10, v9
	s_mov_b64 s[18:19], 0
	.p2align	6
.LBB576_72:                             ;   Parent Loop BB576_59 Depth=1
                                        ; =>  This Inner Loop Header: Depth=2
	v_ashrrev_i32_e32 v11, 31, v10
	s_cmp_eq_u32 s18, 3
	v_lshlrev_b64 v[28:29], 1, v[10:11]
	v_add_nc_u32_e32 v10, s33, v10
	v_add_co_u32 v28, vcc_lo, s15, v28
	v_add_co_ci_u32_e64 v29, null, s21, v29, vcc_lo
	s_cselect_b32 vcc_lo, -1, 0
	s_cmp_eq_u32 s18, 2
	s_cselect_b32 s6, -1, 0
	global_load_ushort v11, v[28:29], off
	s_cmp_eq_u32 s18, 1
	s_cselect_b32 s8, -1, 0
	s_cmp_eq_u32 s18, 0
	s_waitcnt vmcnt(0)
	v_lshlrev_b32_e32 v11, 16, v11
	v_cndmask_b32_e32 v4, v4, v11, vcc_lo
	s_cselect_b32 vcc_lo, -1, 0
	v_cndmask_b32_e64 v3, v3, v11, s6
	v_cndmask_b32_e64 v2, v2, v11, s8
	v_cndmask_b32_e32 v1, v1, v11, vcc_lo
	s_add_u32 s18, s18, 1
	s_addc_u32 s19, s19, 0
	s_cmp_eq_u32 s34, s18
	s_cbranch_scc0 .LBB576_72
.LBB576_73:                             ;   in Loop: Header=BB576_59 Depth=1
	s_andn2_b32 vcc_lo, exec_lo, s12
	s_cbranch_vccnz .LBB576_76
; %bb.74:                               ;   in Loop: Header=BB576_59 Depth=1
	s_ashr_i32 s17, s16, 31
	s_lshl_b64 s[8:9], s[16:17], 1
	s_waitcnt lgkmcnt(0)
	v_add_co_u32 v10, vcc_lo, v0, s8
	v_add_co_ci_u32_e64 v11, null, s9, v12, vcc_lo
	s_mov_b64 s[8:9], 0
	.p2align	6
.LBB576_75:                             ;   Parent Loop BB576_59 Depth=1
                                        ; =>  This Inner Loop Header: Depth=2
	global_load_ushort v28, v[10:11], off
	s_cmp_eq_u32 s8, 1
	s_cselect_b32 vcc_lo, -1, 0
	s_cmp_eq_u32 s8, 2
	v_cndmask_b32_e32 v29, v1, v2, vcc_lo
	s_cselect_b32 vcc_lo, -1, 0
	s_cmp_eq_u32 s8, 3
	v_cndmask_b32_e32 v29, v29, v3, vcc_lo
	s_cselect_b32 vcc_lo, -1, 0
	s_add_u32 s8, s8, 1
	s_addc_u32 s9, s9, 0
	s_cmp_lg_u32 s34, s8
	v_cndmask_b32_e32 v29, v29, v4, vcc_lo
	v_add_co_u32 v10, vcc_lo, v10, 2
	v_add_co_ci_u32_e64 v11, null, 0, v11, vcc_lo
	s_waitcnt vmcnt(0)
	v_lshlrev_b32_e32 v28, 16, v28
	v_fmac_f32_e32 v27, v29, v28
	s_cbranch_scc1 .LBB576_75
.LBB576_76:                             ;   in Loop: Header=BB576_59 Depth=1
	s_or_b32 exec_lo, exec_lo, s23
	s_or_b32 exec_lo, exec_lo, s22
	s_and_saveexec_b32 s6, s2
	s_cbranch_execnz .LBB576_62
	s_branch .LBB576_63
.LBB576_77:                             ;   in Loop: Header=BB576_59 Depth=1
	ds_read_b32 v10, v17
	s_or_b32 exec_lo, exec_lo, s6
	s_and_saveexec_b32 s6, s2
	s_cbranch_execz .LBB576_67
.LBB576_78:                             ;   in Loop: Header=BB576_59 Depth=1
	s_waitcnt lgkmcnt(0)
	ds_bpermute_b32 v11, v20, v10
	s_waitcnt lgkmcnt(0)
	v_add_f32_e32 v10, v10, v11
	ds_bpermute_b32 v11, v21, v10
	s_waitcnt lgkmcnt(0)
	v_add_f32_e32 v10, v10, v11
	;; [unrolled: 3-line block ×3, first 2 shown]
	s_or_b32 exec_lo, exec_lo, s6
	s_and_saveexec_b32 s6, s5
	s_cbranch_execz .LBB576_58
.LBB576_79:                             ;   in Loop: Header=BB576_59 Depth=1
	s_mul_hi_u32 s9, s11, s20
	s_mul_i32 s8, s11, s20
	s_waitcnt lgkmcnt(0)
	v_mul_f32_e32 v10, s14, v10
	s_lshl_b64 s[8:9], s[8:9], 2
	s_add_u32 s8, s24, s8
	s_addc_u32 s9, s25, s9
	global_store_dword v26, v10, s[8:9]
	s_branch .LBB576_58
.LBB576_80:
	s_endpgm
	.section	.rodata,"a",@progbits
	.p2align	6, 0x0
	.amdhsa_kernel _ZL23rocblas_gemvt_sn_kernelILb1ELi256ELi4Ei16rocblas_bfloat16ffEviiT4_lPKT3_lilS4_lilPT5_i
		.amdhsa_group_segment_fixed_size 128
		.amdhsa_private_segment_fixed_size 0
		.amdhsa_kernarg_size 360
		.amdhsa_user_sgpr_count 6
		.amdhsa_user_sgpr_private_segment_buffer 1
		.amdhsa_user_sgpr_dispatch_ptr 0
		.amdhsa_user_sgpr_queue_ptr 0
		.amdhsa_user_sgpr_kernarg_segment_ptr 1
		.amdhsa_user_sgpr_dispatch_id 0
		.amdhsa_user_sgpr_flat_scratch_init 0
		.amdhsa_user_sgpr_private_segment_size 0
		.amdhsa_wavefront_size32 1
		.amdhsa_uses_dynamic_stack 0
		.amdhsa_system_sgpr_private_segment_wavefront_offset 0
		.amdhsa_system_sgpr_workgroup_id_x 1
		.amdhsa_system_sgpr_workgroup_id_y 0
		.amdhsa_system_sgpr_workgroup_id_z 1
		.amdhsa_system_sgpr_workgroup_info 0
		.amdhsa_system_vgpr_workitem_id 0
		.amdhsa_next_free_vgpr 51
		.amdhsa_next_free_sgpr 50
		.amdhsa_reserve_vcc 1
		.amdhsa_reserve_flat_scratch 0
		.amdhsa_float_round_mode_32 0
		.amdhsa_float_round_mode_16_64 0
		.amdhsa_float_denorm_mode_32 3
		.amdhsa_float_denorm_mode_16_64 3
		.amdhsa_dx10_clamp 1
		.amdhsa_ieee_mode 1
		.amdhsa_fp16_overflow 0
		.amdhsa_workgroup_processor_mode 1
		.amdhsa_memory_ordered 1
		.amdhsa_forward_progress 1
		.amdhsa_shared_vgpr_count 0
		.amdhsa_exception_fp_ieee_invalid_op 0
		.amdhsa_exception_fp_denorm_src 0
		.amdhsa_exception_fp_ieee_div_zero 0
		.amdhsa_exception_fp_ieee_overflow 0
		.amdhsa_exception_fp_ieee_underflow 0
		.amdhsa_exception_fp_ieee_inexact 0
		.amdhsa_exception_int_div_zero 0
	.end_amdhsa_kernel
	.section	.text._ZL23rocblas_gemvt_sn_kernelILb1ELi256ELi4Ei16rocblas_bfloat16ffEviiT4_lPKT3_lilS4_lilPT5_i,"axG",@progbits,_ZL23rocblas_gemvt_sn_kernelILb1ELi256ELi4Ei16rocblas_bfloat16ffEviiT4_lPKT3_lilS4_lilPT5_i,comdat
.Lfunc_end576:
	.size	_ZL23rocblas_gemvt_sn_kernelILb1ELi256ELi4Ei16rocblas_bfloat16ffEviiT4_lPKT3_lilS4_lilPT5_i, .Lfunc_end576-_ZL23rocblas_gemvt_sn_kernelILb1ELi256ELi4Ei16rocblas_bfloat16ffEviiT4_lPKT3_lilS4_lilPT5_i
                                        ; -- End function
	.set _ZL23rocblas_gemvt_sn_kernelILb1ELi256ELi4Ei16rocblas_bfloat16ffEviiT4_lPKT3_lilS4_lilPT5_i.num_vgpr, 51
	.set _ZL23rocblas_gemvt_sn_kernelILb1ELi256ELi4Ei16rocblas_bfloat16ffEviiT4_lPKT3_lilS4_lilPT5_i.num_agpr, 0
	.set _ZL23rocblas_gemvt_sn_kernelILb1ELi256ELi4Ei16rocblas_bfloat16ffEviiT4_lPKT3_lilS4_lilPT5_i.numbered_sgpr, 50
	.set _ZL23rocblas_gemvt_sn_kernelILb1ELi256ELi4Ei16rocblas_bfloat16ffEviiT4_lPKT3_lilS4_lilPT5_i.num_named_barrier, 0
	.set _ZL23rocblas_gemvt_sn_kernelILb1ELi256ELi4Ei16rocblas_bfloat16ffEviiT4_lPKT3_lilS4_lilPT5_i.private_seg_size, 0
	.set _ZL23rocblas_gemvt_sn_kernelILb1ELi256ELi4Ei16rocblas_bfloat16ffEviiT4_lPKT3_lilS4_lilPT5_i.uses_vcc, 1
	.set _ZL23rocblas_gemvt_sn_kernelILb1ELi256ELi4Ei16rocblas_bfloat16ffEviiT4_lPKT3_lilS4_lilPT5_i.uses_flat_scratch, 0
	.set _ZL23rocblas_gemvt_sn_kernelILb1ELi256ELi4Ei16rocblas_bfloat16ffEviiT4_lPKT3_lilS4_lilPT5_i.has_dyn_sized_stack, 0
	.set _ZL23rocblas_gemvt_sn_kernelILb1ELi256ELi4Ei16rocblas_bfloat16ffEviiT4_lPKT3_lilS4_lilPT5_i.has_recursion, 0
	.set _ZL23rocblas_gemvt_sn_kernelILb1ELi256ELi4Ei16rocblas_bfloat16ffEviiT4_lPKT3_lilS4_lilPT5_i.has_indirect_call, 0
	.section	.AMDGPU.csdata,"",@progbits
; Kernel info:
; codeLenInByte = 4268
; TotalNumSgprs: 52
; NumVgprs: 51
; ScratchSize: 0
; MemoryBound: 0
; FloatMode: 240
; IeeeMode: 1
; LDSByteSize: 128 bytes/workgroup (compile time only)
; SGPRBlocks: 0
; VGPRBlocks: 6
; NumSGPRsForWavesPerEU: 52
; NumVGPRsForWavesPerEU: 51
; Occupancy: 16
; WaveLimiterHint : 1
; COMPUTE_PGM_RSRC2:SCRATCH_EN: 0
; COMPUTE_PGM_RSRC2:USER_SGPR: 6
; COMPUTE_PGM_RSRC2:TRAP_HANDLER: 0
; COMPUTE_PGM_RSRC2:TGID_X_EN: 1
; COMPUTE_PGM_RSRC2:TGID_Y_EN: 0
; COMPUTE_PGM_RSRC2:TGID_Z_EN: 1
; COMPUTE_PGM_RSRC2:TIDIG_COMP_CNT: 0
	.section	.text._ZL23rocblas_gemvt_sn_kernelILb1ELi256ELi4El16rocblas_bfloat16ffEviiT4_lPKT3_lilS4_lilPT5_i,"axG",@progbits,_ZL23rocblas_gemvt_sn_kernelILb1ELi256ELi4El16rocblas_bfloat16ffEviiT4_lPKT3_lilS4_lilPT5_i,comdat
	.globl	_ZL23rocblas_gemvt_sn_kernelILb1ELi256ELi4El16rocblas_bfloat16ffEviiT4_lPKT3_lilS4_lilPT5_i ; -- Begin function _ZL23rocblas_gemvt_sn_kernelILb1ELi256ELi4El16rocblas_bfloat16ffEviiT4_lPKT3_lilS4_lilPT5_i
	.p2align	8
	.type	_ZL23rocblas_gemvt_sn_kernelILb1ELi256ELi4El16rocblas_bfloat16ffEviiT4_lPKT3_lilS4_lilPT5_i,@function
_ZL23rocblas_gemvt_sn_kernelILb1ELi256ELi4El16rocblas_bfloat16ffEviiT4_lPKT3_lilS4_lilPT5_i: ; @_ZL23rocblas_gemvt_sn_kernelILb1ELi256ELi4El16rocblas_bfloat16ffEviiT4_lPKT3_lilS4_lilPT5_i
; %bb.0:
	s_clause 0x2
	s_load_dwordx4 s[12:15], s[4:5], 0x0
	s_load_dword s24, s[4:5], 0x68
	s_load_dwordx4 s[20:23], s[4:5], 0x50
	s_mov_b32 s25, 0
	s_waitcnt lgkmcnt(0)
	s_ashr_i32 s15, s13, 31
	s_mul_hi_u32 s0, s13, s7
	s_mul_i32 s1, s15, s7
	s_mul_i32 s2, s13, s7
	s_add_i32 s0, s0, s1
	s_mul_hi_u32 s1, s2, s24
	s_mul_i32 s3, s0, s24
	s_mul_i32 s0, s2, s24
	s_add_i32 s1, s1, s3
	v_cmp_neq_f32_e64 s2, s14, 0
	s_lshl_b64 s[0:1], s[0:1], 2
	s_add_u32 s33, s22, s0
	v_cmp_eq_u32_e64 s0, 0, v0
	s_addc_u32 s44, s23, s1
	s_and_b32 vcc_lo, exec_lo, s2
	s_cbranch_vccnz .LBB577_5
; %bb.1:
	s_cmp_gt_i32 s13, 0
	s_cselect_b32 s1, -1, 0
	s_and_b32 s0, s0, s1
	s_and_saveexec_b32 s8, s0
	s_cbranch_execz .LBB577_4
; %bb.2:
	s_mov_b32 s0, s7
	s_mov_b32 s7, 0
	v_mov_b32_e32 v1, 0
	s_lshl_b64 s[2:3], s[6:7], 2
	s_mov_b32 s7, s0
	s_add_u32 s0, s33, s2
	s_addc_u32 s1, s44, s3
	s_lshl_b64 s[2:3], s[24:25], 2
	s_mov_b32 s9, s13
.LBB577_3:                              ; =>This Inner Loop Header: Depth=1
	s_add_i32 s9, s9, -1
	global_store_dword v1, v1, s[0:1]
	s_add_u32 s0, s0, s2
	s_addc_u32 s1, s1, s3
	s_cmp_eq_u32 s9, 0
	s_cbranch_scc0 .LBB577_3
.LBB577_4:
	s_or_b32 exec_lo, exec_lo, s8
	s_cbranch_execz .LBB577_6
	s_branch .LBB577_80
.LBB577_5:
.LBB577_6:
	s_clause 0x4
	s_load_dword s22, s[4:5], 0x28
	s_load_dword s26, s[4:5], 0x48
	s_load_dwordx4 s[8:11], s[4:5], 0x30
	s_load_dwordx2 s[0:1], s[4:5], 0x40
	s_load_dwordx4 s[16:19], s[4:5], 0x18
	s_mul_i32 s3, s21, s7
	s_mul_hi_u32 s4, s20, s7
	s_mul_i32 s2, s20, s7
	s_add_i32 s3, s4, s3
	v_and_b32_e32 v26, 31, v0
	s_lshl_b64 s[20:21], s[2:3], 1
	v_mbcnt_lo_u32_b32 v29, -1, 0
	v_lshrrev_b32_e32 v31, 3, v0
	s_waitcnt lgkmcnt(0)
	s_ashr_i32 s23, s22, 31
	s_ashr_i32 s27, s26, 31
	s_add_u32 s5, s10, s20
	s_mul_i32 s3, s9, s7
	s_addc_u32 s9, s11, s21
	s_lshl_b64 s[30:31], s[0:1], 1
	s_mul_hi_u32 s4, s8, s7
	s_add_u32 s25, s5, s30
	s_mul_i32 s2, s8, s7
	s_addc_u32 s45, s9, s31
	s_add_i32 s3, s4, s3
	v_cmp_gt_u32_e64 s0, 32, v0
	s_lshl_b64 s[28:29], s[2:3], 1
	v_cmp_gt_u32_e64 s1, 8, v0
	s_add_u32 s2, s16, s28
	s_addc_u32 s3, s17, s29
	s_lshl_b64 s[18:19], s[18:19], 1
	s_add_u32 s2, s2, s18
	s_addc_u32 s3, s3, s19
	s_lshl_b32 s4, s6, 10
	s_ashr_i32 s5, s12, 31
	v_lshl_or_b32 v13, v0, 2, s4
	s_lshr_b32 s4, s15, 30
	s_lshr_b32 s5, s5, 30
	s_add_i32 s4, s13, s4
	s_add_i32 s5, s12, s5
	v_ashrrev_i32_e32 v14, 31, v13
	s_and_b32 s46, s4, -4
	s_and_b32 s4, s5, -4
	v_add_nc_u32_e32 v32, 4, v13
	s_sub_i32 s15, s12, s4
	v_lshlrev_b64 v[11:12], 1, v[13:14]
	v_or_b32_e32 v30, 1, v13
	v_or_b32_e32 v28, 2, v13
	v_add_nc_u32_e32 v33, s15, v13
	v_or_b32_e32 v27, 3, v13
	s_cmp_lt_i32 s46, 1
	v_add_co_u32 v9, vcc_lo, s2, v11
	v_add_co_ci_u32_e64 v10, null, s3, v12, vcc_lo
	s_cbranch_scc1 .LBB577_55
; %bb.7:
	v_cmp_gt_u32_e32 vcc_lo, 24, v29
	v_mad_i64_i32 v[5:6], null, s26, v28, 0
	v_mad_i64_i32 v[7:8], null, s26, v27, 0
	v_cndmask_b32_e64 v1, 0, 8, vcc_lo
	v_cmp_gt_u32_e32 vcc_lo, 28, v29
	s_cmp_gt_i32 s15, 0
	s_mov_b32 s7, 0
	v_lshlrev_b64 v[5:6], 1, v[5:6]
	v_add_lshl_u32 v35, v1, v29, 2
	v_cndmask_b32_e64 v2, 0, 4, vcc_lo
	v_cmp_gt_u32_e32 vcc_lo, 30, v29
	s_cselect_b32 s47, -1, 0
	s_lshl_b64 s[8:9], s[6:7], 2
	v_mov_b32_e32 v25, v10
	v_add_lshl_u32 v36, v2, v29, 2
	v_cndmask_b32_e64 v3, 0, 2, vcc_lo
	v_cmp_ne_u32_e32 vcc_lo, 31, v29
	v_mad_i64_i32 v[1:2], null, s26, v13, 0
	s_add_u32 s48, s33, s8
	v_add_lshl_u32 v37, v3, v29, 2
	v_add_co_ci_u32_e64 v4, null, 0, v29, vcc_lo
	s_addc_u32 s49, s44, s9
	s_add_u32 s8, s10, s30
	v_lshlrev_b64 v[1:2], 1, v[1:2]
	v_lshlrev_b32_e32 v38, 2, v4
	v_mad_i64_i32 v[3:4], null, s26, v30, 0
	s_addc_u32 s9, s11, s31
	s_add_u32 s8, s8, s20
	v_add_co_u32 v14, vcc_lo, s25, v1
	v_add_co_ci_u32_e64 v15, null, s45, v2, vcc_lo
	v_lshlrev_b64 v[3:4], 1, v[3:4]
	s_addc_u32 s9, s9, s21
	v_cmp_ge_i32_e64 s2, s12, v32
	v_cmp_ge_i32_e64 s3, s12, v33
	v_lshl_or_b32 v34, v29, 2, 64
	v_cmp_eq_u32_e64 s4, 0, v26
	v_add_co_u32 v16, vcc_lo, s25, v3
	v_add_co_ci_u32_e64 v17, null, s45, v4, vcc_lo
	v_lshlrev_b64 v[3:4], 1, v[7:8]
	v_add_co_u32 v18, vcc_lo, s25, v5
	v_mov_b32_e32 v5, 0
	v_add_co_ci_u32_e64 v19, null, s45, v6, vcc_lo
	v_add_co_u32 v20, vcc_lo, s25, v3
	v_mov_b32_e32 v6, v5
	v_mov_b32_e32 v7, v5
	v_mov_b32_e32 v8, v5
	v_add_co_ci_u32_e64 v21, null, s45, v4, vcc_lo
	v_add_co_u32 v22, vcc_lo, s8, v1
	v_add_co_ci_u32_e64 v23, null, s9, v2, vcc_lo
	v_mov_b32_e32 v1, v5
	v_lshlrev_b32_e32 v39, 2, v26
	v_and_b32_e32 v40, 28, v31
	v_cmp_eq_u32_e64 s5, 0, v0
	v_mov_b32_e32 v24, v9
	v_mov_b32_e32 v2, v6
	v_mov_b32_e32 v3, v7
	v_mov_b32_e32 v4, v8
	s_lshl_b64 s[34:35], s[26:27], 1
	s_lshl_b64 s[36:37], s[22:23], 3
	;; [unrolled: 1-line block ×4, first 2 shown]
	s_mul_hi_i32 s50, s22, 6
	s_mul_i32 s51, s22, 6
	s_branch .LBB577_9
.LBB577_8:                              ;   in Loop: Header=BB577_9 Depth=1
	s_or_b32 exec_lo, exec_lo, s8
	v_add_co_u32 v24, vcc_lo, v24, s36
	v_add_co_ci_u32_e64 v25, null, s37, v25, vcc_lo
	s_add_i32 s7, s7, 4
	s_cmp_ge_i32 s7, s46
	s_cbranch_scc1 .LBB577_56
.LBB577_9:                              ; =>This Loop Header: Depth=1
                                        ;     Child Loop BB577_40 Depth 2
                                        ;     Child Loop BB577_43 Depth 2
                                        ; implicit-def: $vgpr8
                                        ; implicit-def: $vgpr41
                                        ; implicit-def: $vgpr42
                                        ; implicit-def: $vgpr43
	s_and_saveexec_b32 s8, s2
	s_xor_b32 s8, exec_lo, s8
	s_cbranch_execnz .LBB577_36
; %bb.10:                               ;   in Loop: Header=BB577_9 Depth=1
	s_andn2_saveexec_b32 s52, s8
	s_cbranch_execnz .LBB577_37
.LBB577_11:                             ;   in Loop: Header=BB577_9 Depth=1
	s_or_b32 exec_lo, exec_lo, s52
	s_and_saveexec_b32 s8, s0
.LBB577_12:                             ;   in Loop: Header=BB577_9 Depth=1
	ds_write_b32 v39, v5
.LBB577_13:                             ;   in Loop: Header=BB577_9 Depth=1
	s_or_b32 exec_lo, exec_lo, s8
	ds_bpermute_b32 v6, v34, v43
	s_waitcnt lgkmcnt(0)
	s_waitcnt_vscnt null, 0x0
	s_barrier
	buffer_gl0_inv
	v_add_f32_e32 v6, v43, v6
	ds_bpermute_b32 v7, v35, v6
	s_waitcnt lgkmcnt(0)
	v_add_f32_e32 v6, v6, v7
	ds_bpermute_b32 v7, v36, v6
	s_waitcnt lgkmcnt(0)
	;; [unrolled: 3-line block ×3, first 2 shown]
	v_add_f32_e32 v6, v6, v7
	ds_bpermute_b32 v7, v38, v6
	s_and_saveexec_b32 s8, s4
	s_cbranch_execz .LBB577_15
; %bb.14:                               ;   in Loop: Header=BB577_9 Depth=1
	s_waitcnt lgkmcnt(0)
	v_add_f32_e32 v6, v6, v7
	ds_write_b32 v40, v6
.LBB577_15:                             ;   in Loop: Header=BB577_9 Depth=1
	s_or_b32 exec_lo, exec_lo, s8
	v_mov_b32_e32 v6, 0
	s_waitcnt lgkmcnt(0)
	s_barrier
	buffer_gl0_inv
	s_and_saveexec_b32 s8, s1
	s_cbranch_execnz .LBB577_44
; %bb.16:                               ;   in Loop: Header=BB577_9 Depth=1
	s_or_b32 exec_lo, exec_lo, s8
	s_and_saveexec_b32 s8, s0
	s_cbranch_execnz .LBB577_45
.LBB577_17:                             ;   in Loop: Header=BB577_9 Depth=1
	s_or_b32 exec_lo, exec_lo, s8
	s_and_saveexec_b32 s8, s0
.LBB577_18:                             ;   in Loop: Header=BB577_9 Depth=1
	ds_write_b32 v39, v5
.LBB577_19:                             ;   in Loop: Header=BB577_9 Depth=1
	s_or_b32 exec_lo, exec_lo, s8
	ds_bpermute_b32 v7, v34, v42
	s_waitcnt lgkmcnt(0)
	s_barrier
	buffer_gl0_inv
	v_add_f32_e32 v7, v42, v7
	ds_bpermute_b32 v42, v35, v7
	s_waitcnt lgkmcnt(0)
	v_add_f32_e32 v7, v7, v42
	ds_bpermute_b32 v42, v36, v7
	s_waitcnt lgkmcnt(0)
	;; [unrolled: 3-line block ×3, first 2 shown]
	v_add_f32_e32 v7, v7, v42
	ds_bpermute_b32 v42, v38, v7
	s_and_saveexec_b32 s8, s4
	s_cbranch_execz .LBB577_21
; %bb.20:                               ;   in Loop: Header=BB577_9 Depth=1
	s_waitcnt lgkmcnt(0)
	v_add_f32_e32 v7, v7, v42
	ds_write_b32 v40, v7
.LBB577_21:                             ;   in Loop: Header=BB577_9 Depth=1
	s_or_b32 exec_lo, exec_lo, s8
	v_mov_b32_e32 v7, 0
	s_waitcnt lgkmcnt(0)
	s_barrier
	buffer_gl0_inv
	s_and_saveexec_b32 s8, s1
	s_cbranch_execnz .LBB577_46
; %bb.22:                               ;   in Loop: Header=BB577_9 Depth=1
	s_or_b32 exec_lo, exec_lo, s8
	s_and_saveexec_b32 s8, s0
	s_cbranch_execnz .LBB577_47
.LBB577_23:                             ;   in Loop: Header=BB577_9 Depth=1
	s_or_b32 exec_lo, exec_lo, s8
	s_and_saveexec_b32 s8, s0
.LBB577_24:                             ;   in Loop: Header=BB577_9 Depth=1
	ds_write_b32 v39, v5
.LBB577_25:                             ;   in Loop: Header=BB577_9 Depth=1
	s_or_b32 exec_lo, exec_lo, s8
	ds_bpermute_b32 v42, v34, v41
	s_waitcnt lgkmcnt(0)
	s_barrier
	buffer_gl0_inv
	v_add_f32_e32 v41, v41, v42
	ds_bpermute_b32 v42, v35, v41
	s_waitcnt lgkmcnt(0)
	v_add_f32_e32 v41, v41, v42
	ds_bpermute_b32 v42, v36, v41
	s_waitcnt lgkmcnt(0)
	;; [unrolled: 3-line block ×3, first 2 shown]
	v_add_f32_e32 v41, v41, v42
	ds_bpermute_b32 v42, v38, v41
	s_and_saveexec_b32 s8, s4
	s_cbranch_execz .LBB577_27
; %bb.26:                               ;   in Loop: Header=BB577_9 Depth=1
	s_waitcnt lgkmcnt(0)
	v_add_f32_e32 v41, v41, v42
	ds_write_b32 v40, v41
.LBB577_27:                             ;   in Loop: Header=BB577_9 Depth=1
	s_or_b32 exec_lo, exec_lo, s8
	v_mov_b32_e32 v41, 0
	s_waitcnt lgkmcnt(0)
	s_barrier
	buffer_gl0_inv
	s_and_saveexec_b32 s8, s1
	s_cbranch_execnz .LBB577_48
; %bb.28:                               ;   in Loop: Header=BB577_9 Depth=1
	s_or_b32 exec_lo, exec_lo, s8
	s_and_saveexec_b32 s8, s0
	s_cbranch_execnz .LBB577_49
.LBB577_29:                             ;   in Loop: Header=BB577_9 Depth=1
	s_or_b32 exec_lo, exec_lo, s8
	s_and_saveexec_b32 s8, s0
.LBB577_30:                             ;   in Loop: Header=BB577_9 Depth=1
	ds_write_b32 v39, v5
.LBB577_31:                             ;   in Loop: Header=BB577_9 Depth=1
	s_or_b32 exec_lo, exec_lo, s8
	ds_bpermute_b32 v42, v34, v8
	s_waitcnt lgkmcnt(0)
	s_barrier
	buffer_gl0_inv
	v_add_f32_e32 v8, v8, v42
	ds_bpermute_b32 v42, v35, v8
	s_waitcnt lgkmcnt(0)
	v_add_f32_e32 v8, v8, v42
	ds_bpermute_b32 v42, v36, v8
	s_waitcnt lgkmcnt(0)
	;; [unrolled: 3-line block ×3, first 2 shown]
	v_add_f32_e32 v8, v8, v42
	ds_bpermute_b32 v42, v38, v8
	s_and_saveexec_b32 s8, s4
	s_cbranch_execz .LBB577_33
; %bb.32:                               ;   in Loop: Header=BB577_9 Depth=1
	s_waitcnt lgkmcnt(0)
	v_add_f32_e32 v8, v8, v42
	ds_write_b32 v40, v8
.LBB577_33:                             ;   in Loop: Header=BB577_9 Depth=1
	s_or_b32 exec_lo, exec_lo, s8
	v_mov_b32_e32 v8, 0
	s_waitcnt lgkmcnt(0)
	s_barrier
	buffer_gl0_inv
	s_and_saveexec_b32 s8, s1
	s_cbranch_execnz .LBB577_50
; %bb.34:                               ;   in Loop: Header=BB577_9 Depth=1
	s_or_b32 exec_lo, exec_lo, s8
	s_and_saveexec_b32 s8, s0
	s_cbranch_execnz .LBB577_51
.LBB577_35:                             ;   in Loop: Header=BB577_9 Depth=1
	s_or_b32 exec_lo, exec_lo, s8
	s_and_saveexec_b32 s8, s5
	s_cbranch_execz .LBB577_8
	s_branch .LBB577_52
.LBB577_36:                             ;   in Loop: Header=BB577_9 Depth=1
	s_mul_i32 s9, s7, s23
	s_mul_hi_u32 s43, s7, s22
	s_mul_i32 s42, s7, s22
	s_add_i32 s43, s43, s9
	s_or_b32 s9, s7, 1
	s_lshl_b64 s[42:43], s[42:43], 1
	v_add_co_u32 v1, vcc_lo, v9, s42
	v_add_co_ci_u32_e64 v2, null, s43, v10, vcc_lo
	s_mul_i32 s42, s9, s23
	s_mul_hi_u32 s43, s9, s22
	s_add_i32 s43, s43, s42
	s_mul_i32 s42, s9, s22
	s_or_b32 s9, s7, 2
	s_lshl_b64 s[42:43], s[42:43], 1
	global_load_dwordx2 v[6:7], v[1:2], off
	s_mul_i32 s52, s9, s23
	s_mul_hi_u32 s53, s9, s22
	v_add_co_u32 v1, vcc_lo, v9, s42
	v_add_co_ci_u32_e64 v2, null, s43, v10, vcc_lo
	s_add_i32 s43, s53, s52
	s_or_b32 s52, s7, 3
	s_mul_i32 s42, s9, s22
	s_mul_i32 s9, s52, s23
	s_mul_hi_u32 s53, s52, s22
	s_lshl_b64 s[42:43], s[42:43], 1
	s_add_i32 s53, s53, s9
	s_mul_i32 s52, s52, s22
	v_add_co_u32 v3, vcc_lo, v9, s42
	v_add_co_ci_u32_e64 v4, null, s43, v10, vcc_lo
	s_lshl_b64 s[42:43], s[52:53], 1
	s_waitcnt lgkmcnt(0)
	s_clause 0x3
	global_load_ushort v8, v[14:15], off
	global_load_ushort v49, v[16:17], off
	global_load_ushort v50, v[18:19], off
	global_load_ushort v51, v[20:21], off
	v_add_co_u32 v41, vcc_lo, v9, s42
	v_add_co_ci_u32_e64 v42, null, s43, v10, vcc_lo
	s_clause 0x2
	global_load_dwordx2 v[43:44], v[1:2], off
	global_load_dwordx2 v[45:46], v[3:4], off
	;; [unrolled: 1-line block ×3, first 2 shown]
	s_waitcnt vmcnt(6)
	v_lshlrev_b32_e32 v1, 16, v8
	v_lshlrev_b32_e32 v8, 16, v6
	s_waitcnt vmcnt(4)
	v_lshlrev_b32_e32 v3, 16, v50
	v_lshlrev_b32_e32 v2, 16, v49
	s_waitcnt vmcnt(3)
	v_lshlrev_b32_e32 v4, 16, v51
	v_and_b32_e32 v6, 0xffff0000, v6
	v_lshlrev_b32_e32 v49, 16, v7
	s_waitcnt vmcnt(2)
	v_lshlrev_b32_e32 v41, 16, v43
	s_waitcnt vmcnt(1)
	;; [unrolled: 2-line block ×3, first 2 shown]
	v_and_b32_e32 v52, 0xffff0000, v47
	v_lshlrev_b32_e32 v47, 16, v47
	v_and_b32_e32 v51, 0xffff0000, v43
	v_and_b32_e32 v45, 0xffff0000, v45
	v_fma_f32 v43, v1, v8, 0
	v_fma_f32 v42, v1, v41, 0
	;; [unrolled: 1-line block ×4, first 2 shown]
	v_lshlrev_b32_e32 v53, 16, v44
	v_lshlrev_b32_e32 v54, 16, v46
	;; [unrolled: 1-line block ×3, first 2 shown]
	v_fmac_f32_e32 v43, v2, v6
	v_fmac_f32_e32 v42, v2, v51
	;; [unrolled: 1-line block ×4, first 2 shown]
	v_and_b32_e32 v7, 0xffff0000, v7
	v_and_b32_e32 v44, 0xffff0000, v44
	;; [unrolled: 1-line block ×4, first 2 shown]
	v_fmac_f32_e32 v43, v3, v49
	v_fmac_f32_e32 v42, v3, v53
	;; [unrolled: 1-line block ×8, first 2 shown]
	s_andn2_saveexec_b32 s52, s8
	s_cbranch_execz .LBB577_11
.LBB577_37:                             ;   in Loop: Header=BB577_9 Depth=1
	s_waitcnt lgkmcnt(0)
	v_mov_b32_e32 v8, 0
	v_mov_b32_e32 v41, 0
	;; [unrolled: 1-line block ×4, first 2 shown]
	s_and_saveexec_b32 s53, s3
	s_cbranch_execz .LBB577_54
; %bb.38:                               ;   in Loop: Header=BB577_9 Depth=1
	s_andn2_b32 vcc_lo, exec_lo, s47
	s_cbranch_vccnz .LBB577_41
; %bb.39:                               ;   in Loop: Header=BB577_9 Depth=1
	v_mov_b32_e32 v6, v22
	v_mov_b32_e32 v7, v23
	s_mov_b64 s[42:43], 0
	.p2align	6
.LBB577_40:                             ;   Parent Loop BB577_9 Depth=1
                                        ; =>  This Inner Loop Header: Depth=2
	global_load_ushort v8, v[6:7], off
	s_cmp_eq_u32 s42, 3
	v_add_co_u32 v6, vcc_lo, v6, s34
	v_add_co_ci_u32_e64 v7, null, s35, v7, vcc_lo
	s_cselect_b32 vcc_lo, -1, 0
	s_cmp_eq_u32 s42, 2
	s_cselect_b32 s8, -1, 0
	s_cmp_eq_u32 s42, 1
	s_cselect_b32 s9, -1, 0
	s_cmp_eq_u32 s42, 0
	s_waitcnt vmcnt(0)
	v_lshlrev_b32_e32 v8, 16, v8
	v_cndmask_b32_e32 v4, v4, v8, vcc_lo
	s_cselect_b32 vcc_lo, -1, 0
	v_cndmask_b32_e64 v3, v3, v8, s8
	v_cndmask_b32_e64 v2, v2, v8, s9
	v_cndmask_b32_e32 v1, v1, v8, vcc_lo
	s_add_u32 s42, s42, 1
	s_addc_u32 s43, s43, 0
	s_cmp_eq_u32 s15, s42
	s_cbranch_scc0 .LBB577_40
.LBB577_41:                             ;   in Loop: Header=BB577_9 Depth=1
	s_andn2_b32 vcc_lo, exec_lo, s47
	s_cbranch_vccnz .LBB577_53
; %bb.42:                               ;   in Loop: Header=BB577_9 Depth=1
	v_mov_b32_e32 v6, v24
	v_mov_b32_e32 v43, 0
	;; [unrolled: 1-line block ×6, first 2 shown]
	s_mov_b64 s[42:43], 0
	s_inst_prefetch 0x1
	.p2align	6
.LBB577_43:                             ;   Parent Loop BB577_9 Depth=1
                                        ; =>  This Inner Loop Header: Depth=2
	v_add_co_u32 v44, vcc_lo, v6, s38
	v_add_co_ci_u32_e64 v45, null, s39, v7, vcc_lo
	v_add_co_u32 v46, vcc_lo, v6, s40
	v_add_co_ci_u32_e64 v47, null, s41, v7, vcc_lo
	v_add_co_u32 v48, vcc_lo, v6, s51
	v_add_co_ci_u32_e64 v49, null, s50, v7, vcc_lo
	s_clause 0x3
	global_load_ushort v50, v[6:7], off
	global_load_ushort v44, v[44:45], off
	;; [unrolled: 1-line block ×4, first 2 shown]
	s_cmp_eq_u32 s42, 1
	v_add_co_u32 v6, s8, v6, 2
	s_cselect_b32 vcc_lo, -1, 0
	s_cmp_eq_u32 s42, 2
	v_cndmask_b32_e32 v47, v1, v2, vcc_lo
	s_cselect_b32 vcc_lo, -1, 0
	s_cmp_eq_u32 s42, 3
	v_add_co_ci_u32_e64 v7, null, 0, v7, s8
	v_cndmask_b32_e32 v47, v47, v3, vcc_lo
	s_cselect_b32 vcc_lo, -1, 0
	s_add_u32 s42, s42, 1
	s_addc_u32 s43, s43, 0
	s_cmp_lg_u32 s15, s42
	v_cndmask_b32_e32 v47, v47, v4, vcc_lo
	s_waitcnt vmcnt(3)
	v_lshlrev_b32_e32 v48, 16, v50
	s_waitcnt vmcnt(2)
	v_lshlrev_b32_e32 v44, 16, v44
	;; [unrolled: 2-line block ×4, first 2 shown]
	v_fmac_f32_e32 v43, v47, v48
	v_fmac_f32_e32 v42, v47, v44
	;; [unrolled: 1-line block ×4, first 2 shown]
	s_cbranch_scc1 .LBB577_43
	s_branch .LBB577_54
.LBB577_44:                             ;   in Loop: Header=BB577_9 Depth=1
	ds_read_b32 v6, v39
	s_or_b32 exec_lo, exec_lo, s8
	s_and_saveexec_b32 s8, s0
	s_cbranch_execz .LBB577_17
.LBB577_45:                             ;   in Loop: Header=BB577_9 Depth=1
	s_waitcnt lgkmcnt(0)
	ds_bpermute_b32 v7, v36, v6
	s_waitcnt lgkmcnt(0)
	v_add_f32_e32 v6, v6, v7
	ds_bpermute_b32 v7, v37, v6
	s_waitcnt lgkmcnt(0)
	v_add_f32_e32 v6, v6, v7
	;; [unrolled: 3-line block ×3, first 2 shown]
	s_or_b32 exec_lo, exec_lo, s8
	s_and_saveexec_b32 s8, s0
	s_cbranch_execnz .LBB577_18
	s_branch .LBB577_19
.LBB577_46:                             ;   in Loop: Header=BB577_9 Depth=1
	ds_read_b32 v7, v39
	s_or_b32 exec_lo, exec_lo, s8
	s_and_saveexec_b32 s8, s0
	s_cbranch_execz .LBB577_23
.LBB577_47:                             ;   in Loop: Header=BB577_9 Depth=1
	s_waitcnt lgkmcnt(0)
	ds_bpermute_b32 v42, v36, v7
	s_waitcnt lgkmcnt(0)
	v_add_f32_e32 v7, v7, v42
	ds_bpermute_b32 v42, v37, v7
	s_waitcnt lgkmcnt(0)
	v_add_f32_e32 v7, v7, v42
	;; [unrolled: 3-line block ×3, first 2 shown]
	s_or_b32 exec_lo, exec_lo, s8
	s_and_saveexec_b32 s8, s0
	s_cbranch_execnz .LBB577_24
	s_branch .LBB577_25
.LBB577_48:                             ;   in Loop: Header=BB577_9 Depth=1
	ds_read_b32 v41, v39
	s_or_b32 exec_lo, exec_lo, s8
	s_and_saveexec_b32 s8, s0
	s_cbranch_execz .LBB577_29
.LBB577_49:                             ;   in Loop: Header=BB577_9 Depth=1
	s_waitcnt lgkmcnt(0)
	ds_bpermute_b32 v42, v36, v41
	s_waitcnt lgkmcnt(0)
	v_add_f32_e32 v41, v41, v42
	ds_bpermute_b32 v42, v37, v41
	s_waitcnt lgkmcnt(0)
	v_add_f32_e32 v41, v41, v42
	ds_bpermute_b32 v42, v38, v41
	s_waitcnt lgkmcnt(0)
	v_add_f32_e32 v41, v41, v42
	s_or_b32 exec_lo, exec_lo, s8
	s_and_saveexec_b32 s8, s0
	s_cbranch_execnz .LBB577_30
	s_branch .LBB577_31
.LBB577_50:                             ;   in Loop: Header=BB577_9 Depth=1
	ds_read_b32 v8, v39
	s_or_b32 exec_lo, exec_lo, s8
	s_and_saveexec_b32 s8, s0
	s_cbranch_execz .LBB577_35
.LBB577_51:                             ;   in Loop: Header=BB577_9 Depth=1
	s_waitcnt lgkmcnt(0)
	ds_bpermute_b32 v42, v36, v8
	s_waitcnt lgkmcnt(0)
	v_add_f32_e32 v8, v8, v42
	ds_bpermute_b32 v42, v37, v8
	s_waitcnt lgkmcnt(0)
	v_add_f32_e32 v8, v8, v42
	;; [unrolled: 3-line block ×3, first 2 shown]
	s_or_b32 exec_lo, exec_lo, s8
	s_and_saveexec_b32 s8, s5
	s_cbranch_execz .LBB577_8
.LBB577_52:                             ;   in Loop: Header=BB577_9 Depth=1
	s_mul_hi_u32 s43, s7, s24
	s_mul_i32 s42, s7, s24
	v_mul_f32_e32 v6, s14, v6
	s_lshl_b64 s[42:43], s[42:43], 2
	v_mul_f32_e32 v7, s14, v7
	s_add_u32 s42, s48, s42
	s_addc_u32 s43, s49, s43
	s_or_b32 s9, s7, 1
	global_store_dword v5, v6, s[42:43]
	s_mul_hi_u32 s53, s9, s24
	s_mul_i32 s52, s9, s24
	v_mul_f32_e32 v6, s14, v41
	s_lshl_b64 s[52:53], s[52:53], 2
	s_waitcnt lgkmcnt(0)
	v_mul_f32_e32 v8, s14, v8
	s_add_u32 s52, s48, s52
	s_addc_u32 s53, s49, s53
	s_or_b32 s9, s7, 2
	global_store_dword v5, v7, s[52:53]
	s_mul_hi_u32 s55, s9, s24
	s_mul_i32 s54, s9, s24
	s_lshl_b64 s[54:55], s[54:55], 2
	s_add_u32 s42, s48, s54
	s_addc_u32 s43, s49, s55
	s_or_b32 s9, s7, 3
	s_mul_hi_u32 s55, s9, s24
	s_mul_i32 s54, s9, s24
	s_lshl_b64 s[54:55], s[54:55], 2
	s_add_u32 s52, s48, s54
	s_addc_u32 s53, s49, s55
	global_store_dword v5, v6, s[42:43]
	global_store_dword v5, v8, s[52:53]
	s_branch .LBB577_8
.LBB577_53:                             ;   in Loop: Header=BB577_9 Depth=1
	v_mov_b32_e32 v8, 0
	v_mov_b32_e32 v41, 0
	;; [unrolled: 1-line block ×4, first 2 shown]
.LBB577_54:                             ;   in Loop: Header=BB577_9 Depth=1
	s_inst_prefetch 0x2
	s_or_b32 exec_lo, exec_lo, s53
	s_or_b32 exec_lo, exec_lo, s52
	s_and_saveexec_b32 s8, s0
	s_cbranch_execnz .LBB577_12
	s_branch .LBB577_13
.LBB577_55:
	v_mov_b32_e32 v1, 0
	s_mov_b32 s7, 0
	v_mov_b32_e32 v2, v1
	v_mov_b32_e32 v3, v1
	;; [unrolled: 1-line block ×3, first 2 shown]
.LBB577_56:
	s_cmp_ge_i32 s7, s13
	s_cbranch_scc1 .LBB577_80
; %bb.57:
	v_cmp_gt_u32_e32 vcc_lo, 24, v29
	v_lshl_or_b32 v22, v29, 2, 64
	v_mad_i64_i32 v[15:16], null, s26, v27, 0
	s_cmp_gt_i32 s15, 0
	v_cndmask_b32_e64 v5, 0, 8, vcc_lo
	v_cmp_gt_u32_e32 vcc_lo, 28, v29
	s_mov_b32 s9, 0
	s_mov_b32 s8, s6
	v_cmp_ge_i32_e64 s0, s12, v32
	v_add_lshl_u32 v23, v5, v29, 2
	v_cndmask_b32_e64 v6, 0, 4, vcc_lo
	v_cmp_gt_u32_e32 vcc_lo, 30, v29
	v_cmp_ge_i32_e64 s1, s12, v33
	s_cselect_b32 s12, -1, 0
	s_lshl_b64 s[34:35], s[8:9], 2
	v_add_lshl_u32 v24, v6, v29, 2
	v_cndmask_b32_e64 v7, 0, 2, vcc_lo
	v_cmp_ne_u32_e32 vcc_lo, 31, v29
	v_mad_i64_i32 v[5:6], null, s26, v13, 0
	v_mad_i64_i32 v[13:14], null, s26, v28, 0
	s_waitcnt lgkmcnt(0)
	v_add_co_ci_u32_e64 v8, null, 0, v29, vcc_lo
	v_add_lshl_u32 v25, v7, v29, 2
	s_add_u32 s33, s33, s34
	v_lshlrev_b64 v[17:18], 1, v[5:6]
	v_lshlrev_b32_e32 v29, 2, v8
	v_mad_i64_i32 v[7:8], null, s26, v30, 0
	v_lshlrev_b64 v[13:14], 1, v[13:14]
	v_lshlrev_b64 v[15:16], 1, v[15:16]
	v_add_co_u32 v5, vcc_lo, s25, v17
	s_addc_u32 s34, s44, s35
	v_add_co_ci_u32_e64 v6, null, s45, v18, vcc_lo
	v_lshlrev_b64 v[7:8], 1, v[7:8]
	s_add_u32 s6, s10, s30
	s_addc_u32 s8, s11, s31
	s_mul_i32 s10, s23, s7
	s_mul_hi_u32 s11, s22, s7
	s_add_u32 s6, s6, s20
	v_add_co_u32 v7, vcc_lo, s25, v7
	v_add_co_ci_u32_e64 v8, null, s45, v8, vcc_lo
	v_add_co_u32 v13, vcc_lo, s25, v13
	s_addc_u32 s8, s8, s21
	s_add_i32 s11, s11, s10
	s_mul_i32 s10, s22, s7
	v_add_co_ci_u32_e64 v14, null, s45, v14, vcc_lo
	v_add_co_u32 v15, vcc_lo, s25, v15
	s_lshl_b64 s[20:21], s[10:11], 1
	v_add_co_ci_u32_e64 v16, null, s45, v16, vcc_lo
	v_add_co_u32 v17, vcc_lo, s6, v17
	s_lshl_b64 s[10:11], s[26:27], 1
	s_add_u32 s6, s28, s20
	v_add_co_ci_u32_e64 v18, null, s8, v18, vcc_lo
	s_addc_u32 s8, s29, s21
	s_add_u32 s6, s6, s18
	s_addc_u32 s8, s8, s19
	s_add_u32 s6, s16, s6
	s_addc_u32 s8, s17, s8
	v_add_co_u32 v11, vcc_lo, s6, v11
	v_cmp_gt_u32_e64 s2, 32, v0
	v_lshlrev_b32_e32 v21, 2, v26
	v_cmp_eq_u32_e64 s3, 0, v26
	v_and_b32_e32 v26, 28, v31
	v_cmp_gt_u32_e64 s4, 8, v0
	v_cmp_eq_u32_e64 s5, 0, v0
	v_add_co_ci_u32_e64 v12, null, s8, v12, vcc_lo
	v_mov_b32_e32 v0, 0
	s_lshl_b64 s[16:17], s[22:23], 1
	s_branch .LBB577_59
.LBB577_58:                             ;   in Loop: Header=BB577_59 Depth=1
	s_or_b32 exec_lo, exec_lo, s6
	v_add_co_u32 v11, vcc_lo, v11, s16
	v_add_co_ci_u32_e64 v12, null, s17, v12, vcc_lo
	s_add_i32 s7, s7, 1
	s_cmp_ge_i32 s7, s13
	s_cbranch_scc1 .LBB577_80
.LBB577_59:                             ; =>This Loop Header: Depth=1
                                        ;     Child Loop BB577_72 Depth 2
                                        ;     Child Loop BB577_75 Depth 2
	v_mov_b32_e32 v27, s9
	s_and_saveexec_b32 s6, s0
	s_xor_b32 s6, exec_lo, s6
	s_cbranch_execnz .LBB577_68
; %bb.60:                               ;   in Loop: Header=BB577_59 Depth=1
	s_andn2_saveexec_b32 s20, s6
	s_cbranch_execnz .LBB577_69
.LBB577_61:                             ;   in Loop: Header=BB577_59 Depth=1
	s_or_b32 exec_lo, exec_lo, s20
	s_and_saveexec_b32 s6, s2
.LBB577_62:                             ;   in Loop: Header=BB577_59 Depth=1
	ds_write_b32 v21, v0
.LBB577_63:                             ;   in Loop: Header=BB577_59 Depth=1
	s_or_b32 exec_lo, exec_lo, s6
	s_waitcnt lgkmcnt(0)
	ds_bpermute_b32 v19, v22, v27
	s_waitcnt lgkmcnt(0)
	s_waitcnt_vscnt null, 0x0
	s_barrier
	buffer_gl0_inv
	v_add_f32_e32 v19, v27, v19
	ds_bpermute_b32 v20, v23, v19
	s_waitcnt lgkmcnt(0)
	v_add_f32_e32 v19, v19, v20
	ds_bpermute_b32 v20, v24, v19
	s_waitcnt lgkmcnt(0)
	;; [unrolled: 3-line block ×3, first 2 shown]
	v_add_f32_e32 v19, v19, v20
	ds_bpermute_b32 v20, v29, v19
	s_and_saveexec_b32 s6, s3
	s_cbranch_execz .LBB577_65
; %bb.64:                               ;   in Loop: Header=BB577_59 Depth=1
	s_waitcnt lgkmcnt(0)
	v_add_f32_e32 v19, v19, v20
	ds_write_b32 v26, v19
.LBB577_65:                             ;   in Loop: Header=BB577_59 Depth=1
	s_or_b32 exec_lo, exec_lo, s6
	v_mov_b32_e32 v19, 0
	s_waitcnt lgkmcnt(0)
	s_barrier
	buffer_gl0_inv
	s_and_saveexec_b32 s6, s4
	s_cbranch_execnz .LBB577_77
; %bb.66:                               ;   in Loop: Header=BB577_59 Depth=1
	s_or_b32 exec_lo, exec_lo, s6
	s_and_saveexec_b32 s6, s2
	s_cbranch_execnz .LBB577_78
.LBB577_67:                             ;   in Loop: Header=BB577_59 Depth=1
	s_or_b32 exec_lo, exec_lo, s6
	s_and_saveexec_b32 s6, s5
	s_cbranch_execz .LBB577_58
	s_branch .LBB577_79
.LBB577_68:                             ;   in Loop: Header=BB577_59 Depth=1
	s_mul_i32 s8, s7, s23
	s_mul_hi_u32 s19, s7, s22
	s_mul_i32 s18, s7, s22
	s_add_i32 s19, s19, s8
	s_lshl_b64 s[18:19], s[18:19], 1
	v_add_co_u32 v1, vcc_lo, v9, s18
	v_add_co_ci_u32_e64 v2, null, s19, v10, vcc_lo
	global_load_ushort v3, v[5:6], off
	s_waitcnt lgkmcnt(0)
	global_load_dwordx2 v[19:20], v[1:2], off
	s_clause 0x2
	global_load_ushort v2, v[7:8], off
	global_load_ushort v4, v[13:14], off
	;; [unrolled: 1-line block ×3, first 2 shown]
	s_waitcnt vmcnt(4)
	v_lshlrev_b32_e32 v1, 16, v3
	s_waitcnt vmcnt(3)
	v_lshlrev_b32_e32 v3, 16, v19
	;; [unrolled: 2-line block ×3, first 2 shown]
	v_and_b32_e32 v19, 0xffff0000, v19
	v_fma_f32 v27, v1, v3, 0
	s_waitcnt vmcnt(1)
	v_lshlrev_b32_e32 v3, 16, v4
	s_waitcnt vmcnt(0)
	v_lshlrev_b32_e32 v4, 16, v28
	v_fmac_f32_e32 v27, v2, v19
	v_lshlrev_b32_e32 v19, 16, v20
	v_and_b32_e32 v20, 0xffff0000, v20
	v_fmac_f32_e32 v27, v3, v19
	v_fmac_f32_e32 v27, v4, v20
	s_andn2_saveexec_b32 s20, s6
	s_cbranch_execz .LBB577_61
.LBB577_69:                             ;   in Loop: Header=BB577_59 Depth=1
	s_and_saveexec_b32 s21, s1
	s_cbranch_execz .LBB577_76
; %bb.70:                               ;   in Loop: Header=BB577_59 Depth=1
	s_andn2_b32 vcc_lo, exec_lo, s12
	s_cbranch_vccnz .LBB577_73
; %bb.71:                               ;   in Loop: Header=BB577_59 Depth=1
	s_waitcnt lgkmcnt(0)
	v_mov_b32_e32 v20, v18
	v_mov_b32_e32 v19, v17
	s_mov_b64 s[18:19], 0
	.p2align	6
.LBB577_72:                             ;   Parent Loop BB577_59 Depth=1
                                        ; =>  This Inner Loop Header: Depth=2
	global_load_ushort v28, v[19:20], off
	s_cmp_eq_u32 s18, 3
	v_add_co_u32 v19, vcc_lo, v19, s10
	v_add_co_ci_u32_e64 v20, null, s11, v20, vcc_lo
	s_cselect_b32 vcc_lo, -1, 0
	s_cmp_eq_u32 s18, 2
	s_cselect_b32 s6, -1, 0
	s_cmp_eq_u32 s18, 1
	s_cselect_b32 s8, -1, 0
	s_cmp_eq_u32 s18, 0
	s_waitcnt vmcnt(0)
	v_lshlrev_b32_e32 v28, 16, v28
	v_cndmask_b32_e32 v4, v4, v28, vcc_lo
	s_cselect_b32 vcc_lo, -1, 0
	v_cndmask_b32_e64 v3, v3, v28, s6
	v_cndmask_b32_e64 v2, v2, v28, s8
	v_cndmask_b32_e32 v1, v1, v28, vcc_lo
	s_add_u32 s18, s18, 1
	s_addc_u32 s19, s19, 0
	s_cmp_eq_u32 s15, s18
	s_cbranch_scc0 .LBB577_72
.LBB577_73:                             ;   in Loop: Header=BB577_59 Depth=1
	s_andn2_b32 vcc_lo, exec_lo, s12
	s_cbranch_vccnz .LBB577_76
; %bb.74:                               ;   in Loop: Header=BB577_59 Depth=1
	s_waitcnt lgkmcnt(0)
	v_mov_b32_e32 v20, v12
	v_mov_b32_e32 v19, v11
	s_mov_b64 s[18:19], 0
	.p2align	6
.LBB577_75:                             ;   Parent Loop BB577_59 Depth=1
                                        ; =>  This Inner Loop Header: Depth=2
	global_load_ushort v28, v[19:20], off
	s_cmp_eq_u32 s18, 1
	s_cselect_b32 vcc_lo, -1, 0
	s_cmp_eq_u32 s18, 2
	v_cndmask_b32_e32 v30, v1, v2, vcc_lo
	s_cselect_b32 vcc_lo, -1, 0
	s_cmp_eq_u32 s18, 3
	v_cndmask_b32_e32 v30, v30, v3, vcc_lo
	s_cselect_b32 vcc_lo, -1, 0
	s_add_u32 s18, s18, 1
	s_addc_u32 s19, s19, 0
	s_cmp_lg_u32 s15, s18
	v_cndmask_b32_e32 v30, v30, v4, vcc_lo
	v_add_co_u32 v19, vcc_lo, v19, 2
	v_add_co_ci_u32_e64 v20, null, 0, v20, vcc_lo
	s_waitcnt vmcnt(0)
	v_lshlrev_b32_e32 v28, 16, v28
	v_fmac_f32_e32 v27, v30, v28
	s_cbranch_scc1 .LBB577_75
.LBB577_76:                             ;   in Loop: Header=BB577_59 Depth=1
	s_or_b32 exec_lo, exec_lo, s21
	s_or_b32 exec_lo, exec_lo, s20
	s_and_saveexec_b32 s6, s2
	s_cbranch_execnz .LBB577_62
	s_branch .LBB577_63
.LBB577_77:                             ;   in Loop: Header=BB577_59 Depth=1
	ds_read_b32 v19, v21
	s_or_b32 exec_lo, exec_lo, s6
	s_and_saveexec_b32 s6, s2
	s_cbranch_execz .LBB577_67
.LBB577_78:                             ;   in Loop: Header=BB577_59 Depth=1
	s_waitcnt lgkmcnt(0)
	ds_bpermute_b32 v20, v24, v19
	s_waitcnt lgkmcnt(0)
	v_add_f32_e32 v19, v19, v20
	ds_bpermute_b32 v20, v25, v19
	s_waitcnt lgkmcnt(0)
	v_add_f32_e32 v19, v19, v20
	;; [unrolled: 3-line block ×3, first 2 shown]
	s_or_b32 exec_lo, exec_lo, s6
	s_and_saveexec_b32 s6, s5
	s_cbranch_execz .LBB577_58
.LBB577_79:                             ;   in Loop: Header=BB577_59 Depth=1
	s_mul_hi_u32 s19, s7, s24
	s_mul_i32 s18, s7, s24
	s_waitcnt lgkmcnt(0)
	v_mul_f32_e32 v19, s14, v19
	s_lshl_b64 s[18:19], s[18:19], 2
	s_add_u32 s18, s33, s18
	s_addc_u32 s19, s34, s19
	global_store_dword v0, v19, s[18:19]
	s_branch .LBB577_58
.LBB577_80:
	s_endpgm
	.section	.rodata,"a",@progbits
	.p2align	6, 0x0
	.amdhsa_kernel _ZL23rocblas_gemvt_sn_kernelILb1ELi256ELi4El16rocblas_bfloat16ffEviiT4_lPKT3_lilS4_lilPT5_i
		.amdhsa_group_segment_fixed_size 128
		.amdhsa_private_segment_fixed_size 0
		.amdhsa_kernarg_size 360
		.amdhsa_user_sgpr_count 6
		.amdhsa_user_sgpr_private_segment_buffer 1
		.amdhsa_user_sgpr_dispatch_ptr 0
		.amdhsa_user_sgpr_queue_ptr 0
		.amdhsa_user_sgpr_kernarg_segment_ptr 1
		.amdhsa_user_sgpr_dispatch_id 0
		.amdhsa_user_sgpr_flat_scratch_init 0
		.amdhsa_user_sgpr_private_segment_size 0
		.amdhsa_wavefront_size32 1
		.amdhsa_uses_dynamic_stack 0
		.amdhsa_system_sgpr_private_segment_wavefront_offset 0
		.amdhsa_system_sgpr_workgroup_id_x 1
		.amdhsa_system_sgpr_workgroup_id_y 0
		.amdhsa_system_sgpr_workgroup_id_z 1
		.amdhsa_system_sgpr_workgroup_info 0
		.amdhsa_system_vgpr_workitem_id 0
		.amdhsa_next_free_vgpr 55
		.amdhsa_next_free_sgpr 56
		.amdhsa_reserve_vcc 1
		.amdhsa_reserve_flat_scratch 0
		.amdhsa_float_round_mode_32 0
		.amdhsa_float_round_mode_16_64 0
		.amdhsa_float_denorm_mode_32 3
		.amdhsa_float_denorm_mode_16_64 3
		.amdhsa_dx10_clamp 1
		.amdhsa_ieee_mode 1
		.amdhsa_fp16_overflow 0
		.amdhsa_workgroup_processor_mode 1
		.amdhsa_memory_ordered 1
		.amdhsa_forward_progress 1
		.amdhsa_shared_vgpr_count 0
		.amdhsa_exception_fp_ieee_invalid_op 0
		.amdhsa_exception_fp_denorm_src 0
		.amdhsa_exception_fp_ieee_div_zero 0
		.amdhsa_exception_fp_ieee_overflow 0
		.amdhsa_exception_fp_ieee_underflow 0
		.amdhsa_exception_fp_ieee_inexact 0
		.amdhsa_exception_int_div_zero 0
	.end_amdhsa_kernel
	.section	.text._ZL23rocblas_gemvt_sn_kernelILb1ELi256ELi4El16rocblas_bfloat16ffEviiT4_lPKT3_lilS4_lilPT5_i,"axG",@progbits,_ZL23rocblas_gemvt_sn_kernelILb1ELi256ELi4El16rocblas_bfloat16ffEviiT4_lPKT3_lilS4_lilPT5_i,comdat
.Lfunc_end577:
	.size	_ZL23rocblas_gemvt_sn_kernelILb1ELi256ELi4El16rocblas_bfloat16ffEviiT4_lPKT3_lilS4_lilPT5_i, .Lfunc_end577-_ZL23rocblas_gemvt_sn_kernelILb1ELi256ELi4El16rocblas_bfloat16ffEviiT4_lPKT3_lilS4_lilPT5_i
                                        ; -- End function
	.set _ZL23rocblas_gemvt_sn_kernelILb1ELi256ELi4El16rocblas_bfloat16ffEviiT4_lPKT3_lilS4_lilPT5_i.num_vgpr, 55
	.set _ZL23rocblas_gemvt_sn_kernelILb1ELi256ELi4El16rocblas_bfloat16ffEviiT4_lPKT3_lilS4_lilPT5_i.num_agpr, 0
	.set _ZL23rocblas_gemvt_sn_kernelILb1ELi256ELi4El16rocblas_bfloat16ffEviiT4_lPKT3_lilS4_lilPT5_i.numbered_sgpr, 56
	.set _ZL23rocblas_gemvt_sn_kernelILb1ELi256ELi4El16rocblas_bfloat16ffEviiT4_lPKT3_lilS4_lilPT5_i.num_named_barrier, 0
	.set _ZL23rocblas_gemvt_sn_kernelILb1ELi256ELi4El16rocblas_bfloat16ffEviiT4_lPKT3_lilS4_lilPT5_i.private_seg_size, 0
	.set _ZL23rocblas_gemvt_sn_kernelILb1ELi256ELi4El16rocblas_bfloat16ffEviiT4_lPKT3_lilS4_lilPT5_i.uses_vcc, 1
	.set _ZL23rocblas_gemvt_sn_kernelILb1ELi256ELi4El16rocblas_bfloat16ffEviiT4_lPKT3_lilS4_lilPT5_i.uses_flat_scratch, 0
	.set _ZL23rocblas_gemvt_sn_kernelILb1ELi256ELi4El16rocblas_bfloat16ffEviiT4_lPKT3_lilS4_lilPT5_i.has_dyn_sized_stack, 0
	.set _ZL23rocblas_gemvt_sn_kernelILb1ELi256ELi4El16rocblas_bfloat16ffEviiT4_lPKT3_lilS4_lilPT5_i.has_recursion, 0
	.set _ZL23rocblas_gemvt_sn_kernelILb1ELi256ELi4El16rocblas_bfloat16ffEviiT4_lPKT3_lilS4_lilPT5_i.has_indirect_call, 0
	.section	.AMDGPU.csdata,"",@progbits
; Kernel info:
; codeLenInByte = 4332
; TotalNumSgprs: 58
; NumVgprs: 55
; ScratchSize: 0
; MemoryBound: 0
; FloatMode: 240
; IeeeMode: 1
; LDSByteSize: 128 bytes/workgroup (compile time only)
; SGPRBlocks: 0
; VGPRBlocks: 6
; NumSGPRsForWavesPerEU: 58
; NumVGPRsForWavesPerEU: 55
; Occupancy: 16
; WaveLimiterHint : 1
; COMPUTE_PGM_RSRC2:SCRATCH_EN: 0
; COMPUTE_PGM_RSRC2:USER_SGPR: 6
; COMPUTE_PGM_RSRC2:TRAP_HANDLER: 0
; COMPUTE_PGM_RSRC2:TGID_X_EN: 1
; COMPUTE_PGM_RSRC2:TGID_Y_EN: 0
; COMPUTE_PGM_RSRC2:TGID_Z_EN: 1
; COMPUTE_PGM_RSRC2:TIDIG_COMP_CNT: 0
	.section	.text._ZL20rocblas_gemvt_kernelILb1ELi256E16rocblas_bfloat16PKfS0_EviiT2_lPKT1_lilS6_lilS3_lPT3_lili,"axG",@progbits,_ZL20rocblas_gemvt_kernelILb1ELi256E16rocblas_bfloat16PKfS0_EviiT2_lPKT1_lilS6_lilS3_lPT3_lili,comdat
	.globl	_ZL20rocblas_gemvt_kernelILb1ELi256E16rocblas_bfloat16PKfS0_EviiT2_lPKT1_lilS6_lilS3_lPT3_lili ; -- Begin function _ZL20rocblas_gemvt_kernelILb1ELi256E16rocblas_bfloat16PKfS0_EviiT2_lPKT1_lilS6_lilS3_lPT3_lili
	.p2align	8
	.type	_ZL20rocblas_gemvt_kernelILb1ELi256E16rocblas_bfloat16PKfS0_EviiT2_lPKT1_lilS6_lilS3_lPT3_lili,@function
_ZL20rocblas_gemvt_kernelILb1ELi256E16rocblas_bfloat16PKfS0_EviiT2_lPKT1_lilS6_lilS3_lPT3_lili: ; @_ZL20rocblas_gemvt_kernelILb1ELi256E16rocblas_bfloat16PKfS0_EviiT2_lPKT1_lilS6_lilS3_lPT3_lili
; %bb.0:
	s_clause 0x1
	s_load_dwordx8 s[8:15], s[4:5], 0x8
	s_load_dwordx8 s[16:23], s[4:5], 0x50
	s_waitcnt lgkmcnt(0)
	s_mul_i32 s1, s11, s7
	s_mul_hi_u32 s2, s10, s7
	s_mul_i32 s0, s10, s7
	s_add_i32 s1, s2, s1
	s_mul_i32 s2, s21, s7
	s_lshl_b64 s[0:1], s[0:1], 2
	s_mul_hi_u32 s3, s20, s7
	s_add_u32 s0, s8, s0
	s_addc_u32 s1, s9, s1
	s_add_i32 s3, s3, s2
	s_mul_i32 s2, s20, s7
	s_mov_b32 s20, 0
	s_lshl_b64 s[2:3], s[2:3], 2
	s_add_u32 s2, s18, s2
	s_addc_u32 s3, s19, s3
	s_load_dword s25, s[0:1], 0x0
	s_load_dword s21, s[2:3], 0x0
	s_waitcnt lgkmcnt(0)
	v_cmp_eq_f32_e64 s0, s25, 0
	v_cmp_eq_f32_e64 s1, s21, 1.0
	s_and_b32 s0, s0, s1
	s_and_b32 vcc_lo, exec_lo, s0
	s_cbranch_vccnz .LBB578_64
; %bb.1:
	s_clause 0x2
	s_load_dwordx2 s[0:1], s[4:5], 0x80
	s_load_dwordx2 s[2:3], s[4:5], 0x70
	s_load_dword s24, s[4:5], 0x78
	s_waitcnt lgkmcnt(0)
	s_mul_i32 s1, s1, s7
	s_mul_hi_u32 s8, s0, s7
	s_mul_i32 s0, s0, s7
	s_add_i32 s1, s8, s1
	v_cmp_neq_f32_e64 s8, s25, 0
	s_lshl_b64 s[0:1], s[0:1], 1
	s_add_u32 s9, s22, s0
	s_addc_u32 s10, s23, s1
	s_lshl_b64 s[0:1], s[2:3], 1
	s_add_u32 s18, s9, s0
	v_cmp_eq_u32_e64 s0, 0, v0
	s_addc_u32 s19, s10, s1
	s_and_b32 vcc_lo, exec_lo, s8
	s_cbranch_vccnz .LBB578_6
; %bb.2:
	s_mov_b32 s1, 0
                                        ; implicit-def: $sgpr8
                                        ; implicit-def: $sgpr2_sgpr3
	s_and_saveexec_b32 s9, s0
	s_cbranch_execz .LBB578_7
; %bb.3:
	v_cmp_eq_f32_e64 s0, s21, 0
	s_mov_b32 s8, 0
	s_mul_hi_i32 s3, s24, s6
	s_mul_i32 s2, s24, s6
	s_and_b32 vcc_lo, exec_lo, s0
	s_cbranch_vccnz .LBB578_11
; %bb.4:
	s_lshl_b64 s[10:11], s[2:3], 1
	v_mov_b32_e32 v1, 0
	s_add_u32 s10, s18, s10
	s_addc_u32 s11, s19, s11
	global_load_ushort v1, v1, s[10:11]
	s_waitcnt vmcnt(0)
	v_lshlrev_b32_e32 v1, 16, v1
	v_mul_f32_e32 v1, s21, v1
	v_and_b32_e32 v2, 0x7f800000, v1
	v_readfirstlane_b32 s0, v1
	v_cmp_eq_u32_e32 vcc_lo, 0x7f800000, v2
	s_cbranch_vccnz .LBB578_8
; %bb.5:
	s_bfe_u32 s8, s0, 0x10010
	s_add_i32 s8, s0, s8
	s_addk_i32 s8, 0x7fff
	s_cbranch_execz .LBB578_9
	s_branch .LBB578_10
.LBB578_6:
                                        ; implicit-def: $sgpr8
                                        ; implicit-def: $sgpr2_sgpr3
	s_cbranch_execnz .LBB578_12
	s_branch .LBB578_62
.LBB578_7:
	s_or_b32 exec_lo, exec_lo, s9
	s_and_b32 vcc_lo, exec_lo, s1
	s_cbranch_vccnz .LBB578_12
	s_branch .LBB578_62
.LBB578_8:
                                        ; implicit-def: $sgpr8
.LBB578_9:
	s_and_b32 s8, s0, 0xffff
	s_or_b32 s10, s0, 0x10000
	s_cmp_eq_u32 s8, 0
	s_cselect_b32 s8, s0, s10
.LBB578_10:
	s_lshr_b32 s8, s8, 16
.LBB578_11:
	s_mov_b32 s20, exec_lo
	s_or_b32 exec_lo, exec_lo, s9
	s_and_b32 vcc_lo, exec_lo, s1
	s_cbranch_vccz .LBB578_62
.LBB578_12:
	s_clause 0x4
	s_load_dwordx4 s[0:3], s[4:5], 0x30
	s_load_dword s22, s[4:5], 0x0
	s_load_dword s23, s[4:5], 0x28
	s_load_dwordx2 s[8:9], s[4:5], 0x40
	s_load_dword s4, s[4:5], 0x48
	s_mul_i32 s11, s17, s7
	s_mul_hi_u32 s17, s16, s7
	s_mul_i32 s10, s16, s7
	s_add_i32 s11, s17, s11
	v_mov_b32_e32 v7, 0
	s_waitcnt lgkmcnt(0)
	s_mul_i32 s1, s1, s7
	v_cmp_gt_i32_e32 vcc_lo, s22, v0
	s_mul_hi_u32 s5, s0, s7
	s_mul_i32 s0, s0, s7
	s_add_i32 s1, s5, s1
	s_mul_hi_i32 s17, s23, s6
	v_cndmask_b32_e32 v1, 0, v0, vcc_lo
	s_lshl_b64 s[0:1], s[0:1], 1
	s_mul_i32 s16, s23, s6
	s_add_u32 s5, s12, s0
	s_addc_u32 s7, s13, s1
	v_lshlrev_b32_e32 v1, 1, v1
	s_lshl_b64 s[0:1], s[14:15], 1
	s_add_u32 s5, s5, s0
	s_addc_u32 s7, s7, s1
	v_add_co_u32 v1, s5, s5, v1
	v_add_co_ci_u32_e64 v2, null, s7, 0, s5
	s_ashr_i32 s12, s22, 31
	s_lshl_b64 s[0:1], s[16:17], 1
	s_lshr_b32 s12, s12, 24
	v_add_co_u32 v1, vcc_lo, v1, s0
	s_add_i32 s5, s22, s12
	v_add_co_ci_u32_e64 v2, null, s1, v2, vcc_lo
	s_and_b32 s0, s5, 0xffffff00
	s_cmpk_lt_i32 s22, 0x100
	s_mov_b32 s1, 0
	s_cbranch_scc1 .LBB578_19
; %bb.13:
	v_mad_i64_i32 v[3:4], null, s4, v0, 0
	s_lshl_b64 s[14:15], s[8:9], 1
	s_ashr_i32 s5, s4, 31
	s_lshl_b64 s[12:13], s[10:11], 1
	s_add_u32 s7, s2, s14
	s_addc_u32 s14, s3, s15
	s_add_u32 s7, s7, s12
	v_lshlrev_b64 v[3:4], 1, v[3:4]
	s_addc_u32 s12, s14, s13
	v_mov_b32_e32 v6, v2
	v_mov_b32_e32 v8, 0
	;; [unrolled: 1-line block ×4, first 2 shown]
	v_add_co_u32 v3, vcc_lo, s7, v3
	v_add_co_ci_u32_e64 v4, null, s12, v4, vcc_lo
	s_lshl_b64 s[12:13], s[4:5], 9
	s_inst_prefetch 0x1
	s_branch .LBB578_15
	.p2align	6
.LBB578_14:                             ;   in Loop: Header=BB578_15 Depth=1
	s_or_b32 exec_lo, exec_lo, s5
	v_and_b32_e32 v9, 0xffff0000, v10
	v_add_co_u32 v3, vcc_lo, v3, s12
	v_add_co_ci_u32_e64 v4, null, s13, v4, vcc_lo
	v_add_co_u32 v5, vcc_lo, 0x200, v5
	v_add_f32_e32 v7, v7, v9
	v_add_co_ci_u32_e64 v6, null, 0, v6, vcc_lo
	s_addk_i32 s1, 0x100
	s_cmp_ge_i32 s1, s0
	s_cbranch_scc1 .LBB578_19
.LBB578_15:                             ; =>This Inner Loop Header: Depth=1
	global_load_ushort v9, v[3:4], off
	global_load_ushort v10, v[5:6], off
	s_waitcnt vmcnt(1)
	v_lshlrev_b32_e32 v9, 16, v9
	s_waitcnt vmcnt(0)
	v_lshlrev_b32_e32 v10, 16, v10
	v_mul_f32_e32 v9, v10, v9
	v_and_b32_e32 v10, 0x7f800000, v9
	v_cmp_ne_u32_e32 vcc_lo, 0x7f800000, v10
                                        ; implicit-def: $vgpr10
	s_and_saveexec_b32 s5, vcc_lo
	s_xor_b32 s5, exec_lo, s5
; %bb.16:                               ;   in Loop: Header=BB578_15 Depth=1
	v_bfe_u32 v10, v9, 16, 1
	v_add3_u32 v10, v9, v10, 0x7fff
                                        ; implicit-def: $vgpr9
; %bb.17:                               ;   in Loop: Header=BB578_15 Depth=1
	s_andn2_saveexec_b32 s5, s5
	s_cbranch_execz .LBB578_14
; %bb.18:                               ;   in Loop: Header=BB578_15 Depth=1
	v_or_b32_e32 v10, 0x10000, v9
	v_cmp_eq_u32_sdwa vcc_lo, v9, v8 src0_sel:WORD_0 src1_sel:DWORD
	v_cndmask_b32_e32 v10, v10, v9, vcc_lo
	s_branch .LBB578_14
.LBB578_19:
	s_inst_prefetch 0x2
	v_add_nc_u32_e32 v3, s0, v0
	s_mov_b32 s5, exec_lo
	v_cmpx_gt_i32_e64 s22, v3
	s_cbranch_execz .LBB578_25
; %bb.20:
	v_mad_i64_i32 v[3:4], null, s4, v3, 0
	s_lshl_b64 s[10:11], s[10:11], 1
	s_add_u32 s1, s2, s10
	s_addc_u32 s4, s3, s11
	s_lshl_b64 s[2:3], s[8:9], 1
	s_add_u32 s2, s1, s2
	v_lshlrev_b64 v[3:4], 1, v[3:4]
	s_addc_u32 s3, s4, s3
	s_ashr_i32 s1, s0, 31
	s_lshl_b64 s[0:1], s[0:1], 1
	v_add_co_u32 v3, vcc_lo, s2, v3
	v_add_co_ci_u32_e64 v4, null, s3, v4, vcc_lo
	v_add_co_u32 v1, vcc_lo, v1, s0
	v_add_co_ci_u32_e64 v2, null, s1, v2, vcc_lo
	global_load_ushort v3, v[3:4], off
	global_load_ushort v1, v[1:2], off
	s_waitcnt vmcnt(1)
	v_lshlrev_b32_e32 v2, 16, v3
	s_waitcnt vmcnt(0)
	v_lshlrev_b32_e32 v1, 16, v1
	v_mul_f32_e32 v1, v1, v2
	v_and_b32_e32 v2, 0x7f800000, v1
	v_cmp_ne_u32_e32 vcc_lo, 0x7f800000, v2
                                        ; implicit-def: $vgpr2
	s_and_saveexec_b32 s0, vcc_lo
	s_xor_b32 s0, exec_lo, s0
; %bb.21:
	v_bfe_u32 v2, v1, 16, 1
	v_add3_u32 v2, v1, v2, 0x7fff
                                        ; implicit-def: $vgpr1
; %bb.22:
	s_andn2_saveexec_b32 s0, s0
; %bb.23:
	v_mov_b32_e32 v2, 0
	v_or_b32_e32 v3, 0x10000, v1
	v_cmp_eq_u32_sdwa vcc_lo, v1, v2 src0_sel:WORD_0 src1_sel:DWORD
	v_cndmask_b32_e32 v2, v3, v1, vcc_lo
; %bb.24:
	s_or_b32 exec_lo, exec_lo, s0
	v_and_b32_e32 v1, 0xffff0000, v2
	v_add_f32_e32 v7, v7, v1
.LBB578_25:
	s_or_b32 exec_lo, exec_lo, s5
	v_lshlrev_b32_e32 v1, 2, v0
	s_mov_b32 s0, exec_lo
	ds_write_b32 v1, v7
	s_waitcnt lgkmcnt(0)
	s_barrier
	buffer_gl0_inv
	v_cmpx_gt_u32_e32 0x80, v0
	s_cbranch_execz .LBB578_27
; %bb.26:
	ds_read2st64_b32 v[2:3], v1 offset1:2
	s_waitcnt lgkmcnt(0)
	v_add_f32_e32 v2, v3, v2
	ds_write_b32 v1, v2
.LBB578_27:
	s_or_b32 exec_lo, exec_lo, s0
	s_mov_b32 s0, exec_lo
	s_waitcnt lgkmcnt(0)
	s_barrier
	buffer_gl0_inv
	v_cmpx_gt_u32_e32 64, v0
	s_cbranch_execz .LBB578_29
; %bb.28:
	ds_read2st64_b32 v[2:3], v1 offset1:1
	s_waitcnt lgkmcnt(0)
	v_add_f32_e32 v2, v3, v2
	ds_write_b32 v1, v2
.LBB578_29:
	s_or_b32 exec_lo, exec_lo, s0
	s_mov_b32 s0, exec_lo
	s_waitcnt lgkmcnt(0)
	s_barrier
	buffer_gl0_inv
	v_cmpx_gt_u32_e32 32, v0
	s_cbranch_execz .LBB578_31
; %bb.30:
	ds_read2_b32 v[2:3], v1 offset1:32
	s_waitcnt lgkmcnt(0)
	v_add_f32_e32 v2, v3, v2
	ds_write_b32 v1, v2
.LBB578_31:
	s_or_b32 exec_lo, exec_lo, s0
	s_mov_b32 s0, exec_lo
	s_waitcnt lgkmcnt(0)
	s_barrier
	buffer_gl0_inv
	v_cmpx_gt_u32_e32 16, v0
	s_cbranch_execz .LBB578_33
; %bb.32:
	ds_read2_b32 v[2:3], v1 offset1:16
	s_waitcnt lgkmcnt(0)
	v_add_f32_e32 v2, v3, v2
	ds_write_b32 v1, v2
.LBB578_33:
	;; [unrolled: 13-line block ×5, first 2 shown]
	s_or_b32 exec_lo, exec_lo, s0
	v_cmp_eq_u32_e32 vcc_lo, 0, v0
	s_waitcnt lgkmcnt(0)
	s_barrier
	buffer_gl0_inv
	s_and_saveexec_b32 s0, vcc_lo
	s_cbranch_execz .LBB578_41
; %bb.40:
	v_mov_b32_e32 v2, 0
	ds_read_b64 v[0:1], v2
	s_waitcnt lgkmcnt(0)
	v_add_f32_e32 v0, v1, v0
	ds_write_b32 v2, v0
.LBB578_41:
	s_or_b32 exec_lo, exec_lo, s0
	s_waitcnt lgkmcnt(0)
	s_barrier
	buffer_gl0_inv
                                        ; implicit-def: $sgpr8
                                        ; implicit-def: $sgpr2_sgpr3
	s_and_saveexec_b32 s0, vcc_lo
	s_cbranch_execz .LBB578_61
; %bb.42:
	v_mov_b32_e32 v0, 0
	v_cmp_eq_f32_e64 s2, s21, 0
	ds_read_b32 v0, v0
	s_and_b32 vcc_lo, exec_lo, s2
	s_waitcnt lgkmcnt(0)
	v_mul_f32_e32 v0, s25, v0
	v_readfirstlane_b32 s1, v0
	s_cbranch_vccz .LBB578_45
; %bb.43:
	s_and_b32 s2, s1, 0x7f800000
	s_cmp_eq_u32 s2, 0x7f800000
	s_cbranch_scc1 .LBB578_46
; %bb.44:
	s_bfe_u32 s2, s1, 0x10010
	s_add_i32 s2, s1, s2
	s_add_i32 s4, s2, 0x7fff
	s_mov_b32 s2, 0
	s_branch .LBB578_47
.LBB578_45:
                                        ; implicit-def: $sgpr4
	s_mul_hi_i32 s3, s24, s6
	s_mul_i32 s2, s24, s6
	s_branch .LBB578_50
.LBB578_46:
	s_mov_b32 s2, -1
                                        ; implicit-def: $sgpr4
.LBB578_47:
	s_andn2_b32 vcc_lo, exec_lo, s2
	s_cbranch_vccnz .LBB578_49
; %bb.48:
	s_and_b32 s2, s1, 0xffff
	s_or_b32 s3, s1, 0x10000
	s_cmp_eq_u32 s2, 0
	s_cselect_b32 s4, s1, s3
.LBB578_49:
	s_mul_hi_i32 s3, s24, s6
	s_mul_i32 s2, s24, s6
	s_cbranch_execnz .LBB578_60
.LBB578_50:
	s_lshl_b64 s[4:5], s[2:3], 1
	v_mov_b32_e32 v0, 0
	s_add_u32 s4, s18, s4
	s_addc_u32 s5, s19, s5
	global_load_ushort v0, v0, s[4:5]
	s_waitcnt vmcnt(0)
	v_lshlrev_b32_e32 v0, 16, v0
	v_mul_f32_e32 v0, s21, v0
	v_and_b32_e32 v1, 0x7f800000, v0
	v_readfirstlane_b32 s4, v0
	v_cmp_eq_u32_e32 vcc_lo, 0x7f800000, v1
	s_cbranch_vccnz .LBB578_52
; %bb.51:
	s_bfe_u32 s5, s4, 0x10010
	s_mov_b32 s6, 0
	s_add_i32 s5, s4, s5
	s_addk_i32 s5, 0x7fff
	s_branch .LBB578_53
.LBB578_52:
	s_mov_b32 s6, -1
                                        ; implicit-def: $sgpr5
.LBB578_53:
	s_andn2_b32 vcc_lo, exec_lo, s6
	s_cbranch_vccnz .LBB578_55
; %bb.54:
	s_and_b32 s5, s4, 0xffff
	s_or_b32 s6, s4, 0x10000
	s_cmp_eq_u32 s5, 0
	s_cselect_b32 s5, s4, s6
.LBB578_55:
	s_and_b32 s4, s5, 0xffff0000
	v_add_f32_e64 v0, s1, s4
	v_and_b32_e32 v1, 0x7f800000, v0
	v_readfirstlane_b32 s1, v0
	v_cmp_eq_u32_e32 vcc_lo, 0x7f800000, v1
	s_cbranch_vccnz .LBB578_57
; %bb.56:
	s_bfe_u32 s4, s1, 0x10010
	s_mov_b32 s5, 0
	s_add_i32 s4, s1, s4
	s_addk_i32 s4, 0x7fff
	s_branch .LBB578_58
.LBB578_57:
	s_mov_b32 s5, -1
                                        ; implicit-def: $sgpr4
.LBB578_58:
	s_andn2_b32 vcc_lo, exec_lo, s5
	s_cbranch_vccnz .LBB578_60
; %bb.59:
	s_and_b32 s4, s1, 0xffff
	s_or_b32 s5, s1, 0x10000
	s_cmp_eq_u32 s4, 0
	s_cselect_b32 s4, s1, s5
.LBB578_60:
	s_lshr_b32 s8, s4, 16
	s_or_b32 s20, s20, exec_lo
.LBB578_61:
	s_or_b32 exec_lo, exec_lo, s0
.LBB578_62:
	s_and_saveexec_b32 s0, s20
	s_cbranch_execz .LBB578_64
; %bb.63:
	s_lshl_b64 s[0:1], s[2:3], 1
	v_mov_b32_e32 v0, 0
	v_mov_b32_e32 v1, s8
	s_add_u32 s0, s18, s0
	s_addc_u32 s1, s19, s1
	global_store_short v0, v1, s[0:1]
.LBB578_64:
	s_endpgm
	.section	.rodata,"a",@progbits
	.p2align	6, 0x0
	.amdhsa_kernel _ZL20rocblas_gemvt_kernelILb1ELi256E16rocblas_bfloat16PKfS0_EviiT2_lPKT1_lilS6_lilS3_lPT3_lili
		.amdhsa_group_segment_fixed_size 1024
		.amdhsa_private_segment_fixed_size 0
		.amdhsa_kernarg_size 140
		.amdhsa_user_sgpr_count 6
		.amdhsa_user_sgpr_private_segment_buffer 1
		.amdhsa_user_sgpr_dispatch_ptr 0
		.amdhsa_user_sgpr_queue_ptr 0
		.amdhsa_user_sgpr_kernarg_segment_ptr 1
		.amdhsa_user_sgpr_dispatch_id 0
		.amdhsa_user_sgpr_flat_scratch_init 0
		.amdhsa_user_sgpr_private_segment_size 0
		.amdhsa_wavefront_size32 1
		.amdhsa_uses_dynamic_stack 0
		.amdhsa_system_sgpr_private_segment_wavefront_offset 0
		.amdhsa_system_sgpr_workgroup_id_x 1
		.amdhsa_system_sgpr_workgroup_id_y 0
		.amdhsa_system_sgpr_workgroup_id_z 1
		.amdhsa_system_sgpr_workgroup_info 0
		.amdhsa_system_vgpr_workitem_id 0
		.amdhsa_next_free_vgpr 11
		.amdhsa_next_free_sgpr 26
		.amdhsa_reserve_vcc 1
		.amdhsa_reserve_flat_scratch 0
		.amdhsa_float_round_mode_32 0
		.amdhsa_float_round_mode_16_64 0
		.amdhsa_float_denorm_mode_32 3
		.amdhsa_float_denorm_mode_16_64 3
		.amdhsa_dx10_clamp 1
		.amdhsa_ieee_mode 1
		.amdhsa_fp16_overflow 0
		.amdhsa_workgroup_processor_mode 1
		.amdhsa_memory_ordered 1
		.amdhsa_forward_progress 1
		.amdhsa_shared_vgpr_count 0
		.amdhsa_exception_fp_ieee_invalid_op 0
		.amdhsa_exception_fp_denorm_src 0
		.amdhsa_exception_fp_ieee_div_zero 0
		.amdhsa_exception_fp_ieee_overflow 0
		.amdhsa_exception_fp_ieee_underflow 0
		.amdhsa_exception_fp_ieee_inexact 0
		.amdhsa_exception_int_div_zero 0
	.end_amdhsa_kernel
	.section	.text._ZL20rocblas_gemvt_kernelILb1ELi256E16rocblas_bfloat16PKfS0_EviiT2_lPKT1_lilS6_lilS3_lPT3_lili,"axG",@progbits,_ZL20rocblas_gemvt_kernelILb1ELi256E16rocblas_bfloat16PKfS0_EviiT2_lPKT1_lilS6_lilS3_lPT3_lili,comdat
.Lfunc_end578:
	.size	_ZL20rocblas_gemvt_kernelILb1ELi256E16rocblas_bfloat16PKfS0_EviiT2_lPKT1_lilS6_lilS3_lPT3_lili, .Lfunc_end578-_ZL20rocblas_gemvt_kernelILb1ELi256E16rocblas_bfloat16PKfS0_EviiT2_lPKT1_lilS6_lilS3_lPT3_lili
                                        ; -- End function
	.set _ZL20rocblas_gemvt_kernelILb1ELi256E16rocblas_bfloat16PKfS0_EviiT2_lPKT1_lilS6_lilS3_lPT3_lili.num_vgpr, 11
	.set _ZL20rocblas_gemvt_kernelILb1ELi256E16rocblas_bfloat16PKfS0_EviiT2_lPKT1_lilS6_lilS3_lPT3_lili.num_agpr, 0
	.set _ZL20rocblas_gemvt_kernelILb1ELi256E16rocblas_bfloat16PKfS0_EviiT2_lPKT1_lilS6_lilS3_lPT3_lili.numbered_sgpr, 26
	.set _ZL20rocblas_gemvt_kernelILb1ELi256E16rocblas_bfloat16PKfS0_EviiT2_lPKT1_lilS6_lilS3_lPT3_lili.num_named_barrier, 0
	.set _ZL20rocblas_gemvt_kernelILb1ELi256E16rocblas_bfloat16PKfS0_EviiT2_lPKT1_lilS6_lilS3_lPT3_lili.private_seg_size, 0
	.set _ZL20rocblas_gemvt_kernelILb1ELi256E16rocblas_bfloat16PKfS0_EviiT2_lPKT1_lilS6_lilS3_lPT3_lili.uses_vcc, 1
	.set _ZL20rocblas_gemvt_kernelILb1ELi256E16rocblas_bfloat16PKfS0_EviiT2_lPKT1_lilS6_lilS3_lPT3_lili.uses_flat_scratch, 0
	.set _ZL20rocblas_gemvt_kernelILb1ELi256E16rocblas_bfloat16PKfS0_EviiT2_lPKT1_lilS6_lilS3_lPT3_lili.has_dyn_sized_stack, 0
	.set _ZL20rocblas_gemvt_kernelILb1ELi256E16rocblas_bfloat16PKfS0_EviiT2_lPKT1_lilS6_lilS3_lPT3_lili.has_recursion, 0
	.set _ZL20rocblas_gemvt_kernelILb1ELi256E16rocblas_bfloat16PKfS0_EviiT2_lPKT1_lilS6_lilS3_lPT3_lili.has_indirect_call, 0
	.section	.AMDGPU.csdata,"",@progbits
; Kernel info:
; codeLenInByte = 2024
; TotalNumSgprs: 28
; NumVgprs: 11
; ScratchSize: 0
; MemoryBound: 0
; FloatMode: 240
; IeeeMode: 1
; LDSByteSize: 1024 bytes/workgroup (compile time only)
; SGPRBlocks: 0
; VGPRBlocks: 1
; NumSGPRsForWavesPerEU: 28
; NumVGPRsForWavesPerEU: 11
; Occupancy: 16
; WaveLimiterHint : 1
; COMPUTE_PGM_RSRC2:SCRATCH_EN: 0
; COMPUTE_PGM_RSRC2:USER_SGPR: 6
; COMPUTE_PGM_RSRC2:TRAP_HANDLER: 0
; COMPUTE_PGM_RSRC2:TGID_X_EN: 1
; COMPUTE_PGM_RSRC2:TGID_Y_EN: 0
; COMPUTE_PGM_RSRC2:TGID_Z_EN: 1
; COMPUTE_PGM_RSRC2:TIDIG_COMP_CNT: 0
	.section	.text._ZL20rocblas_gemvt_kernelILb1ELi256E16rocblas_bfloat16fS0_EviiT2_lPKT1_lilS4_lilS1_lPT3_lili,"axG",@progbits,_ZL20rocblas_gemvt_kernelILb1ELi256E16rocblas_bfloat16fS0_EviiT2_lPKT1_lilS4_lilS1_lPT3_lili,comdat
	.globl	_ZL20rocblas_gemvt_kernelILb1ELi256E16rocblas_bfloat16fS0_EviiT2_lPKT1_lilS4_lilS1_lPT3_lili ; -- Begin function _ZL20rocblas_gemvt_kernelILb1ELi256E16rocblas_bfloat16fS0_EviiT2_lPKT1_lilS4_lilS1_lPT3_lili
	.p2align	8
	.type	_ZL20rocblas_gemvt_kernelILb1ELi256E16rocblas_bfloat16fS0_EviiT2_lPKT1_lilS4_lilS1_lPT3_lili,@function
_ZL20rocblas_gemvt_kernelILb1ELi256E16rocblas_bfloat16fS0_EviiT2_lPKT1_lilS4_lilS1_lPT3_lili: ; @_ZL20rocblas_gemvt_kernelILb1ELi256E16rocblas_bfloat16fS0_EviiT2_lPKT1_lilS4_lilS1_lPT3_lili
; %bb.0:
	s_clause 0x1
	s_load_dword s19, s[4:5], 0x8
	s_load_dword s17, s[4:5], 0x58
	s_mov_b32 s16, 0
	s_waitcnt lgkmcnt(0)
	v_cmp_eq_f32_e64 s0, s19, 0
	v_cmp_eq_f32_e64 s1, s17, 1.0
	s_and_b32 s0, s0, s1
	s_and_b32 vcc_lo, exec_lo, s0
	s_cbranch_vccnz .LBB579_64
; %bb.1:
	s_clause 0x2
	s_load_dwordx2 s[8:9], s[4:5], 0x80
	s_load_dwordx4 s[0:3], s[4:5], 0x68
	s_load_dword s18, s[4:5], 0x78
	s_waitcnt lgkmcnt(0)
	s_mul_i32 s9, s9, s7
	s_mul_hi_u32 s10, s8, s7
	s_mul_i32 s8, s8, s7
	s_add_i32 s9, s10, s9
	v_cmp_neq_f32_e64 s10, s19, 0
	s_lshl_b64 s[8:9], s[8:9], 1
	s_add_u32 s8, s0, s8
	s_addc_u32 s9, s1, s9
	s_lshl_b64 s[0:1], s[2:3], 1
	s_add_u32 s14, s8, s0
	v_cmp_eq_u32_e64 s0, 0, v0
	s_addc_u32 s15, s9, s1
	s_and_b32 vcc_lo, exec_lo, s10
	s_cbranch_vccnz .LBB579_6
; %bb.2:
	s_mov_b32 s1, 0
                                        ; implicit-def: $sgpr8
                                        ; implicit-def: $sgpr2_sgpr3
	s_and_saveexec_b32 s9, s0
	s_cbranch_execz .LBB579_7
; %bb.3:
	v_cmp_eq_f32_e64 s0, s17, 0
	s_mov_b32 s8, 0
	s_mul_hi_i32 s3, s18, s6
	s_mul_i32 s2, s18, s6
	s_and_b32 vcc_lo, exec_lo, s0
	s_cbranch_vccnz .LBB579_11
; %bb.4:
	s_lshl_b64 s[10:11], s[2:3], 1
	v_mov_b32_e32 v1, 0
	s_add_u32 s10, s14, s10
	s_addc_u32 s11, s15, s11
	global_load_ushort v1, v1, s[10:11]
	s_waitcnt vmcnt(0)
	v_lshlrev_b32_e32 v1, 16, v1
	v_mul_f32_e32 v1, s17, v1
	v_and_b32_e32 v2, 0x7f800000, v1
	v_readfirstlane_b32 s0, v1
	v_cmp_eq_u32_e32 vcc_lo, 0x7f800000, v2
	s_cbranch_vccnz .LBB579_8
; %bb.5:
	s_bfe_u32 s8, s0, 0x10010
	s_add_i32 s8, s0, s8
	s_addk_i32 s8, 0x7fff
	s_cbranch_execz .LBB579_9
	s_branch .LBB579_10
.LBB579_6:
                                        ; implicit-def: $sgpr8
                                        ; implicit-def: $sgpr2_sgpr3
	s_cbranch_execnz .LBB579_12
	s_branch .LBB579_62
.LBB579_7:
	s_or_b32 exec_lo, exec_lo, s9
	s_and_b32 vcc_lo, exec_lo, s1
	s_cbranch_vccnz .LBB579_12
	s_branch .LBB579_62
.LBB579_8:
                                        ; implicit-def: $sgpr8
.LBB579_9:
	s_and_b32 s8, s0, 0xffff
	s_or_b32 s10, s0, 0x10000
	s_cmp_eq_u32 s8, 0
	s_cselect_b32 s8, s0, s10
.LBB579_10:
	s_lshr_b32 s8, s8, 16
.LBB579_11:
	s_mov_b32 s16, exec_lo
	s_or_b32 exec_lo, exec_lo, s9
	s_and_b32 vcc_lo, exec_lo, s1
	s_cbranch_vccz .LBB579_62
.LBB579_12:
	s_clause 0x6
	s_load_dwordx2 s[10:11], s[4:5], 0x50
	s_load_dwordx4 s[0:3], s[4:5], 0x30
	s_load_dword s20, s[4:5], 0x0
	s_load_dword s12, s[4:5], 0x28
	s_load_dwordx4 s[24:27], s[4:5], 0x18
	s_load_dwordx2 s[8:9], s[4:5], 0x40
	s_load_dword s4, s[4:5], 0x48
	v_mov_b32_e32 v7, 0
	s_waitcnt lgkmcnt(0)
	s_mul_i32 s5, s11, s7
	s_mul_i32 s1, s1, s7
	v_cmp_gt_i32_e32 vcc_lo, s20, v0
	s_mul_hi_u32 s21, s0, s7
	s_mul_i32 s0, s0, s7
	s_add_i32 s1, s21, s1
	s_mul_hi_u32 s11, s10, s7
	v_cndmask_b32_e32 v1, 0, v0, vcc_lo
	s_lshl_b64 s[0:1], s[0:1], 1
	s_add_i32 s11, s11, s5
	s_add_u32 s5, s24, s0
	s_mul_i32 s10, s10, s7
	v_lshlrev_b32_e32 v1, 1, v1
	s_addc_u32 s7, s25, s1
	s_lshl_b64 s[0:1], s[26:27], 1
	s_mul_hi_i32 s13, s12, s6
	s_add_u32 s5, s5, s0
	s_addc_u32 s7, s7, s1
	v_add_co_u32 v1, s5, s5, v1
	s_mul_i32 s12, s12, s6
	v_add_co_ci_u32_e64 v2, null, s7, 0, s5
	s_ashr_i32 s21, s20, 31
	s_lshl_b64 s[0:1], s[12:13], 1
	s_lshr_b32 s12, s21, 24
	v_add_co_u32 v1, vcc_lo, v1, s0
	s_add_i32 s5, s20, s12
	v_add_co_ci_u32_e64 v2, null, s1, v2, vcc_lo
	s_and_b32 s0, s5, 0xffffff00
	s_cmpk_lt_i32 s20, 0x100
	s_mov_b32 s1, 0
	s_cbranch_scc1 .LBB579_19
; %bb.13:
	v_mad_i64_i32 v[3:4], null, s4, v0, 0
	s_lshl_b64 s[22:23], s[8:9], 1
	s_ashr_i32 s5, s4, 31
	s_lshl_b64 s[12:13], s[10:11], 1
	s_add_u32 s7, s2, s22
	s_addc_u32 s21, s3, s23
	s_add_u32 s7, s7, s12
	v_lshlrev_b64 v[3:4], 1, v[3:4]
	s_addc_u32 s12, s21, s13
	v_mov_b32_e32 v6, v2
	v_mov_b32_e32 v8, 0
	;; [unrolled: 1-line block ×4, first 2 shown]
	v_add_co_u32 v3, vcc_lo, s7, v3
	v_add_co_ci_u32_e64 v4, null, s12, v4, vcc_lo
	s_lshl_b64 s[12:13], s[4:5], 9
	s_inst_prefetch 0x1
	s_branch .LBB579_15
	.p2align	6
.LBB579_14:                             ;   in Loop: Header=BB579_15 Depth=1
	s_or_b32 exec_lo, exec_lo, s5
	v_and_b32_e32 v9, 0xffff0000, v10
	v_add_co_u32 v3, vcc_lo, v3, s12
	v_add_co_ci_u32_e64 v4, null, s13, v4, vcc_lo
	v_add_co_u32 v5, vcc_lo, 0x200, v5
	v_add_f32_e32 v7, v7, v9
	v_add_co_ci_u32_e64 v6, null, 0, v6, vcc_lo
	s_addk_i32 s1, 0x100
	s_cmp_ge_i32 s1, s0
	s_cbranch_scc1 .LBB579_19
.LBB579_15:                             ; =>This Inner Loop Header: Depth=1
	global_load_ushort v9, v[3:4], off
	global_load_ushort v10, v[5:6], off
	s_waitcnt vmcnt(1)
	v_lshlrev_b32_e32 v9, 16, v9
	s_waitcnt vmcnt(0)
	v_lshlrev_b32_e32 v10, 16, v10
	v_mul_f32_e32 v9, v10, v9
	v_and_b32_e32 v10, 0x7f800000, v9
	v_cmp_ne_u32_e32 vcc_lo, 0x7f800000, v10
                                        ; implicit-def: $vgpr10
	s_and_saveexec_b32 s5, vcc_lo
	s_xor_b32 s5, exec_lo, s5
; %bb.16:                               ;   in Loop: Header=BB579_15 Depth=1
	v_bfe_u32 v10, v9, 16, 1
	v_add3_u32 v10, v9, v10, 0x7fff
                                        ; implicit-def: $vgpr9
; %bb.17:                               ;   in Loop: Header=BB579_15 Depth=1
	s_andn2_saveexec_b32 s5, s5
	s_cbranch_execz .LBB579_14
; %bb.18:                               ;   in Loop: Header=BB579_15 Depth=1
	v_or_b32_e32 v10, 0x10000, v9
	v_cmp_eq_u32_sdwa vcc_lo, v9, v8 src0_sel:WORD_0 src1_sel:DWORD
	v_cndmask_b32_e32 v10, v10, v9, vcc_lo
	s_branch .LBB579_14
.LBB579_19:
	s_inst_prefetch 0x2
	v_add_nc_u32_e32 v3, s0, v0
	s_mov_b32 s5, exec_lo
	v_cmpx_gt_i32_e64 s20, v3
	s_cbranch_execz .LBB579_25
; %bb.20:
	v_mad_i64_i32 v[3:4], null, s4, v3, 0
	s_lshl_b64 s[10:11], s[10:11], 1
	s_add_u32 s1, s2, s10
	s_addc_u32 s4, s3, s11
	s_lshl_b64 s[2:3], s[8:9], 1
	s_add_u32 s2, s1, s2
	v_lshlrev_b64 v[3:4], 1, v[3:4]
	s_addc_u32 s3, s4, s3
	s_ashr_i32 s1, s0, 31
	s_lshl_b64 s[0:1], s[0:1], 1
	v_add_co_u32 v3, vcc_lo, s2, v3
	v_add_co_ci_u32_e64 v4, null, s3, v4, vcc_lo
	v_add_co_u32 v1, vcc_lo, v1, s0
	v_add_co_ci_u32_e64 v2, null, s1, v2, vcc_lo
	global_load_ushort v3, v[3:4], off
	global_load_ushort v1, v[1:2], off
	s_waitcnt vmcnt(1)
	v_lshlrev_b32_e32 v2, 16, v3
	s_waitcnt vmcnt(0)
	v_lshlrev_b32_e32 v1, 16, v1
	v_mul_f32_e32 v1, v1, v2
	v_and_b32_e32 v2, 0x7f800000, v1
	v_cmp_ne_u32_e32 vcc_lo, 0x7f800000, v2
                                        ; implicit-def: $vgpr2
	s_and_saveexec_b32 s0, vcc_lo
	s_xor_b32 s0, exec_lo, s0
; %bb.21:
	v_bfe_u32 v2, v1, 16, 1
	v_add3_u32 v2, v1, v2, 0x7fff
                                        ; implicit-def: $vgpr1
; %bb.22:
	s_andn2_saveexec_b32 s0, s0
; %bb.23:
	v_mov_b32_e32 v2, 0
	v_or_b32_e32 v3, 0x10000, v1
	v_cmp_eq_u32_sdwa vcc_lo, v1, v2 src0_sel:WORD_0 src1_sel:DWORD
	v_cndmask_b32_e32 v2, v3, v1, vcc_lo
; %bb.24:
	s_or_b32 exec_lo, exec_lo, s0
	v_and_b32_e32 v1, 0xffff0000, v2
	v_add_f32_e32 v7, v7, v1
.LBB579_25:
	s_or_b32 exec_lo, exec_lo, s5
	v_lshlrev_b32_e32 v1, 2, v0
	s_mov_b32 s0, exec_lo
	ds_write_b32 v1, v7
	s_waitcnt lgkmcnt(0)
	s_barrier
	buffer_gl0_inv
	v_cmpx_gt_u32_e32 0x80, v0
	s_cbranch_execz .LBB579_27
; %bb.26:
	ds_read2st64_b32 v[2:3], v1 offset1:2
	s_waitcnt lgkmcnt(0)
	v_add_f32_e32 v2, v3, v2
	ds_write_b32 v1, v2
.LBB579_27:
	s_or_b32 exec_lo, exec_lo, s0
	s_mov_b32 s0, exec_lo
	s_waitcnt lgkmcnt(0)
	s_barrier
	buffer_gl0_inv
	v_cmpx_gt_u32_e32 64, v0
	s_cbranch_execz .LBB579_29
; %bb.28:
	ds_read2st64_b32 v[2:3], v1 offset1:1
	s_waitcnt lgkmcnt(0)
	v_add_f32_e32 v2, v3, v2
	ds_write_b32 v1, v2
.LBB579_29:
	s_or_b32 exec_lo, exec_lo, s0
	s_mov_b32 s0, exec_lo
	s_waitcnt lgkmcnt(0)
	s_barrier
	buffer_gl0_inv
	v_cmpx_gt_u32_e32 32, v0
	s_cbranch_execz .LBB579_31
; %bb.30:
	ds_read2_b32 v[2:3], v1 offset1:32
	s_waitcnt lgkmcnt(0)
	v_add_f32_e32 v2, v3, v2
	ds_write_b32 v1, v2
.LBB579_31:
	s_or_b32 exec_lo, exec_lo, s0
	s_mov_b32 s0, exec_lo
	s_waitcnt lgkmcnt(0)
	s_barrier
	buffer_gl0_inv
	v_cmpx_gt_u32_e32 16, v0
	s_cbranch_execz .LBB579_33
; %bb.32:
	ds_read2_b32 v[2:3], v1 offset1:16
	s_waitcnt lgkmcnt(0)
	v_add_f32_e32 v2, v3, v2
	ds_write_b32 v1, v2
.LBB579_33:
	;; [unrolled: 13-line block ×5, first 2 shown]
	s_or_b32 exec_lo, exec_lo, s0
	v_cmp_eq_u32_e32 vcc_lo, 0, v0
	s_waitcnt lgkmcnt(0)
	s_barrier
	buffer_gl0_inv
	s_and_saveexec_b32 s0, vcc_lo
	s_cbranch_execz .LBB579_41
; %bb.40:
	v_mov_b32_e32 v2, 0
	ds_read_b64 v[0:1], v2
	s_waitcnt lgkmcnt(0)
	v_add_f32_e32 v0, v1, v0
	ds_write_b32 v2, v0
.LBB579_41:
	s_or_b32 exec_lo, exec_lo, s0
	s_waitcnt lgkmcnt(0)
	s_barrier
	buffer_gl0_inv
                                        ; implicit-def: $sgpr8
                                        ; implicit-def: $sgpr2_sgpr3
	s_and_saveexec_b32 s0, vcc_lo
	s_cbranch_execz .LBB579_61
; %bb.42:
	v_mov_b32_e32 v0, 0
	v_cmp_eq_f32_e64 s2, s17, 0
	ds_read_b32 v0, v0
	s_and_b32 vcc_lo, exec_lo, s2
	s_waitcnt lgkmcnt(0)
	v_mul_f32_e32 v0, s19, v0
	v_readfirstlane_b32 s1, v0
	s_cbranch_vccz .LBB579_45
; %bb.43:
	s_and_b32 s2, s1, 0x7f800000
	s_cmp_eq_u32 s2, 0x7f800000
	s_cbranch_scc1 .LBB579_46
; %bb.44:
	s_bfe_u32 s2, s1, 0x10010
	s_add_i32 s2, s1, s2
	s_add_i32 s4, s2, 0x7fff
	s_mov_b32 s2, 0
	s_branch .LBB579_47
.LBB579_45:
                                        ; implicit-def: $sgpr4
	s_mul_hi_i32 s3, s18, s6
	s_mul_i32 s2, s18, s6
	s_branch .LBB579_50
.LBB579_46:
	s_mov_b32 s2, -1
                                        ; implicit-def: $sgpr4
.LBB579_47:
	s_andn2_b32 vcc_lo, exec_lo, s2
	s_cbranch_vccnz .LBB579_49
; %bb.48:
	s_and_b32 s2, s1, 0xffff
	s_or_b32 s3, s1, 0x10000
	s_cmp_eq_u32 s2, 0
	s_cselect_b32 s4, s1, s3
.LBB579_49:
	s_mul_hi_i32 s3, s18, s6
	s_mul_i32 s2, s18, s6
	s_cbranch_execnz .LBB579_60
.LBB579_50:
	s_lshl_b64 s[4:5], s[2:3], 1
	v_mov_b32_e32 v0, 0
	s_add_u32 s4, s14, s4
	s_addc_u32 s5, s15, s5
	global_load_ushort v0, v0, s[4:5]
	s_waitcnt vmcnt(0)
	v_lshlrev_b32_e32 v0, 16, v0
	v_mul_f32_e32 v0, s17, v0
	v_and_b32_e32 v1, 0x7f800000, v0
	v_readfirstlane_b32 s4, v0
	v_cmp_eq_u32_e32 vcc_lo, 0x7f800000, v1
	s_cbranch_vccnz .LBB579_52
; %bb.51:
	s_bfe_u32 s5, s4, 0x10010
	s_mov_b32 s6, 0
	s_add_i32 s5, s4, s5
	s_addk_i32 s5, 0x7fff
	s_branch .LBB579_53
.LBB579_52:
	s_mov_b32 s6, -1
                                        ; implicit-def: $sgpr5
.LBB579_53:
	s_andn2_b32 vcc_lo, exec_lo, s6
	s_cbranch_vccnz .LBB579_55
; %bb.54:
	s_and_b32 s5, s4, 0xffff
	s_or_b32 s6, s4, 0x10000
	s_cmp_eq_u32 s5, 0
	s_cselect_b32 s5, s4, s6
.LBB579_55:
	s_and_b32 s4, s5, 0xffff0000
	v_add_f32_e64 v0, s1, s4
	v_and_b32_e32 v1, 0x7f800000, v0
	v_readfirstlane_b32 s1, v0
	v_cmp_eq_u32_e32 vcc_lo, 0x7f800000, v1
	s_cbranch_vccnz .LBB579_57
; %bb.56:
	s_bfe_u32 s4, s1, 0x10010
	s_mov_b32 s5, 0
	s_add_i32 s4, s1, s4
	s_addk_i32 s4, 0x7fff
	s_branch .LBB579_58
.LBB579_57:
	s_mov_b32 s5, -1
                                        ; implicit-def: $sgpr4
.LBB579_58:
	s_andn2_b32 vcc_lo, exec_lo, s5
	s_cbranch_vccnz .LBB579_60
; %bb.59:
	s_and_b32 s4, s1, 0xffff
	s_or_b32 s5, s1, 0x10000
	s_cmp_eq_u32 s4, 0
	s_cselect_b32 s4, s1, s5
.LBB579_60:
	s_lshr_b32 s8, s4, 16
	s_or_b32 s16, s16, exec_lo
.LBB579_61:
	s_or_b32 exec_lo, exec_lo, s0
.LBB579_62:
	s_and_saveexec_b32 s0, s16
	s_cbranch_execz .LBB579_64
; %bb.63:
	s_lshl_b64 s[0:1], s[2:3], 1
	v_mov_b32_e32 v0, 0
	v_mov_b32_e32 v1, s8
	s_add_u32 s0, s14, s0
	s_addc_u32 s1, s15, s1
	global_store_short v0, v1, s[0:1]
.LBB579_64:
	s_endpgm
	.section	.rodata,"a",@progbits
	.p2align	6, 0x0
	.amdhsa_kernel _ZL20rocblas_gemvt_kernelILb1ELi256E16rocblas_bfloat16fS0_EviiT2_lPKT1_lilS4_lilS1_lPT3_lili
		.amdhsa_group_segment_fixed_size 1024
		.amdhsa_private_segment_fixed_size 0
		.amdhsa_kernarg_size 140
		.amdhsa_user_sgpr_count 6
		.amdhsa_user_sgpr_private_segment_buffer 1
		.amdhsa_user_sgpr_dispatch_ptr 0
		.amdhsa_user_sgpr_queue_ptr 0
		.amdhsa_user_sgpr_kernarg_segment_ptr 1
		.amdhsa_user_sgpr_dispatch_id 0
		.amdhsa_user_sgpr_flat_scratch_init 0
		.amdhsa_user_sgpr_private_segment_size 0
		.amdhsa_wavefront_size32 1
		.amdhsa_uses_dynamic_stack 0
		.amdhsa_system_sgpr_private_segment_wavefront_offset 0
		.amdhsa_system_sgpr_workgroup_id_x 1
		.amdhsa_system_sgpr_workgroup_id_y 0
		.amdhsa_system_sgpr_workgroup_id_z 1
		.amdhsa_system_sgpr_workgroup_info 0
		.amdhsa_system_vgpr_workitem_id 0
		.amdhsa_next_free_vgpr 11
		.amdhsa_next_free_sgpr 28
		.amdhsa_reserve_vcc 1
		.amdhsa_reserve_flat_scratch 0
		.amdhsa_float_round_mode_32 0
		.amdhsa_float_round_mode_16_64 0
		.amdhsa_float_denorm_mode_32 3
		.amdhsa_float_denorm_mode_16_64 3
		.amdhsa_dx10_clamp 1
		.amdhsa_ieee_mode 1
		.amdhsa_fp16_overflow 0
		.amdhsa_workgroup_processor_mode 1
		.amdhsa_memory_ordered 1
		.amdhsa_forward_progress 1
		.amdhsa_shared_vgpr_count 0
		.amdhsa_exception_fp_ieee_invalid_op 0
		.amdhsa_exception_fp_denorm_src 0
		.amdhsa_exception_fp_ieee_div_zero 0
		.amdhsa_exception_fp_ieee_overflow 0
		.amdhsa_exception_fp_ieee_underflow 0
		.amdhsa_exception_fp_ieee_inexact 0
		.amdhsa_exception_int_div_zero 0
	.end_amdhsa_kernel
	.section	.text._ZL20rocblas_gemvt_kernelILb1ELi256E16rocblas_bfloat16fS0_EviiT2_lPKT1_lilS4_lilS1_lPT3_lili,"axG",@progbits,_ZL20rocblas_gemvt_kernelILb1ELi256E16rocblas_bfloat16fS0_EviiT2_lPKT1_lilS4_lilS1_lPT3_lili,comdat
.Lfunc_end579:
	.size	_ZL20rocblas_gemvt_kernelILb1ELi256E16rocblas_bfloat16fS0_EviiT2_lPKT1_lilS4_lilS1_lPT3_lili, .Lfunc_end579-_ZL20rocblas_gemvt_kernelILb1ELi256E16rocblas_bfloat16fS0_EviiT2_lPKT1_lilS4_lilS1_lPT3_lili
                                        ; -- End function
	.set _ZL20rocblas_gemvt_kernelILb1ELi256E16rocblas_bfloat16fS0_EviiT2_lPKT1_lilS4_lilS1_lPT3_lili.num_vgpr, 11
	.set _ZL20rocblas_gemvt_kernelILb1ELi256E16rocblas_bfloat16fS0_EviiT2_lPKT1_lilS4_lilS1_lPT3_lili.num_agpr, 0
	.set _ZL20rocblas_gemvt_kernelILb1ELi256E16rocblas_bfloat16fS0_EviiT2_lPKT1_lilS4_lilS1_lPT3_lili.numbered_sgpr, 28
	.set _ZL20rocblas_gemvt_kernelILb1ELi256E16rocblas_bfloat16fS0_EviiT2_lPKT1_lilS4_lilS1_lPT3_lili.num_named_barrier, 0
	.set _ZL20rocblas_gemvt_kernelILb1ELi256E16rocblas_bfloat16fS0_EviiT2_lPKT1_lilS4_lilS1_lPT3_lili.private_seg_size, 0
	.set _ZL20rocblas_gemvt_kernelILb1ELi256E16rocblas_bfloat16fS0_EviiT2_lPKT1_lilS4_lilS1_lPT3_lili.uses_vcc, 1
	.set _ZL20rocblas_gemvt_kernelILb1ELi256E16rocblas_bfloat16fS0_EviiT2_lPKT1_lilS4_lilS1_lPT3_lili.uses_flat_scratch, 0
	.set _ZL20rocblas_gemvt_kernelILb1ELi256E16rocblas_bfloat16fS0_EviiT2_lPKT1_lilS4_lilS1_lPT3_lili.has_dyn_sized_stack, 0
	.set _ZL20rocblas_gemvt_kernelILb1ELi256E16rocblas_bfloat16fS0_EviiT2_lPKT1_lilS4_lilS1_lPT3_lili.has_recursion, 0
	.set _ZL20rocblas_gemvt_kernelILb1ELi256E16rocblas_bfloat16fS0_EviiT2_lPKT1_lilS4_lilS1_lPT3_lili.has_indirect_call, 0
	.section	.AMDGPU.csdata,"",@progbits
; Kernel info:
; codeLenInByte = 2024
; TotalNumSgprs: 30
; NumVgprs: 11
; ScratchSize: 0
; MemoryBound: 0
; FloatMode: 240
; IeeeMode: 1
; LDSByteSize: 1024 bytes/workgroup (compile time only)
; SGPRBlocks: 0
; VGPRBlocks: 1
; NumSGPRsForWavesPerEU: 30
; NumVGPRsForWavesPerEU: 11
; Occupancy: 16
; WaveLimiterHint : 1
; COMPUTE_PGM_RSRC2:SCRATCH_EN: 0
; COMPUTE_PGM_RSRC2:USER_SGPR: 6
; COMPUTE_PGM_RSRC2:TRAP_HANDLER: 0
; COMPUTE_PGM_RSRC2:TGID_X_EN: 1
; COMPUTE_PGM_RSRC2:TGID_Y_EN: 0
; COMPUTE_PGM_RSRC2:TGID_Z_EN: 1
; COMPUTE_PGM_RSRC2:TIDIG_COMP_CNT: 0
	.section	.text._ZL32rocblas_gemvt_warp_reduce_kernelILb1ELi1024Ei16rocblas_bfloat16PKfS0_EviiT3_lPKT2_lT1_lS6_lS7_lS3_lPT4_lS7_li,"axG",@progbits,_ZL32rocblas_gemvt_warp_reduce_kernelILb1ELi1024Ei16rocblas_bfloat16PKfS0_EviiT3_lPKT2_lT1_lS6_lS7_lS3_lPT4_lS7_li,comdat
	.globl	_ZL32rocblas_gemvt_warp_reduce_kernelILb1ELi1024Ei16rocblas_bfloat16PKfS0_EviiT3_lPKT2_lT1_lS6_lS7_lS3_lPT4_lS7_li ; -- Begin function _ZL32rocblas_gemvt_warp_reduce_kernelILb1ELi1024Ei16rocblas_bfloat16PKfS0_EviiT3_lPKT2_lT1_lS6_lS7_lS3_lPT4_lS7_li
	.p2align	8
	.type	_ZL32rocblas_gemvt_warp_reduce_kernelILb1ELi1024Ei16rocblas_bfloat16PKfS0_EviiT3_lPKT2_lT1_lS6_lS7_lS3_lPT4_lS7_li,@function
_ZL32rocblas_gemvt_warp_reduce_kernelILb1ELi1024Ei16rocblas_bfloat16PKfS0_EviiT3_lPKT2_lT1_lS6_lS7_lS3_lPT4_lS7_li: ; @_ZL32rocblas_gemvt_warp_reduce_kernelILb1ELi1024Ei16rocblas_bfloat16PKfS0_EviiT3_lPKT2_lT1_lS6_lS7_lS3_lPT4_lS7_li
; %bb.0:
	s_clause 0x1
	s_load_dwordx8 s[8:15], s[4:5], 0x8
	s_load_dwordx8 s[16:23], s[4:5], 0x50
	s_waitcnt lgkmcnt(0)
	s_mul_i32 s1, s11, s7
	s_mul_hi_u32 s2, s10, s7
	s_mul_i32 s0, s10, s7
	s_add_i32 s1, s2, s1
	s_mul_i32 s2, s21, s7
	s_lshl_b64 s[0:1], s[0:1], 2
	s_mul_hi_u32 s3, s20, s7
	s_add_u32 s0, s8, s0
	s_addc_u32 s1, s9, s1
	s_add_i32 s3, s3, s2
	s_mul_i32 s2, s20, s7
	s_mov_b32 s9, 0
	s_lshl_b64 s[2:3], s[2:3], 2
	s_add_u32 s2, s18, s2
	s_addc_u32 s3, s19, s3
	s_load_dword s18, s[0:1], 0x0
	s_load_dword s10, s[2:3], 0x0
	s_waitcnt lgkmcnt(0)
	v_cmp_eq_f32_e64 s0, s18, 0
	v_cmp_eq_f32_e64 s1, s10, 1.0
	s_and_b32 s0, s0, s1
	s_and_b32 vcc_lo, exec_lo, s0
	s_cbranch_vccnz .LBB580_56
; %bb.1:
	s_clause 0x2
	s_load_dwordx2 s[0:1], s[4:5], 0x80
	s_load_dwordx2 s[2:3], s[4:5], 0x70
	s_load_dword s11, s[4:5], 0x78
	v_cmp_neq_f32_e64 s19, s18, 0
	s_waitcnt lgkmcnt(0)
	s_mul_i32 s1, s1, s7
	s_mul_hi_u32 s8, s0, s7
	s_mul_i32 s0, s0, s7
	s_add_i32 s1, s8, s1
	s_lshl_b64 s[0:1], s[0:1], 1
	s_add_u32 s0, s22, s0
	s_addc_u32 s8, s23, s1
	s_lshl_b64 s[2:3], s[2:3], 1
	s_add_u32 s1, s0, s2
	v_cmp_eq_u32_e64 s0, 0, v0
	s_addc_u32 s8, s8, s3
	s_and_b32 vcc_lo, exec_lo, s19
	s_cbranch_vccnz .LBB580_6
; %bb.2:
	s_mov_b32 s19, 0
                                        ; implicit-def: $sgpr21
                                        ; implicit-def: $sgpr2_sgpr3
	s_and_saveexec_b32 s20, s0
	s_cbranch_execz .LBB580_7
; %bb.3:
	v_cmp_eq_f32_e64 s0, s10, 0
	s_mul_i32 s2, s11, s6
	s_mov_b32 s21, 0
	s_ashr_i32 s3, s2, 31
	s_and_b32 vcc_lo, exec_lo, s0
	s_cbranch_vccnz .LBB580_12
; %bb.4:
	s_lshl_b64 s[22:23], s[2:3], 1
	v_mov_b32_e32 v1, 0
	s_add_u32 s22, s1, s22
	s_addc_u32 s23, s8, s23
	global_load_ushort v1, v1, s[22:23]
	s_waitcnt vmcnt(0)
	v_lshlrev_b32_e32 v1, 16, v1
	v_mul_f32_e32 v1, s10, v1
	v_and_b32_e32 v2, 0x7f800000, v1
	v_readfirstlane_b32 s0, v1
	v_cmp_eq_u32_e32 vcc_lo, 0x7f800000, v2
	s_cbranch_vccnz .LBB580_9
; %bb.5:
	s_bfe_u32 s9, s0, 0x10010
	s_add_i32 s9, s0, s9
	s_addk_i32 s9, 0x7fff
	s_andn2_b32 vcc_lo, exec_lo, s21
	s_cbranch_vccz .LBB580_10
	s_branch .LBB580_11
.LBB580_6:
                                        ; implicit-def: $sgpr21
                                        ; implicit-def: $sgpr2_sgpr3
	s_cbranch_execz .LBB580_8
	s_branch .LBB580_13
.LBB580_7:
	s_or_b32 exec_lo, exec_lo, s20
	s_and_b32 vcc_lo, exec_lo, s19
	s_cbranch_vccnz .LBB580_13
.LBB580_8:
	v_mov_b32_e32 v1, s21
	s_and_saveexec_b32 s0, s9
	s_cbranch_execnz .LBB580_55
	s_branch .LBB580_56
.LBB580_9:
                                        ; implicit-def: $sgpr9
.LBB580_10:
	s_and_b32 s9, s0, 0xffff
	s_or_b32 s21, s0, 0x10000
	s_cmp_eq_u32 s9, 0
	s_cselect_b32 s9, s0, s21
.LBB580_11:
	s_lshr_b32 s21, s9, 16
.LBB580_12:
	s_mov_b32 s9, exec_lo
	s_or_b32 exec_lo, exec_lo, s20
	s_and_b32 vcc_lo, exec_lo, s19
	s_cbranch_vccz .LBB580_8
.LBB580_13:
	s_clause 0x3
	s_load_dwordx4 s[20:23], s[4:5], 0x30
	s_load_dwordx2 s[24:25], s[4:5], 0x40
	s_load_dword s3, s[4:5], 0x0
	s_load_dword s0, s[4:5], 0x28
	s_mul_i32 s2, s17, s7
	s_mul_hi_u32 s17, s16, s7
	s_mul_i32 s16, s16, s7
	s_add_i32 s17, s17, s2
	s_load_dword s4, s[4:5], 0x48
	s_lshl_b64 s[16:17], s[16:17], 1
	v_mov_b32_e32 v7, 0
	s_waitcnt lgkmcnt(0)
	s_add_u32 s2, s22, s16
	s_addc_u32 s22, s23, s17
	v_cmp_gt_i32_e32 vcc_lo, s3, v0
	s_lshl_b64 s[16:17], s[24:25], 1
	s_mul_i32 s19, s21, s7
	s_mul_hi_u32 s21, s20, s7
	s_add_u32 s5, s2, s16
	v_cndmask_b32_e32 v1, 0, v0, vcc_lo
	s_mul_i32 s20, s20, s7
	s_addc_u32 s7, s22, s17
	s_add_i32 s21, s21, s19
	s_lshl_b64 s[16:17], s[20:21], 1
	s_mul_i32 s20, s0, s6
	s_add_u32 s0, s12, s16
	v_lshlrev_b32_e32 v1, 1, v1
	s_addc_u32 s2, s13, s17
	s_lshl_b64 s[12:13], s[14:15], 1
	s_add_u32 s0, s0, s12
	s_addc_u32 s2, s2, s13
	v_add_co_u32 v1, s0, s0, v1
	s_ashr_i32 s12, s3, 31
	s_ashr_i32 s21, s20, 31
	v_add_co_ci_u32_e64 v2, null, s2, 0, s0
	s_lshr_b32 s0, s12, 22
	s_lshl_b64 s[12:13], s[20:21], 1
	s_add_i32 s0, s3, s0
	v_add_co_u32 v1, vcc_lo, v1, s12
	v_add_co_ci_u32_e64 v2, null, s13, v2, vcc_lo
	s_and_b32 s2, s0, 0xfffffc00
	s_mov_b32 s13, 0
	s_mov_b32 s12, exec_lo
	v_cmpx_gt_i32_e64 s2, v0
	s_cbranch_execz .LBB580_21
; %bb.14:
	v_mul_lo_u32 v3, v0, s4
	v_mov_b32_e32 v6, v2
	v_mov_b32_e32 v8, 0
	v_mov_b32_e32 v5, v1
	v_mov_b32_e32 v9, v0
	v_mov_b32_e32 v7, 0
	s_lshl_b32 s14, s4, 10
	s_branch .LBB580_16
.LBB580_15:                             ;   in Loop: Header=BB580_16 Depth=1
	s_or_b32 exec_lo, exec_lo, s0
	v_add_nc_u32_e32 v9, 0x400, v9
	v_and_b32_e32 v4, 0xffff0000, v10
	v_add_co_u32 v5, s0, 0x800, v5
	v_add_nc_u32_e32 v3, s14, v3
	v_cmp_le_i32_e32 vcc_lo, s2, v9
	v_add_f32_e32 v7, v7, v4
	v_add_co_ci_u32_e64 v6, null, 0, v6, s0
	s_or_b32 s13, vcc_lo, s13
	s_andn2_b32 exec_lo, exec_lo, s13
	s_cbranch_execz .LBB580_20
.LBB580_16:                             ; =>This Inner Loop Header: Depth=1
	v_ashrrev_i32_e32 v4, 31, v3
	v_lshlrev_b64 v[10:11], 1, v[3:4]
	v_add_co_u32 v10, vcc_lo, s5, v10
	v_add_co_ci_u32_e64 v11, null, s7, v11, vcc_lo
	global_load_ushort v4, v[5:6], off
	global_load_ushort v10, v[10:11], off
	s_waitcnt vmcnt(1)
	v_lshlrev_b32_e32 v4, 16, v4
	s_waitcnt vmcnt(0)
	v_lshlrev_b32_e32 v10, 16, v10
	v_mul_f32_e32 v4, v4, v10
	v_and_b32_e32 v10, 0x7f800000, v4
	v_cmp_ne_u32_e32 vcc_lo, 0x7f800000, v10
                                        ; implicit-def: $vgpr10
	s_and_saveexec_b32 s0, vcc_lo
	s_xor_b32 s0, exec_lo, s0
; %bb.17:                               ;   in Loop: Header=BB580_16 Depth=1
	v_bfe_u32 v10, v4, 16, 1
	v_add3_u32 v10, v4, v10, 0x7fff
                                        ; implicit-def: $vgpr4
; %bb.18:                               ;   in Loop: Header=BB580_16 Depth=1
	s_andn2_saveexec_b32 s0, s0
	s_cbranch_execz .LBB580_15
; %bb.19:                               ;   in Loop: Header=BB580_16 Depth=1
	v_or_b32_e32 v10, 0x10000, v4
	v_cmp_eq_u32_sdwa vcc_lo, v4, v8 src0_sel:WORD_0 src1_sel:DWORD
	v_cndmask_b32_e32 v10, v10, v4, vcc_lo
	s_branch .LBB580_15
.LBB580_20:
	s_or_b32 exec_lo, exec_lo, s13
.LBB580_21:
	s_or_b32 exec_lo, exec_lo, s12
	v_or_b32_e32 v3, s2, v0
	s_mov_b32 s0, exec_lo
	v_cmpx_gt_i32_e64 s3, v3
	s_cbranch_execz .LBB580_27
; %bb.22:
	v_mul_lo_u32 v3, s4, v3
	s_ashr_i32 s3, s2, 31
	s_lshl_b64 s[2:3], s[2:3], 1
	v_ashrrev_i32_e32 v4, 31, v3
	v_lshlrev_b64 v[3:4], 1, v[3:4]
	v_add_co_u32 v3, vcc_lo, s5, v3
	v_add_co_ci_u32_e64 v4, null, s7, v4, vcc_lo
	v_add_co_u32 v1, vcc_lo, v1, s2
	v_add_co_ci_u32_e64 v2, null, s3, v2, vcc_lo
	global_load_ushort v3, v[3:4], off
	global_load_ushort v1, v[1:2], off
	s_waitcnt vmcnt(1)
	v_lshlrev_b32_e32 v2, 16, v3
	s_waitcnt vmcnt(0)
	v_lshlrev_b32_e32 v1, 16, v1
	v_mul_f32_e32 v1, v1, v2
	v_and_b32_e32 v2, 0x7f800000, v1
	v_cmp_ne_u32_e32 vcc_lo, 0x7f800000, v2
                                        ; implicit-def: $vgpr2
	s_and_saveexec_b32 s2, vcc_lo
	s_xor_b32 s2, exec_lo, s2
; %bb.23:
	v_bfe_u32 v2, v1, 16, 1
	v_add3_u32 v2, v1, v2, 0x7fff
                                        ; implicit-def: $vgpr1
; %bb.24:
	s_andn2_saveexec_b32 s2, s2
; %bb.25:
	v_mov_b32_e32 v2, 0
	v_or_b32_e32 v3, 0x10000, v1
	v_cmp_eq_u32_sdwa vcc_lo, v1, v2 src0_sel:WORD_0 src1_sel:DWORD
	v_cndmask_b32_e32 v2, v3, v1, vcc_lo
; %bb.26:
	s_or_b32 exec_lo, exec_lo, s2
	v_and_b32_e32 v1, 0xffff0000, v2
	v_add_f32_e32 v7, v7, v1
.LBB580_27:
	s_or_b32 exec_lo, exec_lo, s0
	v_and_b32_e32 v8, 31, v0
	v_cmp_gt_u32_e32 vcc_lo, 32, v0
	v_lshlrev_b32_e32 v1, 2, v8
	s_and_saveexec_b32 s0, vcc_lo
; %bb.28:
	v_mov_b32_e32 v2, 0
	ds_write_b32 v1, v2
; %bb.29:
	s_or_b32 exec_lo, exec_lo, s0
	v_mbcnt_lo_u32_b32 v6, -1, 0
	s_mov_b32 s2, exec_lo
	s_waitcnt lgkmcnt(0)
	s_barrier
	buffer_gl0_inv
	v_lshl_or_b32 v2, v6, 2, 64
	v_cmp_gt_u32_e64 s0, 24, v6
	ds_bpermute_b32 v4, v2, v7
	v_cndmask_b32_e64 v3, 0, 8, s0
	v_cmp_gt_u32_e64 s0, 28, v6
	v_add_lshl_u32 v3, v3, v6, 2
	s_waitcnt lgkmcnt(0)
	v_add_f32_e32 v5, v7, v4
	v_cndmask_b32_e64 v4, 0, 4, s0
	v_cmp_gt_u32_e64 s0, 30, v6
	ds_bpermute_b32 v7, v3, v5
	v_add_lshl_u32 v4, v4, v6, 2
	s_waitcnt lgkmcnt(0)
	v_add_f32_e32 v7, v5, v7
	v_cndmask_b32_e64 v5, 0, 2, s0
	v_cmp_ne_u32_e64 s0, 31, v6
	ds_bpermute_b32 v9, v4, v7
	v_add_lshl_u32 v5, v5, v6, 2
	v_add_co_ci_u32_e64 v6, null, 0, v6, s0
	v_lshlrev_b32_e32 v6, 2, v6
	s_waitcnt lgkmcnt(0)
	v_add_f32_e32 v7, v7, v9
	ds_bpermute_b32 v9, v5, v7
	s_waitcnt lgkmcnt(0)
	v_add_f32_e32 v7, v7, v9
	ds_bpermute_b32 v9, v6, v7
	v_cmpx_eq_u32_e32 0, v8
	s_cbranch_execz .LBB580_31
; %bb.30:
	v_lshrrev_b32_e32 v8, 3, v0
	s_waitcnt lgkmcnt(0)
	v_add_f32_e32 v7, v7, v9
	v_and_b32_e32 v8, 0x7c, v8
	ds_write_b32 v8, v7
.LBB580_31:
	s_or_b32 exec_lo, exec_lo, s2
	v_mov_b32_e32 v7, 0
	s_waitcnt lgkmcnt(0)
	s_barrier
	buffer_gl0_inv
	s_and_saveexec_b32 s0, vcc_lo
; %bb.32:
	ds_read_b32 v7, v1
; %bb.33:
	s_or_b32 exec_lo, exec_lo, s0
	s_and_saveexec_b32 s0, vcc_lo
	s_cbranch_execz .LBB580_35
; %bb.34:
	s_waitcnt lgkmcnt(0)
	ds_bpermute_b32 v1, v2, v7
	s_waitcnt lgkmcnt(0)
	v_add_f32_e32 v1, v7, v1
	ds_bpermute_b32 v2, v3, v1
	s_waitcnt lgkmcnt(0)
	v_add_f32_e32 v1, v1, v2
	;; [unrolled: 3-line block ×5, first 2 shown]
.LBB580_35:
	s_or_b32 exec_lo, exec_lo, s0
	s_mov_b32 s0, exec_lo
                                        ; implicit-def: $vgpr1
                                        ; implicit-def: $sgpr2_sgpr3
	v_cmpx_eq_u32_e32 0, v0
	s_cbranch_execz .LBB580_54
; %bb.36:
	v_cmp_eq_f32_e64 s2, s10, 0
	s_waitcnt lgkmcnt(0)
	v_mul_f32_e32 v0, s18, v7
	s_and_b32 vcc_lo, exec_lo, s2
	s_cbranch_vccz .LBB580_42
; %bb.37:
	v_and_b32_e32 v1, 0x7f800000, v0
	v_cmp_ne_u32_e32 vcc_lo, 0x7f800000, v1
                                        ; implicit-def: $vgpr1
	s_and_saveexec_b32 s2, vcc_lo
	s_xor_b32 s2, exec_lo, s2
; %bb.38:
	v_bfe_u32 v1, v0, 16, 1
	v_add3_u32 v1, v0, v1, 0x7fff
; %bb.39:
	s_andn2_saveexec_b32 s2, s2
; %bb.40:
	v_mov_b32_e32 v1, 0
	v_or_b32_e32 v2, 0x10000, v0
	v_cmp_eq_u32_sdwa vcc_lo, v0, v1 src0_sel:WORD_0 src1_sel:DWORD
	v_cndmask_b32_e32 v1, v2, v0, vcc_lo
; %bb.41:
	s_or_b32 exec_lo, exec_lo, s2
	s_mul_i32 s2, s11, s6
	s_cbranch_execz .LBB580_43
	s_branch .LBB580_53
.LBB580_42:
                                        ; implicit-def: $vgpr1
	s_mul_i32 s2, s11, s6
.LBB580_43:
	s_ashr_i32 s3, s2, 31
	v_mov_b32_e32 v1, 0
	s_lshl_b64 s[4:5], s[2:3], 1
	s_add_u32 s4, s1, s4
	s_addc_u32 s5, s8, s5
	global_load_ushort v1, v1, s[4:5]
	s_waitcnt vmcnt(0)
	v_lshlrev_b32_e32 v1, 16, v1
	v_mul_f32_e32 v1, s10, v1
	v_and_b32_e32 v2, 0x7f800000, v1
	v_readfirstlane_b32 s3, v1
	v_cmp_eq_u32_e32 vcc_lo, 0x7f800000, v2
	s_cbranch_vccnz .LBB580_45
; %bb.44:
	s_bfe_u32 s4, s3, 0x10010
	s_mov_b32 s5, 0
	s_add_i32 s4, s3, s4
	s_addk_i32 s4, 0x7fff
	s_branch .LBB580_46
.LBB580_45:
	s_mov_b32 s5, -1
                                        ; implicit-def: $sgpr4
.LBB580_46:
	s_andn2_b32 vcc_lo, exec_lo, s5
	s_cbranch_vccnz .LBB580_48
; %bb.47:
	s_and_b32 s4, s3, 0xffff
	s_or_b32 s5, s3, 0x10000
	s_cmp_eq_u32 s4, 0
	s_cselect_b32 s4, s3, s5
.LBB580_48:
	s_and_b32 s3, s4, 0xffff0000
	v_add_f32_e32 v0, s3, v0
	v_and_b32_e32 v1, 0x7f800000, v0
	v_cmp_ne_u32_e32 vcc_lo, 0x7f800000, v1
                                        ; implicit-def: $vgpr1
	s_and_saveexec_b32 s3, vcc_lo
	s_xor_b32 s3, exec_lo, s3
; %bb.49:
	v_bfe_u32 v1, v0, 16, 1
	v_add3_u32 v1, v0, v1, 0x7fff
                                        ; implicit-def: $vgpr0
; %bb.50:
	s_andn2_saveexec_b32 s3, s3
; %bb.51:
	v_mov_b32_e32 v1, 0
	v_or_b32_e32 v2, 0x10000, v0
	v_cmp_eq_u32_sdwa vcc_lo, v0, v1 src0_sel:WORD_0 src1_sel:DWORD
	v_cndmask_b32_e32 v1, v2, v0, vcc_lo
; %bb.52:
	s_or_b32 exec_lo, exec_lo, s3
.LBB580_53:
	v_lshrrev_b32_e32 v1, 16, v1
	s_ashr_i32 s3, s2, 31
	s_or_b32 s9, s9, exec_lo
.LBB580_54:
	s_or_b32 exec_lo, exec_lo, s0
	s_and_saveexec_b32 s0, s9
	s_cbranch_execz .LBB580_56
.LBB580_55:
	s_lshl_b64 s[2:3], s[2:3], 1
	v_mov_b32_e32 v0, 0
	s_add_u32 s0, s1, s2
	s_addc_u32 s1, s8, s3
	global_store_short v0, v1, s[0:1]
.LBB580_56:
	s_endpgm
	.section	.rodata,"a",@progbits
	.p2align	6, 0x0
	.amdhsa_kernel _ZL32rocblas_gemvt_warp_reduce_kernelILb1ELi1024Ei16rocblas_bfloat16PKfS0_EviiT3_lPKT2_lT1_lS6_lS7_lS3_lPT4_lS7_li
		.amdhsa_group_segment_fixed_size 128
		.amdhsa_private_segment_fixed_size 0
		.amdhsa_kernarg_size 140
		.amdhsa_user_sgpr_count 6
		.amdhsa_user_sgpr_private_segment_buffer 1
		.amdhsa_user_sgpr_dispatch_ptr 0
		.amdhsa_user_sgpr_queue_ptr 0
		.amdhsa_user_sgpr_kernarg_segment_ptr 1
		.amdhsa_user_sgpr_dispatch_id 0
		.amdhsa_user_sgpr_flat_scratch_init 0
		.amdhsa_user_sgpr_private_segment_size 0
		.amdhsa_wavefront_size32 1
		.amdhsa_uses_dynamic_stack 0
		.amdhsa_system_sgpr_private_segment_wavefront_offset 0
		.amdhsa_system_sgpr_workgroup_id_x 1
		.amdhsa_system_sgpr_workgroup_id_y 0
		.amdhsa_system_sgpr_workgroup_id_z 1
		.amdhsa_system_sgpr_workgroup_info 0
		.amdhsa_system_vgpr_workitem_id 0
		.amdhsa_next_free_vgpr 12
		.amdhsa_next_free_sgpr 26
		.amdhsa_reserve_vcc 1
		.amdhsa_reserve_flat_scratch 0
		.amdhsa_float_round_mode_32 0
		.amdhsa_float_round_mode_16_64 0
		.amdhsa_float_denorm_mode_32 3
		.amdhsa_float_denorm_mode_16_64 3
		.amdhsa_dx10_clamp 1
		.amdhsa_ieee_mode 1
		.amdhsa_fp16_overflow 0
		.amdhsa_workgroup_processor_mode 1
		.amdhsa_memory_ordered 1
		.amdhsa_forward_progress 1
		.amdhsa_shared_vgpr_count 0
		.amdhsa_exception_fp_ieee_invalid_op 0
		.amdhsa_exception_fp_denorm_src 0
		.amdhsa_exception_fp_ieee_div_zero 0
		.amdhsa_exception_fp_ieee_overflow 0
		.amdhsa_exception_fp_ieee_underflow 0
		.amdhsa_exception_fp_ieee_inexact 0
		.amdhsa_exception_int_div_zero 0
	.end_amdhsa_kernel
	.section	.text._ZL32rocblas_gemvt_warp_reduce_kernelILb1ELi1024Ei16rocblas_bfloat16PKfS0_EviiT3_lPKT2_lT1_lS6_lS7_lS3_lPT4_lS7_li,"axG",@progbits,_ZL32rocblas_gemvt_warp_reduce_kernelILb1ELi1024Ei16rocblas_bfloat16PKfS0_EviiT3_lPKT2_lT1_lS6_lS7_lS3_lPT4_lS7_li,comdat
.Lfunc_end580:
	.size	_ZL32rocblas_gemvt_warp_reduce_kernelILb1ELi1024Ei16rocblas_bfloat16PKfS0_EviiT3_lPKT2_lT1_lS6_lS7_lS3_lPT4_lS7_li, .Lfunc_end580-_ZL32rocblas_gemvt_warp_reduce_kernelILb1ELi1024Ei16rocblas_bfloat16PKfS0_EviiT3_lPKT2_lT1_lS6_lS7_lS3_lPT4_lS7_li
                                        ; -- End function
	.set _ZL32rocblas_gemvt_warp_reduce_kernelILb1ELi1024Ei16rocblas_bfloat16PKfS0_EviiT3_lPKT2_lT1_lS6_lS7_lS3_lPT4_lS7_li.num_vgpr, 12
	.set _ZL32rocblas_gemvt_warp_reduce_kernelILb1ELi1024Ei16rocblas_bfloat16PKfS0_EviiT3_lPKT2_lT1_lS6_lS7_lS3_lPT4_lS7_li.num_agpr, 0
	.set _ZL32rocblas_gemvt_warp_reduce_kernelILb1ELi1024Ei16rocblas_bfloat16PKfS0_EviiT3_lPKT2_lT1_lS6_lS7_lS3_lPT4_lS7_li.numbered_sgpr, 26
	.set _ZL32rocblas_gemvt_warp_reduce_kernelILb1ELi1024Ei16rocblas_bfloat16PKfS0_EviiT3_lPKT2_lT1_lS6_lS7_lS3_lPT4_lS7_li.num_named_barrier, 0
	.set _ZL32rocblas_gemvt_warp_reduce_kernelILb1ELi1024Ei16rocblas_bfloat16PKfS0_EviiT3_lPKT2_lT1_lS6_lS7_lS3_lPT4_lS7_li.private_seg_size, 0
	.set _ZL32rocblas_gemvt_warp_reduce_kernelILb1ELi1024Ei16rocblas_bfloat16PKfS0_EviiT3_lPKT2_lT1_lS6_lS7_lS3_lPT4_lS7_li.uses_vcc, 1
	.set _ZL32rocblas_gemvt_warp_reduce_kernelILb1ELi1024Ei16rocblas_bfloat16PKfS0_EviiT3_lPKT2_lT1_lS6_lS7_lS3_lPT4_lS7_li.uses_flat_scratch, 0
	.set _ZL32rocblas_gemvt_warp_reduce_kernelILb1ELi1024Ei16rocblas_bfloat16PKfS0_EviiT3_lPKT2_lT1_lS6_lS7_lS3_lPT4_lS7_li.has_dyn_sized_stack, 0
	.set _ZL32rocblas_gemvt_warp_reduce_kernelILb1ELi1024Ei16rocblas_bfloat16PKfS0_EviiT3_lPKT2_lT1_lS6_lS7_lS3_lPT4_lS7_li.has_recursion, 0
	.set _ZL32rocblas_gemvt_warp_reduce_kernelILb1ELi1024Ei16rocblas_bfloat16PKfS0_EviiT3_lPKT2_lT1_lS6_lS7_lS3_lPT4_lS7_li.has_indirect_call, 0
	.section	.AMDGPU.csdata,"",@progbits
; Kernel info:
; codeLenInByte = 1916
; TotalNumSgprs: 28
; NumVgprs: 12
; ScratchSize: 0
; MemoryBound: 0
; FloatMode: 240
; IeeeMode: 1
; LDSByteSize: 128 bytes/workgroup (compile time only)
; SGPRBlocks: 0
; VGPRBlocks: 1
; NumSGPRsForWavesPerEU: 28
; NumVGPRsForWavesPerEU: 12
; Occupancy: 16
; WaveLimiterHint : 1
; COMPUTE_PGM_RSRC2:SCRATCH_EN: 0
; COMPUTE_PGM_RSRC2:USER_SGPR: 6
; COMPUTE_PGM_RSRC2:TRAP_HANDLER: 0
; COMPUTE_PGM_RSRC2:TGID_X_EN: 1
; COMPUTE_PGM_RSRC2:TGID_Y_EN: 0
; COMPUTE_PGM_RSRC2:TGID_Z_EN: 1
; COMPUTE_PGM_RSRC2:TIDIG_COMP_CNT: 0
	.section	.text._ZL32rocblas_gemvt_warp_reduce_kernelILb1ELi1024El16rocblas_bfloat16PKfS0_EviiT3_lPKT2_lT1_lS6_lS7_lS3_lPT4_lS7_li,"axG",@progbits,_ZL32rocblas_gemvt_warp_reduce_kernelILb1ELi1024El16rocblas_bfloat16PKfS0_EviiT3_lPKT2_lT1_lS6_lS7_lS3_lPT4_lS7_li,comdat
	.globl	_ZL32rocblas_gemvt_warp_reduce_kernelILb1ELi1024El16rocblas_bfloat16PKfS0_EviiT3_lPKT2_lT1_lS6_lS7_lS3_lPT4_lS7_li ; -- Begin function _ZL32rocblas_gemvt_warp_reduce_kernelILb1ELi1024El16rocblas_bfloat16PKfS0_EviiT3_lPKT2_lT1_lS6_lS7_lS3_lPT4_lS7_li
	.p2align	8
	.type	_ZL32rocblas_gemvt_warp_reduce_kernelILb1ELi1024El16rocblas_bfloat16PKfS0_EviiT3_lPKT2_lT1_lS6_lS7_lS3_lPT4_lS7_li,@function
_ZL32rocblas_gemvt_warp_reduce_kernelILb1ELi1024El16rocblas_bfloat16PKfS0_EviiT3_lPKT2_lT1_lS6_lS7_lS3_lPT4_lS7_li: ; @_ZL32rocblas_gemvt_warp_reduce_kernelILb1ELi1024El16rocblas_bfloat16PKfS0_EviiT3_lPKT2_lT1_lS6_lS7_lS3_lPT4_lS7_li
; %bb.0:
	s_clause 0x1
	s_load_dwordx16 s[36:51], s[4:5], 0x8
	s_load_dwordx16 s[8:23], s[4:5], 0x48
	s_waitcnt lgkmcnt(0)
	s_mul_i32 s1, s39, s7
	s_mul_hi_u32 s2, s38, s7
	s_mul_i32 s0, s38, s7
	s_add_i32 s1, s2, s1
	s_mul_i32 s2, s15, s7
	s_lshl_b64 s[0:1], s[0:1], 2
	s_mul_hi_u32 s3, s14, s7
	s_add_u32 s0, s36, s0
	s_addc_u32 s1, s37, s1
	s_add_i32 s3, s3, s2
	s_mul_i32 s2, s14, s7
	s_lshl_b64 s[2:3], s[2:3], 2
	s_add_u32 s2, s12, s2
	s_addc_u32 s3, s13, s3
	s_load_dword s15, s[0:1], 0x0
	s_load_dword s14, s[2:3], 0x0
	s_mov_b32 s13, 0
	s_waitcnt lgkmcnt(0)
	v_cmp_eq_f32_e64 s0, s15, 0
	v_cmp_eq_f32_e64 s1, s14, 1.0
	s_and_b32 s0, s0, s1
	s_and_b32 vcc_lo, exec_lo, s0
	s_cbranch_vccnz .LBB581_57
; %bb.1:
	s_mul_i32 s1, s23, s7
	s_mul_hi_u32 s2, s22, s7
	s_mul_i32 s0, s22, s7
	s_add_i32 s1, s2, s1
	v_cmp_neq_f32_e64 s22, s15, 0
	s_lshl_b64 s[0:1], s[0:1], 1
	s_add_u32 s0, s16, s0
	s_addc_u32 s12, s17, s1
	s_lshl_b64 s[2:3], s[18:19], 1
	s_add_u32 s1, s0, s2
	v_cmp_eq_u32_e64 s0, 0, v0
	s_addc_u32 s12, s12, s3
	s_and_b32 vcc_lo, exec_lo, s22
	s_cbranch_vccnz .LBB581_6
; %bb.2:
	s_mov_b32 s16, 0
                                        ; implicit-def: $sgpr18
                                        ; implicit-def: $sgpr2_sgpr3
	s_and_saveexec_b32 s17, s0
	s_cbranch_execz .LBB581_7
; %bb.3:
	s_ashr_i32 s0, s6, 31
	v_cmp_eq_f32_e64 s13, s14, 0
	s_mul_hi_u32 s2, s20, s6
	s_mul_i32 s0, s20, s0
	s_mov_b32 s18, 0
	s_add_i32 s0, s2, s0
	s_mul_i32 s2, s21, s6
	s_and_b32 vcc_lo, exec_lo, s13
	s_add_i32 s3, s0, s2
	s_mul_i32 s2, s20, s6
	s_cbranch_vccnz .LBB581_12
; %bb.4:
	s_lshl_b64 s[18:19], s[2:3], 1
	v_mov_b32_e32 v1, 0
	s_add_u32 s18, s1, s18
	s_addc_u32 s19, s12, s19
	global_load_ushort v1, v1, s[18:19]
	s_waitcnt vmcnt(0)
	v_lshlrev_b32_e32 v1, 16, v1
	v_mul_f32_e32 v1, s14, v1
	v_and_b32_e32 v2, 0x7f800000, v1
	v_readfirstlane_b32 s0, v1
	v_cmp_eq_u32_e32 vcc_lo, 0x7f800000, v2
	s_cbranch_vccnz .LBB581_9
; %bb.5:
	s_bfe_u32 s13, s0, 0x10010
	s_add_i32 s13, s0, s13
	s_addk_i32 s13, 0x7fff
	s_cbranch_execz .LBB581_10
	s_branch .LBB581_11
.LBB581_6:
                                        ; implicit-def: $sgpr18
                                        ; implicit-def: $sgpr2_sgpr3
	s_cbranch_execz .LBB581_8
	s_branch .LBB581_13
.LBB581_7:
	s_or_b32 exec_lo, exec_lo, s17
	s_and_b32 vcc_lo, exec_lo, s16
	s_cbranch_vccnz .LBB581_13
.LBB581_8:
	v_mov_b32_e32 v1, s18
	s_and_saveexec_b32 s0, s13
	s_cbranch_execnz .LBB581_56
	s_branch .LBB581_57
.LBB581_9:
                                        ; implicit-def: $sgpr13
.LBB581_10:
	s_and_b32 s13, s0, 0xffff
	s_or_b32 s18, s0, 0x10000
	s_cmp_eq_u32 s13, 0
	s_cselect_b32 s13, s0, s18
.LBB581_11:
	s_lshr_b32 s18, s13, 16
.LBB581_12:
	s_mov_b32 s13, exec_lo
	s_or_b32 exec_lo, exec_lo, s17
	s_and_b32 vcc_lo, exec_lo, s16
	s_cbranch_vccz .LBB581_8
.LBB581_13:
	s_load_dword s5, s[4:5], 0x0
	s_mul_i32 s0, s11, s7
	s_mul_i32 s3, s47, s7
	s_mul_hi_u32 s11, s46, s7
	s_mul_i32 s2, s46, s7
	s_add_i32 s3, s11, s3
	s_mul_hi_u32 s4, s10, s7
	s_lshl_b64 s[16:17], s[2:3], 1
	s_add_i32 s3, s4, s0
	s_add_u32 s0, s40, s16
	s_addc_u32 s2, s41, s17
	s_lshl_b64 s[16:17], s[42:43], 1
	s_mul_hi_u32 s4, s44, s6
	s_add_u32 s0, s0, s16
	s_addc_u32 s2, s2, s17
	s_ashr_i32 s16, s6, 31
	s_mul_i32 s11, s45, s6
	s_mul_i32 s17, s44, s16
	s_mul_i32 s18, s44, s6
	s_add_i32 s4, s4, s17
	s_waitcnt lgkmcnt(0)
	v_cmp_gt_i32_e32 vcc_lo, s5, v0
	s_add_i32 s19, s4, s11
	s_ashr_i32 s4, s5, 31
	s_lshl_b64 s[18:19], s[18:19], 1
	s_lshr_b32 s4, s4, 22
	v_cndmask_b32_e32 v1, 0, v0, vcc_lo
	v_mov_b32_e32 v7, 0
	s_add_i32 s4, s5, s4
	s_mov_b32 s17, 0
	s_and_b32 s4, s4, 0xfffffc00
	v_lshlrev_b32_e32 v1, 1, v1
	v_add_co_u32 v1, s0, s0, v1
	v_add_co_ci_u32_e64 v2, null, s2, 0, s0
	s_mul_i32 s2, s10, s7
	v_add_co_u32 v1, vcc_lo, v1, s18
	v_add_co_ci_u32_e64 v2, null, s19, v2, vcc_lo
	s_mov_b32 s7, exec_lo
	v_cmpx_gt_i32_e64 s4, v0
	s_cbranch_execz .LBB581_21
; %bb.14:
	v_mad_u64_u32 v[5:6], null, s8, v0, 0
	s_lshl_b64 s[18:19], s[50:51], 1
	s_lshl_b64 s[10:11], s[2:3], 1
	s_add_u32 s0, s48, s18
	s_addc_u32 s18, s49, s19
	s_add_u32 s0, s0, s10
	s_addc_u32 s10, s18, s11
	v_mov_b32_e32 v3, v6
	v_mov_b32_e32 v8, 0
	;; [unrolled: 1-line block ×4, first 2 shown]
	v_mad_u64_u32 v[3:4], null, s9, v0, v[3:4]
	v_mov_b32_e32 v6, v3
	v_mov_b32_e32 v4, v2
	;; [unrolled: 1-line block ×3, first 2 shown]
	v_lshlrev_b64 v[5:6], 1, v[5:6]
	v_add_co_u32 v5, vcc_lo, s0, v5
	v_add_co_ci_u32_e64 v6, null, s10, v6, vcc_lo
	s_lshl_b64 s[10:11], s[8:9], 11
	s_inst_prefetch 0x1
	s_branch .LBB581_16
	.p2align	6
.LBB581_15:                             ;   in Loop: Header=BB581_16 Depth=1
	s_or_b32 exec_lo, exec_lo, s0
	v_add_nc_u32_e32 v9, 0x400, v9
	v_and_b32_e32 v10, 0xffff0000, v11
	v_add_co_u32 v3, vcc_lo, 0x800, v3
	v_add_co_ci_u32_e64 v4, null, 0, v4, vcc_lo
	v_cmp_le_i32_e32 vcc_lo, s4, v9
	v_add_co_u32 v5, s0, v5, s10
	v_add_f32_e32 v7, v7, v10
	v_add_co_ci_u32_e64 v6, null, s11, v6, s0
	s_or_b32 s17, vcc_lo, s17
	s_andn2_b32 exec_lo, exec_lo, s17
	s_cbranch_execz .LBB581_20
.LBB581_16:                             ; =>This Inner Loop Header: Depth=1
	global_load_ushort v10, v[5:6], off
	global_load_ushort v11, v[3:4], off
	s_waitcnt vmcnt(1)
	v_lshlrev_b32_e32 v10, 16, v10
	s_waitcnt vmcnt(0)
	v_lshlrev_b32_e32 v11, 16, v11
	v_mul_f32_e32 v10, v11, v10
	v_and_b32_e32 v11, 0x7f800000, v10
	v_cmp_ne_u32_e32 vcc_lo, 0x7f800000, v11
                                        ; implicit-def: $vgpr11
	s_and_saveexec_b32 s0, vcc_lo
	s_xor_b32 s0, exec_lo, s0
; %bb.17:                               ;   in Loop: Header=BB581_16 Depth=1
	v_bfe_u32 v11, v10, 16, 1
	v_add3_u32 v11, v10, v11, 0x7fff
                                        ; implicit-def: $vgpr10
; %bb.18:                               ;   in Loop: Header=BB581_16 Depth=1
	s_andn2_saveexec_b32 s0, s0
	s_cbranch_execz .LBB581_15
; %bb.19:                               ;   in Loop: Header=BB581_16 Depth=1
	v_or_b32_e32 v11, 0x10000, v10
	v_cmp_eq_u32_sdwa vcc_lo, v10, v8 src0_sel:WORD_0 src1_sel:DWORD
	v_cndmask_b32_e32 v11, v11, v10, vcc_lo
	s_branch .LBB581_15
.LBB581_20:
	s_inst_prefetch 0x2
	s_or_b32 exec_lo, exec_lo, s17
.LBB581_21:
	s_or_b32 exec_lo, exec_lo, s7
	v_or_b32_e32 v3, s4, v0
	s_mov_b32 s0, exec_lo
	v_cmpx_gt_i32_e64 s5, v3
	s_cbranch_execz .LBB581_27
; %bb.22:
	v_ashrrev_i32_e32 v5, 31, v3
	v_mul_lo_u32 v6, s9, v3
	v_mad_u64_u32 v[3:4], null, s8, v3, 0
	s_lshl_b64 s[2:3], s[2:3], 1
	v_mul_lo_u32 v5, s8, v5
	s_add_u32 s5, s48, s2
	s_addc_u32 s7, s49, s3
	s_lshl_b64 s[2:3], s[50:51], 1
	s_add_u32 s8, s5, s2
	s_addc_u32 s7, s7, s3
	s_ashr_i32 s5, s4, 31
	v_add3_u32 v4, v4, v5, v6
	s_lshl_b64 s[2:3], s[4:5], 1
	v_lshlrev_b64 v[3:4], 1, v[3:4]
	v_add_co_u32 v3, vcc_lo, s8, v3
	v_add_co_ci_u32_e64 v4, null, s7, v4, vcc_lo
	v_add_co_u32 v1, vcc_lo, v1, s2
	v_add_co_ci_u32_e64 v2, null, s3, v2, vcc_lo
	global_load_ushort v3, v[3:4], off
	global_load_ushort v1, v[1:2], off
	s_waitcnt vmcnt(1)
	v_lshlrev_b32_e32 v2, 16, v3
	s_waitcnt vmcnt(0)
	v_lshlrev_b32_e32 v1, 16, v1
	v_mul_f32_e32 v1, v1, v2
	v_and_b32_e32 v2, 0x7f800000, v1
	v_cmp_ne_u32_e32 vcc_lo, 0x7f800000, v2
                                        ; implicit-def: $vgpr2
	s_and_saveexec_b32 s2, vcc_lo
	s_xor_b32 s2, exec_lo, s2
; %bb.23:
	v_bfe_u32 v2, v1, 16, 1
	v_add3_u32 v2, v1, v2, 0x7fff
                                        ; implicit-def: $vgpr1
; %bb.24:
	s_andn2_saveexec_b32 s2, s2
; %bb.25:
	v_mov_b32_e32 v2, 0
	v_or_b32_e32 v3, 0x10000, v1
	v_cmp_eq_u32_sdwa vcc_lo, v1, v2 src0_sel:WORD_0 src1_sel:DWORD
	v_cndmask_b32_e32 v2, v3, v1, vcc_lo
; %bb.26:
	s_or_b32 exec_lo, exec_lo, s2
	v_and_b32_e32 v1, 0xffff0000, v2
	v_add_f32_e32 v7, v7, v1
.LBB581_27:
	s_or_b32 exec_lo, exec_lo, s0
	v_and_b32_e32 v8, 31, v0
	v_cmp_gt_u32_e32 vcc_lo, 32, v0
	v_lshlrev_b32_e32 v1, 2, v8
	s_and_saveexec_b32 s0, vcc_lo
; %bb.28:
	v_mov_b32_e32 v2, 0
	ds_write_b32 v1, v2
; %bb.29:
	s_or_b32 exec_lo, exec_lo, s0
	v_mbcnt_lo_u32_b32 v6, -1, 0
	s_mov_b32 s2, exec_lo
	s_waitcnt lgkmcnt(0)
	s_barrier
	buffer_gl0_inv
	v_lshl_or_b32 v2, v6, 2, 64
	v_cmp_gt_u32_e64 s0, 24, v6
	ds_bpermute_b32 v4, v2, v7
	v_cndmask_b32_e64 v3, 0, 8, s0
	v_cmp_gt_u32_e64 s0, 28, v6
	v_add_lshl_u32 v3, v3, v6, 2
	s_waitcnt lgkmcnt(0)
	v_add_f32_e32 v5, v7, v4
	v_cndmask_b32_e64 v4, 0, 4, s0
	v_cmp_gt_u32_e64 s0, 30, v6
	ds_bpermute_b32 v7, v3, v5
	v_add_lshl_u32 v4, v4, v6, 2
	s_waitcnt lgkmcnt(0)
	v_add_f32_e32 v7, v5, v7
	v_cndmask_b32_e64 v5, 0, 2, s0
	v_cmp_ne_u32_e64 s0, 31, v6
	ds_bpermute_b32 v9, v4, v7
	v_add_lshl_u32 v5, v5, v6, 2
	v_add_co_ci_u32_e64 v6, null, 0, v6, s0
	v_lshlrev_b32_e32 v6, 2, v6
	s_waitcnt lgkmcnt(0)
	v_add_f32_e32 v7, v7, v9
	ds_bpermute_b32 v9, v5, v7
	s_waitcnt lgkmcnt(0)
	v_add_f32_e32 v7, v7, v9
	ds_bpermute_b32 v9, v6, v7
	v_cmpx_eq_u32_e32 0, v8
	s_cbranch_execz .LBB581_31
; %bb.30:
	v_lshrrev_b32_e32 v8, 3, v0
	s_waitcnt lgkmcnt(0)
	v_add_f32_e32 v7, v7, v9
	v_and_b32_e32 v8, 0x7c, v8
	ds_write_b32 v8, v7
.LBB581_31:
	s_or_b32 exec_lo, exec_lo, s2
	v_mov_b32_e32 v7, 0
	s_waitcnt lgkmcnt(0)
	s_barrier
	buffer_gl0_inv
	s_and_saveexec_b32 s0, vcc_lo
; %bb.32:
	ds_read_b32 v7, v1
; %bb.33:
	s_or_b32 exec_lo, exec_lo, s0
	s_and_saveexec_b32 s0, vcc_lo
	s_cbranch_execz .LBB581_35
; %bb.34:
	s_waitcnt lgkmcnt(0)
	ds_bpermute_b32 v1, v2, v7
	s_waitcnt lgkmcnt(0)
	v_add_f32_e32 v1, v7, v1
	ds_bpermute_b32 v2, v3, v1
	s_waitcnt lgkmcnt(0)
	v_add_f32_e32 v1, v1, v2
	;; [unrolled: 3-line block ×5, first 2 shown]
.LBB581_35:
	s_or_b32 exec_lo, exec_lo, s0
	s_mov_b32 s0, exec_lo
                                        ; implicit-def: $vgpr1
                                        ; implicit-def: $sgpr2_sgpr3
	v_cmpx_eq_u32_e32 0, v0
	s_cbranch_execz .LBB581_55
; %bb.36:
	v_cmp_eq_f32_e64 s2, s14, 0
	s_waitcnt lgkmcnt(0)
	v_mul_f32_e32 v0, s15, v7
	s_and_b32 vcc_lo, exec_lo, s2
	s_cbranch_vccz .LBB581_42
; %bb.37:
	v_and_b32_e32 v1, 0x7f800000, v0
	v_cmp_ne_u32_e32 vcc_lo, 0x7f800000, v1
                                        ; implicit-def: $vgpr1
	s_and_saveexec_b32 s2, vcc_lo
	s_xor_b32 s2, exec_lo, s2
; %bb.38:
	v_bfe_u32 v1, v0, 16, 1
	v_add3_u32 v1, v0, v1, 0x7fff
; %bb.39:
	s_andn2_saveexec_b32 s2, s2
; %bb.40:
	v_mov_b32_e32 v1, 0
	v_or_b32_e32 v2, 0x10000, v0
	v_cmp_eq_u32_sdwa vcc_lo, v0, v1 src0_sel:WORD_0 src1_sel:DWORD
	v_cndmask_b32_e32 v1, v2, v0, vcc_lo
; %bb.41:
	s_or_b32 exec_lo, exec_lo, s2
	s_mov_b32 s2, 0
	s_branch .LBB581_43
.LBB581_42:
	s_mov_b32 s2, -1
                                        ; implicit-def: $vgpr1
.LBB581_43:
	s_mul_i32 s4, s20, s16
	s_mul_hi_u32 s5, s20, s6
	s_andn2_b32 vcc_lo, exec_lo, s2
	s_mul_i32 s7, s21, s6
	s_mul_i32 s2, s20, s6
	s_cbranch_vccnz .LBB581_54
; %bb.44:
	s_add_i32 s3, s5, s4
	v_mov_b32_e32 v1, 0
	s_add_i32 s3, s3, s7
	s_lshl_b64 s[8:9], s[2:3], 1
	s_add_u32 s8, s1, s8
	s_addc_u32 s9, s12, s9
	global_load_ushort v1, v1, s[8:9]
	s_waitcnt vmcnt(0)
	v_lshlrev_b32_e32 v1, 16, v1
	v_mul_f32_e32 v1, s14, v1
	v_and_b32_e32 v2, 0x7f800000, v1
	v_readfirstlane_b32 s3, v1
	v_cmp_eq_u32_e32 vcc_lo, 0x7f800000, v2
	s_cbranch_vccnz .LBB581_46
; %bb.45:
	s_bfe_u32 s6, s3, 0x10010
	s_mov_b32 s8, 0
	s_add_i32 s6, s3, s6
	s_addk_i32 s6, 0x7fff
	s_branch .LBB581_47
.LBB581_46:
	s_mov_b32 s8, -1
                                        ; implicit-def: $sgpr6
.LBB581_47:
	s_andn2_b32 vcc_lo, exec_lo, s8
	s_cbranch_vccnz .LBB581_49
; %bb.48:
	s_and_b32 s6, s3, 0xffff
	s_or_b32 s8, s3, 0x10000
	s_cmp_eq_u32 s6, 0
	s_cselect_b32 s6, s3, s8
.LBB581_49:
	s_and_b32 s3, s6, 0xffff0000
	v_add_f32_e32 v0, s3, v0
	v_and_b32_e32 v1, 0x7f800000, v0
	v_cmp_ne_u32_e32 vcc_lo, 0x7f800000, v1
                                        ; implicit-def: $vgpr1
	s_and_saveexec_b32 s3, vcc_lo
	s_xor_b32 s3, exec_lo, s3
; %bb.50:
	v_bfe_u32 v1, v0, 16, 1
	v_add3_u32 v1, v0, v1, 0x7fff
                                        ; implicit-def: $vgpr0
; %bb.51:
	s_andn2_saveexec_b32 s3, s3
; %bb.52:
	v_mov_b32_e32 v1, 0
	v_or_b32_e32 v2, 0x10000, v0
	v_cmp_eq_u32_sdwa vcc_lo, v0, v1 src0_sel:WORD_0 src1_sel:DWORD
	v_cndmask_b32_e32 v1, v2, v0, vcc_lo
; %bb.53:
	s_or_b32 exec_lo, exec_lo, s3
.LBB581_54:
	v_lshrrev_b32_e32 v1, 16, v1
	s_add_i32 s3, s5, s4
	s_or_b32 s13, s13, exec_lo
	s_add_i32 s3, s3, s7
.LBB581_55:
	s_or_b32 exec_lo, exec_lo, s0
	s_and_saveexec_b32 s0, s13
	s_cbranch_execz .LBB581_57
.LBB581_56:
	s_lshl_b64 s[2:3], s[2:3], 1
	v_mov_b32_e32 v0, 0
	s_add_u32 s0, s1, s2
	s_addc_u32 s1, s12, s3
	global_store_short v0, v1, s[0:1]
.LBB581_57:
	s_endpgm
	.section	.rodata,"a",@progbits
	.p2align	6, 0x0
	.amdhsa_kernel _ZL32rocblas_gemvt_warp_reduce_kernelILb1ELi1024El16rocblas_bfloat16PKfS0_EviiT3_lPKT2_lT1_lS6_lS7_lS3_lPT4_lS7_li
		.amdhsa_group_segment_fixed_size 128
		.amdhsa_private_segment_fixed_size 0
		.amdhsa_kernarg_size 140
		.amdhsa_user_sgpr_count 6
		.amdhsa_user_sgpr_private_segment_buffer 1
		.amdhsa_user_sgpr_dispatch_ptr 0
		.amdhsa_user_sgpr_queue_ptr 0
		.amdhsa_user_sgpr_kernarg_segment_ptr 1
		.amdhsa_user_sgpr_dispatch_id 0
		.amdhsa_user_sgpr_flat_scratch_init 0
		.amdhsa_user_sgpr_private_segment_size 0
		.amdhsa_wavefront_size32 1
		.amdhsa_uses_dynamic_stack 0
		.amdhsa_system_sgpr_private_segment_wavefront_offset 0
		.amdhsa_system_sgpr_workgroup_id_x 1
		.amdhsa_system_sgpr_workgroup_id_y 0
		.amdhsa_system_sgpr_workgroup_id_z 1
		.amdhsa_system_sgpr_workgroup_info 0
		.amdhsa_system_vgpr_workitem_id 0
		.amdhsa_next_free_vgpr 12
		.amdhsa_next_free_sgpr 52
		.amdhsa_reserve_vcc 1
		.amdhsa_reserve_flat_scratch 0
		.amdhsa_float_round_mode_32 0
		.amdhsa_float_round_mode_16_64 0
		.amdhsa_float_denorm_mode_32 3
		.amdhsa_float_denorm_mode_16_64 3
		.amdhsa_dx10_clamp 1
		.amdhsa_ieee_mode 1
		.amdhsa_fp16_overflow 0
		.amdhsa_workgroup_processor_mode 1
		.amdhsa_memory_ordered 1
		.amdhsa_forward_progress 1
		.amdhsa_shared_vgpr_count 0
		.amdhsa_exception_fp_ieee_invalid_op 0
		.amdhsa_exception_fp_denorm_src 0
		.amdhsa_exception_fp_ieee_div_zero 0
		.amdhsa_exception_fp_ieee_overflow 0
		.amdhsa_exception_fp_ieee_underflow 0
		.amdhsa_exception_fp_ieee_inexact 0
		.amdhsa_exception_int_div_zero 0
	.end_amdhsa_kernel
	.section	.text._ZL32rocblas_gemvt_warp_reduce_kernelILb1ELi1024El16rocblas_bfloat16PKfS0_EviiT3_lPKT2_lT1_lS6_lS7_lS3_lPT4_lS7_li,"axG",@progbits,_ZL32rocblas_gemvt_warp_reduce_kernelILb1ELi1024El16rocblas_bfloat16PKfS0_EviiT3_lPKT2_lT1_lS6_lS7_lS3_lPT4_lS7_li,comdat
.Lfunc_end581:
	.size	_ZL32rocblas_gemvt_warp_reduce_kernelILb1ELi1024El16rocblas_bfloat16PKfS0_EviiT3_lPKT2_lT1_lS6_lS7_lS3_lPT4_lS7_li, .Lfunc_end581-_ZL32rocblas_gemvt_warp_reduce_kernelILb1ELi1024El16rocblas_bfloat16PKfS0_EviiT3_lPKT2_lT1_lS6_lS7_lS3_lPT4_lS7_li
                                        ; -- End function
	.set _ZL32rocblas_gemvt_warp_reduce_kernelILb1ELi1024El16rocblas_bfloat16PKfS0_EviiT3_lPKT2_lT1_lS6_lS7_lS3_lPT4_lS7_li.num_vgpr, 12
	.set _ZL32rocblas_gemvt_warp_reduce_kernelILb1ELi1024El16rocblas_bfloat16PKfS0_EviiT3_lPKT2_lT1_lS6_lS7_lS3_lPT4_lS7_li.num_agpr, 0
	.set _ZL32rocblas_gemvt_warp_reduce_kernelILb1ELi1024El16rocblas_bfloat16PKfS0_EviiT3_lPKT2_lT1_lS6_lS7_lS3_lPT4_lS7_li.numbered_sgpr, 52
	.set _ZL32rocblas_gemvt_warp_reduce_kernelILb1ELi1024El16rocblas_bfloat16PKfS0_EviiT3_lPKT2_lT1_lS6_lS7_lS3_lPT4_lS7_li.num_named_barrier, 0
	.set _ZL32rocblas_gemvt_warp_reduce_kernelILb1ELi1024El16rocblas_bfloat16PKfS0_EviiT3_lPKT2_lT1_lS6_lS7_lS3_lPT4_lS7_li.private_seg_size, 0
	.set _ZL32rocblas_gemvt_warp_reduce_kernelILb1ELi1024El16rocblas_bfloat16PKfS0_EviiT3_lPKT2_lT1_lS6_lS7_lS3_lPT4_lS7_li.uses_vcc, 1
	.set _ZL32rocblas_gemvt_warp_reduce_kernelILb1ELi1024El16rocblas_bfloat16PKfS0_EviiT3_lPKT2_lT1_lS6_lS7_lS3_lPT4_lS7_li.uses_flat_scratch, 0
	.set _ZL32rocblas_gemvt_warp_reduce_kernelILb1ELi1024El16rocblas_bfloat16PKfS0_EviiT3_lPKT2_lT1_lS6_lS7_lS3_lPT4_lS7_li.has_dyn_sized_stack, 0
	.set _ZL32rocblas_gemvt_warp_reduce_kernelILb1ELi1024El16rocblas_bfloat16PKfS0_EviiT3_lPKT2_lT1_lS6_lS7_lS3_lPT4_lS7_li.has_recursion, 0
	.set _ZL32rocblas_gemvt_warp_reduce_kernelILb1ELi1024El16rocblas_bfloat16PKfS0_EviiT3_lPKT2_lT1_lS6_lS7_lS3_lPT4_lS7_li.has_indirect_call, 0
	.section	.AMDGPU.csdata,"",@progbits
; Kernel info:
; codeLenInByte = 2048
; TotalNumSgprs: 54
; NumVgprs: 12
; ScratchSize: 0
; MemoryBound: 0
; FloatMode: 240
; IeeeMode: 1
; LDSByteSize: 128 bytes/workgroup (compile time only)
; SGPRBlocks: 0
; VGPRBlocks: 1
; NumSGPRsForWavesPerEU: 54
; NumVGPRsForWavesPerEU: 12
; Occupancy: 16
; WaveLimiterHint : 0
; COMPUTE_PGM_RSRC2:SCRATCH_EN: 0
; COMPUTE_PGM_RSRC2:USER_SGPR: 6
; COMPUTE_PGM_RSRC2:TRAP_HANDLER: 0
; COMPUTE_PGM_RSRC2:TGID_X_EN: 1
; COMPUTE_PGM_RSRC2:TGID_Y_EN: 0
; COMPUTE_PGM_RSRC2:TGID_Z_EN: 1
; COMPUTE_PGM_RSRC2:TIDIG_COMP_CNT: 0
	.section	.text._ZL32rocblas_gemvt_warp_reduce_kernelILb1ELi1024Ei16rocblas_bfloat16fS0_EviiT3_lPKT2_lT1_lS4_lS5_lS1_lPT4_lS5_li,"axG",@progbits,_ZL32rocblas_gemvt_warp_reduce_kernelILb1ELi1024Ei16rocblas_bfloat16fS0_EviiT3_lPKT2_lT1_lS4_lS5_lS1_lPT4_lS5_li,comdat
	.globl	_ZL32rocblas_gemvt_warp_reduce_kernelILb1ELi1024Ei16rocblas_bfloat16fS0_EviiT3_lPKT2_lT1_lS4_lS5_lS1_lPT4_lS5_li ; -- Begin function _ZL32rocblas_gemvt_warp_reduce_kernelILb1ELi1024Ei16rocblas_bfloat16fS0_EviiT3_lPKT2_lT1_lS4_lS5_lS1_lPT4_lS5_li
	.p2align	8
	.type	_ZL32rocblas_gemvt_warp_reduce_kernelILb1ELi1024Ei16rocblas_bfloat16fS0_EviiT3_lPKT2_lT1_lS4_lS5_lS1_lPT4_lS5_li,@function
_ZL32rocblas_gemvt_warp_reduce_kernelILb1ELi1024Ei16rocblas_bfloat16fS0_EviiT3_lPKT2_lT1_lS4_lS5_lS1_lPT4_lS5_li: ; @_ZL32rocblas_gemvt_warp_reduce_kernelILb1ELi1024Ei16rocblas_bfloat16fS0_EviiT3_lPKT2_lT1_lS4_lS5_lS1_lPT4_lS5_li
; %bb.0:
	s_clause 0x1
	s_load_dword s13, s[4:5], 0x8
	s_load_dword s11, s[4:5], 0x58
	s_mov_b32 s10, 0
	s_waitcnt lgkmcnt(0)
	v_cmp_eq_f32_e64 s0, s13, 0
	v_cmp_eq_f32_e64 s1, s11, 1.0
	s_and_b32 s0, s0, s1
	s_and_b32 vcc_lo, exec_lo, s0
	s_cbranch_vccnz .LBB582_56
; %bb.1:
	s_clause 0x2
	s_load_dwordx2 s[8:9], s[4:5], 0x80
	s_load_dwordx4 s[0:3], s[4:5], 0x68
	s_load_dword s12, s[4:5], 0x78
	s_waitcnt lgkmcnt(0)
	s_mul_i32 s9, s9, s7
	s_mul_hi_u32 s14, s8, s7
	s_mul_i32 s8, s8, s7
	s_add_i32 s9, s14, s9
	v_cmp_neq_f32_e64 s14, s13, 0
	s_lshl_b64 s[8:9], s[8:9], 1
	s_add_u32 s8, s0, s8
	s_addc_u32 s9, s1, s9
	s_lshl_b64 s[0:1], s[2:3], 1
	s_add_u32 s8, s8, s0
	v_cmp_eq_u32_e64 s0, 0, v0
	s_addc_u32 s9, s9, s1
	s_and_b32 vcc_lo, exec_lo, s14
	s_cbranch_vccnz .LBB582_6
; %bb.2:
	s_mov_b32 s1, 0
                                        ; implicit-def: $sgpr15
                                        ; implicit-def: $sgpr2_sgpr3
	s_and_saveexec_b32 s14, s0
	s_cbranch_execz .LBB582_7
; %bb.3:
	v_cmp_eq_f32_e64 s0, s11, 0
	s_mul_i32 s2, s12, s6
	s_mov_b32 s15, 0
	s_ashr_i32 s3, s2, 31
	s_and_b32 vcc_lo, exec_lo, s0
	s_cbranch_vccnz .LBB582_12
; %bb.4:
	s_lshl_b64 s[16:17], s[2:3], 1
	v_mov_b32_e32 v1, 0
	s_add_u32 s16, s8, s16
	s_addc_u32 s17, s9, s17
	global_load_ushort v1, v1, s[16:17]
	s_waitcnt vmcnt(0)
	v_lshlrev_b32_e32 v1, 16, v1
	v_mul_f32_e32 v1, s11, v1
	v_and_b32_e32 v2, 0x7f800000, v1
	v_readfirstlane_b32 s0, v1
	v_cmp_eq_u32_e32 vcc_lo, 0x7f800000, v2
	s_cbranch_vccnz .LBB582_9
; %bb.5:
	s_bfe_u32 s10, s0, 0x10010
	s_add_i32 s10, s0, s10
	s_addk_i32 s10, 0x7fff
	s_andn2_b32 vcc_lo, exec_lo, s15
	s_cbranch_vccz .LBB582_10
	s_branch .LBB582_11
.LBB582_6:
                                        ; implicit-def: $sgpr15
                                        ; implicit-def: $sgpr2_sgpr3
	s_cbranch_execz .LBB582_8
	s_branch .LBB582_13
.LBB582_7:
	s_or_b32 exec_lo, exec_lo, s14
	s_and_b32 vcc_lo, exec_lo, s1
	s_cbranch_vccnz .LBB582_13
.LBB582_8:
	v_mov_b32_e32 v1, s15
	s_and_saveexec_b32 s0, s10
	s_cbranch_execnz .LBB582_55
	s_branch .LBB582_56
.LBB582_9:
                                        ; implicit-def: $sgpr10
.LBB582_10:
	s_and_b32 s10, s0, 0xffff
	s_or_b32 s15, s0, 0x10000
	s_cmp_eq_u32 s10, 0
	s_cselect_b32 s10, s0, s15
.LBB582_11:
	s_lshr_b32 s15, s10, 16
.LBB582_12:
	s_mov_b32 s10, exec_lo
	s_or_b32 exec_lo, exec_lo, s14
	s_and_b32 vcc_lo, exec_lo, s1
	s_cbranch_vccz .LBB582_8
.LBB582_13:
	s_clause 0x6
	s_load_dwordx2 s[20:21], s[4:5], 0x50
	s_load_dwordx4 s[16:19], s[4:5], 0x30
	s_load_dwordx2 s[22:23], s[4:5], 0x40
	s_load_dword s14, s[4:5], 0x0
	s_load_dwordx4 s[0:3], s[4:5], 0x18
	s_load_dword s15, s[4:5], 0x28
	s_load_dword s4, s[4:5], 0x48
	v_mov_b32_e32 v7, 0
	s_waitcnt lgkmcnt(0)
	s_mul_i32 s5, s21, s7
	s_mul_hi_u32 s21, s20, s7
	s_mul_i32 s20, s20, s7
	s_add_i32 s21, s21, s5
	v_cmp_gt_i32_e32 vcc_lo, s14, v0
	s_lshl_b64 s[20:21], s[20:21], 1
	s_mul_i32 s17, s17, s7
	s_add_u32 s5, s18, s20
	s_addc_u32 s20, s19, s21
	s_lshl_b64 s[18:19], s[22:23], 1
	s_mul_hi_u32 s24, s16, s7
	s_add_u32 s5, s5, s18
	v_cndmask_b32_e32 v1, 0, v0, vcc_lo
	s_mul_i32 s16, s16, s7
	s_addc_u32 s7, s20, s19
	s_add_i32 s17, s24, s17
	s_mul_i32 s18, s15, s6
	s_lshl_b64 s[16:17], s[16:17], 1
	v_lshlrev_b32_e32 v1, 1, v1
	s_add_u32 s15, s0, s16
	s_addc_u32 s16, s1, s17
	s_lshl_b64 s[0:1], s[2:3], 1
	s_mov_b32 s3, 0
	s_add_u32 s0, s15, s0
	s_addc_u32 s1, s16, s1
	v_add_co_u32 v1, s0, s0, v1
	s_ashr_i32 s19, s18, 31
	v_add_co_ci_u32_e64 v2, null, s1, 0, s0
	s_lshl_b64 s[0:1], s[18:19], 1
	s_ashr_i32 s2, s14, 31
	v_add_co_u32 v1, vcc_lo, v1, s0
	s_lshr_b32 s2, s2, 22
	v_add_co_ci_u32_e64 v2, null, s1, v2, vcc_lo
	s_add_i32 s2, s14, s2
	s_mov_b32 s1, exec_lo
	s_and_b32 s2, s2, 0xfffffc00
	v_cmpx_gt_i32_e64 s2, v0
	s_cbranch_execz .LBB582_21
; %bb.14:
	v_mul_lo_u32 v3, v0, s4
	v_mov_b32_e32 v6, v2
	v_mov_b32_e32 v8, 0
	;; [unrolled: 1-line block ×5, first 2 shown]
	s_lshl_b32 s15, s4, 10
	s_branch .LBB582_16
.LBB582_15:                             ;   in Loop: Header=BB582_16 Depth=1
	s_or_b32 exec_lo, exec_lo, s0
	v_add_nc_u32_e32 v9, 0x400, v9
	v_and_b32_e32 v4, 0xffff0000, v10
	v_add_co_u32 v5, s0, 0x800, v5
	v_add_nc_u32_e32 v3, s15, v3
	v_cmp_le_i32_e32 vcc_lo, s2, v9
	v_add_f32_e32 v7, v7, v4
	v_add_co_ci_u32_e64 v6, null, 0, v6, s0
	s_or_b32 s3, vcc_lo, s3
	s_andn2_b32 exec_lo, exec_lo, s3
	s_cbranch_execz .LBB582_20
.LBB582_16:                             ; =>This Inner Loop Header: Depth=1
	v_ashrrev_i32_e32 v4, 31, v3
	v_lshlrev_b64 v[10:11], 1, v[3:4]
	v_add_co_u32 v10, vcc_lo, s5, v10
	v_add_co_ci_u32_e64 v11, null, s7, v11, vcc_lo
	global_load_ushort v4, v[5:6], off
	global_load_ushort v10, v[10:11], off
	s_waitcnt vmcnt(1)
	v_lshlrev_b32_e32 v4, 16, v4
	s_waitcnt vmcnt(0)
	v_lshlrev_b32_e32 v10, 16, v10
	v_mul_f32_e32 v4, v4, v10
	v_and_b32_e32 v10, 0x7f800000, v4
	v_cmp_ne_u32_e32 vcc_lo, 0x7f800000, v10
                                        ; implicit-def: $vgpr10
	s_and_saveexec_b32 s0, vcc_lo
	s_xor_b32 s0, exec_lo, s0
; %bb.17:                               ;   in Loop: Header=BB582_16 Depth=1
	v_bfe_u32 v10, v4, 16, 1
	v_add3_u32 v10, v4, v10, 0x7fff
                                        ; implicit-def: $vgpr4
; %bb.18:                               ;   in Loop: Header=BB582_16 Depth=1
	s_andn2_saveexec_b32 s0, s0
	s_cbranch_execz .LBB582_15
; %bb.19:                               ;   in Loop: Header=BB582_16 Depth=1
	v_or_b32_e32 v10, 0x10000, v4
	v_cmp_eq_u32_sdwa vcc_lo, v4, v8 src0_sel:WORD_0 src1_sel:DWORD
	v_cndmask_b32_e32 v10, v10, v4, vcc_lo
	s_branch .LBB582_15
.LBB582_20:
	s_or_b32 exec_lo, exec_lo, s3
.LBB582_21:
	s_or_b32 exec_lo, exec_lo, s1
	v_or_b32_e32 v3, s2, v0
	s_mov_b32 s0, exec_lo
	v_cmpx_gt_i32_e64 s14, v3
	s_cbranch_execz .LBB582_27
; %bb.22:
	v_mul_lo_u32 v3, s4, v3
	s_ashr_i32 s3, s2, 31
	s_lshl_b64 s[2:3], s[2:3], 1
	v_ashrrev_i32_e32 v4, 31, v3
	v_lshlrev_b64 v[3:4], 1, v[3:4]
	v_add_co_u32 v3, vcc_lo, s5, v3
	v_add_co_ci_u32_e64 v4, null, s7, v4, vcc_lo
	v_add_co_u32 v1, vcc_lo, v1, s2
	v_add_co_ci_u32_e64 v2, null, s3, v2, vcc_lo
	global_load_ushort v3, v[3:4], off
	global_load_ushort v1, v[1:2], off
	s_waitcnt vmcnt(1)
	v_lshlrev_b32_e32 v2, 16, v3
	s_waitcnt vmcnt(0)
	v_lshlrev_b32_e32 v1, 16, v1
	v_mul_f32_e32 v1, v1, v2
	v_and_b32_e32 v2, 0x7f800000, v1
	v_cmp_ne_u32_e32 vcc_lo, 0x7f800000, v2
                                        ; implicit-def: $vgpr2
	s_and_saveexec_b32 s1, vcc_lo
	s_xor_b32 s1, exec_lo, s1
; %bb.23:
	v_bfe_u32 v2, v1, 16, 1
	v_add3_u32 v2, v1, v2, 0x7fff
                                        ; implicit-def: $vgpr1
; %bb.24:
	s_andn2_saveexec_b32 s1, s1
; %bb.25:
	v_mov_b32_e32 v2, 0
	v_or_b32_e32 v3, 0x10000, v1
	v_cmp_eq_u32_sdwa vcc_lo, v1, v2 src0_sel:WORD_0 src1_sel:DWORD
	v_cndmask_b32_e32 v2, v3, v1, vcc_lo
; %bb.26:
	s_or_b32 exec_lo, exec_lo, s1
	v_and_b32_e32 v1, 0xffff0000, v2
	v_add_f32_e32 v7, v7, v1
.LBB582_27:
	s_or_b32 exec_lo, exec_lo, s0
	v_and_b32_e32 v8, 31, v0
	v_cmp_gt_u32_e32 vcc_lo, 32, v0
	v_lshlrev_b32_e32 v1, 2, v8
	s_and_saveexec_b32 s0, vcc_lo
; %bb.28:
	v_mov_b32_e32 v2, 0
	ds_write_b32 v1, v2
; %bb.29:
	s_or_b32 exec_lo, exec_lo, s0
	v_mbcnt_lo_u32_b32 v6, -1, 0
	s_mov_b32 s1, exec_lo
	s_waitcnt lgkmcnt(0)
	s_barrier
	buffer_gl0_inv
	v_lshl_or_b32 v2, v6, 2, 64
	v_cmp_gt_u32_e64 s0, 24, v6
	ds_bpermute_b32 v4, v2, v7
	v_cndmask_b32_e64 v3, 0, 8, s0
	v_cmp_gt_u32_e64 s0, 28, v6
	v_add_lshl_u32 v3, v3, v6, 2
	s_waitcnt lgkmcnt(0)
	v_add_f32_e32 v5, v7, v4
	v_cndmask_b32_e64 v4, 0, 4, s0
	v_cmp_gt_u32_e64 s0, 30, v6
	ds_bpermute_b32 v7, v3, v5
	v_add_lshl_u32 v4, v4, v6, 2
	s_waitcnt lgkmcnt(0)
	v_add_f32_e32 v7, v5, v7
	v_cndmask_b32_e64 v5, 0, 2, s0
	v_cmp_ne_u32_e64 s0, 31, v6
	ds_bpermute_b32 v9, v4, v7
	v_add_lshl_u32 v5, v5, v6, 2
	v_add_co_ci_u32_e64 v6, null, 0, v6, s0
	v_lshlrev_b32_e32 v6, 2, v6
	s_waitcnt lgkmcnt(0)
	v_add_f32_e32 v7, v7, v9
	ds_bpermute_b32 v9, v5, v7
	s_waitcnt lgkmcnt(0)
	v_add_f32_e32 v7, v7, v9
	ds_bpermute_b32 v9, v6, v7
	v_cmpx_eq_u32_e32 0, v8
	s_cbranch_execz .LBB582_31
; %bb.30:
	v_lshrrev_b32_e32 v8, 3, v0
	s_waitcnt lgkmcnt(0)
	v_add_f32_e32 v7, v7, v9
	v_and_b32_e32 v8, 0x7c, v8
	ds_write_b32 v8, v7
.LBB582_31:
	s_or_b32 exec_lo, exec_lo, s1
	v_mov_b32_e32 v7, 0
	s_waitcnt lgkmcnt(0)
	s_barrier
	buffer_gl0_inv
	s_and_saveexec_b32 s0, vcc_lo
; %bb.32:
	ds_read_b32 v7, v1
; %bb.33:
	s_or_b32 exec_lo, exec_lo, s0
	s_and_saveexec_b32 s0, vcc_lo
	s_cbranch_execz .LBB582_35
; %bb.34:
	s_waitcnt lgkmcnt(0)
	ds_bpermute_b32 v1, v2, v7
	s_waitcnt lgkmcnt(0)
	v_add_f32_e32 v1, v7, v1
	ds_bpermute_b32 v2, v3, v1
	s_waitcnt lgkmcnt(0)
	v_add_f32_e32 v1, v1, v2
	;; [unrolled: 3-line block ×5, first 2 shown]
.LBB582_35:
	s_or_b32 exec_lo, exec_lo, s0
	s_mov_b32 s0, exec_lo
                                        ; implicit-def: $vgpr1
                                        ; implicit-def: $sgpr2_sgpr3
	v_cmpx_eq_u32_e32 0, v0
	s_cbranch_execz .LBB582_54
; %bb.36:
	v_cmp_eq_f32_e64 s1, s11, 0
	s_waitcnt lgkmcnt(0)
	v_mul_f32_e32 v0, s13, v7
	s_and_b32 vcc_lo, exec_lo, s1
	s_cbranch_vccz .LBB582_42
; %bb.37:
	v_and_b32_e32 v1, 0x7f800000, v0
	v_cmp_ne_u32_e32 vcc_lo, 0x7f800000, v1
                                        ; implicit-def: $vgpr1
	s_and_saveexec_b32 s1, vcc_lo
	s_xor_b32 s1, exec_lo, s1
; %bb.38:
	v_bfe_u32 v1, v0, 16, 1
	v_add3_u32 v1, v0, v1, 0x7fff
; %bb.39:
	s_andn2_saveexec_b32 s1, s1
; %bb.40:
	v_mov_b32_e32 v1, 0
	v_or_b32_e32 v2, 0x10000, v0
	v_cmp_eq_u32_sdwa vcc_lo, v0, v1 src0_sel:WORD_0 src1_sel:DWORD
	v_cndmask_b32_e32 v1, v2, v0, vcc_lo
; %bb.41:
	s_or_b32 exec_lo, exec_lo, s1
	s_mul_i32 s2, s12, s6
	s_cbranch_execz .LBB582_43
	s_branch .LBB582_53
.LBB582_42:
                                        ; implicit-def: $vgpr1
	s_mul_i32 s2, s12, s6
.LBB582_43:
	s_ashr_i32 s3, s2, 31
	v_mov_b32_e32 v1, 0
	s_lshl_b64 s[4:5], s[2:3], 1
	s_add_u32 s4, s8, s4
	s_addc_u32 s5, s9, s5
	global_load_ushort v1, v1, s[4:5]
	s_waitcnt vmcnt(0)
	v_lshlrev_b32_e32 v1, 16, v1
	v_mul_f32_e32 v1, s11, v1
	v_and_b32_e32 v2, 0x7f800000, v1
	v_readfirstlane_b32 s1, v1
	v_cmp_eq_u32_e32 vcc_lo, 0x7f800000, v2
	s_cbranch_vccnz .LBB582_45
; %bb.44:
	s_bfe_u32 s3, s1, 0x10010
	s_mov_b32 s4, 0
	s_add_i32 s3, s1, s3
	s_addk_i32 s3, 0x7fff
	s_branch .LBB582_46
.LBB582_45:
	s_mov_b32 s4, -1
                                        ; implicit-def: $sgpr3
.LBB582_46:
	s_andn2_b32 vcc_lo, exec_lo, s4
	s_cbranch_vccnz .LBB582_48
; %bb.47:
	s_and_b32 s3, s1, 0xffff
	s_or_b32 s4, s1, 0x10000
	s_cmp_eq_u32 s3, 0
	s_cselect_b32 s3, s1, s4
.LBB582_48:
	s_and_b32 s1, s3, 0xffff0000
	v_add_f32_e32 v0, s1, v0
	v_and_b32_e32 v1, 0x7f800000, v0
	v_cmp_ne_u32_e32 vcc_lo, 0x7f800000, v1
                                        ; implicit-def: $vgpr1
	s_and_saveexec_b32 s1, vcc_lo
	s_xor_b32 s1, exec_lo, s1
; %bb.49:
	v_bfe_u32 v1, v0, 16, 1
	v_add3_u32 v1, v0, v1, 0x7fff
                                        ; implicit-def: $vgpr0
; %bb.50:
	s_andn2_saveexec_b32 s1, s1
; %bb.51:
	v_mov_b32_e32 v1, 0
	v_or_b32_e32 v2, 0x10000, v0
	v_cmp_eq_u32_sdwa vcc_lo, v0, v1 src0_sel:WORD_0 src1_sel:DWORD
	v_cndmask_b32_e32 v1, v2, v0, vcc_lo
; %bb.52:
	s_or_b32 exec_lo, exec_lo, s1
.LBB582_53:
	v_lshrrev_b32_e32 v1, 16, v1
	s_ashr_i32 s3, s2, 31
	s_or_b32 s10, s10, exec_lo
.LBB582_54:
	s_or_b32 exec_lo, exec_lo, s0
	s_and_saveexec_b32 s0, s10
	s_cbranch_execz .LBB582_56
.LBB582_55:
	s_lshl_b64 s[0:1], s[2:3], 1
	v_mov_b32_e32 v0, 0
	s_add_u32 s0, s8, s0
	s_addc_u32 s1, s9, s1
	global_store_short v0, v1, s[0:1]
.LBB582_56:
	s_endpgm
	.section	.rodata,"a",@progbits
	.p2align	6, 0x0
	.amdhsa_kernel _ZL32rocblas_gemvt_warp_reduce_kernelILb1ELi1024Ei16rocblas_bfloat16fS0_EviiT3_lPKT2_lT1_lS4_lS5_lS1_lPT4_lS5_li
		.amdhsa_group_segment_fixed_size 128
		.amdhsa_private_segment_fixed_size 0
		.amdhsa_kernarg_size 140
		.amdhsa_user_sgpr_count 6
		.amdhsa_user_sgpr_private_segment_buffer 1
		.amdhsa_user_sgpr_dispatch_ptr 0
		.amdhsa_user_sgpr_queue_ptr 0
		.amdhsa_user_sgpr_kernarg_segment_ptr 1
		.amdhsa_user_sgpr_dispatch_id 0
		.amdhsa_user_sgpr_flat_scratch_init 0
		.amdhsa_user_sgpr_private_segment_size 0
		.amdhsa_wavefront_size32 1
		.amdhsa_uses_dynamic_stack 0
		.amdhsa_system_sgpr_private_segment_wavefront_offset 0
		.amdhsa_system_sgpr_workgroup_id_x 1
		.amdhsa_system_sgpr_workgroup_id_y 0
		.amdhsa_system_sgpr_workgroup_id_z 1
		.amdhsa_system_sgpr_workgroup_info 0
		.amdhsa_system_vgpr_workitem_id 0
		.amdhsa_next_free_vgpr 12
		.amdhsa_next_free_sgpr 25
		.amdhsa_reserve_vcc 1
		.amdhsa_reserve_flat_scratch 0
		.amdhsa_float_round_mode_32 0
		.amdhsa_float_round_mode_16_64 0
		.amdhsa_float_denorm_mode_32 3
		.amdhsa_float_denorm_mode_16_64 3
		.amdhsa_dx10_clamp 1
		.amdhsa_ieee_mode 1
		.amdhsa_fp16_overflow 0
		.amdhsa_workgroup_processor_mode 1
		.amdhsa_memory_ordered 1
		.amdhsa_forward_progress 1
		.amdhsa_shared_vgpr_count 0
		.amdhsa_exception_fp_ieee_invalid_op 0
		.amdhsa_exception_fp_denorm_src 0
		.amdhsa_exception_fp_ieee_div_zero 0
		.amdhsa_exception_fp_ieee_overflow 0
		.amdhsa_exception_fp_ieee_underflow 0
		.amdhsa_exception_fp_ieee_inexact 0
		.amdhsa_exception_int_div_zero 0
	.end_amdhsa_kernel
	.section	.text._ZL32rocblas_gemvt_warp_reduce_kernelILb1ELi1024Ei16rocblas_bfloat16fS0_EviiT3_lPKT2_lT1_lS4_lS5_lS1_lPT4_lS5_li,"axG",@progbits,_ZL32rocblas_gemvt_warp_reduce_kernelILb1ELi1024Ei16rocblas_bfloat16fS0_EviiT3_lPKT2_lT1_lS4_lS5_lS1_lPT4_lS5_li,comdat
.Lfunc_end582:
	.size	_ZL32rocblas_gemvt_warp_reduce_kernelILb1ELi1024Ei16rocblas_bfloat16fS0_EviiT3_lPKT2_lT1_lS4_lS5_lS1_lPT4_lS5_li, .Lfunc_end582-_ZL32rocblas_gemvt_warp_reduce_kernelILb1ELi1024Ei16rocblas_bfloat16fS0_EviiT3_lPKT2_lT1_lS4_lS5_lS1_lPT4_lS5_li
                                        ; -- End function
	.set _ZL32rocblas_gemvt_warp_reduce_kernelILb1ELi1024Ei16rocblas_bfloat16fS0_EviiT3_lPKT2_lT1_lS4_lS5_lS1_lPT4_lS5_li.num_vgpr, 12
	.set _ZL32rocblas_gemvt_warp_reduce_kernelILb1ELi1024Ei16rocblas_bfloat16fS0_EviiT3_lPKT2_lT1_lS4_lS5_lS1_lPT4_lS5_li.num_agpr, 0
	.set _ZL32rocblas_gemvt_warp_reduce_kernelILb1ELi1024Ei16rocblas_bfloat16fS0_EviiT3_lPKT2_lT1_lS4_lS5_lS1_lPT4_lS5_li.numbered_sgpr, 25
	.set _ZL32rocblas_gemvt_warp_reduce_kernelILb1ELi1024Ei16rocblas_bfloat16fS0_EviiT3_lPKT2_lT1_lS4_lS5_lS1_lPT4_lS5_li.num_named_barrier, 0
	.set _ZL32rocblas_gemvt_warp_reduce_kernelILb1ELi1024Ei16rocblas_bfloat16fS0_EviiT3_lPKT2_lT1_lS4_lS5_lS1_lPT4_lS5_li.private_seg_size, 0
	.set _ZL32rocblas_gemvt_warp_reduce_kernelILb1ELi1024Ei16rocblas_bfloat16fS0_EviiT3_lPKT2_lT1_lS4_lS5_lS1_lPT4_lS5_li.uses_vcc, 1
	.set _ZL32rocblas_gemvt_warp_reduce_kernelILb1ELi1024Ei16rocblas_bfloat16fS0_EviiT3_lPKT2_lT1_lS4_lS5_lS1_lPT4_lS5_li.uses_flat_scratch, 0
	.set _ZL32rocblas_gemvt_warp_reduce_kernelILb1ELi1024Ei16rocblas_bfloat16fS0_EviiT3_lPKT2_lT1_lS4_lS5_lS1_lPT4_lS5_li.has_dyn_sized_stack, 0
	.set _ZL32rocblas_gemvt_warp_reduce_kernelILb1ELi1024Ei16rocblas_bfloat16fS0_EviiT3_lPKT2_lT1_lS4_lS5_lS1_lPT4_lS5_li.has_recursion, 0
	.set _ZL32rocblas_gemvt_warp_reduce_kernelILb1ELi1024Ei16rocblas_bfloat16fS0_EviiT3_lPKT2_lT1_lS4_lS5_lS1_lPT4_lS5_li.has_indirect_call, 0
	.section	.AMDGPU.csdata,"",@progbits
; Kernel info:
; codeLenInByte = 1856
; TotalNumSgprs: 27
; NumVgprs: 12
; ScratchSize: 0
; MemoryBound: 0
; FloatMode: 240
; IeeeMode: 1
; LDSByteSize: 128 bytes/workgroup (compile time only)
; SGPRBlocks: 0
; VGPRBlocks: 1
; NumSGPRsForWavesPerEU: 27
; NumVGPRsForWavesPerEU: 12
; Occupancy: 16
; WaveLimiterHint : 1
; COMPUTE_PGM_RSRC2:SCRATCH_EN: 0
; COMPUTE_PGM_RSRC2:USER_SGPR: 6
; COMPUTE_PGM_RSRC2:TRAP_HANDLER: 0
; COMPUTE_PGM_RSRC2:TGID_X_EN: 1
; COMPUTE_PGM_RSRC2:TGID_Y_EN: 0
; COMPUTE_PGM_RSRC2:TGID_Z_EN: 1
; COMPUTE_PGM_RSRC2:TIDIG_COMP_CNT: 0
	.section	.text._ZL32rocblas_gemvt_warp_reduce_kernelILb1ELi1024El16rocblas_bfloat16fS0_EviiT3_lPKT2_lT1_lS4_lS5_lS1_lPT4_lS5_li,"axG",@progbits,_ZL32rocblas_gemvt_warp_reduce_kernelILb1ELi1024El16rocblas_bfloat16fS0_EviiT3_lPKT2_lT1_lS4_lS5_lS1_lPT4_lS5_li,comdat
	.globl	_ZL32rocblas_gemvt_warp_reduce_kernelILb1ELi1024El16rocblas_bfloat16fS0_EviiT3_lPKT2_lT1_lS4_lS5_lS1_lPT4_lS5_li ; -- Begin function _ZL32rocblas_gemvt_warp_reduce_kernelILb1ELi1024El16rocblas_bfloat16fS0_EviiT3_lPKT2_lT1_lS4_lS5_lS1_lPT4_lS5_li
	.p2align	8
	.type	_ZL32rocblas_gemvt_warp_reduce_kernelILb1ELi1024El16rocblas_bfloat16fS0_EviiT3_lPKT2_lT1_lS4_lS5_lS1_lPT4_lS5_li,@function
_ZL32rocblas_gemvt_warp_reduce_kernelILb1ELi1024El16rocblas_bfloat16fS0_EviiT3_lPKT2_lT1_lS4_lS5_lS1_lPT4_lS5_li: ; @_ZL32rocblas_gemvt_warp_reduce_kernelILb1ELi1024El16rocblas_bfloat16fS0_EviiT3_lPKT2_lT1_lS4_lS5_lS1_lPT4_lS5_li
; %bb.0:
	s_clause 0x1
	s_load_dword s30, s[4:5], 0x8
	s_load_dword s29, s[4:5], 0x58
	s_mov_b32 s28, 0
	s_waitcnt lgkmcnt(0)
	v_cmp_eq_f32_e64 s0, s30, 0
	v_cmp_eq_f32_e64 s1, s29, 1.0
	s_and_b32 s0, s0, s1
	s_and_b32 vcc_lo, exec_lo, s0
	s_cbranch_vccnz .LBB583_57
; %bb.1:
	s_load_dwordx8 s[20:27], s[4:5], 0x68
	v_cmp_neq_f32_e64 s8, s30, 0
	s_waitcnt lgkmcnt(0)
	s_mul_i32 s1, s27, s7
	s_mul_hi_u32 s2, s26, s7
	s_mul_i32 s0, s26, s7
	s_add_i32 s1, s2, s1
	s_lshl_b64 s[0:1], s[0:1], 1
	s_add_u32 s0, s20, s0
	s_addc_u32 s9, s21, s1
	s_lshl_b64 s[2:3], s[22:23], 1
	s_add_u32 s1, s0, s2
	v_cmp_eq_u32_e64 s0, 0, v0
	s_addc_u32 s26, s9, s3
	s_and_b32 vcc_lo, exec_lo, s8
	s_cbranch_vccnz .LBB583_6
; %bb.2:
	s_mov_b32 s8, 0
                                        ; implicit-def: $sgpr10
                                        ; implicit-def: $sgpr2_sgpr3
	s_and_saveexec_b32 s9, s0
	s_cbranch_execz .LBB583_7
; %bb.3:
	s_ashr_i32 s0, s6, 31
	v_cmp_eq_f32_e64 s11, s29, 0
	s_mul_hi_u32 s2, s24, s6
	s_mul_i32 s0, s24, s0
	s_mov_b32 s10, 0
	s_add_i32 s0, s2, s0
	s_mul_i32 s2, s25, s6
	s_and_b32 vcc_lo, exec_lo, s11
	s_add_i32 s3, s0, s2
	s_mul_i32 s2, s24, s6
	s_cbranch_vccnz .LBB583_12
; %bb.4:
	s_lshl_b64 s[10:11], s[2:3], 1
	v_mov_b32_e32 v1, 0
	s_add_u32 s10, s1, s10
	s_addc_u32 s11, s26, s11
	global_load_ushort v1, v1, s[10:11]
	s_waitcnt vmcnt(0)
	v_lshlrev_b32_e32 v1, 16, v1
	v_mul_f32_e32 v1, s29, v1
	v_and_b32_e32 v2, 0x7f800000, v1
	v_readfirstlane_b32 s0, v1
	v_cmp_eq_u32_e32 vcc_lo, 0x7f800000, v2
	s_cbranch_vccnz .LBB583_9
; %bb.5:
	s_bfe_u32 s10, s0, 0x10010
	s_add_i32 s10, s0, s10
	s_addk_i32 s10, 0x7fff
	s_cbranch_execz .LBB583_10
	s_branch .LBB583_11
.LBB583_6:
                                        ; implicit-def: $sgpr10
                                        ; implicit-def: $sgpr2_sgpr3
	s_cbranch_execz .LBB583_8
	s_branch .LBB583_13
.LBB583_7:
	s_or_b32 exec_lo, exec_lo, s9
	s_and_b32 vcc_lo, exec_lo, s8
	s_cbranch_vccnz .LBB583_13
.LBB583_8:
	v_mov_b32_e32 v1, s10
	s_and_saveexec_b32 s0, s28
	s_cbranch_execnz .LBB583_56
	s_branch .LBB583_57
.LBB583_9:
                                        ; implicit-def: $sgpr10
.LBB583_10:
	s_and_b32 s10, s0, 0xffff
	s_or_b32 s11, s0, 0x10000
	s_cmp_eq_u32 s10, 0
	s_cselect_b32 s10, s0, s11
.LBB583_11:
	s_lshr_b32 s10, s10, 16
.LBB583_12:
	s_mov_b32 s28, exec_lo
	s_or_b32 exec_lo, exec_lo, s9
	s_and_b32 vcc_lo, exec_lo, s8
	s_cbranch_vccz .LBB583_8
.LBB583_13:
	s_clause 0x1
	s_load_dwordx16 s[8:23], s[4:5], 0x18
	s_load_dword s5, s[4:5], 0x0
	v_mov_b32_e32 v7, 0
	s_waitcnt lgkmcnt(0)
	s_mul_i32 s3, s15, s7
	v_cmp_gt_i32_e32 vcc_lo, s5, v0
	s_mul_hi_u32 s15, s14, s7
	s_mul_i32 s2, s14, s7
	s_add_i32 s3, s15, s3
	s_mul_i32 s0, s23, s7
	v_cndmask_b32_e32 v1, 0, v0, vcc_lo
	s_mul_hi_u32 s4, s22, s7
	s_lshl_b64 s[34:35], s[2:3], 1
	s_add_i32 s3, s4, s0
	s_add_u32 s0, s8, s34
	v_lshlrev_b32_e32 v1, 1, v1
	s_addc_u32 s2, s9, s35
	s_lshl_b64 s[8:9], s[10:11], 1
	s_mul_hi_u32 s23, s12, s6
	s_add_u32 s0, s0, s8
	s_addc_u32 s2, s2, s9
	s_ashr_i32 s10, s6, 31
	v_add_co_u32 v1, s0, s0, v1
	v_add_co_ci_u32_e64 v2, null, s2, 0, s0
	s_mul_i32 s0, s12, s10
	s_mul_i32 s13, s13, s6
	s_add_i32 s0, s23, s0
	s_mul_i32 s14, s12, s6
	s_add_i32 s15, s0, s13
	s_ashr_i32 s4, s5, 31
	s_lshl_b64 s[8:9], s[14:15], 1
	s_lshr_b32 s2, s4, 22
	v_add_co_u32 v1, vcc_lo, v1, s8
	v_add_co_ci_u32_e64 v2, null, s9, v2, vcc_lo
	s_add_i32 s2, s5, s2
	s_mov_b32 s11, 0
	s_and_b32 s4, s2, 0xfffffc00
	s_mul_i32 s2, s22, s7
	s_mov_b32 s7, exec_lo
	v_cmpx_gt_i32_e64 s4, v0
	s_cbranch_execz .LBB583_21
; %bb.14:
	v_mad_u64_u32 v[5:6], null, s20, v0, 0
	s_lshl_b64 s[12:13], s[18:19], 1
	s_lshl_b64 s[8:9], s[2:3], 1
	s_add_u32 s0, s16, s12
	s_addc_u32 s12, s17, s13
	s_add_u32 s0, s0, s8
	s_addc_u32 s8, s12, s9
	v_mov_b32_e32 v3, v6
	v_mov_b32_e32 v8, 0
	;; [unrolled: 1-line block ×4, first 2 shown]
	v_mad_u64_u32 v[3:4], null, s21, v0, v[3:4]
	v_mov_b32_e32 v6, v3
	v_mov_b32_e32 v4, v2
	;; [unrolled: 1-line block ×3, first 2 shown]
	v_lshlrev_b64 v[5:6], 1, v[5:6]
	v_add_co_u32 v5, vcc_lo, s0, v5
	v_add_co_ci_u32_e64 v6, null, s8, v6, vcc_lo
	s_lshl_b64 s[8:9], s[20:21], 11
	s_inst_prefetch 0x1
	s_branch .LBB583_16
	.p2align	6
.LBB583_15:                             ;   in Loop: Header=BB583_16 Depth=1
	s_or_b32 exec_lo, exec_lo, s0
	v_add_nc_u32_e32 v9, 0x400, v9
	v_and_b32_e32 v10, 0xffff0000, v11
	v_add_co_u32 v3, vcc_lo, 0x800, v3
	v_add_co_ci_u32_e64 v4, null, 0, v4, vcc_lo
	v_cmp_le_i32_e32 vcc_lo, s4, v9
	v_add_co_u32 v5, s0, v5, s8
	v_add_f32_e32 v7, v7, v10
	v_add_co_ci_u32_e64 v6, null, s9, v6, s0
	s_or_b32 s11, vcc_lo, s11
	s_andn2_b32 exec_lo, exec_lo, s11
	s_cbranch_execz .LBB583_20
.LBB583_16:                             ; =>This Inner Loop Header: Depth=1
	global_load_ushort v10, v[5:6], off
	global_load_ushort v11, v[3:4], off
	s_waitcnt vmcnt(1)
	v_lshlrev_b32_e32 v10, 16, v10
	s_waitcnt vmcnt(0)
	v_lshlrev_b32_e32 v11, 16, v11
	v_mul_f32_e32 v10, v11, v10
	v_and_b32_e32 v11, 0x7f800000, v10
	v_cmp_ne_u32_e32 vcc_lo, 0x7f800000, v11
                                        ; implicit-def: $vgpr11
	s_and_saveexec_b32 s0, vcc_lo
	s_xor_b32 s0, exec_lo, s0
; %bb.17:                               ;   in Loop: Header=BB583_16 Depth=1
	v_bfe_u32 v11, v10, 16, 1
	v_add3_u32 v11, v10, v11, 0x7fff
                                        ; implicit-def: $vgpr10
; %bb.18:                               ;   in Loop: Header=BB583_16 Depth=1
	s_andn2_saveexec_b32 s0, s0
	s_cbranch_execz .LBB583_15
; %bb.19:                               ;   in Loop: Header=BB583_16 Depth=1
	v_or_b32_e32 v11, 0x10000, v10
	v_cmp_eq_u32_sdwa vcc_lo, v10, v8 src0_sel:WORD_0 src1_sel:DWORD
	v_cndmask_b32_e32 v11, v11, v10, vcc_lo
	s_branch .LBB583_15
.LBB583_20:
	s_inst_prefetch 0x2
	s_or_b32 exec_lo, exec_lo, s11
.LBB583_21:
	s_or_b32 exec_lo, exec_lo, s7
	v_or_b32_e32 v3, s4, v0
	s_mov_b32 s0, exec_lo
	v_cmpx_gt_i32_e64 s5, v3
	s_cbranch_execz .LBB583_27
; %bb.22:
	v_ashrrev_i32_e32 v5, 31, v3
	v_mul_lo_u32 v6, s21, v3
	v_mad_u64_u32 v[3:4], null, s20, v3, 0
	s_lshl_b64 s[2:3], s[2:3], 1
	v_mul_lo_u32 v5, s20, v5
	s_add_u32 s5, s16, s2
	s_addc_u32 s7, s17, s3
	s_lshl_b64 s[2:3], s[18:19], 1
	s_add_u32 s8, s5, s2
	s_addc_u32 s7, s7, s3
	s_ashr_i32 s5, s4, 31
	v_add3_u32 v4, v4, v5, v6
	s_lshl_b64 s[2:3], s[4:5], 1
	v_lshlrev_b64 v[3:4], 1, v[3:4]
	v_add_co_u32 v3, vcc_lo, s8, v3
	v_add_co_ci_u32_e64 v4, null, s7, v4, vcc_lo
	v_add_co_u32 v1, vcc_lo, v1, s2
	v_add_co_ci_u32_e64 v2, null, s3, v2, vcc_lo
	global_load_ushort v3, v[3:4], off
	global_load_ushort v1, v[1:2], off
	s_waitcnt vmcnt(1)
	v_lshlrev_b32_e32 v2, 16, v3
	s_waitcnt vmcnt(0)
	v_lshlrev_b32_e32 v1, 16, v1
	v_mul_f32_e32 v1, v1, v2
	v_and_b32_e32 v2, 0x7f800000, v1
	v_cmp_ne_u32_e32 vcc_lo, 0x7f800000, v2
                                        ; implicit-def: $vgpr2
	s_and_saveexec_b32 s2, vcc_lo
	s_xor_b32 s2, exec_lo, s2
; %bb.23:
	v_bfe_u32 v2, v1, 16, 1
	v_add3_u32 v2, v1, v2, 0x7fff
                                        ; implicit-def: $vgpr1
; %bb.24:
	s_andn2_saveexec_b32 s2, s2
; %bb.25:
	v_mov_b32_e32 v2, 0
	v_or_b32_e32 v3, 0x10000, v1
	v_cmp_eq_u32_sdwa vcc_lo, v1, v2 src0_sel:WORD_0 src1_sel:DWORD
	v_cndmask_b32_e32 v2, v3, v1, vcc_lo
; %bb.26:
	s_or_b32 exec_lo, exec_lo, s2
	v_and_b32_e32 v1, 0xffff0000, v2
	v_add_f32_e32 v7, v7, v1
.LBB583_27:
	s_or_b32 exec_lo, exec_lo, s0
	v_and_b32_e32 v8, 31, v0
	v_cmp_gt_u32_e32 vcc_lo, 32, v0
	v_lshlrev_b32_e32 v1, 2, v8
	s_and_saveexec_b32 s0, vcc_lo
; %bb.28:
	v_mov_b32_e32 v2, 0
	ds_write_b32 v1, v2
; %bb.29:
	s_or_b32 exec_lo, exec_lo, s0
	v_mbcnt_lo_u32_b32 v6, -1, 0
	s_mov_b32 s2, exec_lo
	s_waitcnt lgkmcnt(0)
	s_barrier
	buffer_gl0_inv
	v_lshl_or_b32 v2, v6, 2, 64
	v_cmp_gt_u32_e64 s0, 24, v6
	ds_bpermute_b32 v4, v2, v7
	v_cndmask_b32_e64 v3, 0, 8, s0
	v_cmp_gt_u32_e64 s0, 28, v6
	v_add_lshl_u32 v3, v3, v6, 2
	s_waitcnt lgkmcnt(0)
	v_add_f32_e32 v5, v7, v4
	v_cndmask_b32_e64 v4, 0, 4, s0
	v_cmp_gt_u32_e64 s0, 30, v6
	ds_bpermute_b32 v7, v3, v5
	v_add_lshl_u32 v4, v4, v6, 2
	s_waitcnt lgkmcnt(0)
	v_add_f32_e32 v7, v5, v7
	v_cndmask_b32_e64 v5, 0, 2, s0
	v_cmp_ne_u32_e64 s0, 31, v6
	ds_bpermute_b32 v9, v4, v7
	v_add_lshl_u32 v5, v5, v6, 2
	v_add_co_ci_u32_e64 v6, null, 0, v6, s0
	v_lshlrev_b32_e32 v6, 2, v6
	s_waitcnt lgkmcnt(0)
	v_add_f32_e32 v7, v7, v9
	ds_bpermute_b32 v9, v5, v7
	s_waitcnt lgkmcnt(0)
	v_add_f32_e32 v7, v7, v9
	ds_bpermute_b32 v9, v6, v7
	v_cmpx_eq_u32_e32 0, v8
	s_cbranch_execz .LBB583_31
; %bb.30:
	v_lshrrev_b32_e32 v8, 3, v0
	s_waitcnt lgkmcnt(0)
	v_add_f32_e32 v7, v7, v9
	v_and_b32_e32 v8, 0x7c, v8
	ds_write_b32 v8, v7
.LBB583_31:
	s_or_b32 exec_lo, exec_lo, s2
	v_mov_b32_e32 v7, 0
	s_waitcnt lgkmcnt(0)
	s_barrier
	buffer_gl0_inv
	s_and_saveexec_b32 s0, vcc_lo
; %bb.32:
	ds_read_b32 v7, v1
; %bb.33:
	s_or_b32 exec_lo, exec_lo, s0
	s_and_saveexec_b32 s0, vcc_lo
	s_cbranch_execz .LBB583_35
; %bb.34:
	s_waitcnt lgkmcnt(0)
	ds_bpermute_b32 v1, v2, v7
	s_waitcnt lgkmcnt(0)
	v_add_f32_e32 v1, v7, v1
	ds_bpermute_b32 v2, v3, v1
	s_waitcnt lgkmcnt(0)
	v_add_f32_e32 v1, v1, v2
	;; [unrolled: 3-line block ×5, first 2 shown]
.LBB583_35:
	s_or_b32 exec_lo, exec_lo, s0
	s_mov_b32 s0, exec_lo
                                        ; implicit-def: $vgpr1
                                        ; implicit-def: $sgpr2_sgpr3
	v_cmpx_eq_u32_e32 0, v0
	s_cbranch_execz .LBB583_55
; %bb.36:
	v_cmp_eq_f32_e64 s2, s29, 0
	s_waitcnt lgkmcnt(0)
	v_mul_f32_e32 v0, s30, v7
	s_and_b32 vcc_lo, exec_lo, s2
	s_cbranch_vccz .LBB583_42
; %bb.37:
	v_and_b32_e32 v1, 0x7f800000, v0
	v_cmp_ne_u32_e32 vcc_lo, 0x7f800000, v1
                                        ; implicit-def: $vgpr1
	s_and_saveexec_b32 s2, vcc_lo
	s_xor_b32 s2, exec_lo, s2
; %bb.38:
	v_bfe_u32 v1, v0, 16, 1
	v_add3_u32 v1, v0, v1, 0x7fff
; %bb.39:
	s_andn2_saveexec_b32 s2, s2
; %bb.40:
	v_mov_b32_e32 v1, 0
	v_or_b32_e32 v2, 0x10000, v0
	v_cmp_eq_u32_sdwa vcc_lo, v0, v1 src0_sel:WORD_0 src1_sel:DWORD
	v_cndmask_b32_e32 v1, v2, v0, vcc_lo
; %bb.41:
	s_or_b32 exec_lo, exec_lo, s2
	s_mov_b32 s2, 0
	s_branch .LBB583_43
.LBB583_42:
	s_mov_b32 s2, -1
                                        ; implicit-def: $vgpr1
.LBB583_43:
	s_mul_i32 s4, s24, s10
	s_mul_hi_u32 s5, s24, s6
	s_andn2_b32 vcc_lo, exec_lo, s2
	s_mul_i32 s7, s25, s6
	s_mul_i32 s2, s24, s6
	s_cbranch_vccnz .LBB583_54
; %bb.44:
	s_add_i32 s3, s5, s4
	v_mov_b32_e32 v1, 0
	s_add_i32 s3, s3, s7
	s_lshl_b64 s[8:9], s[2:3], 1
	s_add_u32 s8, s1, s8
	s_addc_u32 s9, s26, s9
	global_load_ushort v1, v1, s[8:9]
	s_waitcnt vmcnt(0)
	v_lshlrev_b32_e32 v1, 16, v1
	v_mul_f32_e32 v1, s29, v1
	v_and_b32_e32 v2, 0x7f800000, v1
	v_readfirstlane_b32 s3, v1
	v_cmp_eq_u32_e32 vcc_lo, 0x7f800000, v2
	s_cbranch_vccnz .LBB583_46
; %bb.45:
	s_bfe_u32 s6, s3, 0x10010
	s_mov_b32 s8, 0
	s_add_i32 s6, s3, s6
	s_addk_i32 s6, 0x7fff
	s_branch .LBB583_47
.LBB583_46:
	s_mov_b32 s8, -1
                                        ; implicit-def: $sgpr6
.LBB583_47:
	s_andn2_b32 vcc_lo, exec_lo, s8
	s_cbranch_vccnz .LBB583_49
; %bb.48:
	s_and_b32 s6, s3, 0xffff
	s_or_b32 s8, s3, 0x10000
	s_cmp_eq_u32 s6, 0
	s_cselect_b32 s6, s3, s8
.LBB583_49:
	s_and_b32 s3, s6, 0xffff0000
	v_add_f32_e32 v0, s3, v0
	v_and_b32_e32 v1, 0x7f800000, v0
	v_cmp_ne_u32_e32 vcc_lo, 0x7f800000, v1
                                        ; implicit-def: $vgpr1
	s_and_saveexec_b32 s3, vcc_lo
	s_xor_b32 s3, exec_lo, s3
; %bb.50:
	v_bfe_u32 v1, v0, 16, 1
	v_add3_u32 v1, v0, v1, 0x7fff
                                        ; implicit-def: $vgpr0
; %bb.51:
	s_andn2_saveexec_b32 s3, s3
; %bb.52:
	v_mov_b32_e32 v1, 0
	v_or_b32_e32 v2, 0x10000, v0
	v_cmp_eq_u32_sdwa vcc_lo, v0, v1 src0_sel:WORD_0 src1_sel:DWORD
	v_cndmask_b32_e32 v1, v2, v0, vcc_lo
; %bb.53:
	s_or_b32 exec_lo, exec_lo, s3
.LBB583_54:
	v_lshrrev_b32_e32 v1, 16, v1
	s_add_i32 s3, s5, s4
	s_or_b32 s28, s28, exec_lo
	s_add_i32 s3, s3, s7
.LBB583_55:
	s_or_b32 exec_lo, exec_lo, s0
	s_and_saveexec_b32 s0, s28
	s_cbranch_execz .LBB583_57
.LBB583_56:
	s_lshl_b64 s[2:3], s[2:3], 1
	v_mov_b32_e32 v0, 0
	s_add_u32 s0, s1, s2
	s_addc_u32 s1, s26, s3
	global_store_short v0, v1, s[0:1]
.LBB583_57:
	s_endpgm
	.section	.rodata,"a",@progbits
	.p2align	6, 0x0
	.amdhsa_kernel _ZL32rocblas_gemvt_warp_reduce_kernelILb1ELi1024El16rocblas_bfloat16fS0_EviiT3_lPKT2_lT1_lS4_lS5_lS1_lPT4_lS5_li
		.amdhsa_group_segment_fixed_size 128
		.amdhsa_private_segment_fixed_size 0
		.amdhsa_kernarg_size 140
		.amdhsa_user_sgpr_count 6
		.amdhsa_user_sgpr_private_segment_buffer 1
		.amdhsa_user_sgpr_dispatch_ptr 0
		.amdhsa_user_sgpr_queue_ptr 0
		.amdhsa_user_sgpr_kernarg_segment_ptr 1
		.amdhsa_user_sgpr_dispatch_id 0
		.amdhsa_user_sgpr_flat_scratch_init 0
		.amdhsa_user_sgpr_private_segment_size 0
		.amdhsa_wavefront_size32 1
		.amdhsa_uses_dynamic_stack 0
		.amdhsa_system_sgpr_private_segment_wavefront_offset 0
		.amdhsa_system_sgpr_workgroup_id_x 1
		.amdhsa_system_sgpr_workgroup_id_y 0
		.amdhsa_system_sgpr_workgroup_id_z 1
		.amdhsa_system_sgpr_workgroup_info 0
		.amdhsa_system_vgpr_workitem_id 0
		.amdhsa_next_free_vgpr 12
		.amdhsa_next_free_sgpr 36
		.amdhsa_reserve_vcc 1
		.amdhsa_reserve_flat_scratch 0
		.amdhsa_float_round_mode_32 0
		.amdhsa_float_round_mode_16_64 0
		.amdhsa_float_denorm_mode_32 3
		.amdhsa_float_denorm_mode_16_64 3
		.amdhsa_dx10_clamp 1
		.amdhsa_ieee_mode 1
		.amdhsa_fp16_overflow 0
		.amdhsa_workgroup_processor_mode 1
		.amdhsa_memory_ordered 1
		.amdhsa_forward_progress 1
		.amdhsa_shared_vgpr_count 0
		.amdhsa_exception_fp_ieee_invalid_op 0
		.amdhsa_exception_fp_denorm_src 0
		.amdhsa_exception_fp_ieee_div_zero 0
		.amdhsa_exception_fp_ieee_overflow 0
		.amdhsa_exception_fp_ieee_underflow 0
		.amdhsa_exception_fp_ieee_inexact 0
		.amdhsa_exception_int_div_zero 0
	.end_amdhsa_kernel
	.section	.text._ZL32rocblas_gemvt_warp_reduce_kernelILb1ELi1024El16rocblas_bfloat16fS0_EviiT3_lPKT2_lT1_lS4_lS5_lS1_lPT4_lS5_li,"axG",@progbits,_ZL32rocblas_gemvt_warp_reduce_kernelILb1ELi1024El16rocblas_bfloat16fS0_EviiT3_lPKT2_lT1_lS4_lS5_lS1_lPT4_lS5_li,comdat
.Lfunc_end583:
	.size	_ZL32rocblas_gemvt_warp_reduce_kernelILb1ELi1024El16rocblas_bfloat16fS0_EviiT3_lPKT2_lT1_lS4_lS5_lS1_lPT4_lS5_li, .Lfunc_end583-_ZL32rocblas_gemvt_warp_reduce_kernelILb1ELi1024El16rocblas_bfloat16fS0_EviiT3_lPKT2_lT1_lS4_lS5_lS1_lPT4_lS5_li
                                        ; -- End function
	.set _ZL32rocblas_gemvt_warp_reduce_kernelILb1ELi1024El16rocblas_bfloat16fS0_EviiT3_lPKT2_lT1_lS4_lS5_lS1_lPT4_lS5_li.num_vgpr, 12
	.set _ZL32rocblas_gemvt_warp_reduce_kernelILb1ELi1024El16rocblas_bfloat16fS0_EviiT3_lPKT2_lT1_lS4_lS5_lS1_lPT4_lS5_li.num_agpr, 0
	.set _ZL32rocblas_gemvt_warp_reduce_kernelILb1ELi1024El16rocblas_bfloat16fS0_EviiT3_lPKT2_lT1_lS4_lS5_lS1_lPT4_lS5_li.numbered_sgpr, 36
	.set _ZL32rocblas_gemvt_warp_reduce_kernelILb1ELi1024El16rocblas_bfloat16fS0_EviiT3_lPKT2_lT1_lS4_lS5_lS1_lPT4_lS5_li.num_named_barrier, 0
	.set _ZL32rocblas_gemvt_warp_reduce_kernelILb1ELi1024El16rocblas_bfloat16fS0_EviiT3_lPKT2_lT1_lS4_lS5_lS1_lPT4_lS5_li.private_seg_size, 0
	.set _ZL32rocblas_gemvt_warp_reduce_kernelILb1ELi1024El16rocblas_bfloat16fS0_EviiT3_lPKT2_lT1_lS4_lS5_lS1_lPT4_lS5_li.uses_vcc, 1
	.set _ZL32rocblas_gemvt_warp_reduce_kernelILb1ELi1024El16rocblas_bfloat16fS0_EviiT3_lPKT2_lT1_lS4_lS5_lS1_lPT4_lS5_li.uses_flat_scratch, 0
	.set _ZL32rocblas_gemvt_warp_reduce_kernelILb1ELi1024El16rocblas_bfloat16fS0_EviiT3_lPKT2_lT1_lS4_lS5_lS1_lPT4_lS5_li.has_dyn_sized_stack, 0
	.set _ZL32rocblas_gemvt_warp_reduce_kernelILb1ELi1024El16rocblas_bfloat16fS0_EviiT3_lPKT2_lT1_lS4_lS5_lS1_lPT4_lS5_li.has_recursion, 0
	.set _ZL32rocblas_gemvt_warp_reduce_kernelILb1ELi1024El16rocblas_bfloat16fS0_EviiT3_lPKT2_lT1_lS4_lS5_lS1_lPT4_lS5_li.has_indirect_call, 0
	.section	.AMDGPU.csdata,"",@progbits
; Kernel info:
; codeLenInByte = 1984
; TotalNumSgprs: 38
; NumVgprs: 12
; ScratchSize: 0
; MemoryBound: 0
; FloatMode: 240
; IeeeMode: 1
; LDSByteSize: 128 bytes/workgroup (compile time only)
; SGPRBlocks: 0
; VGPRBlocks: 1
; NumSGPRsForWavesPerEU: 38
; NumVGPRsForWavesPerEU: 12
; Occupancy: 16
; WaveLimiterHint : 1
; COMPUTE_PGM_RSRC2:SCRATCH_EN: 0
; COMPUTE_PGM_RSRC2:USER_SGPR: 6
; COMPUTE_PGM_RSRC2:TRAP_HANDLER: 0
; COMPUTE_PGM_RSRC2:TGID_X_EN: 1
; COMPUTE_PGM_RSRC2:TGID_Y_EN: 0
; COMPUTE_PGM_RSRC2:TGID_Z_EN: 1
; COMPUTE_PGM_RSRC2:TIDIG_COMP_CNT: 0
	.section	.text._ZL34rocblas_gemvn_sm_mn_batched_kernelILi32ELi24EPK16rocblas_bfloat16PKfKPS0_EviiT2_lPKT1_lilSA_lilS7_lPT3_lili,"axG",@progbits,_ZL34rocblas_gemvn_sm_mn_batched_kernelILi32ELi24EPK16rocblas_bfloat16PKfKPS0_EviiT2_lPKT1_lilSA_lilS7_lPT3_lili,comdat
	.globl	_ZL34rocblas_gemvn_sm_mn_batched_kernelILi32ELi24EPK16rocblas_bfloat16PKfKPS0_EviiT2_lPKT1_lilSA_lilS7_lPT3_lili ; -- Begin function _ZL34rocblas_gemvn_sm_mn_batched_kernelILi32ELi24EPK16rocblas_bfloat16PKfKPS0_EviiT2_lPKT1_lilSA_lilS7_lPT3_lili
	.p2align	8
	.type	_ZL34rocblas_gemvn_sm_mn_batched_kernelILi32ELi24EPK16rocblas_bfloat16PKfKPS0_EviiT2_lPKT1_lilSA_lilS7_lPT3_lili,@function
_ZL34rocblas_gemvn_sm_mn_batched_kernelILi32ELi24EPK16rocblas_bfloat16PKfKPS0_EviiT2_lPKT1_lilSA_lilS7_lPT3_lili: ; @_ZL34rocblas_gemvn_sm_mn_batched_kernelILi32ELi24EPK16rocblas_bfloat16PKfKPS0_EviiT2_lPKT1_lilSA_lilS7_lPT3_lili
; %bb.0:
	s_endpgm
	.section	.rodata,"a",@progbits
	.p2align	6, 0x0
	.amdhsa_kernel _ZL34rocblas_gemvn_sm_mn_batched_kernelILi32ELi24EPK16rocblas_bfloat16PKfKPS0_EviiT2_lPKT1_lilSA_lilS7_lPT3_lili
		.amdhsa_group_segment_fixed_size 0
		.amdhsa_private_segment_fixed_size 0
		.amdhsa_kernarg_size 140
		.amdhsa_user_sgpr_count 6
		.amdhsa_user_sgpr_private_segment_buffer 1
		.amdhsa_user_sgpr_dispatch_ptr 0
		.amdhsa_user_sgpr_queue_ptr 0
		.amdhsa_user_sgpr_kernarg_segment_ptr 1
		.amdhsa_user_sgpr_dispatch_id 0
		.amdhsa_user_sgpr_flat_scratch_init 0
		.amdhsa_user_sgpr_private_segment_size 0
		.amdhsa_wavefront_size32 1
		.amdhsa_uses_dynamic_stack 0
		.amdhsa_system_sgpr_private_segment_wavefront_offset 0
		.amdhsa_system_sgpr_workgroup_id_x 1
		.amdhsa_system_sgpr_workgroup_id_y 0
		.amdhsa_system_sgpr_workgroup_id_z 0
		.amdhsa_system_sgpr_workgroup_info 0
		.amdhsa_system_vgpr_workitem_id 0
		.amdhsa_next_free_vgpr 1
		.amdhsa_next_free_sgpr 1
		.amdhsa_reserve_vcc 0
		.amdhsa_reserve_flat_scratch 0
		.amdhsa_float_round_mode_32 0
		.amdhsa_float_round_mode_16_64 0
		.amdhsa_float_denorm_mode_32 3
		.amdhsa_float_denorm_mode_16_64 3
		.amdhsa_dx10_clamp 1
		.amdhsa_ieee_mode 1
		.amdhsa_fp16_overflow 0
		.amdhsa_workgroup_processor_mode 1
		.amdhsa_memory_ordered 1
		.amdhsa_forward_progress 1
		.amdhsa_shared_vgpr_count 0
		.amdhsa_exception_fp_ieee_invalid_op 0
		.amdhsa_exception_fp_denorm_src 0
		.amdhsa_exception_fp_ieee_div_zero 0
		.amdhsa_exception_fp_ieee_overflow 0
		.amdhsa_exception_fp_ieee_underflow 0
		.amdhsa_exception_fp_ieee_inexact 0
		.amdhsa_exception_int_div_zero 0
	.end_amdhsa_kernel
	.section	.text._ZL34rocblas_gemvn_sm_mn_batched_kernelILi32ELi24EPK16rocblas_bfloat16PKfKPS0_EviiT2_lPKT1_lilSA_lilS7_lPT3_lili,"axG",@progbits,_ZL34rocblas_gemvn_sm_mn_batched_kernelILi32ELi24EPK16rocblas_bfloat16PKfKPS0_EviiT2_lPKT1_lilSA_lilS7_lPT3_lili,comdat
.Lfunc_end584:
	.size	_ZL34rocblas_gemvn_sm_mn_batched_kernelILi32ELi24EPK16rocblas_bfloat16PKfKPS0_EviiT2_lPKT1_lilSA_lilS7_lPT3_lili, .Lfunc_end584-_ZL34rocblas_gemvn_sm_mn_batched_kernelILi32ELi24EPK16rocblas_bfloat16PKfKPS0_EviiT2_lPKT1_lilSA_lilS7_lPT3_lili
                                        ; -- End function
	.set _ZL34rocblas_gemvn_sm_mn_batched_kernelILi32ELi24EPK16rocblas_bfloat16PKfKPS0_EviiT2_lPKT1_lilSA_lilS7_lPT3_lili.num_vgpr, 0
	.set _ZL34rocblas_gemvn_sm_mn_batched_kernelILi32ELi24EPK16rocblas_bfloat16PKfKPS0_EviiT2_lPKT1_lilSA_lilS7_lPT3_lili.num_agpr, 0
	.set _ZL34rocblas_gemvn_sm_mn_batched_kernelILi32ELi24EPK16rocblas_bfloat16PKfKPS0_EviiT2_lPKT1_lilSA_lilS7_lPT3_lili.numbered_sgpr, 0
	.set _ZL34rocblas_gemvn_sm_mn_batched_kernelILi32ELi24EPK16rocblas_bfloat16PKfKPS0_EviiT2_lPKT1_lilSA_lilS7_lPT3_lili.num_named_barrier, 0
	.set _ZL34rocblas_gemvn_sm_mn_batched_kernelILi32ELi24EPK16rocblas_bfloat16PKfKPS0_EviiT2_lPKT1_lilSA_lilS7_lPT3_lili.private_seg_size, 0
	.set _ZL34rocblas_gemvn_sm_mn_batched_kernelILi32ELi24EPK16rocblas_bfloat16PKfKPS0_EviiT2_lPKT1_lilSA_lilS7_lPT3_lili.uses_vcc, 0
	.set _ZL34rocblas_gemvn_sm_mn_batched_kernelILi32ELi24EPK16rocblas_bfloat16PKfKPS0_EviiT2_lPKT1_lilSA_lilS7_lPT3_lili.uses_flat_scratch, 0
	.set _ZL34rocblas_gemvn_sm_mn_batched_kernelILi32ELi24EPK16rocblas_bfloat16PKfKPS0_EviiT2_lPKT1_lilSA_lilS7_lPT3_lili.has_dyn_sized_stack, 0
	.set _ZL34rocblas_gemvn_sm_mn_batched_kernelILi32ELi24EPK16rocblas_bfloat16PKfKPS0_EviiT2_lPKT1_lilSA_lilS7_lPT3_lili.has_recursion, 0
	.set _ZL34rocblas_gemvn_sm_mn_batched_kernelILi32ELi24EPK16rocblas_bfloat16PKfKPS0_EviiT2_lPKT1_lilSA_lilS7_lPT3_lili.has_indirect_call, 0
	.section	.AMDGPU.csdata,"",@progbits
; Kernel info:
; codeLenInByte = 4
; TotalNumSgprs: 0
; NumVgprs: 0
; ScratchSize: 0
; MemoryBound: 0
; FloatMode: 240
; IeeeMode: 1
; LDSByteSize: 0 bytes/workgroup (compile time only)
; SGPRBlocks: 0
; VGPRBlocks: 0
; NumSGPRsForWavesPerEU: 1
; NumVGPRsForWavesPerEU: 1
; Occupancy: 16
; WaveLimiterHint : 0
; COMPUTE_PGM_RSRC2:SCRATCH_EN: 0
; COMPUTE_PGM_RSRC2:USER_SGPR: 6
; COMPUTE_PGM_RSRC2:TRAP_HANDLER: 0
; COMPUTE_PGM_RSRC2:TGID_X_EN: 1
; COMPUTE_PGM_RSRC2:TGID_Y_EN: 0
; COMPUTE_PGM_RSRC2:TGID_Z_EN: 0
; COMPUTE_PGM_RSRC2:TIDIG_COMP_CNT: 0
	.section	.text._ZL34rocblas_gemvn_sm_mn_batched_kernelILi32ELi24EPK16rocblas_bfloat16fKPS0_EviiT2_lPKT1_lilS8_lilS5_lPT3_lili,"axG",@progbits,_ZL34rocblas_gemvn_sm_mn_batched_kernelILi32ELi24EPK16rocblas_bfloat16fKPS0_EviiT2_lPKT1_lilS8_lilS5_lPT3_lili,comdat
	.globl	_ZL34rocblas_gemvn_sm_mn_batched_kernelILi32ELi24EPK16rocblas_bfloat16fKPS0_EviiT2_lPKT1_lilS8_lilS5_lPT3_lili ; -- Begin function _ZL34rocblas_gemvn_sm_mn_batched_kernelILi32ELi24EPK16rocblas_bfloat16fKPS0_EviiT2_lPKT1_lilS8_lilS5_lPT3_lili
	.p2align	8
	.type	_ZL34rocblas_gemvn_sm_mn_batched_kernelILi32ELi24EPK16rocblas_bfloat16fKPS0_EviiT2_lPKT1_lilS8_lilS5_lPT3_lili,@function
_ZL34rocblas_gemvn_sm_mn_batched_kernelILi32ELi24EPK16rocblas_bfloat16fKPS0_EviiT2_lPKT1_lilS8_lilS5_lPT3_lili: ; @_ZL34rocblas_gemvn_sm_mn_batched_kernelILi32ELi24EPK16rocblas_bfloat16fKPS0_EviiT2_lPKT1_lilS8_lilS5_lPT3_lili
; %bb.0:
	s_endpgm
	.section	.rodata,"a",@progbits
	.p2align	6, 0x0
	.amdhsa_kernel _ZL34rocblas_gemvn_sm_mn_batched_kernelILi32ELi24EPK16rocblas_bfloat16fKPS0_EviiT2_lPKT1_lilS8_lilS5_lPT3_lili
		.amdhsa_group_segment_fixed_size 0
		.amdhsa_private_segment_fixed_size 0
		.amdhsa_kernarg_size 140
		.amdhsa_user_sgpr_count 6
		.amdhsa_user_sgpr_private_segment_buffer 1
		.amdhsa_user_sgpr_dispatch_ptr 0
		.amdhsa_user_sgpr_queue_ptr 0
		.amdhsa_user_sgpr_kernarg_segment_ptr 1
		.amdhsa_user_sgpr_dispatch_id 0
		.amdhsa_user_sgpr_flat_scratch_init 0
		.amdhsa_user_sgpr_private_segment_size 0
		.amdhsa_wavefront_size32 1
		.amdhsa_uses_dynamic_stack 0
		.amdhsa_system_sgpr_private_segment_wavefront_offset 0
		.amdhsa_system_sgpr_workgroup_id_x 1
		.amdhsa_system_sgpr_workgroup_id_y 0
		.amdhsa_system_sgpr_workgroup_id_z 0
		.amdhsa_system_sgpr_workgroup_info 0
		.amdhsa_system_vgpr_workitem_id 0
		.amdhsa_next_free_vgpr 1
		.amdhsa_next_free_sgpr 1
		.amdhsa_reserve_vcc 0
		.amdhsa_reserve_flat_scratch 0
		.amdhsa_float_round_mode_32 0
		.amdhsa_float_round_mode_16_64 0
		.amdhsa_float_denorm_mode_32 3
		.amdhsa_float_denorm_mode_16_64 3
		.amdhsa_dx10_clamp 1
		.amdhsa_ieee_mode 1
		.amdhsa_fp16_overflow 0
		.amdhsa_workgroup_processor_mode 1
		.amdhsa_memory_ordered 1
		.amdhsa_forward_progress 1
		.amdhsa_shared_vgpr_count 0
		.amdhsa_exception_fp_ieee_invalid_op 0
		.amdhsa_exception_fp_denorm_src 0
		.amdhsa_exception_fp_ieee_div_zero 0
		.amdhsa_exception_fp_ieee_overflow 0
		.amdhsa_exception_fp_ieee_underflow 0
		.amdhsa_exception_fp_ieee_inexact 0
		.amdhsa_exception_int_div_zero 0
	.end_amdhsa_kernel
	.section	.text._ZL34rocblas_gemvn_sm_mn_batched_kernelILi32ELi24EPK16rocblas_bfloat16fKPS0_EviiT2_lPKT1_lilS8_lilS5_lPT3_lili,"axG",@progbits,_ZL34rocblas_gemvn_sm_mn_batched_kernelILi32ELi24EPK16rocblas_bfloat16fKPS0_EviiT2_lPKT1_lilS8_lilS5_lPT3_lili,comdat
.Lfunc_end585:
	.size	_ZL34rocblas_gemvn_sm_mn_batched_kernelILi32ELi24EPK16rocblas_bfloat16fKPS0_EviiT2_lPKT1_lilS8_lilS5_lPT3_lili, .Lfunc_end585-_ZL34rocblas_gemvn_sm_mn_batched_kernelILi32ELi24EPK16rocblas_bfloat16fKPS0_EviiT2_lPKT1_lilS8_lilS5_lPT3_lili
                                        ; -- End function
	.set _ZL34rocblas_gemvn_sm_mn_batched_kernelILi32ELi24EPK16rocblas_bfloat16fKPS0_EviiT2_lPKT1_lilS8_lilS5_lPT3_lili.num_vgpr, 0
	.set _ZL34rocblas_gemvn_sm_mn_batched_kernelILi32ELi24EPK16rocblas_bfloat16fKPS0_EviiT2_lPKT1_lilS8_lilS5_lPT3_lili.num_agpr, 0
	.set _ZL34rocblas_gemvn_sm_mn_batched_kernelILi32ELi24EPK16rocblas_bfloat16fKPS0_EviiT2_lPKT1_lilS8_lilS5_lPT3_lili.numbered_sgpr, 0
	.set _ZL34rocblas_gemvn_sm_mn_batched_kernelILi32ELi24EPK16rocblas_bfloat16fKPS0_EviiT2_lPKT1_lilS8_lilS5_lPT3_lili.num_named_barrier, 0
	.set _ZL34rocblas_gemvn_sm_mn_batched_kernelILi32ELi24EPK16rocblas_bfloat16fKPS0_EviiT2_lPKT1_lilS8_lilS5_lPT3_lili.private_seg_size, 0
	.set _ZL34rocblas_gemvn_sm_mn_batched_kernelILi32ELi24EPK16rocblas_bfloat16fKPS0_EviiT2_lPKT1_lilS8_lilS5_lPT3_lili.uses_vcc, 0
	.set _ZL34rocblas_gemvn_sm_mn_batched_kernelILi32ELi24EPK16rocblas_bfloat16fKPS0_EviiT2_lPKT1_lilS8_lilS5_lPT3_lili.uses_flat_scratch, 0
	.set _ZL34rocblas_gemvn_sm_mn_batched_kernelILi32ELi24EPK16rocblas_bfloat16fKPS0_EviiT2_lPKT1_lilS8_lilS5_lPT3_lili.has_dyn_sized_stack, 0
	.set _ZL34rocblas_gemvn_sm_mn_batched_kernelILi32ELi24EPK16rocblas_bfloat16fKPS0_EviiT2_lPKT1_lilS8_lilS5_lPT3_lili.has_recursion, 0
	.set _ZL34rocblas_gemvn_sm_mn_batched_kernelILi32ELi24EPK16rocblas_bfloat16fKPS0_EviiT2_lPKT1_lilS8_lilS5_lPT3_lili.has_indirect_call, 0
	.section	.AMDGPU.csdata,"",@progbits
; Kernel info:
; codeLenInByte = 4
; TotalNumSgprs: 0
; NumVgprs: 0
; ScratchSize: 0
; MemoryBound: 0
; FloatMode: 240
; IeeeMode: 1
; LDSByteSize: 0 bytes/workgroup (compile time only)
; SGPRBlocks: 0
; VGPRBlocks: 0
; NumSGPRsForWavesPerEU: 1
; NumVGPRsForWavesPerEU: 1
; Occupancy: 16
; WaveLimiterHint : 0
; COMPUTE_PGM_RSRC2:SCRATCH_EN: 0
; COMPUTE_PGM_RSRC2:USER_SGPR: 6
; COMPUTE_PGM_RSRC2:TRAP_HANDLER: 0
; COMPUTE_PGM_RSRC2:TGID_X_EN: 1
; COMPUTE_PGM_RSRC2:TGID_Y_EN: 0
; COMPUTE_PGM_RSRC2:TGID_Z_EN: 0
; COMPUTE_PGM_RSRC2:TIDIG_COMP_CNT: 0
	.section	.text._ZL20rocblas_gemvn_kernelILi64ELi4EiPK16rocblas_bfloat16PKfKPS0_EviiT3_lPKT2_lT1_lSA_lSB_lS7_lPT4_lSB_li,"axG",@progbits,_ZL20rocblas_gemvn_kernelILi64ELi4EiPK16rocblas_bfloat16PKfKPS0_EviiT3_lPKT2_lT1_lSA_lSB_lS7_lPT4_lSB_li,comdat
	.globl	_ZL20rocblas_gemvn_kernelILi64ELi4EiPK16rocblas_bfloat16PKfKPS0_EviiT3_lPKT2_lT1_lSA_lSB_lS7_lPT4_lSB_li ; -- Begin function _ZL20rocblas_gemvn_kernelILi64ELi4EiPK16rocblas_bfloat16PKfKPS0_EviiT3_lPKT2_lT1_lSA_lSB_lS7_lPT4_lSB_li
	.p2align	8
	.type	_ZL20rocblas_gemvn_kernelILi64ELi4EiPK16rocblas_bfloat16PKfKPS0_EviiT3_lPKT2_lT1_lSA_lSB_lS7_lPT4_lSB_li,@function
_ZL20rocblas_gemvn_kernelILi64ELi4EiPK16rocblas_bfloat16PKfKPS0_EviiT3_lPKT2_lT1_lSA_lSB_lS7_lPT4_lSB_li: ; @_ZL20rocblas_gemvn_kernelILi64ELi4EiPK16rocblas_bfloat16PKfKPS0_EviiT3_lPKT2_lT1_lSA_lSB_lS7_lPT4_lSB_li
; %bb.0:
	s_load_dwordx2 s[2:3], s[4:5], 0x9c
	s_waitcnt lgkmcnt(0)
	s_lshr_b32 s1, s2, 16
	s_and_b32 s2, s2, 0xffff
	s_and_b32 s3, s3, 0xffff
	s_mul_i32 s1, s1, s2
	s_mul_i32 s1, s1, s3
	s_cmpk_lg_i32 s1, 0x100
	s_cbranch_scc1 .LBB586_73
; %bb.1:
	s_clause 0x1
	s_load_dwordx8 s[16:23], s[4:5], 0x8
	s_load_dwordx8 s[8:15], s[4:5], 0x58
	s_mov_b32 s0, s7
	s_waitcnt lgkmcnt(0)
	s_mul_i32 s1, s19, s7
	s_mul_hi_u32 s3, s18, s7
	s_mul_i32 s2, s18, s7
	s_add_i32 s3, s3, s1
	s_mul_i32 s1, s11, s7
	s_lshl_b64 s[2:3], s[2:3], 2
	s_mul_hi_u32 s7, s10, s7
	s_add_u32 s2, s16, s2
	s_addc_u32 s3, s17, s3
	s_add_i32 s11, s7, s1
	s_mul_i32 s10, s10, s0
	s_lshl_b64 s[10:11], s[10:11], 2
	s_add_u32 s8, s8, s10
	s_addc_u32 s9, s9, s11
	s_load_dword s19, s[2:3], 0x0
	s_load_dword s18, s[8:9], 0x0
	s_waitcnt lgkmcnt(0)
	v_cmp_eq_f32_e64 s2, s19, 0
	v_cmp_eq_f32_e64 s1, s18, 1.0
	s_and_b32 s1, s2, s1
	s_and_b32 vcc_lo, exec_lo, s1
	s_mov_b32 s1, 0
	s_cbranch_vccnz .LBB586_73
; %bb.2:
	v_cmp_neq_f32_e64 s3, s19, 0
	s_mov_b64 s[16:17], 0
	s_and_b32 vcc_lo, exec_lo, s2
	s_mov_b64 s[10:11], 0
	s_cbranch_vccnz .LBB586_4
; %bb.3:
	s_lshl_b64 s[8:9], s[0:1], 3
	s_add_u32 s8, s20, s8
	s_addc_u32 s9, s21, s9
	s_lshl_b64 s[10:11], s[22:23], 1
	s_load_dwordx2 s[8:9], s[8:9], 0x0
	s_waitcnt lgkmcnt(0)
	s_add_u32 s10, s8, s10
	s_addc_u32 s11, s9, s11
.LBB586_4:
	s_andn2_b32 vcc_lo, exec_lo, s3
	s_cbranch_vccnz .LBB586_6
; %bb.5:
	s_load_dwordx4 s[20:23], s[4:5], 0x38
	s_lshl_b64 s[8:9], s[0:1], 3
	s_waitcnt lgkmcnt(0)
	s_add_u32 s8, s20, s8
	s_addc_u32 s9, s21, s9
	s_lshl_b64 s[16:17], s[22:23], 1
	s_load_dwordx2 s[8:9], s[8:9], 0x0
	s_waitcnt lgkmcnt(0)
	s_add_u32 s16, s8, s16
	s_addc_u32 s17, s9, s17
.LBB586_6:
	s_lshl_b64 s[0:1], s[0:1], 3
	v_lshlrev_b32_e32 v14, 6, v1
	s_add_u32 s0, s12, s0
	s_addc_u32 s1, s13, s1
	s_lshl_b64 s[14:15], s[14:15], 1
	s_load_dwordx2 s[12:13], s[0:1], 0x0
	s_clause 0x1
	s_load_dwordx2 s[8:9], s[4:5], 0x0
	s_load_dword s20, s[4:5], 0x78
	v_add_nc_u32_e32 v13, v14, v0
	v_cmp_gt_u32_e64 s0, 0x100, v13
	s_waitcnt lgkmcnt(0)
	s_add_u32 s7, s12, s14
	s_addc_u32 s12, s13, s15
	s_andn2_b32 vcc_lo, exec_lo, s2
	s_cbranch_vccnz .LBB586_17
; %bb.7:
	s_mov_b32 s1, 0
	s_mov_b32 s13, 0
                                        ; implicit-def: $vgpr5
                                        ; implicit-def: $vgpr2_vgpr3
	s_and_saveexec_b32 s2, s0
	s_cbranch_execz .LBB586_18
; %bb.8:
	v_lshl_or_b32 v4, s6, 8, v13
	v_mov_b32_e32 v5, 0
	s_ashr_i32 s15, s8, 31
	s_mov_b32 s14, s8
	s_mov_b32 s3, 0
	s_mov_b32 s0, exec_lo
                                        ; implicit-def: $vgpr2_vgpr3
	v_cmpx_gt_i64_e64 s[14:15], v[4:5]
	s_cbranch_execz .LBB586_16
; %bb.9:
	v_mad_u64_u32 v[2:3], null, s20, v4, 0
	s_ashr_i32 s3, s20, 31
	v_mad_u64_u32 v[3:4], null, s3, v4, v[3:4]
	v_cmp_eq_f32_e64 s3, s18, 0
	s_and_b32 vcc_lo, exec_lo, s3
	s_cbranch_vccnz .LBB586_15
; %bb.10:
	v_lshlrev_b64 v[4:5], 1, v[2:3]
	v_add_co_u32 v4, vcc_lo, s7, v4
	v_add_co_ci_u32_e64 v5, null, s12, v5, vcc_lo
	flat_load_ushort v4, v[4:5]
	s_waitcnt vmcnt(0) lgkmcnt(0)
	v_lshlrev_b32_e32 v4, 16, v4
	v_mul_f32_e32 v4, s18, v4
	v_and_b32_e32 v5, 0x7f800000, v4
	v_cmp_ne_u32_e32 vcc_lo, 0x7f800000, v5
                                        ; implicit-def: $vgpr5
	s_and_saveexec_b32 s3, vcc_lo
	s_xor_b32 s3, exec_lo, s3
; %bb.11:
	v_bfe_u32 v5, v4, 16, 1
	v_add3_u32 v5, v4, v5, 0x7fff
                                        ; implicit-def: $vgpr4
; %bb.12:
	s_andn2_saveexec_b32 s3, s3
; %bb.13:
	v_mov_b32_e32 v5, 0
	v_or_b32_e32 v6, 0x10000, v4
	v_cmp_eq_u32_sdwa vcc_lo, v4, v5 src0_sel:WORD_0 src1_sel:DWORD
	v_cndmask_b32_e32 v5, v6, v4, vcc_lo
; %bb.14:
	s_or_b32 exec_lo, exec_lo, s3
	v_lshrrev_b32_e32 v5, 16, v5
.LBB586_15:
	s_mov_b32 s3, exec_lo
.LBB586_16:
	s_or_b32 exec_lo, exec_lo, s0
	s_and_b32 s13, s3, exec_lo
	s_or_b32 exec_lo, exec_lo, s2
	s_and_b32 vcc_lo, exec_lo, s1
	s_cbranch_vccnz .LBB586_19
	s_branch .LBB586_71
.LBB586_17:
	s_mov_b32 s13, 0
                                        ; implicit-def: $vgpr5
                                        ; implicit-def: $vgpr2_vgpr3
	s_cbranch_execnz .LBB586_19
	s_branch .LBB586_71
.LBB586_18:
	s_or_b32 exec_lo, exec_lo, s2
	s_and_b32 vcc_lo, exec_lo, s1
	s_cbranch_vccz .LBB586_71
.LBB586_19:
	s_clause 0x1
	s_load_dword s14, s[4:5], 0x28
	s_load_dword s4, s[4:5], 0x48
	s_ashr_i32 s0, s9, 31
	s_lshl_b32 s5, s6, 8
	s_lshr_b32 s0, s0, 28
	v_lshlrev_b32_e32 v20, 2, v1
	v_or_b32_e32 v19, s5, v0
	v_mov_b32_e32 v15, 0
	v_mov_b32_e32 v16, 0
	;; [unrolled: 1-line block ×4, first 2 shown]
	s_add_i32 s0, s9, s0
	s_mov_b32 s15, exec_lo
	s_and_b32 s6, s0, -16
	v_cmpx_gt_i32_e64 s6, v20
	s_cbranch_execz .LBB586_31
; %bb.20:
	v_add_nc_u32_e32 v5, 0xc0, v19
	s_waitcnt lgkmcnt(0)
	v_mul_lo_u32 v3, s14, v20
	v_add_nc_u32_e32 v2, 64, v19
	v_add_nc_u32_e32 v6, 2, v20
	;; [unrolled: 1-line block ×3, first 2 shown]
	v_cmp_gt_i32_e64 s2, s8, v5
	v_mul_lo_u32 v5, v1, s14
	v_add_nc_u32_e32 v7, 3, v20
	v_mul_lo_u32 v8, v1, s4
	v_cmp_gt_i32_e64 s0, s8, v2
	v_add3_u32 v21, v3, s14, v0
	v_mad_u64_u32 v[2:3], null, s14, v6, v[0:1]
	v_cmp_gt_i32_e64 s1, s8, v4
	v_mad_u64_u32 v[3:4], null, s14, v7, v[0:1]
	v_lshl_add_u32 v22, v5, 2, v0
	v_mad_u64_u32 v[4:5], null, s4, v20, s[4:5]
	v_mul_lo_u32 v23, s4, v6
	v_mul_lo_u32 v24, s4, v7
	v_lshlrev_b32_e32 v25, 2, v8
	v_mov_b32_e32 v15, 0
	v_mov_b32_e32 v16, 0
	;; [unrolled: 1-line block ×4, first 2 shown]
	s_lshl_b32 s21, s14, 4
	s_lshl_b32 s23, s4, 4
	s_mov_b32 s22, 0
	s_mov_b32 s24, 0
	v_cmp_gt_i32_e32 vcc_lo, s8, v19
	s_branch .LBB586_25
.LBB586_21:                             ;   in Loop: Header=BB586_25 Depth=1
	s_or_b32 exec_lo, exec_lo, s27
	s_waitcnt vmcnt(3) lgkmcnt(3)
	v_lshlrev_b32_e32 v5, 16, v41
	s_waitcnt vmcnt(2) lgkmcnt(2)
	v_lshlrev_b32_e32 v6, 16, v40
	v_fmac_f32_e32 v17, v33, v5
	s_waitcnt vmcnt(1) lgkmcnt(1)
	v_lshlrev_b32_e32 v5, 16, v39
	v_fmac_f32_e32 v17, v29, v6
	v_fmac_f32_e32 v17, v31, v5
	s_waitcnt vmcnt(0) lgkmcnt(0)
	v_lshlrev_b32_e32 v5, 16, v38
	v_fmac_f32_e32 v17, v27, v5
.LBB586_22:                             ;   in Loop: Header=BB586_25 Depth=1
	s_or_b32 exec_lo, exec_lo, s26
	s_waitcnt vmcnt(3) lgkmcnt(3)
	v_lshlrev_b32_e32 v5, 16, v37
	s_waitcnt vmcnt(2) lgkmcnt(2)
	v_lshlrev_b32_e32 v6, 16, v36
	v_fmac_f32_e32 v16, v33, v5
	s_waitcnt vmcnt(1) lgkmcnt(1)
	v_lshlrev_b32_e32 v5, 16, v35
	v_fmac_f32_e32 v16, v29, v6
	v_fmac_f32_e32 v16, v31, v5
	s_waitcnt vmcnt(0) lgkmcnt(0)
	v_lshlrev_b32_e32 v5, 16, v34
	v_fmac_f32_e32 v16, v27, v5
.LBB586_23:                             ;   in Loop: Header=BB586_25 Depth=1
	s_or_b32 exec_lo, exec_lo, s3
	s_waitcnt vmcnt(3) lgkmcnt(3)
	v_lshlrev_b32_e32 v5, 16, v32
	s_waitcnt vmcnt(2) lgkmcnt(2)
	v_lshlrev_b32_e32 v6, 16, v30
	v_fmac_f32_e32 v15, v33, v5
	s_waitcnt vmcnt(1) lgkmcnt(1)
	v_lshlrev_b32_e32 v5, 16, v28
	v_fmac_f32_e32 v15, v29, v6
	v_fmac_f32_e32 v15, v31, v5
	s_waitcnt vmcnt(0) lgkmcnt(0)
	v_lshlrev_b32_e32 v5, 16, v26
	v_fmac_f32_e32 v15, v27, v5
.LBB586_24:                             ;   in Loop: Header=BB586_25 Depth=1
	s_or_b32 exec_lo, exec_lo, s25
	v_add_nc_u32_e32 v20, 16, v20
	v_add_nc_u32_e32 v21, s21, v21
	;; [unrolled: 1-line block ×5, first 2 shown]
	v_cmp_le_i32_e64 s3, s6, v20
	s_add_i32 s24, s24, s23
	s_or_b32 s22, s3, s22
	s_andn2_b32 exec_lo, exec_lo, s22
	s_cbranch_execz .LBB586_30
.LBB586_25:                             ; =>This Inner Loop Header: Depth=1
	s_and_saveexec_b32 s25, vcc_lo
	s_cbranch_execz .LBB586_24
; %bb.26:                               ;   in Loop: Header=BB586_25 Depth=1
	v_add_nc_u32_e32 v5, s24, v25
	v_add_nc_u32_e32 v7, s24, v4
	;; [unrolled: 1-line block ×5, first 2 shown]
	v_ashrrev_i32_e32 v6, 31, v5
	v_ashrrev_i32_e32 v8, 31, v7
	;; [unrolled: 1-line block ×5, first 2 shown]
	v_lshlrev_b64 v[5:6], 1, v[5:6]
	v_lshlrev_b64 v[7:8], 1, v[7:8]
	;; [unrolled: 1-line block ×4, first 2 shown]
	v_add_nc_u32_e32 v28, s5, v21
	v_add_nc_u32_e32 v30, s5, v2
	v_add_co_u32 v5, s3, s16, v5
	v_add_co_ci_u32_e64 v6, null, s17, v6, s3
	v_add_co_u32 v7, s3, s16, v7
	v_add_co_ci_u32_e64 v8, null, s17, v8, s3
	;; [unrolled: 2-line block ×4, first 2 shown]
	v_lshlrev_b64 v[26:27], 1, v[26:27]
	s_clause 0x3
	flat_load_ushort v33, v[5:6]
	flat_load_ushort v34, v[7:8]
	;; [unrolled: 1-line block ×4, first 2 shown]
	v_add_nc_u32_e32 v9, s5, v3
	v_ashrrev_i32_e32 v29, 31, v28
	v_ashrrev_i32_e32 v31, 31, v30
	v_add_co_u32 v5, s3, s10, v26
	v_ashrrev_i32_e32 v10, 31, v9
	v_lshlrev_b64 v[7:8], 1, v[28:29]
	v_add_co_ci_u32_e64 v6, null, s11, v27, s3
	v_lshlrev_b64 v[26:27], 1, v[30:31]
	v_lshlrev_b64 v[9:10], 1, v[9:10]
	v_add_co_u32 v11, s3, s10, v7
	v_add_co_ci_u32_e64 v12, null, s11, v8, s3
	v_add_co_u32 v7, s3, s10, v26
	v_add_co_ci_u32_e64 v8, null, s11, v27, s3
	;; [unrolled: 2-line block ×3, first 2 shown]
	s_clause 0x3
	flat_load_ushort v32, v[5:6]
	flat_load_ushort v30, v[11:12]
	;; [unrolled: 1-line block ×4, first 2 shown]
	s_waitcnt vmcnt(7) lgkmcnt(7)
	v_lshlrev_b32_e32 v33, 16, v33
	s_waitcnt vmcnt(6) lgkmcnt(6)
	v_lshlrev_b32_e32 v29, 16, v34
	;; [unrolled: 2-line block ×4, first 2 shown]
	s_and_saveexec_b32 s3, s0
	s_cbranch_execz .LBB586_23
; %bb.27:                               ;   in Loop: Header=BB586_25 Depth=1
	s_clause 0x3
	flat_load_ushort v37, v[5:6] offset:128
	flat_load_ushort v36, v[11:12] offset:128
	flat_load_ushort v35, v[7:8] offset:128
	flat_load_ushort v34, v[9:10] offset:128
	s_and_saveexec_b32 s26, s1
	s_cbranch_execz .LBB586_22
; %bb.28:                               ;   in Loop: Header=BB586_25 Depth=1
	s_clause 0x3
	flat_load_ushort v41, v[5:6] offset:256
	flat_load_ushort v40, v[11:12] offset:256
	flat_load_ushort v39, v[7:8] offset:256
	flat_load_ushort v38, v[9:10] offset:256
	;; [unrolled: 8-line block ×3, first 2 shown]
	s_waitcnt vmcnt(3) lgkmcnt(3)
	v_lshlrev_b32_e32 v5, 16, v5
	s_waitcnt vmcnt(2) lgkmcnt(2)
	v_lshlrev_b32_e32 v6, 16, v6
	v_fmac_f32_e32 v18, v33, v5
	s_waitcnt vmcnt(1) lgkmcnt(1)
	v_lshlrev_b32_e32 v5, 16, v7
	v_fmac_f32_e32 v18, v29, v6
	;; [unrolled: 3-line block ×3, first 2 shown]
	v_fmac_f32_e32 v18, v27, v6
	s_branch .LBB586_21
.LBB586_30:
	s_or_b32 exec_lo, exec_lo, s22
.LBB586_31:
	s_or_b32 exec_lo, exec_lo, s15
	s_sub_i32 s0, s9, s6
	s_cmp_lt_i32 s0, 1
	s_cbranch_scc1 .LBB586_49
; %bb.32:
	v_cmp_gt_i32_e32 vcc_lo, s9, v20
	v_mov_b32_e32 v11, 0
	v_or_b32_e32 v2, 1, v20
	v_mov_b32_e32 v10, 0
	v_mov_b32_e32 v21, 0
	;; [unrolled: 1-line block ×3, first 2 shown]
	s_and_saveexec_b32 s1, vcc_lo
	s_cbranch_execz .LBB586_40
; %bb.33:
	s_waitcnt lgkmcnt(0)
	v_mul_lo_u32 v3, v20, s4
	v_mov_b32_e32 v12, 0
	v_mov_b32_e32 v10, 0
	;; [unrolled: 1-line block ×3, first 2 shown]
	s_mov_b32 s2, exec_lo
	v_ashrrev_i32_e32 v4, 31, v3
	v_lshlrev_b64 v[3:4], 1, v[3:4]
	v_add_co_u32 v3, s0, s16, v3
	v_add_co_ci_u32_e64 v4, null, s17, v4, s0
	flat_load_ushort v3, v[3:4]
	v_cmpx_gt_i32_e64 s9, v2
	s_cbranch_execz .LBB586_39
; %bb.34:
	v_mul_lo_u32 v4, v2, s4
	v_mov_b32_e32 v10, 0
	v_mov_b32_e32 v11, 0
	s_mov_b32 s3, exec_lo
	v_ashrrev_i32_e32 v5, 31, v4
	v_lshlrev_b64 v[4:5], 1, v[4:5]
	v_add_co_u32 v4, s0, s16, v4
	v_add_co_ci_u32_e64 v5, null, s17, v5, s0
	flat_load_ushort v4, v[4:5]
	v_or_b32_e32 v5, 2, v20
	v_cmpx_gt_i32_e64 s9, v5
	s_cbranch_execz .LBB586_38
; %bb.35:
	v_mul_lo_u32 v5, v5, s4
	v_mov_b32_e32 v10, 0
	s_mov_b32 s6, exec_lo
	v_ashrrev_i32_e32 v6, 31, v5
	v_lshlrev_b64 v[5:6], 1, v[5:6]
	v_add_co_u32 v5, s0, s16, v5
	v_add_co_ci_u32_e64 v6, null, s17, v6, s0
	flat_load_ushort v5, v[5:6]
	v_or_b32_e32 v6, 3, v20
	v_cmpx_gt_i32_e64 s9, v6
	s_cbranch_execz .LBB586_37
; %bb.36:
	v_mul_lo_u32 v6, v6, s4
	v_ashrrev_i32_e32 v7, 31, v6
	v_lshlrev_b64 v[6:7], 1, v[6:7]
	v_add_co_u32 v6, s0, s16, v6
	v_add_co_ci_u32_e64 v7, null, s17, v7, s0
	flat_load_ushort v6, v[6:7]
	s_waitcnt vmcnt(0) lgkmcnt(0)
	v_lshlrev_b32_e32 v10, 16, v6
.LBB586_37:
	s_or_b32 exec_lo, exec_lo, s6
	s_waitcnt vmcnt(0) lgkmcnt(0)
	v_lshlrev_b32_e32 v11, 16, v5
.LBB586_38:
	s_or_b32 exec_lo, exec_lo, s3
	s_waitcnt vmcnt(0) lgkmcnt(0)
	v_lshlrev_b32_e32 v12, 16, v4
.LBB586_39:
	s_or_b32 exec_lo, exec_lo, s2
	s_waitcnt vmcnt(0) lgkmcnt(0)
	v_lshlrev_b32_e32 v21, 16, v3
.LBB586_40:
	s_or_b32 exec_lo, exec_lo, s1
	s_mov_b32 s1, exec_lo
	v_cmpx_gt_i32_e64 s8, v19
	s_cbranch_execz .LBB586_48
; %bb.41:
	s_waitcnt lgkmcnt(0)
	v_mul_lo_u32 v3, v20, s14
	v_mul_lo_u32 v4, v2, s14
	v_or_b32_e32 v5, 2, v20
	v_or_b32_e32 v6, 3, v20
	s_mov_b32 s0, exec_lo
	v_mul_lo_u32 v7, v5, s14
	v_cndmask_b32_e32 v3, 0, v3, vcc_lo
	v_cmp_gt_i32_e32 vcc_lo, s9, v2
	v_mul_lo_u32 v8, v6, s14
	v_add_nc_u32_e32 v2, v3, v19
	v_cndmask_b32_e32 v4, 0, v4, vcc_lo
	v_cmp_gt_i32_e32 vcc_lo, s9, v5
	v_ashrrev_i32_e32 v3, 31, v2
	v_add_nc_u32_e32 v4, v4, v19
	v_cndmask_b32_e32 v7, 0, v7, vcc_lo
	v_cmp_gt_i32_e32 vcc_lo, s9, v6
	v_lshlrev_b64 v[2:3], 1, v[2:3]
	v_ashrrev_i32_e32 v5, 31, v4
	v_add_nc_u32_e32 v6, v7, v19
	v_cndmask_b32_e32 v8, 0, v8, vcc_lo
	v_lshlrev_b64 v[4:5], 1, v[4:5]
	v_ashrrev_i32_e32 v7, 31, v6
	v_add_nc_u32_e32 v8, v8, v19
	v_add_co_u32 v2, vcc_lo, s10, v2
	v_add_co_ci_u32_e64 v3, null, s11, v3, vcc_lo
	v_ashrrev_i32_e32 v9, 31, v8
	v_add_co_u32 v4, vcc_lo, s10, v4
	v_add_co_ci_u32_e64 v5, null, s11, v5, vcc_lo
	v_lshlrev_b64 v[6:7], 1, v[6:7]
	v_lshlrev_b64 v[8:9], 1, v[8:9]
	s_clause 0x1
	flat_load_ushort v20, v[2:3]
	flat_load_ushort v22, v[4:5]
	v_add_co_u32 v6, vcc_lo, s10, v6
	v_add_co_ci_u32_e64 v7, null, s11, v7, vcc_lo
	v_add_co_u32 v8, vcc_lo, s10, v8
	v_add_co_ci_u32_e64 v9, null, s11, v9, vcc_lo
	s_clause 0x1
	flat_load_ushort v23, v[6:7]
	flat_load_ushort v24, v[8:9]
	s_waitcnt vmcnt(3) lgkmcnt(3)
	v_lshlrev_b32_e32 v20, 16, v20
	s_waitcnt vmcnt(2) lgkmcnt(2)
	v_lshlrev_b32_e32 v22, 16, v22
	v_fmac_f32_e32 v15, v21, v20
	v_fmac_f32_e32 v15, v12, v22
	v_add_nc_u32_e32 v22, 64, v19
	s_waitcnt vmcnt(1) lgkmcnt(1)
	v_lshlrev_b32_e32 v23, 16, v23
	s_waitcnt vmcnt(0) lgkmcnt(0)
	v_lshlrev_b32_e32 v20, 16, v24
	v_fmac_f32_e32 v15, v11, v23
	v_cmpx_gt_i32_e64 s8, v22
	s_cbranch_execz .LBB586_47
; %bb.42:
	s_clause 0x3
	flat_load_ushort v22, v[2:3] offset:128
	flat_load_ushort v23, v[4:5] offset:128
	;; [unrolled: 1-line block ×4, first 2 shown]
	s_mov_b32 s2, exec_lo
	s_waitcnt vmcnt(3) lgkmcnt(3)
	v_lshlrev_b32_e32 v22, 16, v22
	s_waitcnt vmcnt(2) lgkmcnt(2)
	v_lshlrev_b32_e32 v23, 16, v23
	;; [unrolled: 2-line block ×3, first 2 shown]
	v_fmac_f32_e32 v16, v21, v22
	s_waitcnt vmcnt(0) lgkmcnt(0)
	v_lshlrev_b32_e32 v22, 16, v25
	v_fmac_f32_e32 v16, v12, v23
	v_add_nc_u32_e32 v23, 0x80, v19
	v_fmac_f32_e32 v16, v11, v24
	v_cmpx_gt_i32_e64 s8, v23
	s_cbranch_execz .LBB586_46
; %bb.43:
	s_clause 0x3
	flat_load_ushort v23, v[2:3] offset:256
	flat_load_ushort v24, v[4:5] offset:256
	flat_load_ushort v25, v[6:7] offset:256
	flat_load_ushort v26, v[8:9] offset:256
	s_mov_b32 s3, exec_lo
	s_waitcnt vmcnt(3) lgkmcnt(3)
	v_lshlrev_b32_e32 v23, 16, v23
	s_waitcnt vmcnt(2) lgkmcnt(2)
	v_lshlrev_b32_e32 v24, 16, v24
	v_fmac_f32_e32 v17, v21, v23
	s_waitcnt vmcnt(1) lgkmcnt(1)
	v_lshlrev_b32_e32 v23, 16, v25
	v_fmac_f32_e32 v17, v12, v24
	v_add_nc_u32_e32 v24, 0xc0, v19
	s_waitcnt vmcnt(0) lgkmcnt(0)
	v_lshlrev_b32_e32 v19, 16, v26
	v_fmac_f32_e32 v17, v11, v23
	v_cmpx_gt_i32_e64 s8, v24
	s_cbranch_execz .LBB586_45
; %bb.44:
	s_clause 0x3
	flat_load_ushort v2, v[2:3] offset:384
	flat_load_ushort v3, v[4:5] offset:384
	;; [unrolled: 1-line block ×4, first 2 shown]
	s_waitcnt vmcnt(3) lgkmcnt(3)
	v_lshlrev_b32_e32 v2, 16, v2
	s_waitcnt vmcnt(2) lgkmcnt(2)
	v_lshlrev_b32_e32 v3, 16, v3
	v_fmac_f32_e32 v18, v21, v2
	s_waitcnt vmcnt(1) lgkmcnt(1)
	v_lshlrev_b32_e32 v2, 16, v4
	v_fmac_f32_e32 v18, v12, v3
	;; [unrolled: 3-line block ×3, first 2 shown]
	v_fmac_f32_e32 v18, v10, v3
.LBB586_45:
	s_or_b32 exec_lo, exec_lo, s3
	v_fmac_f32_e32 v17, v10, v19
.LBB586_46:
	s_or_b32 exec_lo, exec_lo, s2
	v_fmac_f32_e32 v16, v10, v22
.LBB586_47:
	s_or_b32 exec_lo, exec_lo, s0
	v_fmac_f32_e32 v15, v10, v20
.LBB586_48:
	s_or_b32 exec_lo, exec_lo, s1
.LBB586_49:
	v_lshlrev_b32_e32 v0, 2, v0
	s_mov_b32 s0, exec_lo
                                        ; implicit-def: $vgpr5
                                        ; implicit-def: $vgpr2_vgpr3
	v_lshl_or_b32 v1, v1, 10, v0
	ds_write2st64_b32 v1, v15, v16 offset1:1
	ds_write2st64_b32 v1, v17, v18 offset0:2 offset1:3
	s_waitcnt lgkmcnt(0)
	s_barrier
	buffer_gl0_inv
	v_cmpx_gt_u32_e32 0x100, v13
	s_cbranch_execz .LBB586_70
; %bb.50:
	v_lshl_add_u32 v5, v14, 2, v0
	v_or_b32_e32 v4, s5, v13
	s_mov_b32 s2, s13
	s_mov_b32 s1, exec_lo
	ds_read2st64_b32 v[0:1], v5 offset1:4
	ds_read2st64_b32 v[2:3], v5 offset0:8 offset1:12
	s_waitcnt lgkmcnt(1)
	v_add_f32_e32 v0, v0, v1
	s_waitcnt lgkmcnt(0)
	v_add_f32_e32 v0, v2, v0
	v_add_f32_e32 v0, v3, v0
                                        ; implicit-def: $vgpr2_vgpr3
	ds_write_b32 v5, v0
                                        ; implicit-def: $vgpr5
	v_cmpx_gt_i32_e64 s8, v4
	s_cbranch_execz .LBB586_69
; %bb.51:
	v_cmp_eq_f32_e64 s2, s18, 0
	v_mul_f32_e32 v0, s19, v0
	s_and_b32 vcc_lo, exec_lo, s2
	s_cbranch_vccz .LBB586_57
; %bb.52:
	v_and_b32_e32 v1, 0x7f800000, v0
	v_cmp_ne_u32_e32 vcc_lo, 0x7f800000, v1
                                        ; implicit-def: $vgpr1
	s_and_saveexec_b32 s2, vcc_lo
	s_xor_b32 s2, exec_lo, s2
; %bb.53:
	v_bfe_u32 v1, v0, 16, 1
	v_add3_u32 v1, v0, v1, 0x7fff
; %bb.54:
	s_andn2_saveexec_b32 s2, s2
; %bb.55:
	v_mov_b32_e32 v1, 0
	v_or_b32_e32 v2, 0x10000, v0
	v_cmp_eq_u32_sdwa vcc_lo, v0, v1 src0_sel:WORD_0 src1_sel:DWORD
	v_cndmask_b32_e32 v1, v2, v0, vcc_lo
; %bb.56:
	s_or_b32 exec_lo, exec_lo, s2
	s_mov_b32 s2, 0
	s_branch .LBB586_58
.LBB586_57:
	s_mov_b32 s2, -1
                                        ; implicit-def: $vgpr1
.LBB586_58:
	v_mul_lo_u32 v2, s20, v4
	s_andn2_b32 vcc_lo, exec_lo, s2
	v_ashrrev_i32_e32 v3, 31, v2
	s_cbranch_vccnz .LBB586_68
; %bb.59:
	v_lshlrev_b64 v[4:5], 1, v[2:3]
	v_add_co_u32 v4, vcc_lo, s7, v4
	v_add_co_ci_u32_e64 v5, null, s12, v5, vcc_lo
	flat_load_ushort v1, v[4:5]
	s_waitcnt vmcnt(0) lgkmcnt(0)
	v_lshlrev_b32_e32 v1, 16, v1
	v_mul_f32_e32 v1, s18, v1
	v_and_b32_e32 v4, 0x7f800000, v1
	v_cmp_ne_u32_e32 vcc_lo, 0x7f800000, v4
                                        ; implicit-def: $vgpr4
	s_and_saveexec_b32 s2, vcc_lo
	s_xor_b32 s2, exec_lo, s2
; %bb.60:
	v_bfe_u32 v4, v1, 16, 1
	v_add3_u32 v4, v1, v4, 0x7fff
                                        ; implicit-def: $vgpr1
; %bb.61:
	s_andn2_saveexec_b32 s2, s2
; %bb.62:
	v_mov_b32_e32 v4, 0
	v_or_b32_e32 v5, 0x10000, v1
	v_cmp_eq_u32_sdwa vcc_lo, v1, v4 src0_sel:WORD_0 src1_sel:DWORD
	v_cndmask_b32_e32 v4, v5, v1, vcc_lo
; %bb.63:
	s_or_b32 exec_lo, exec_lo, s2
	v_and_b32_e32 v1, 0xffff0000, v4
	v_add_f32_e32 v0, v0, v1
	v_and_b32_e32 v1, 0x7f800000, v0
	v_cmp_ne_u32_e32 vcc_lo, 0x7f800000, v1
                                        ; implicit-def: $vgpr1
	s_and_saveexec_b32 s2, vcc_lo
	s_xor_b32 s2, exec_lo, s2
; %bb.64:
	v_bfe_u32 v1, v0, 16, 1
	v_add3_u32 v1, v0, v1, 0x7fff
                                        ; implicit-def: $vgpr0
; %bb.65:
	s_andn2_saveexec_b32 s2, s2
; %bb.66:
	v_mov_b32_e32 v1, 0
	v_or_b32_e32 v4, 0x10000, v0
	v_cmp_eq_u32_sdwa vcc_lo, v0, v1 src0_sel:WORD_0 src1_sel:DWORD
	v_cndmask_b32_e32 v1, v4, v0, vcc_lo
; %bb.67:
	s_or_b32 exec_lo, exec_lo, s2
.LBB586_68:
	v_lshrrev_b32_e32 v5, 16, v1
	s_or_b32 s2, s13, exec_lo
.LBB586_69:
	s_or_b32 exec_lo, exec_lo, s1
	s_andn2_b32 s1, s13, exec_lo
	s_and_b32 s2, s2, exec_lo
	s_or_b32 s13, s1, s2
.LBB586_70:
	s_or_b32 exec_lo, exec_lo, s0
.LBB586_71:
	s_and_saveexec_b32 s0, s13
	s_cbranch_execz .LBB586_73
; %bb.72:
	v_lshlrev_b64 v[0:1], 1, v[2:3]
	v_add_co_u32 v0, vcc_lo, s7, v0
	v_add_co_ci_u32_e64 v1, null, s12, v1, vcc_lo
	flat_store_short v[0:1], v5
.LBB586_73:
	s_endpgm
	.section	.rodata,"a",@progbits
	.p2align	6, 0x0
	.amdhsa_kernel _ZL20rocblas_gemvn_kernelILi64ELi4EiPK16rocblas_bfloat16PKfKPS0_EviiT3_lPKT2_lT1_lSA_lSB_lS7_lPT4_lSB_li
		.amdhsa_group_segment_fixed_size 4096
		.amdhsa_private_segment_fixed_size 0
		.amdhsa_kernarg_size 400
		.amdhsa_user_sgpr_count 6
		.amdhsa_user_sgpr_private_segment_buffer 1
		.amdhsa_user_sgpr_dispatch_ptr 0
		.amdhsa_user_sgpr_queue_ptr 0
		.amdhsa_user_sgpr_kernarg_segment_ptr 1
		.amdhsa_user_sgpr_dispatch_id 0
		.amdhsa_user_sgpr_flat_scratch_init 0
		.amdhsa_user_sgpr_private_segment_size 0
		.amdhsa_wavefront_size32 1
		.amdhsa_uses_dynamic_stack 0
		.amdhsa_system_sgpr_private_segment_wavefront_offset 0
		.amdhsa_system_sgpr_workgroup_id_x 1
		.amdhsa_system_sgpr_workgroup_id_y 0
		.amdhsa_system_sgpr_workgroup_id_z 1
		.amdhsa_system_sgpr_workgroup_info 0
		.amdhsa_system_vgpr_workitem_id 1
		.amdhsa_next_free_vgpr 42
		.amdhsa_next_free_sgpr 28
		.amdhsa_reserve_vcc 1
		.amdhsa_reserve_flat_scratch 1
		.amdhsa_float_round_mode_32 0
		.amdhsa_float_round_mode_16_64 0
		.amdhsa_float_denorm_mode_32 3
		.amdhsa_float_denorm_mode_16_64 3
		.amdhsa_dx10_clamp 1
		.amdhsa_ieee_mode 1
		.amdhsa_fp16_overflow 0
		.amdhsa_workgroup_processor_mode 1
		.amdhsa_memory_ordered 1
		.amdhsa_forward_progress 1
		.amdhsa_shared_vgpr_count 0
		.amdhsa_exception_fp_ieee_invalid_op 0
		.amdhsa_exception_fp_denorm_src 0
		.amdhsa_exception_fp_ieee_div_zero 0
		.amdhsa_exception_fp_ieee_overflow 0
		.amdhsa_exception_fp_ieee_underflow 0
		.amdhsa_exception_fp_ieee_inexact 0
		.amdhsa_exception_int_div_zero 0
	.end_amdhsa_kernel
	.section	.text._ZL20rocblas_gemvn_kernelILi64ELi4EiPK16rocblas_bfloat16PKfKPS0_EviiT3_lPKT2_lT1_lSA_lSB_lS7_lPT4_lSB_li,"axG",@progbits,_ZL20rocblas_gemvn_kernelILi64ELi4EiPK16rocblas_bfloat16PKfKPS0_EviiT3_lPKT2_lT1_lSA_lSB_lS7_lPT4_lSB_li,comdat
.Lfunc_end586:
	.size	_ZL20rocblas_gemvn_kernelILi64ELi4EiPK16rocblas_bfloat16PKfKPS0_EviiT3_lPKT2_lT1_lSA_lSB_lS7_lPT4_lSB_li, .Lfunc_end586-_ZL20rocblas_gemvn_kernelILi64ELi4EiPK16rocblas_bfloat16PKfKPS0_EviiT3_lPKT2_lT1_lSA_lSB_lS7_lPT4_lSB_li
                                        ; -- End function
	.set _ZL20rocblas_gemvn_kernelILi64ELi4EiPK16rocblas_bfloat16PKfKPS0_EviiT3_lPKT2_lT1_lSA_lSB_lS7_lPT4_lSB_li.num_vgpr, 42
	.set _ZL20rocblas_gemvn_kernelILi64ELi4EiPK16rocblas_bfloat16PKfKPS0_EviiT3_lPKT2_lT1_lSA_lSB_lS7_lPT4_lSB_li.num_agpr, 0
	.set _ZL20rocblas_gemvn_kernelILi64ELi4EiPK16rocblas_bfloat16PKfKPS0_EviiT3_lPKT2_lT1_lSA_lSB_lS7_lPT4_lSB_li.numbered_sgpr, 28
	.set _ZL20rocblas_gemvn_kernelILi64ELi4EiPK16rocblas_bfloat16PKfKPS0_EviiT3_lPKT2_lT1_lSA_lSB_lS7_lPT4_lSB_li.num_named_barrier, 0
	.set _ZL20rocblas_gemvn_kernelILi64ELi4EiPK16rocblas_bfloat16PKfKPS0_EviiT3_lPKT2_lT1_lSA_lSB_lS7_lPT4_lSB_li.private_seg_size, 0
	.set _ZL20rocblas_gemvn_kernelILi64ELi4EiPK16rocblas_bfloat16PKfKPS0_EviiT3_lPKT2_lT1_lSA_lSB_lS7_lPT4_lSB_li.uses_vcc, 1
	.set _ZL20rocblas_gemvn_kernelILi64ELi4EiPK16rocblas_bfloat16PKfKPS0_EviiT3_lPKT2_lT1_lSA_lSB_lS7_lPT4_lSB_li.uses_flat_scratch, 1
	.set _ZL20rocblas_gemvn_kernelILi64ELi4EiPK16rocblas_bfloat16PKfKPS0_EviiT3_lPKT2_lT1_lSA_lSB_lS7_lPT4_lSB_li.has_dyn_sized_stack, 0
	.set _ZL20rocblas_gemvn_kernelILi64ELi4EiPK16rocblas_bfloat16PKfKPS0_EviiT3_lPKT2_lT1_lSA_lSB_lS7_lPT4_lSB_li.has_recursion, 0
	.set _ZL20rocblas_gemvn_kernelILi64ELi4EiPK16rocblas_bfloat16PKfKPS0_EviiT3_lPKT2_lT1_lSA_lSB_lS7_lPT4_lSB_li.has_indirect_call, 0
	.section	.AMDGPU.csdata,"",@progbits
; Kernel info:
; codeLenInByte = 3212
; TotalNumSgprs: 30
; NumVgprs: 42
; ScratchSize: 0
; MemoryBound: 0
; FloatMode: 240
; IeeeMode: 1
; LDSByteSize: 4096 bytes/workgroup (compile time only)
; SGPRBlocks: 0
; VGPRBlocks: 5
; NumSGPRsForWavesPerEU: 30
; NumVGPRsForWavesPerEU: 42
; Occupancy: 16
; WaveLimiterHint : 1
; COMPUTE_PGM_RSRC2:SCRATCH_EN: 0
; COMPUTE_PGM_RSRC2:USER_SGPR: 6
; COMPUTE_PGM_RSRC2:TRAP_HANDLER: 0
; COMPUTE_PGM_RSRC2:TGID_X_EN: 1
; COMPUTE_PGM_RSRC2:TGID_Y_EN: 0
; COMPUTE_PGM_RSRC2:TGID_Z_EN: 1
; COMPUTE_PGM_RSRC2:TIDIG_COMP_CNT: 1
	.section	.text._ZL20rocblas_gemvn_kernelILi64ELi4ElPK16rocblas_bfloat16PKfKPS0_EviiT3_lPKT2_lT1_lSA_lSB_lS7_lPT4_lSB_li,"axG",@progbits,_ZL20rocblas_gemvn_kernelILi64ELi4ElPK16rocblas_bfloat16PKfKPS0_EviiT3_lPKT2_lT1_lSA_lSB_lS7_lPT4_lSB_li,comdat
	.globl	_ZL20rocblas_gemvn_kernelILi64ELi4ElPK16rocblas_bfloat16PKfKPS0_EviiT3_lPKT2_lT1_lSA_lSB_lS7_lPT4_lSB_li ; -- Begin function _ZL20rocblas_gemvn_kernelILi64ELi4ElPK16rocblas_bfloat16PKfKPS0_EviiT3_lPKT2_lT1_lSA_lSB_lS7_lPT4_lSB_li
	.p2align	8
	.type	_ZL20rocblas_gemvn_kernelILi64ELi4ElPK16rocblas_bfloat16PKfKPS0_EviiT3_lPKT2_lT1_lSA_lSB_lS7_lPT4_lSB_li,@function
_ZL20rocblas_gemvn_kernelILi64ELi4ElPK16rocblas_bfloat16PKfKPS0_EviiT3_lPKT2_lT1_lSA_lSB_lS7_lPT4_lSB_li: ; @_ZL20rocblas_gemvn_kernelILi64ELi4ElPK16rocblas_bfloat16PKfKPS0_EviiT3_lPKT2_lT1_lSA_lSB_lS7_lPT4_lSB_li
; %bb.0:
	s_load_dwordx2 s[0:1], s[4:5], 0x9c
	s_waitcnt lgkmcnt(0)
	s_lshr_b32 s2, s0, 16
	s_and_b32 s0, s0, 0xffff
	s_and_b32 s1, s1, 0xffff
	s_mul_i32 s0, s2, s0
	s_mul_i32 s0, s0, s1
	s_cmpk_lg_i32 s0, 0x100
	s_cbranch_scc1 .LBB587_73
; %bb.1:
	s_clause 0x1
	s_load_dwordx8 s[16:23], s[4:5], 0x8
	s_load_dwordx8 s[8:15], s[4:5], 0x58
	s_mov_b32 s26, s7
	s_mov_b32 s27, 0
	s_waitcnt lgkmcnt(0)
	s_mul_i32 s1, s19, s7
	s_mul_hi_u32 s2, s18, s7
	s_mul_i32 s0, s18, s7
	s_add_i32 s1, s2, s1
	s_mul_i32 s2, s11, s7
	s_lshl_b64 s[0:1], s[0:1], 2
	s_mul_hi_u32 s3, s10, s7
	s_add_u32 s0, s16, s0
	s_addc_u32 s1, s17, s1
	s_add_i32 s3, s3, s2
	s_mul_i32 s2, s10, s7
	s_lshl_b64 s[2:3], s[2:3], 2
	s_add_u32 s2, s8, s2
	s_addc_u32 s3, s9, s3
	s_load_dword s29, s[0:1], 0x0
	s_load_dword s28, s[2:3], 0x0
	s_waitcnt lgkmcnt(0)
	v_cmp_eq_f32_e64 s7, s29, 0
	v_cmp_eq_f32_e64 s0, s28, 1.0
	s_and_b32 s0, s7, s0
	s_and_b32 vcc_lo, exec_lo, s0
	s_cbranch_vccnz .LBB587_73
; %bb.2:
	s_clause 0x1
	s_load_dwordx2 s[16:17], s[4:5], 0x28
	s_load_dwordx2 s[8:9], s[4:5], 0x78
	v_cmp_neq_f32_e64 s10, s29, 0
	s_mov_b64 s[24:25], 0
	s_and_b32 vcc_lo, exec_lo, s7
	s_mov_b64 s[18:19], 0
	s_cbranch_vccnz .LBB587_4
; %bb.3:
	s_lshl_b64 s[0:1], s[26:27], 3
	s_add_u32 s0, s20, s0
	s_addc_u32 s1, s21, s1
	s_lshl_b64 s[2:3], s[22:23], 1
	s_load_dwordx2 s[0:1], s[0:1], 0x0
	s_waitcnt lgkmcnt(0)
	s_add_u32 s18, s0, s2
	s_addc_u32 s19, s1, s3
.LBB587_4:
	s_clause 0x1
	s_load_dwordx4 s[0:3], s[4:5], 0x38
	s_load_dwordx2 s[20:21], s[4:5], 0x48
	s_andn2_b32 vcc_lo, exec_lo, s10
	s_cbranch_vccnz .LBB587_6
; %bb.5:
	s_lshl_b64 s[10:11], s[26:27], 3
	s_waitcnt lgkmcnt(0)
	s_add_u32 s0, s0, s10
	s_addc_u32 s1, s1, s11
	s_lshl_b64 s[2:3], s[2:3], 1
	s_load_dwordx2 s[0:1], s[0:1], 0x0
	s_waitcnt lgkmcnt(0)
	s_add_u32 s24, s0, s2
	s_addc_u32 s25, s1, s3
.LBB587_6:
	s_waitcnt lgkmcnt(0)
	s_lshl_b64 s[0:1], s[26:27], 3
	v_lshlrev_b32_e32 v22, 6, v1
	s_add_u32 s0, s12, s0
	s_addc_u32 s1, s13, s1
	s_lshl_b64 s[12:13], s[14:15], 1
	s_load_dwordx2 s[2:3], s[0:1], 0x0
	s_load_dwordx2 s[10:11], s[4:5], 0x0
	v_add_nc_u32_e32 v21, v22, v0
	v_cmp_gt_u32_e64 s0, 0x100, v21
	s_waitcnt lgkmcnt(0)
	s_add_u32 s5, s2, s12
	s_addc_u32 s22, s3, s13
	s_andn2_b32 vcc_lo, exec_lo, s7
	s_cbranch_vccnz .LBB587_17
; %bb.7:
	s_mov_b32 s1, 0
	s_mov_b32 s23, 0
                                        ; implicit-def: $vgpr5
                                        ; implicit-def: $vgpr2_vgpr3
	s_and_saveexec_b32 s2, s0
	s_cbranch_execz .LBB587_18
; %bb.8:
	v_lshl_or_b32 v4, s6, 8, v21
	v_mov_b32_e32 v5, 0
	s_ashr_i32 s13, s10, 31
	s_mov_b32 s12, s10
	s_mov_b32 s3, 0
	s_mov_b32 s0, exec_lo
                                        ; implicit-def: $vgpr2_vgpr3
	v_cmpx_gt_i64_e64 s[12:13], v[4:5]
	s_cbranch_execz .LBB587_16
; %bb.9:
	v_mad_u64_u32 v[2:3], null, s8, v4, 0
	v_cmp_eq_f32_e64 s3, s28, 0
	s_and_b32 vcc_lo, exec_lo, s3
	v_mad_u64_u32 v[3:4], null, s9, v4, v[3:4]
	s_cbranch_vccnz .LBB587_15
; %bb.10:
	v_lshlrev_b64 v[4:5], 1, v[2:3]
	v_add_co_u32 v4, vcc_lo, s5, v4
	v_add_co_ci_u32_e64 v5, null, s22, v5, vcc_lo
	flat_load_ushort v4, v[4:5]
	s_waitcnt vmcnt(0) lgkmcnt(0)
	v_lshlrev_b32_e32 v4, 16, v4
	v_mul_f32_e32 v4, s28, v4
	v_and_b32_e32 v5, 0x7f800000, v4
	v_cmp_ne_u32_e32 vcc_lo, 0x7f800000, v5
                                        ; implicit-def: $vgpr5
	s_and_saveexec_b32 s3, vcc_lo
	s_xor_b32 s3, exec_lo, s3
; %bb.11:
	v_bfe_u32 v5, v4, 16, 1
	v_add3_u32 v5, v4, v5, 0x7fff
                                        ; implicit-def: $vgpr4
; %bb.12:
	s_andn2_saveexec_b32 s3, s3
; %bb.13:
	v_mov_b32_e32 v5, 0
	v_or_b32_e32 v6, 0x10000, v4
	v_cmp_eq_u32_sdwa vcc_lo, v4, v5 src0_sel:WORD_0 src1_sel:DWORD
	v_cndmask_b32_e32 v5, v6, v4, vcc_lo
; %bb.14:
	s_or_b32 exec_lo, exec_lo, s3
	v_lshrrev_b32_e32 v5, 16, v5
.LBB587_15:
	s_mov_b32 s3, exec_lo
.LBB587_16:
	s_or_b32 exec_lo, exec_lo, s0
	s_and_b32 s23, s3, exec_lo
	s_or_b32 exec_lo, exec_lo, s2
	s_and_b32 vcc_lo, exec_lo, s1
	s_cbranch_vccnz .LBB587_19
	s_branch .LBB587_71
.LBB587_17:
	s_mov_b32 s23, 0
                                        ; implicit-def: $vgpr5
                                        ; implicit-def: $vgpr2_vgpr3
	s_cbranch_execnz .LBB587_19
	s_branch .LBB587_71
.LBB587_18:
	s_or_b32 exec_lo, exec_lo, s2
	s_and_b32 vcc_lo, exec_lo, s1
	s_cbranch_vccz .LBB587_71
.LBB587_19:
	s_ashr_i32 s0, s11, 31
	s_lshl_b32 s26, s6, 8
	s_lshr_b32 s0, s0, 28
	v_lshlrev_b32_e32 v27, 2, v1
	v_mov_b32_e32 v23, 0
	v_or_b32_e32 v2, s26, v0
	v_mov_b32_e32 v24, 0
	v_mov_b32_e32 v25, 0
	;; [unrolled: 1-line block ×3, first 2 shown]
	s_add_i32 s0, s11, s0
	s_mov_b32 s30, exec_lo
	s_and_b32 s27, s0, -16
	v_cmpx_gt_i32_e64 s27, v27
	s_cbranch_execz .LBB587_31
; %bb.20:
	v_lshlrev_b32_e32 v25, 2, v1
	v_add_nc_u32_e32 v4, 64, v2
	v_mad_u64_u32 v[7:8], null, s20, v1, 0
	v_mad_u64_u32 v[9:10], null, s16, v1, 0
	v_or_b32_e32 v26, 3, v25
	v_add_nc_u32_e32 v11, 0x80, v2
	v_add_nc_u32_e32 v12, 0xc0, v2
	v_cmp_gt_i32_e64 s0, s10, v4
	v_or_b32_e32 v32, 2, v25
	v_mad_u64_u32 v[5:6], null, s16, v26, 0
	v_cmp_gt_i32_e64 s1, s10, v11
	v_cmp_gt_i32_e64 s2, s10, v12
	v_mad_u64_u32 v[16:17], null, s16, v32, 0
	v_mad_u64_u32 v[18:19], null, s20, v26, 0
	v_mov_b32_e32 v4, v6
	v_mov_b32_e32 v6, v8
	;; [unrolled: 1-line block ×3, first 2 shown]
	v_ashrrev_i32_e32 v3, 31, v2
	s_lshl_b64 s[6:7], s[16:17], 5
	v_mad_u64_u32 v[11:12], null, s17, v26, v[4:5]
	v_mad_u64_u32 v[12:13], null, s21, v1, v[6:7]
	v_mad_u64_u32 v[13:14], null, s17, v1, v[8:9]
	v_mad_u64_u32 v[14:15], null, s20, v25, s[20:21]
	v_mov_b32_e32 v6, v11
	v_lshlrev_b64 v[3:4], 1, v[2:3]
	v_mov_b32_e32 v8, v12
	s_lshl_b64 s[12:13], s[20:21], 5
	v_mov_b32_e32 v10, v13
	v_lshlrev_b64 v[11:12], 1, v[5:6]
	s_mov_b32 s31, 0
	v_lshlrev_b64 v[5:6], 3, v[7:8]
	v_mov_b32_e32 v7, v17
	v_mov_b32_e32 v8, v15
	v_lshlrev_b64 v[9:10], 3, v[9:10]
	v_add_co_u32 v28, s3, s18, v11
	v_add_co_ci_u32_e64 v29, null, s19, v12, s3
	v_mad_u64_u32 v[11:12], null, s16, v25, s[16:17]
	v_mad_u64_u32 v[23:24], null, s17, v32, v[7:8]
	v_mov_b32_e32 v7, v19
	v_mad_u64_u32 v[19:20], null, s21, v25, v[8:9]
	v_add_co_u32 v30, s3, s18, v9
	v_mad_u64_u32 v[7:8], null, s21, v26, v[7:8]
	v_mov_b32_e32 v8, v12
	v_mov_b32_e32 v17, v23
	v_mad_u64_u32 v[23:24], null, s20, v32, 0
	v_mov_b32_e32 v15, v19
	v_mad_u64_u32 v[12:13], null, s17, v25, v[8:9]
	v_lshlrev_b64 v[16:17], 1, v[16:17]
	v_mov_b32_e32 v19, v7
	v_add_co_ci_u32_e64 v31, null, s19, v10, s3
	v_mov_b32_e32 v8, v24
	v_mov_b32_e32 v26, 0
	v_lshlrev_b64 v[11:12], 1, v[11:12]
	s_mov_b64 s[14:15], s[24:25]
	v_cmp_gt_i32_e32 vcc_lo, s10, v2
	v_mad_u64_u32 v[24:25], null, s21, v32, v[8:9]
	v_add_co_u32 v32, s3, s18, v16
	v_add_co_ci_u32_e64 v33, null, s19, v17, s3
	v_add_co_u32 v34, s3, s18, v11
	v_lshlrev_b64 v[7:8], 1, v[14:15]
	v_lshlrev_b64 v[9:10], 1, v[18:19]
	v_add_co_ci_u32_e64 v35, null, s19, v12, s3
	v_lshlrev_b64 v[11:12], 1, v[23:24]
	v_mov_b32_e32 v23, 0
	v_mov_b32_e32 v24, 0
	;; [unrolled: 1-line block ×3, first 2 shown]
	s_branch .LBB587_25
.LBB587_21:                             ;   in Loop: Header=BB587_25 Depth=1
	s_or_b32 exec_lo, exec_lo, s34
	s_waitcnt vmcnt(3) lgkmcnt(3)
	v_lshlrev_b32_e32 v13, 16, v51
	s_waitcnt vmcnt(2) lgkmcnt(2)
	v_lshlrev_b32_e32 v14, 16, v50
	v_fmac_f32_e32 v25, v43, v13
	s_waitcnt vmcnt(1) lgkmcnt(1)
	v_lshlrev_b32_e32 v13, 16, v49
	v_fmac_f32_e32 v25, v39, v14
	v_fmac_f32_e32 v25, v41, v13
	s_waitcnt vmcnt(0) lgkmcnt(0)
	v_lshlrev_b32_e32 v13, 16, v48
	v_fmac_f32_e32 v25, v37, v13
.LBB587_22:                             ;   in Loop: Header=BB587_25 Depth=1
	s_or_b32 exec_lo, exec_lo, s33
	s_waitcnt vmcnt(3) lgkmcnt(3)
	v_lshlrev_b32_e32 v13, 16, v47
	s_waitcnt vmcnt(2) lgkmcnt(2)
	v_lshlrev_b32_e32 v14, 16, v46
	v_fmac_f32_e32 v24, v43, v13
	s_waitcnt vmcnt(1) lgkmcnt(1)
	v_lshlrev_b32_e32 v13, 16, v45
	v_fmac_f32_e32 v24, v39, v14
	v_fmac_f32_e32 v24, v41, v13
	s_waitcnt vmcnt(0) lgkmcnt(0)
	v_lshlrev_b32_e32 v13, 16, v44
	v_fmac_f32_e32 v24, v37, v13
.LBB587_23:                             ;   in Loop: Header=BB587_25 Depth=1
	s_or_b32 exec_lo, exec_lo, s3
	s_waitcnt vmcnt(3) lgkmcnt(3)
	v_lshlrev_b32_e32 v13, 16, v42
	s_waitcnt vmcnt(2) lgkmcnt(2)
	v_lshlrev_b32_e32 v14, 16, v40
	v_fmac_f32_e32 v23, v43, v13
	s_waitcnt vmcnt(1) lgkmcnt(1)
	v_lshlrev_b32_e32 v13, 16, v38
	v_fmac_f32_e32 v23, v39, v14
	v_fmac_f32_e32 v23, v41, v13
	s_waitcnt vmcnt(0) lgkmcnt(0)
	v_lshlrev_b32_e32 v13, 16, v36
	v_fmac_f32_e32 v23, v37, v13
.LBB587_24:                             ;   in Loop: Header=BB587_25 Depth=1
	s_or_b32 exec_lo, exec_lo, s4
	v_add_co_u32 v28, s3, v28, s6
	v_add_nc_u32_e32 v27, 16, v27
	v_add_co_ci_u32_e64 v29, null, s7, v29, s3
	v_add_co_u32 v30, s3, v30, s6
	v_add_co_ci_u32_e64 v31, null, s7, v31, s3
	v_add_co_u32 v32, s3, v32, s6
	v_add_co_ci_u32_e64 v33, null, s7, v33, s3
	v_cmp_le_i32_e64 s3, s27, v27
	v_add_co_u32 v34, s4, v34, s6
	v_add_co_ci_u32_e64 v35, null, s7, v35, s4
	s_add_u32 s14, s14, s12
	s_addc_u32 s15, s15, s13
	s_or_b32 s31, s3, s31
	s_andn2_b32 exec_lo, exec_lo, s31
	s_cbranch_execz .LBB587_30
.LBB587_25:                             ; =>This Inner Loop Header: Depth=1
	s_and_saveexec_b32 s4, vcc_lo
	s_cbranch_execz .LBB587_24
; %bb.26:                               ;   in Loop: Header=BB587_25 Depth=1
	v_add_co_u32 v13, s3, s14, v5
	v_add_co_ci_u32_e64 v14, null, s15, v6, s3
	v_add_co_u32 v15, s3, s14, v7
	v_add_co_ci_u32_e64 v16, null, s15, v8, s3
	;; [unrolled: 2-line block ×4, first 2 shown]
	s_clause 0x3
	flat_load_ushort v37, v[13:14]
	flat_load_ushort v39, v[15:16]
	;; [unrolled: 1-line block ×4, first 2 shown]
	v_add_co_u32 v13, s3, v30, v3
	v_add_co_ci_u32_e64 v14, null, v31, v4, s3
	v_add_co_u32 v17, s3, v34, v3
	v_add_co_ci_u32_e64 v18, null, v35, v4, s3
	;; [unrolled: 2-line block ×4, first 2 shown]
	flat_load_ushort v42, v[13:14]
	flat_load_ushort v40, v[17:18]
	;; [unrolled: 1-line block ×4, first 2 shown]
	s_waitcnt vmcnt(7) lgkmcnt(7)
	v_lshlrev_b32_e32 v43, 16, v37
	s_waitcnt vmcnt(6) lgkmcnt(6)
	v_lshlrev_b32_e32 v39, 16, v39
	;; [unrolled: 2-line block ×4, first 2 shown]
	s_and_saveexec_b32 s3, s0
	s_cbranch_execz .LBB587_23
; %bb.27:                               ;   in Loop: Header=BB587_25 Depth=1
	flat_load_ushort v47, v[13:14] offset:128
	flat_load_ushort v46, v[17:18] offset:128
	flat_load_ushort v45, v[15:16] offset:128
	flat_load_ushort v44, v[19:20] offset:128
	s_and_saveexec_b32 s33, s1
	s_cbranch_execz .LBB587_22
; %bb.28:                               ;   in Loop: Header=BB587_25 Depth=1
	flat_load_ushort v51, v[13:14] offset:256
	flat_load_ushort v50, v[17:18] offset:256
	flat_load_ushort v49, v[15:16] offset:256
	flat_load_ushort v48, v[19:20] offset:256
	;; [unrolled: 7-line block ×3, first 2 shown]
	s_waitcnt vmcnt(3) lgkmcnt(3)
	v_lshlrev_b32_e32 v13, 16, v13
	s_waitcnt vmcnt(2) lgkmcnt(2)
	v_lshlrev_b32_e32 v14, 16, v14
	v_fmac_f32_e32 v26, v43, v13
	s_waitcnt vmcnt(1) lgkmcnt(1)
	v_lshlrev_b32_e32 v13, 16, v15
	v_fmac_f32_e32 v26, v39, v14
	;; [unrolled: 3-line block ×3, first 2 shown]
	v_fmac_f32_e32 v26, v37, v14
	s_branch .LBB587_21
.LBB587_30:
	s_or_b32 exec_lo, exec_lo, s31
.LBB587_31:
	s_or_b32 exec_lo, exec_lo, s30
	s_sub_i32 s0, s11, s27
	s_cmp_lt_i32 s0, 1
	s_cbranch_scc1 .LBB587_49
; %bb.32:
	v_cmp_gt_i32_e32 vcc_lo, s11, v27
	v_mov_b32_e32 v12, 0
	v_or_b32_e32 v4, 1, v27
	v_mov_b32_e32 v11, 0
	v_mov_b32_e32 v14, 0
	;; [unrolled: 1-line block ×3, first 2 shown]
	s_and_saveexec_b32 s1, vcc_lo
	s_cbranch_execz .LBB587_40
; %bb.33:
	v_mad_u64_u32 v[5:6], null, s20, v27, 0
	v_mov_b32_e32 v13, 0
	v_mov_b32_e32 v11, 0
	;; [unrolled: 1-line block ×3, first 2 shown]
	s_mov_b32 s2, exec_lo
	v_mov_b32_e32 v3, v6
	v_mad_u64_u32 v[6:7], null, s21, v27, v[3:4]
	v_lshlrev_b64 v[5:6], 1, v[5:6]
	v_add_co_u32 v5, s0, s24, v5
	v_add_co_ci_u32_e64 v6, null, s25, v6, s0
	flat_load_ushort v3, v[5:6]
	v_cmpx_gt_i32_e64 s11, v4
	s_cbranch_execz .LBB587_39
; %bb.34:
	v_mad_u64_u32 v[5:6], null, s20, v4, 0
	v_mov_b32_e32 v11, 0
	v_mov_b32_e32 v12, 0
	s_mov_b32 s3, exec_lo
	v_mad_u64_u32 v[6:7], null, s21, v4, v[6:7]
	v_lshlrev_b64 v[5:6], 1, v[5:6]
	v_add_co_u32 v5, s0, s24, v5
	v_add_co_ci_u32_e64 v6, null, s25, v6, s0
	flat_load_ushort v5, v[5:6]
	v_or_b32_e32 v6, 2, v27
	v_cmpx_gt_i32_e64 s11, v6
	s_cbranch_execz .LBB587_38
; %bb.35:
	v_mad_u64_u32 v[7:8], null, s20, v6, 0
	v_mov_b32_e32 v11, 0
	s_mov_b32 s4, exec_lo
	v_mad_u64_u32 v[8:9], null, s21, v6, v[8:9]
	v_lshlrev_b64 v[6:7], 1, v[7:8]
	v_add_co_u32 v6, s0, s24, v6
	v_add_co_ci_u32_e64 v7, null, s25, v7, s0
	flat_load_ushort v6, v[6:7]
	v_or_b32_e32 v7, 3, v27
	v_cmpx_gt_i32_e64 s11, v7
	s_cbranch_execz .LBB587_37
; %bb.36:
	v_mad_u64_u32 v[8:9], null, s20, v7, 0
	v_mad_u64_u32 v[9:10], null, s21, v7, v[9:10]
	v_lshlrev_b64 v[7:8], 1, v[8:9]
	v_add_co_u32 v7, s0, s24, v7
	v_add_co_ci_u32_e64 v8, null, s25, v8, s0
	flat_load_ushort v7, v[7:8]
	s_waitcnt vmcnt(0) lgkmcnt(0)
	v_lshlrev_b32_e32 v11, 16, v7
.LBB587_37:
	s_or_b32 exec_lo, exec_lo, s4
	s_waitcnt vmcnt(0) lgkmcnt(0)
	v_lshlrev_b32_e32 v12, 16, v6
.LBB587_38:
	s_or_b32 exec_lo, exec_lo, s3
	s_waitcnt vmcnt(0) lgkmcnt(0)
	v_lshlrev_b32_e32 v13, 16, v5
.LBB587_39:
	s_or_b32 exec_lo, exec_lo, s2
	s_waitcnt vmcnt(0) lgkmcnt(0)
	v_lshlrev_b32_e32 v14, 16, v3
.LBB587_40:
	s_or_b32 exec_lo, exec_lo, s1
	s_mov_b32 s1, exec_lo
	v_cmpx_gt_i32_e64 s10, v2
	s_cbranch_execz .LBB587_48
; %bb.41:
	v_mad_u64_u32 v[5:6], null, s16, v27, 0
	v_mad_u64_u32 v[7:8], null, s16, v4, 0
	v_ashrrev_i32_e32 v3, 31, v2
	v_or_b32_e32 v20, 2, v27
	v_or_b32_e32 v29, 3, v27
	v_cndmask_b32_e32 v5, 0, v5, vcc_lo
	v_lshlrev_b64 v[9:10], 1, v[2:3]
	v_mad_u64_u32 v[15:16], null, s17, v27, v[6:7]
	v_mov_b32_e32 v3, v8
	v_mad_u64_u32 v[16:17], null, s16, v20, 0
	v_mad_u64_u32 v[18:19], null, s16, v29, 0
	;; [unrolled: 1-line block ×3, first 2 shown]
	v_cndmask_b32_e32 v6, 0, v15, vcc_lo
	v_cmp_gt_i32_e32 vcc_lo, s11, v4
	v_mov_b32_e32 v3, v17
	v_cmp_gt_i32_e64 s0, s11, v20
	v_mov_b32_e32 v8, v19
	v_cndmask_b32_e32 v4, 0, v7, vcc_lo
	v_lshlrev_b64 v[6:7], 1, v[5:6]
	v_cndmask_b32_e32 v5, 0, v27, vcc_lo
	v_mad_u64_u32 v[19:20], null, s17, v20, v[3:4]
	v_add_co_u32 v3, vcc_lo, s18, v6
	v_add_co_ci_u32_e64 v7, null, s19, v7, vcc_lo
	v_lshlrev_b64 v[5:6], 1, v[4:5]
	v_add_co_u32 v3, vcc_lo, v3, v9
	v_add_co_ci_u32_e64 v4, null, v7, v10, vcc_lo
	v_cndmask_b32_e64 v7, 0, v16, s0
	v_mad_u64_u32 v[15:16], null, s17, v29, v[8:9]
	v_add_co_u32 v5, vcc_lo, s18, v5
	v_add_co_ci_u32_e64 v6, null, s19, v6, vcc_lo
	v_cmp_gt_i32_e32 vcc_lo, s11, v29
	v_cndmask_b32_e64 v8, 0, v19, s0
	v_add_co_u32 v5, s0, v5, v9
	v_add_co_ci_u32_e64 v6, null, v6, v10, s0
	v_cndmask_b32_e32 v16, 0, v18, vcc_lo
	v_cndmask_b32_e32 v17, 0, v15, vcc_lo
	v_lshlrev_b64 v[7:8], 1, v[7:8]
	s_clause 0x1
	flat_load_ushort v18, v[3:4]
	flat_load_ushort v19, v[5:6]
	s_mov_b32 s0, exec_lo
	v_lshlrev_b64 v[15:16], 1, v[16:17]
	v_add_co_u32 v7, vcc_lo, s18, v7
	v_add_co_ci_u32_e64 v8, null, s19, v8, vcc_lo
	v_add_co_u32 v15, vcc_lo, s18, v15
	v_add_co_ci_u32_e64 v16, null, s19, v16, vcc_lo
	;; [unrolled: 2-line block ×4, first 2 shown]
	s_clause 0x1
	flat_load_ushort v15, v[7:8]
	flat_load_ushort v16, v[9:10]
	s_waitcnt vmcnt(3) lgkmcnt(3)
	v_lshlrev_b32_e32 v17, 16, v18
	s_waitcnt vmcnt(2) lgkmcnt(2)
	v_lshlrev_b32_e32 v18, 16, v19
	v_fmac_f32_e32 v23, v14, v17
	v_fmac_f32_e32 v23, v13, v18
	v_add_nc_u32_e32 v18, 64, v2
	s_waitcnt vmcnt(1) lgkmcnt(1)
	v_lshlrev_b32_e32 v17, 16, v15
	s_waitcnt vmcnt(0) lgkmcnt(0)
	v_lshlrev_b32_e32 v15, 16, v16
	v_fmac_f32_e32 v23, v12, v17
	v_cmpx_gt_i32_e64 s10, v18
	s_cbranch_execz .LBB587_47
; %bb.42:
	s_clause 0x3
	flat_load_ushort v16, v[3:4] offset:128
	flat_load_ushort v17, v[5:6] offset:128
	;; [unrolled: 1-line block ×4, first 2 shown]
	s_mov_b32 s2, exec_lo
	s_waitcnt vmcnt(3) lgkmcnt(3)
	v_lshlrev_b32_e32 v16, 16, v16
	s_waitcnt vmcnt(2) lgkmcnt(2)
	v_lshlrev_b32_e32 v17, 16, v17
	;; [unrolled: 2-line block ×3, first 2 shown]
	v_fmac_f32_e32 v24, v14, v16
	s_waitcnt vmcnt(0) lgkmcnt(0)
	v_lshlrev_b32_e32 v16, 16, v19
	v_fmac_f32_e32 v24, v13, v17
	v_add_nc_u32_e32 v17, 0x80, v2
	v_fmac_f32_e32 v24, v12, v18
	v_cmpx_gt_i32_e64 s10, v17
	s_cbranch_execz .LBB587_46
; %bb.43:
	s_clause 0x3
	flat_load_ushort v17, v[3:4] offset:256
	flat_load_ushort v18, v[5:6] offset:256
	;; [unrolled: 1-line block ×4, first 2 shown]
	s_mov_b32 s3, exec_lo
	s_waitcnt vmcnt(3) lgkmcnt(3)
	v_lshlrev_b32_e32 v17, 16, v17
	s_waitcnt vmcnt(2) lgkmcnt(2)
	v_lshlrev_b32_e32 v18, 16, v18
	v_fmac_f32_e32 v25, v14, v17
	s_waitcnt vmcnt(1) lgkmcnt(1)
	v_lshlrev_b32_e32 v17, 16, v19
	v_fmac_f32_e32 v25, v13, v18
	v_add_nc_u32_e32 v18, 0xc0, v2
	s_waitcnt vmcnt(0) lgkmcnt(0)
	v_lshlrev_b32_e32 v2, 16, v20
	v_fmac_f32_e32 v25, v12, v17
	v_cmpx_gt_i32_e64 s10, v18
	s_cbranch_execz .LBB587_45
; %bb.44:
	s_clause 0x3
	flat_load_ushort v3, v[3:4] offset:384
	flat_load_ushort v4, v[5:6] offset:384
	;; [unrolled: 1-line block ×4, first 2 shown]
	s_waitcnt vmcnt(3) lgkmcnt(3)
	v_lshlrev_b32_e32 v3, 16, v3
	s_waitcnt vmcnt(2) lgkmcnt(2)
	v_lshlrev_b32_e32 v4, 16, v4
	v_fmac_f32_e32 v26, v14, v3
	s_waitcnt vmcnt(1) lgkmcnt(1)
	v_lshlrev_b32_e32 v3, 16, v5
	v_fmac_f32_e32 v26, v13, v4
	;; [unrolled: 3-line block ×3, first 2 shown]
	v_fmac_f32_e32 v26, v11, v4
.LBB587_45:
	s_or_b32 exec_lo, exec_lo, s3
	v_fmac_f32_e32 v25, v11, v2
.LBB587_46:
	s_or_b32 exec_lo, exec_lo, s2
	v_fmac_f32_e32 v24, v11, v16
.LBB587_47:
	s_or_b32 exec_lo, exec_lo, s0
	v_fmac_f32_e32 v23, v11, v15
.LBB587_48:
	s_or_b32 exec_lo, exec_lo, s1
.LBB587_49:
	v_lshlrev_b32_e32 v0, 2, v0
	s_mov_b32 s0, exec_lo
                                        ; implicit-def: $vgpr5
                                        ; implicit-def: $vgpr2_vgpr3
	v_lshl_or_b32 v1, v1, 10, v0
	ds_write2st64_b32 v1, v23, v24 offset1:1
	ds_write2st64_b32 v1, v25, v26 offset0:2 offset1:3
	s_waitcnt lgkmcnt(0)
	s_barrier
	buffer_gl0_inv
	v_cmpx_gt_u32_e32 0x100, v21
	s_cbranch_execz .LBB587_70
; %bb.50:
	v_lshl_add_u32 v4, v22, 2, v0
	s_mov_b32 s2, s23
	s_mov_b32 s1, exec_lo
                                        ; implicit-def: $vgpr5
	ds_read2st64_b32 v[0:1], v4 offset1:4
	ds_read2st64_b32 v[2:3], v4 offset0:8 offset1:12
	s_waitcnt lgkmcnt(1)
	v_add_f32_e32 v0, v0, v1
	s_waitcnt lgkmcnt(0)
	v_add_f32_e32 v1, v2, v0
	v_or_b32_e32 v0, s26, v21
	v_add_f32_e32 v1, v3, v1
                                        ; implicit-def: $vgpr2_vgpr3
	ds_write_b32 v4, v1
	v_cmpx_gt_i32_e64 s10, v0
	s_cbranch_execz .LBB587_69
; %bb.51:
	v_cmp_eq_f32_e64 s2, s28, 0
	v_mul_f32_e32 v1, s29, v1
	s_and_b32 vcc_lo, exec_lo, s2
	s_cbranch_vccz .LBB587_57
; %bb.52:
	v_and_b32_e32 v2, 0x7f800000, v1
	s_mov_b32 s2, exec_lo
                                        ; implicit-def: $vgpr5
	v_cmpx_ne_u32_e32 0x7f800000, v2
	s_xor_b32 s2, exec_lo, s2
; %bb.53:
	v_bfe_u32 v2, v1, 16, 1
	v_add3_u32 v5, v1, v2, 0x7fff
; %bb.54:
	s_andn2_saveexec_b32 s2, s2
; %bb.55:
	v_mov_b32_e32 v2, 0
	v_or_b32_e32 v3, 0x10000, v1
	v_cmp_eq_u32_sdwa vcc_lo, v1, v2 src0_sel:WORD_0 src1_sel:DWORD
	v_cndmask_b32_e32 v5, v3, v1, vcc_lo
; %bb.56:
	s_or_b32 exec_lo, exec_lo, s2
	s_mov_b32 s2, 0
	s_branch .LBB587_58
.LBB587_57:
	s_mov_b32 s2, -1
                                        ; implicit-def: $vgpr5
.LBB587_58:
	v_ashrrev_i32_e32 v2, 31, v0
	v_mul_lo_u32 v4, s9, v0
	s_andn2_b32 vcc_lo, exec_lo, s2
	v_mul_lo_u32 v6, s8, v2
	s_cbranch_vccnz .LBB587_68
; %bb.59:
	v_mad_u64_u32 v[2:3], null, s8, v0, 0
	v_add3_u32 v3, v3, v6, v4
	v_lshlrev_b64 v[2:3], 1, v[2:3]
	v_add_co_u32 v2, vcc_lo, s5, v2
	v_add_co_ci_u32_e64 v3, null, s22, v3, vcc_lo
	flat_load_ushort v2, v[2:3]
	s_waitcnt vmcnt(0) lgkmcnt(0)
	v_lshlrev_b32_e32 v2, 16, v2
	v_mul_f32_e32 v2, s28, v2
	v_and_b32_e32 v3, 0x7f800000, v2
	v_cmp_ne_u32_e32 vcc_lo, 0x7f800000, v3
                                        ; implicit-def: $vgpr3
	s_and_saveexec_b32 s2, vcc_lo
	s_xor_b32 s2, exec_lo, s2
; %bb.60:
	v_bfe_u32 v3, v2, 16, 1
	v_add3_u32 v3, v2, v3, 0x7fff
                                        ; implicit-def: $vgpr2
; %bb.61:
	s_andn2_saveexec_b32 s2, s2
; %bb.62:
	v_mov_b32_e32 v3, 0
	v_or_b32_e32 v5, 0x10000, v2
	v_cmp_eq_u32_sdwa vcc_lo, v2, v3 src0_sel:WORD_0 src1_sel:DWORD
	v_cndmask_b32_e32 v3, v5, v2, vcc_lo
; %bb.63:
	s_or_b32 exec_lo, exec_lo, s2
	v_and_b32_e32 v2, 0xffff0000, v3
	s_mov_b32 s2, exec_lo
                                        ; implicit-def: $vgpr5
	v_add_f32_e32 v1, v1, v2
	v_and_b32_e32 v2, 0x7f800000, v1
	v_cmpx_ne_u32_e32 0x7f800000, v2
	s_xor_b32 s2, exec_lo, s2
; %bb.64:
	v_bfe_u32 v2, v1, 16, 1
	v_add3_u32 v5, v1, v2, 0x7fff
                                        ; implicit-def: $vgpr1
; %bb.65:
	s_andn2_saveexec_b32 s2, s2
; %bb.66:
	v_mov_b32_e32 v2, 0
	v_or_b32_e32 v3, 0x10000, v1
	v_cmp_eq_u32_sdwa vcc_lo, v1, v2 src0_sel:WORD_0 src1_sel:DWORD
	v_cndmask_b32_e32 v5, v3, v1, vcc_lo
; %bb.67:
	s_or_b32 exec_lo, exec_lo, s2
.LBB587_68:
	v_mad_u64_u32 v[2:3], null, s8, v0, 0
	v_lshrrev_b32_e32 v5, 16, v5
	s_or_b32 s2, s23, exec_lo
	v_add3_u32 v3, v3, v6, v4
.LBB587_69:
	s_or_b32 exec_lo, exec_lo, s1
	s_andn2_b32 s1, s23, exec_lo
	s_and_b32 s2, s2, exec_lo
	s_or_b32 s23, s1, s2
.LBB587_70:
	s_or_b32 exec_lo, exec_lo, s0
.LBB587_71:
	s_and_saveexec_b32 s0, s23
	s_cbranch_execz .LBB587_73
; %bb.72:
	v_lshlrev_b64 v[0:1], 1, v[2:3]
	v_add_co_u32 v0, vcc_lo, s5, v0
	v_add_co_ci_u32_e64 v1, null, s22, v1, vcc_lo
	flat_store_short v[0:1], v5
.LBB587_73:
	s_endpgm
	.section	.rodata,"a",@progbits
	.p2align	6, 0x0
	.amdhsa_kernel _ZL20rocblas_gemvn_kernelILi64ELi4ElPK16rocblas_bfloat16PKfKPS0_EviiT3_lPKT2_lT1_lSA_lSB_lS7_lPT4_lSB_li
		.amdhsa_group_segment_fixed_size 4096
		.amdhsa_private_segment_fixed_size 0
		.amdhsa_kernarg_size 400
		.amdhsa_user_sgpr_count 6
		.amdhsa_user_sgpr_private_segment_buffer 1
		.amdhsa_user_sgpr_dispatch_ptr 0
		.amdhsa_user_sgpr_queue_ptr 0
		.amdhsa_user_sgpr_kernarg_segment_ptr 1
		.amdhsa_user_sgpr_dispatch_id 0
		.amdhsa_user_sgpr_flat_scratch_init 0
		.amdhsa_user_sgpr_private_segment_size 0
		.amdhsa_wavefront_size32 1
		.amdhsa_uses_dynamic_stack 0
		.amdhsa_system_sgpr_private_segment_wavefront_offset 0
		.amdhsa_system_sgpr_workgroup_id_x 1
		.amdhsa_system_sgpr_workgroup_id_y 0
		.amdhsa_system_sgpr_workgroup_id_z 1
		.amdhsa_system_sgpr_workgroup_info 0
		.amdhsa_system_vgpr_workitem_id 1
		.amdhsa_next_free_vgpr 52
		.amdhsa_next_free_sgpr 35
		.amdhsa_reserve_vcc 1
		.amdhsa_reserve_flat_scratch 1
		.amdhsa_float_round_mode_32 0
		.amdhsa_float_round_mode_16_64 0
		.amdhsa_float_denorm_mode_32 3
		.amdhsa_float_denorm_mode_16_64 3
		.amdhsa_dx10_clamp 1
		.amdhsa_ieee_mode 1
		.amdhsa_fp16_overflow 0
		.amdhsa_workgroup_processor_mode 1
		.amdhsa_memory_ordered 1
		.amdhsa_forward_progress 1
		.amdhsa_shared_vgpr_count 0
		.amdhsa_exception_fp_ieee_invalid_op 0
		.amdhsa_exception_fp_denorm_src 0
		.amdhsa_exception_fp_ieee_div_zero 0
		.amdhsa_exception_fp_ieee_overflow 0
		.amdhsa_exception_fp_ieee_underflow 0
		.amdhsa_exception_fp_ieee_inexact 0
		.amdhsa_exception_int_div_zero 0
	.end_amdhsa_kernel
	.section	.text._ZL20rocblas_gemvn_kernelILi64ELi4ElPK16rocblas_bfloat16PKfKPS0_EviiT3_lPKT2_lT1_lSA_lSB_lS7_lPT4_lSB_li,"axG",@progbits,_ZL20rocblas_gemvn_kernelILi64ELi4ElPK16rocblas_bfloat16PKfKPS0_EviiT3_lPKT2_lT1_lSA_lSB_lS7_lPT4_lSB_li,comdat
.Lfunc_end587:
	.size	_ZL20rocblas_gemvn_kernelILi64ELi4ElPK16rocblas_bfloat16PKfKPS0_EviiT3_lPKT2_lT1_lSA_lSB_lS7_lPT4_lSB_li, .Lfunc_end587-_ZL20rocblas_gemvn_kernelILi64ELi4ElPK16rocblas_bfloat16PKfKPS0_EviiT3_lPKT2_lT1_lSA_lSB_lS7_lPT4_lSB_li
                                        ; -- End function
	.set _ZL20rocblas_gemvn_kernelILi64ELi4ElPK16rocblas_bfloat16PKfKPS0_EviiT3_lPKT2_lT1_lSA_lSB_lS7_lPT4_lSB_li.num_vgpr, 52
	.set _ZL20rocblas_gemvn_kernelILi64ELi4ElPK16rocblas_bfloat16PKfKPS0_EviiT3_lPKT2_lT1_lSA_lSB_lS7_lPT4_lSB_li.num_agpr, 0
	.set _ZL20rocblas_gemvn_kernelILi64ELi4ElPK16rocblas_bfloat16PKfKPS0_EviiT3_lPKT2_lT1_lSA_lSB_lS7_lPT4_lSB_li.numbered_sgpr, 35
	.set _ZL20rocblas_gemvn_kernelILi64ELi4ElPK16rocblas_bfloat16PKfKPS0_EviiT3_lPKT2_lT1_lSA_lSB_lS7_lPT4_lSB_li.num_named_barrier, 0
	.set _ZL20rocblas_gemvn_kernelILi64ELi4ElPK16rocblas_bfloat16PKfKPS0_EviiT3_lPKT2_lT1_lSA_lSB_lS7_lPT4_lSB_li.private_seg_size, 0
	.set _ZL20rocblas_gemvn_kernelILi64ELi4ElPK16rocblas_bfloat16PKfKPS0_EviiT3_lPKT2_lT1_lSA_lSB_lS7_lPT4_lSB_li.uses_vcc, 1
	.set _ZL20rocblas_gemvn_kernelILi64ELi4ElPK16rocblas_bfloat16PKfKPS0_EviiT3_lPKT2_lT1_lSA_lSB_lS7_lPT4_lSB_li.uses_flat_scratch, 1
	.set _ZL20rocblas_gemvn_kernelILi64ELi4ElPK16rocblas_bfloat16PKfKPS0_EviiT3_lPKT2_lT1_lSA_lSB_lS7_lPT4_lSB_li.has_dyn_sized_stack, 0
	.set _ZL20rocblas_gemvn_kernelILi64ELi4ElPK16rocblas_bfloat16PKfKPS0_EviiT3_lPKT2_lT1_lSA_lSB_lS7_lPT4_lSB_li.has_recursion, 0
	.set _ZL20rocblas_gemvn_kernelILi64ELi4ElPK16rocblas_bfloat16PKfKPS0_EviiT3_lPKT2_lT1_lSA_lSB_lS7_lPT4_lSB_li.has_indirect_call, 0
	.section	.AMDGPU.csdata,"",@progbits
; Kernel info:
; codeLenInByte = 3528
; TotalNumSgprs: 37
; NumVgprs: 52
; ScratchSize: 0
; MemoryBound: 0
; FloatMode: 240
; IeeeMode: 1
; LDSByteSize: 4096 bytes/workgroup (compile time only)
; SGPRBlocks: 0
; VGPRBlocks: 6
; NumSGPRsForWavesPerEU: 37
; NumVGPRsForWavesPerEU: 52
; Occupancy: 16
; WaveLimiterHint : 1
; COMPUTE_PGM_RSRC2:SCRATCH_EN: 0
; COMPUTE_PGM_RSRC2:USER_SGPR: 6
; COMPUTE_PGM_RSRC2:TRAP_HANDLER: 0
; COMPUTE_PGM_RSRC2:TGID_X_EN: 1
; COMPUTE_PGM_RSRC2:TGID_Y_EN: 0
; COMPUTE_PGM_RSRC2:TGID_Z_EN: 1
; COMPUTE_PGM_RSRC2:TIDIG_COMP_CNT: 1
	.section	.text._ZL20rocblas_gemvn_kernelILi64ELi4EiPK16rocblas_bfloat16fKPS0_EviiT3_lPKT2_lT1_lS8_lS9_lS5_lPT4_lS9_li,"axG",@progbits,_ZL20rocblas_gemvn_kernelILi64ELi4EiPK16rocblas_bfloat16fKPS0_EviiT3_lPKT2_lT1_lS8_lS9_lS5_lPT4_lS9_li,comdat
	.globl	_ZL20rocblas_gemvn_kernelILi64ELi4EiPK16rocblas_bfloat16fKPS0_EviiT3_lPKT2_lT1_lS8_lS9_lS5_lPT4_lS9_li ; -- Begin function _ZL20rocblas_gemvn_kernelILi64ELi4EiPK16rocblas_bfloat16fKPS0_EviiT3_lPKT2_lT1_lS8_lS9_lS5_lPT4_lS9_li
	.p2align	8
	.type	_ZL20rocblas_gemvn_kernelILi64ELi4EiPK16rocblas_bfloat16fKPS0_EviiT3_lPKT2_lT1_lS8_lS9_lS5_lPT4_lS9_li,@function
_ZL20rocblas_gemvn_kernelILi64ELi4EiPK16rocblas_bfloat16fKPS0_EviiT3_lPKT2_lT1_lS8_lS9_lS5_lPT4_lS9_li: ; @_ZL20rocblas_gemvn_kernelILi64ELi4EiPK16rocblas_bfloat16fKPS0_EviiT3_lPKT2_lT1_lS8_lS9_lS5_lPT4_lS9_li
; %bb.0:
	s_load_dwordx2 s[0:1], s[4:5], 0x9c
	s_waitcnt lgkmcnt(0)
	s_lshr_b32 s3, s0, 16
	s_and_b32 s0, s0, 0xffff
	s_and_b32 s1, s1, 0xffff
	s_mul_i32 s0, s3, s0
	s_mul_i32 s0, s0, s1
	s_cmpk_lg_i32 s0, 0x100
	s_cbranch_scc1 .LBB588_75
; %bb.1:
	s_clause 0x1
	s_load_dwordx4 s[8:11], s[4:5], 0x0
	s_load_dword s16, s[4:5], 0x58
	s_mov_b32 s3, 0
	s_waitcnt lgkmcnt(0)
	v_cmp_eq_f32_e64 s17, s10, 0
	v_cmp_eq_f32_e64 s0, s16, 1.0
	s_and_b32 s0, s17, s0
	s_and_b32 vcc_lo, exec_lo, s0
	s_cbranch_vccnz .LBB588_75
; %bb.2:
	s_mov_b32 s2, s7
	v_cmp_neq_f32_e64 s7, s10, 0
	s_and_b32 vcc_lo, exec_lo, s7
	s_cbranch_vccnz .LBB588_4
; %bb.3:
	s_mov_b32 s1, 0
	s_mov_b32 s0, s2
	s_mov_b32 s11, s1
	s_mov_b64 s[14:15], 0
	s_andn2_b32 vcc_lo, exec_lo, s11
	s_mov_b64 s[12:13], 0
	s_cbranch_vccz .LBB588_5
	s_branch .LBB588_6
.LBB588_4:
	s_mov_b64 s[0:1], s[2:3]
	s_mov_b64 s[14:15], 0
	;; [unrolled: 1-line block ×3, first 2 shown]
.LBB588_5:
	s_load_dwordx4 s[20:23], s[4:5], 0x18
	s_lshl_b64 s[2:3], s[2:3], 3
	s_waitcnt lgkmcnt(0)
	s_add_u32 s2, s20, s2
	s_addc_u32 s3, s21, s3
	s_lshl_b64 s[12:13], s[22:23], 1
	s_load_dwordx2 s[2:3], s[2:3], 0x0
	s_waitcnt lgkmcnt(0)
	s_add_u32 s12, s2, s12
	s_addc_u32 s13, s3, s13
.LBB588_6:
	s_andn2_b32 vcc_lo, exec_lo, s7
	s_cbranch_vccnz .LBB588_8
; %bb.7:
	s_load_dwordx4 s[20:23], s[4:5], 0x38
	s_lshl_b64 s[2:3], s[0:1], 3
	s_waitcnt lgkmcnt(0)
	s_add_u32 s2, s20, s2
	s_addc_u32 s3, s21, s3
	s_lshl_b64 s[14:15], s[22:23], 1
	s_load_dwordx2 s[2:3], s[2:3], 0x0
	s_waitcnt lgkmcnt(0)
	s_add_u32 s14, s2, s14
	s_addc_u32 s15, s3, s15
.LBB588_8:
	s_clause 0x1
	s_load_dwordx4 s[20:23], s[4:5], 0x68
	s_load_dword s18, s[4:5], 0x78
	s_lshl_b64 s[0:1], s[0:1], 3
	v_lshlrev_b32_e32 v14, 6, v1
	v_add_nc_u32_e32 v13, v14, v0
	s_waitcnt lgkmcnt(0)
	s_add_u32 s0, s20, s0
	s_addc_u32 s1, s21, s1
	s_lshl_b64 s[20:21], s[22:23], 1
	s_load_dwordx2 s[2:3], s[0:1], 0x0
	v_cmp_gt_u32_e64 s0, 0x100, v13
	s_waitcnt lgkmcnt(0)
	s_add_u32 s7, s2, s20
	s_addc_u32 s11, s3, s21
	s_andn2_b32 vcc_lo, exec_lo, s17
	s_cbranch_vccnz .LBB588_19
; %bb.9:
	s_mov_b32 s1, 0
	s_mov_b32 s17, 0
                                        ; implicit-def: $vgpr5
                                        ; implicit-def: $vgpr2_vgpr3
	s_and_saveexec_b32 s2, s0
	s_cbranch_execz .LBB588_20
; %bb.10:
	v_lshl_or_b32 v4, s6, 8, v13
	v_mov_b32_e32 v5, 0
	s_ashr_i32 s21, s8, 31
	s_mov_b32 s20, s8
	s_mov_b32 s3, 0
	s_mov_b32 s0, exec_lo
                                        ; implicit-def: $vgpr2_vgpr3
	v_cmpx_gt_i64_e64 s[20:21], v[4:5]
	s_cbranch_execz .LBB588_18
; %bb.11:
	v_mad_u64_u32 v[2:3], null, s18, v4, 0
	s_ashr_i32 s3, s18, 31
	v_mad_u64_u32 v[3:4], null, s3, v4, v[3:4]
	v_cmp_eq_f32_e64 s3, s16, 0
	s_and_b32 vcc_lo, exec_lo, s3
	s_cbranch_vccnz .LBB588_17
; %bb.12:
	v_lshlrev_b64 v[4:5], 1, v[2:3]
	v_add_co_u32 v4, vcc_lo, s7, v4
	v_add_co_ci_u32_e64 v5, null, s11, v5, vcc_lo
	flat_load_ushort v4, v[4:5]
	s_waitcnt vmcnt(0) lgkmcnt(0)
	v_lshlrev_b32_e32 v4, 16, v4
	v_mul_f32_e32 v4, s16, v4
	v_and_b32_e32 v5, 0x7f800000, v4
	v_cmp_ne_u32_e32 vcc_lo, 0x7f800000, v5
                                        ; implicit-def: $vgpr5
	s_and_saveexec_b32 s3, vcc_lo
	s_xor_b32 s3, exec_lo, s3
; %bb.13:
	v_bfe_u32 v5, v4, 16, 1
	v_add3_u32 v5, v4, v5, 0x7fff
                                        ; implicit-def: $vgpr4
; %bb.14:
	s_andn2_saveexec_b32 s3, s3
; %bb.15:
	v_mov_b32_e32 v5, 0
	v_or_b32_e32 v6, 0x10000, v4
	v_cmp_eq_u32_sdwa vcc_lo, v4, v5 src0_sel:WORD_0 src1_sel:DWORD
	v_cndmask_b32_e32 v5, v6, v4, vcc_lo
; %bb.16:
	s_or_b32 exec_lo, exec_lo, s3
	v_lshrrev_b32_e32 v5, 16, v5
.LBB588_17:
	s_mov_b32 s3, exec_lo
.LBB588_18:
	s_or_b32 exec_lo, exec_lo, s0
	s_and_b32 s17, s3, exec_lo
	s_or_b32 exec_lo, exec_lo, s2
	s_and_b32 vcc_lo, exec_lo, s1
	s_cbranch_vccnz .LBB588_21
	s_branch .LBB588_73
.LBB588_19:
	s_mov_b32 s17, 0
                                        ; implicit-def: $vgpr5
                                        ; implicit-def: $vgpr2_vgpr3
	s_cbranch_execnz .LBB588_21
	s_branch .LBB588_73
.LBB588_20:
	s_or_b32 exec_lo, exec_lo, s2
	s_and_b32 vcc_lo, exec_lo, s1
	s_cbranch_vccz .LBB588_73
.LBB588_21:
	s_clause 0x1
	s_load_dword s19, s[4:5], 0x28
	s_load_dword s4, s[4:5], 0x48
	s_ashr_i32 s0, s9, 31
	s_lshl_b32 s5, s6, 8
	s_lshr_b32 s0, s0, 28
	v_lshlrev_b32_e32 v20, 2, v1
	v_or_b32_e32 v19, s5, v0
	v_mov_b32_e32 v15, 0
	v_mov_b32_e32 v16, 0
	;; [unrolled: 1-line block ×4, first 2 shown]
	s_add_i32 s0, s9, s0
	s_mov_b32 s20, exec_lo
	s_and_b32 s6, s0, -16
	v_cmpx_gt_i32_e64 s6, v20
	s_cbranch_execz .LBB588_33
; %bb.22:
	v_add_nc_u32_e32 v5, 0xc0, v19
	s_waitcnt lgkmcnt(0)
	v_mul_lo_u32 v3, s19, v20
	v_add_nc_u32_e32 v2, 64, v19
	v_add_nc_u32_e32 v6, 2, v20
	;; [unrolled: 1-line block ×3, first 2 shown]
	v_cmp_gt_i32_e64 s2, s8, v5
	v_mul_lo_u32 v5, v1, s19
	v_add_nc_u32_e32 v7, 3, v20
	v_mul_lo_u32 v8, v1, s4
	v_cmp_gt_i32_e64 s0, s8, v2
	v_add3_u32 v21, v3, s19, v0
	v_mad_u64_u32 v[2:3], null, s19, v6, v[0:1]
	v_cmp_gt_i32_e64 s1, s8, v4
	v_mad_u64_u32 v[3:4], null, s19, v7, v[0:1]
	v_lshl_add_u32 v22, v5, 2, v0
	v_mad_u64_u32 v[4:5], null, s4, v20, s[4:5]
	v_mul_lo_u32 v23, s4, v6
	v_mul_lo_u32 v24, s4, v7
	v_lshlrev_b32_e32 v25, 2, v8
	v_mov_b32_e32 v15, 0
	v_mov_b32_e32 v16, 0
	;; [unrolled: 1-line block ×4, first 2 shown]
	s_lshl_b32 s21, s19, 4
	s_lshl_b32 s23, s4, 4
	s_mov_b32 s22, 0
	s_mov_b32 s24, 0
	v_cmp_gt_i32_e32 vcc_lo, s8, v19
	s_branch .LBB588_27
.LBB588_23:                             ;   in Loop: Header=BB588_27 Depth=1
	s_or_b32 exec_lo, exec_lo, s27
	s_waitcnt vmcnt(3) lgkmcnt(3)
	v_lshlrev_b32_e32 v5, 16, v41
	s_waitcnt vmcnt(2) lgkmcnt(2)
	v_lshlrev_b32_e32 v6, 16, v40
	v_fmac_f32_e32 v17, v33, v5
	s_waitcnt vmcnt(1) lgkmcnt(1)
	v_lshlrev_b32_e32 v5, 16, v39
	v_fmac_f32_e32 v17, v29, v6
	v_fmac_f32_e32 v17, v31, v5
	s_waitcnt vmcnt(0) lgkmcnt(0)
	v_lshlrev_b32_e32 v5, 16, v38
	v_fmac_f32_e32 v17, v27, v5
.LBB588_24:                             ;   in Loop: Header=BB588_27 Depth=1
	s_or_b32 exec_lo, exec_lo, s26
	s_waitcnt vmcnt(3) lgkmcnt(3)
	v_lshlrev_b32_e32 v5, 16, v37
	s_waitcnt vmcnt(2) lgkmcnt(2)
	v_lshlrev_b32_e32 v6, 16, v36
	v_fmac_f32_e32 v16, v33, v5
	s_waitcnt vmcnt(1) lgkmcnt(1)
	v_lshlrev_b32_e32 v5, 16, v35
	v_fmac_f32_e32 v16, v29, v6
	v_fmac_f32_e32 v16, v31, v5
	s_waitcnt vmcnt(0) lgkmcnt(0)
	v_lshlrev_b32_e32 v5, 16, v34
	v_fmac_f32_e32 v16, v27, v5
.LBB588_25:                             ;   in Loop: Header=BB588_27 Depth=1
	s_or_b32 exec_lo, exec_lo, s3
	s_waitcnt vmcnt(3) lgkmcnt(3)
	v_lshlrev_b32_e32 v5, 16, v32
	s_waitcnt vmcnt(2) lgkmcnt(2)
	v_lshlrev_b32_e32 v6, 16, v30
	v_fmac_f32_e32 v15, v33, v5
	s_waitcnt vmcnt(1) lgkmcnt(1)
	v_lshlrev_b32_e32 v5, 16, v28
	v_fmac_f32_e32 v15, v29, v6
	v_fmac_f32_e32 v15, v31, v5
	s_waitcnt vmcnt(0) lgkmcnt(0)
	v_lshlrev_b32_e32 v5, 16, v26
	v_fmac_f32_e32 v15, v27, v5
.LBB588_26:                             ;   in Loop: Header=BB588_27 Depth=1
	s_or_b32 exec_lo, exec_lo, s25
	v_add_nc_u32_e32 v20, 16, v20
	v_add_nc_u32_e32 v21, s21, v21
	;; [unrolled: 1-line block ×5, first 2 shown]
	v_cmp_le_i32_e64 s3, s6, v20
	s_add_i32 s24, s24, s23
	s_or_b32 s22, s3, s22
	s_andn2_b32 exec_lo, exec_lo, s22
	s_cbranch_execz .LBB588_32
.LBB588_27:                             ; =>This Inner Loop Header: Depth=1
	s_and_saveexec_b32 s25, vcc_lo
	s_cbranch_execz .LBB588_26
; %bb.28:                               ;   in Loop: Header=BB588_27 Depth=1
	v_add_nc_u32_e32 v5, s24, v25
	v_add_nc_u32_e32 v7, s24, v4
	v_add_nc_u32_e32 v9, s24, v23
	v_add_nc_u32_e32 v11, s24, v24
	v_add_nc_u32_e32 v26, s5, v22
	v_ashrrev_i32_e32 v6, 31, v5
	v_ashrrev_i32_e32 v8, 31, v7
	;; [unrolled: 1-line block ×5, first 2 shown]
	v_lshlrev_b64 v[5:6], 1, v[5:6]
	v_lshlrev_b64 v[7:8], 1, v[7:8]
	;; [unrolled: 1-line block ×4, first 2 shown]
	v_add_nc_u32_e32 v28, s5, v21
	v_add_nc_u32_e32 v30, s5, v2
	v_add_co_u32 v5, s3, s14, v5
	v_add_co_ci_u32_e64 v6, null, s15, v6, s3
	v_add_co_u32 v7, s3, s14, v7
	v_add_co_ci_u32_e64 v8, null, s15, v8, s3
	v_add_co_u32 v9, s3, s14, v9
	v_add_co_ci_u32_e64 v10, null, s15, v10, s3
	v_add_co_u32 v11, s3, s14, v11
	v_add_co_ci_u32_e64 v12, null, s15, v12, s3
	v_lshlrev_b64 v[26:27], 1, v[26:27]
	s_clause 0x3
	flat_load_ushort v33, v[5:6]
	flat_load_ushort v34, v[7:8]
	;; [unrolled: 1-line block ×4, first 2 shown]
	v_add_nc_u32_e32 v9, s5, v3
	v_ashrrev_i32_e32 v29, 31, v28
	v_ashrrev_i32_e32 v31, 31, v30
	v_add_co_u32 v5, s3, s12, v26
	v_ashrrev_i32_e32 v10, 31, v9
	v_lshlrev_b64 v[7:8], 1, v[28:29]
	v_add_co_ci_u32_e64 v6, null, s13, v27, s3
	v_lshlrev_b64 v[26:27], 1, v[30:31]
	v_lshlrev_b64 v[9:10], 1, v[9:10]
	v_add_co_u32 v11, s3, s12, v7
	v_add_co_ci_u32_e64 v12, null, s13, v8, s3
	v_add_co_u32 v7, s3, s12, v26
	v_add_co_ci_u32_e64 v8, null, s13, v27, s3
	;; [unrolled: 2-line block ×3, first 2 shown]
	s_clause 0x3
	flat_load_ushort v32, v[5:6]
	flat_load_ushort v30, v[11:12]
	;; [unrolled: 1-line block ×4, first 2 shown]
	s_waitcnt vmcnt(7) lgkmcnt(7)
	v_lshlrev_b32_e32 v33, 16, v33
	s_waitcnt vmcnt(6) lgkmcnt(6)
	v_lshlrev_b32_e32 v29, 16, v34
	;; [unrolled: 2-line block ×4, first 2 shown]
	s_and_saveexec_b32 s3, s0
	s_cbranch_execz .LBB588_25
; %bb.29:                               ;   in Loop: Header=BB588_27 Depth=1
	s_clause 0x3
	flat_load_ushort v37, v[5:6] offset:128
	flat_load_ushort v36, v[11:12] offset:128
	flat_load_ushort v35, v[7:8] offset:128
	flat_load_ushort v34, v[9:10] offset:128
	s_and_saveexec_b32 s26, s1
	s_cbranch_execz .LBB588_24
; %bb.30:                               ;   in Loop: Header=BB588_27 Depth=1
	s_clause 0x3
	flat_load_ushort v41, v[5:6] offset:256
	flat_load_ushort v40, v[11:12] offset:256
	flat_load_ushort v39, v[7:8] offset:256
	flat_load_ushort v38, v[9:10] offset:256
	s_and_saveexec_b32 s27, s2
	s_cbranch_execz .LBB588_23
; %bb.31:                               ;   in Loop: Header=BB588_27 Depth=1
	s_clause 0x3
	flat_load_ushort v5, v[5:6] offset:384
	flat_load_ushort v6, v[11:12] offset:384
	flat_load_ushort v7, v[7:8] offset:384
	flat_load_ushort v8, v[9:10] offset:384
	s_waitcnt vmcnt(3) lgkmcnt(3)
	v_lshlrev_b32_e32 v5, 16, v5
	s_waitcnt vmcnt(2) lgkmcnt(2)
	v_lshlrev_b32_e32 v6, 16, v6
	v_fmac_f32_e32 v18, v33, v5
	s_waitcnt vmcnt(1) lgkmcnt(1)
	v_lshlrev_b32_e32 v5, 16, v7
	v_fmac_f32_e32 v18, v29, v6
	;; [unrolled: 3-line block ×3, first 2 shown]
	v_fmac_f32_e32 v18, v27, v6
	s_branch .LBB588_23
.LBB588_32:
	s_or_b32 exec_lo, exec_lo, s22
.LBB588_33:
	s_or_b32 exec_lo, exec_lo, s20
	s_sub_i32 s0, s9, s6
	s_cmp_lt_i32 s0, 1
	s_cbranch_scc1 .LBB588_51
; %bb.34:
	v_cmp_gt_i32_e32 vcc_lo, s9, v20
	v_mov_b32_e32 v11, 0
	v_or_b32_e32 v2, 1, v20
	v_mov_b32_e32 v10, 0
	v_mov_b32_e32 v21, 0
	;; [unrolled: 1-line block ×3, first 2 shown]
	s_and_saveexec_b32 s1, vcc_lo
	s_cbranch_execz .LBB588_42
; %bb.35:
	s_waitcnt lgkmcnt(0)
	v_mul_lo_u32 v3, v20, s4
	v_mov_b32_e32 v12, 0
	v_mov_b32_e32 v10, 0
	;; [unrolled: 1-line block ×3, first 2 shown]
	s_mov_b32 s2, exec_lo
	v_ashrrev_i32_e32 v4, 31, v3
	v_lshlrev_b64 v[3:4], 1, v[3:4]
	v_add_co_u32 v3, s0, s14, v3
	v_add_co_ci_u32_e64 v4, null, s15, v4, s0
	flat_load_ushort v3, v[3:4]
	v_cmpx_gt_i32_e64 s9, v2
	s_cbranch_execz .LBB588_41
; %bb.36:
	v_mul_lo_u32 v4, v2, s4
	v_mov_b32_e32 v10, 0
	v_mov_b32_e32 v11, 0
	s_mov_b32 s3, exec_lo
	v_ashrrev_i32_e32 v5, 31, v4
	v_lshlrev_b64 v[4:5], 1, v[4:5]
	v_add_co_u32 v4, s0, s14, v4
	v_add_co_ci_u32_e64 v5, null, s15, v5, s0
	flat_load_ushort v4, v[4:5]
	v_or_b32_e32 v5, 2, v20
	v_cmpx_gt_i32_e64 s9, v5
	s_cbranch_execz .LBB588_40
; %bb.37:
	v_mul_lo_u32 v5, v5, s4
	v_mov_b32_e32 v10, 0
	s_mov_b32 s6, exec_lo
	v_ashrrev_i32_e32 v6, 31, v5
	v_lshlrev_b64 v[5:6], 1, v[5:6]
	v_add_co_u32 v5, s0, s14, v5
	v_add_co_ci_u32_e64 v6, null, s15, v6, s0
	flat_load_ushort v5, v[5:6]
	v_or_b32_e32 v6, 3, v20
	v_cmpx_gt_i32_e64 s9, v6
	s_cbranch_execz .LBB588_39
; %bb.38:
	v_mul_lo_u32 v6, v6, s4
	v_ashrrev_i32_e32 v7, 31, v6
	v_lshlrev_b64 v[6:7], 1, v[6:7]
	v_add_co_u32 v6, s0, s14, v6
	v_add_co_ci_u32_e64 v7, null, s15, v7, s0
	flat_load_ushort v6, v[6:7]
	s_waitcnt vmcnt(0) lgkmcnt(0)
	v_lshlrev_b32_e32 v10, 16, v6
.LBB588_39:
	s_or_b32 exec_lo, exec_lo, s6
	s_waitcnt vmcnt(0) lgkmcnt(0)
	v_lshlrev_b32_e32 v11, 16, v5
.LBB588_40:
	s_or_b32 exec_lo, exec_lo, s3
	s_waitcnt vmcnt(0) lgkmcnt(0)
	v_lshlrev_b32_e32 v12, 16, v4
.LBB588_41:
	s_or_b32 exec_lo, exec_lo, s2
	s_waitcnt vmcnt(0) lgkmcnt(0)
	v_lshlrev_b32_e32 v21, 16, v3
.LBB588_42:
	s_or_b32 exec_lo, exec_lo, s1
	s_mov_b32 s1, exec_lo
	v_cmpx_gt_i32_e64 s8, v19
	s_cbranch_execz .LBB588_50
; %bb.43:
	s_waitcnt lgkmcnt(0)
	v_mul_lo_u32 v3, v20, s19
	v_mul_lo_u32 v4, v2, s19
	v_or_b32_e32 v5, 2, v20
	v_or_b32_e32 v6, 3, v20
	s_mov_b32 s0, exec_lo
	v_mul_lo_u32 v7, v5, s19
	v_cndmask_b32_e32 v3, 0, v3, vcc_lo
	v_cmp_gt_i32_e32 vcc_lo, s9, v2
	v_mul_lo_u32 v8, v6, s19
	v_add_nc_u32_e32 v2, v3, v19
	v_cndmask_b32_e32 v4, 0, v4, vcc_lo
	v_cmp_gt_i32_e32 vcc_lo, s9, v5
	v_ashrrev_i32_e32 v3, 31, v2
	v_add_nc_u32_e32 v4, v4, v19
	v_cndmask_b32_e32 v7, 0, v7, vcc_lo
	v_cmp_gt_i32_e32 vcc_lo, s9, v6
	v_lshlrev_b64 v[2:3], 1, v[2:3]
	v_ashrrev_i32_e32 v5, 31, v4
	v_add_nc_u32_e32 v6, v7, v19
	v_cndmask_b32_e32 v8, 0, v8, vcc_lo
	v_lshlrev_b64 v[4:5], 1, v[4:5]
	v_ashrrev_i32_e32 v7, 31, v6
	v_add_nc_u32_e32 v8, v8, v19
	v_add_co_u32 v2, vcc_lo, s12, v2
	v_add_co_ci_u32_e64 v3, null, s13, v3, vcc_lo
	v_ashrrev_i32_e32 v9, 31, v8
	v_add_co_u32 v4, vcc_lo, s12, v4
	v_add_co_ci_u32_e64 v5, null, s13, v5, vcc_lo
	v_lshlrev_b64 v[6:7], 1, v[6:7]
	v_lshlrev_b64 v[8:9], 1, v[8:9]
	s_clause 0x1
	flat_load_ushort v20, v[2:3]
	flat_load_ushort v22, v[4:5]
	v_add_co_u32 v6, vcc_lo, s12, v6
	v_add_co_ci_u32_e64 v7, null, s13, v7, vcc_lo
	v_add_co_u32 v8, vcc_lo, s12, v8
	v_add_co_ci_u32_e64 v9, null, s13, v9, vcc_lo
	s_clause 0x1
	flat_load_ushort v23, v[6:7]
	flat_load_ushort v24, v[8:9]
	s_waitcnt vmcnt(3) lgkmcnt(3)
	v_lshlrev_b32_e32 v20, 16, v20
	s_waitcnt vmcnt(2) lgkmcnt(2)
	v_lshlrev_b32_e32 v22, 16, v22
	v_fmac_f32_e32 v15, v21, v20
	v_fmac_f32_e32 v15, v12, v22
	v_add_nc_u32_e32 v22, 64, v19
	s_waitcnt vmcnt(1) lgkmcnt(1)
	v_lshlrev_b32_e32 v23, 16, v23
	s_waitcnt vmcnt(0) lgkmcnt(0)
	v_lshlrev_b32_e32 v20, 16, v24
	v_fmac_f32_e32 v15, v11, v23
	v_cmpx_gt_i32_e64 s8, v22
	s_cbranch_execz .LBB588_49
; %bb.44:
	s_clause 0x3
	flat_load_ushort v22, v[2:3] offset:128
	flat_load_ushort v23, v[4:5] offset:128
	;; [unrolled: 1-line block ×4, first 2 shown]
	s_mov_b32 s2, exec_lo
	s_waitcnt vmcnt(3) lgkmcnt(3)
	v_lshlrev_b32_e32 v22, 16, v22
	s_waitcnt vmcnt(2) lgkmcnt(2)
	v_lshlrev_b32_e32 v23, 16, v23
	;; [unrolled: 2-line block ×3, first 2 shown]
	v_fmac_f32_e32 v16, v21, v22
	s_waitcnt vmcnt(0) lgkmcnt(0)
	v_lshlrev_b32_e32 v22, 16, v25
	v_fmac_f32_e32 v16, v12, v23
	v_add_nc_u32_e32 v23, 0x80, v19
	v_fmac_f32_e32 v16, v11, v24
	v_cmpx_gt_i32_e64 s8, v23
	s_cbranch_execz .LBB588_48
; %bb.45:
	s_clause 0x3
	flat_load_ushort v23, v[2:3] offset:256
	flat_load_ushort v24, v[4:5] offset:256
	flat_load_ushort v25, v[6:7] offset:256
	flat_load_ushort v26, v[8:9] offset:256
	s_mov_b32 s3, exec_lo
	s_waitcnt vmcnt(3) lgkmcnt(3)
	v_lshlrev_b32_e32 v23, 16, v23
	s_waitcnt vmcnt(2) lgkmcnt(2)
	v_lshlrev_b32_e32 v24, 16, v24
	v_fmac_f32_e32 v17, v21, v23
	s_waitcnt vmcnt(1) lgkmcnt(1)
	v_lshlrev_b32_e32 v23, 16, v25
	v_fmac_f32_e32 v17, v12, v24
	v_add_nc_u32_e32 v24, 0xc0, v19
	s_waitcnt vmcnt(0) lgkmcnt(0)
	v_lshlrev_b32_e32 v19, 16, v26
	v_fmac_f32_e32 v17, v11, v23
	v_cmpx_gt_i32_e64 s8, v24
	s_cbranch_execz .LBB588_47
; %bb.46:
	s_clause 0x3
	flat_load_ushort v2, v[2:3] offset:384
	flat_load_ushort v3, v[4:5] offset:384
	;; [unrolled: 1-line block ×4, first 2 shown]
	s_waitcnt vmcnt(3) lgkmcnt(3)
	v_lshlrev_b32_e32 v2, 16, v2
	s_waitcnt vmcnt(2) lgkmcnt(2)
	v_lshlrev_b32_e32 v3, 16, v3
	v_fmac_f32_e32 v18, v21, v2
	s_waitcnt vmcnt(1) lgkmcnt(1)
	v_lshlrev_b32_e32 v2, 16, v4
	v_fmac_f32_e32 v18, v12, v3
	s_waitcnt vmcnt(0) lgkmcnt(0)
	v_lshlrev_b32_e32 v3, 16, v5
	v_fmac_f32_e32 v18, v11, v2
	v_fmac_f32_e32 v18, v10, v3
.LBB588_47:
	s_or_b32 exec_lo, exec_lo, s3
	v_fmac_f32_e32 v17, v10, v19
.LBB588_48:
	s_or_b32 exec_lo, exec_lo, s2
	v_fmac_f32_e32 v16, v10, v22
.LBB588_49:
	s_or_b32 exec_lo, exec_lo, s0
	v_fmac_f32_e32 v15, v10, v20
.LBB588_50:
	s_or_b32 exec_lo, exec_lo, s1
.LBB588_51:
	v_lshlrev_b32_e32 v0, 2, v0
	s_mov_b32 s0, exec_lo
                                        ; implicit-def: $vgpr5
                                        ; implicit-def: $vgpr2_vgpr3
	v_lshl_or_b32 v1, v1, 10, v0
	ds_write2st64_b32 v1, v15, v16 offset1:1
	ds_write2st64_b32 v1, v17, v18 offset0:2 offset1:3
	s_waitcnt lgkmcnt(0)
	s_barrier
	buffer_gl0_inv
	v_cmpx_gt_u32_e32 0x100, v13
	s_cbranch_execz .LBB588_72
; %bb.52:
	v_lshl_add_u32 v5, v14, 2, v0
	v_or_b32_e32 v4, s5, v13
	s_mov_b32 s2, s17
	s_mov_b32 s1, exec_lo
	ds_read2st64_b32 v[0:1], v5 offset1:4
	ds_read2st64_b32 v[2:3], v5 offset0:8 offset1:12
	s_waitcnt lgkmcnt(1)
	v_add_f32_e32 v0, v0, v1
	s_waitcnt lgkmcnt(0)
	v_add_f32_e32 v0, v2, v0
	v_add_f32_e32 v0, v3, v0
                                        ; implicit-def: $vgpr2_vgpr3
	ds_write_b32 v5, v0
                                        ; implicit-def: $vgpr5
	v_cmpx_gt_i32_e64 s8, v4
	s_cbranch_execz .LBB588_71
; %bb.53:
	v_cmp_eq_f32_e64 s2, s16, 0
	v_mul_f32_e32 v0, s10, v0
	s_and_b32 vcc_lo, exec_lo, s2
	s_cbranch_vccz .LBB588_59
; %bb.54:
	v_and_b32_e32 v1, 0x7f800000, v0
	v_cmp_ne_u32_e32 vcc_lo, 0x7f800000, v1
                                        ; implicit-def: $vgpr1
	s_and_saveexec_b32 s2, vcc_lo
	s_xor_b32 s2, exec_lo, s2
; %bb.55:
	v_bfe_u32 v1, v0, 16, 1
	v_add3_u32 v1, v0, v1, 0x7fff
; %bb.56:
	s_andn2_saveexec_b32 s2, s2
; %bb.57:
	v_mov_b32_e32 v1, 0
	v_or_b32_e32 v2, 0x10000, v0
	v_cmp_eq_u32_sdwa vcc_lo, v0, v1 src0_sel:WORD_0 src1_sel:DWORD
	v_cndmask_b32_e32 v1, v2, v0, vcc_lo
; %bb.58:
	s_or_b32 exec_lo, exec_lo, s2
	s_mov_b32 s2, 0
	s_branch .LBB588_60
.LBB588_59:
	s_mov_b32 s2, -1
                                        ; implicit-def: $vgpr1
.LBB588_60:
	v_mul_lo_u32 v2, s18, v4
	s_andn2_b32 vcc_lo, exec_lo, s2
	v_ashrrev_i32_e32 v3, 31, v2
	s_cbranch_vccnz .LBB588_70
; %bb.61:
	v_lshlrev_b64 v[4:5], 1, v[2:3]
	v_add_co_u32 v4, vcc_lo, s7, v4
	v_add_co_ci_u32_e64 v5, null, s11, v5, vcc_lo
	flat_load_ushort v1, v[4:5]
	s_waitcnt vmcnt(0) lgkmcnt(0)
	v_lshlrev_b32_e32 v1, 16, v1
	v_mul_f32_e32 v1, s16, v1
	v_and_b32_e32 v4, 0x7f800000, v1
	v_cmp_ne_u32_e32 vcc_lo, 0x7f800000, v4
                                        ; implicit-def: $vgpr4
	s_and_saveexec_b32 s2, vcc_lo
	s_xor_b32 s2, exec_lo, s2
; %bb.62:
	v_bfe_u32 v4, v1, 16, 1
	v_add3_u32 v4, v1, v4, 0x7fff
                                        ; implicit-def: $vgpr1
; %bb.63:
	s_andn2_saveexec_b32 s2, s2
; %bb.64:
	v_mov_b32_e32 v4, 0
	v_or_b32_e32 v5, 0x10000, v1
	v_cmp_eq_u32_sdwa vcc_lo, v1, v4 src0_sel:WORD_0 src1_sel:DWORD
	v_cndmask_b32_e32 v4, v5, v1, vcc_lo
; %bb.65:
	s_or_b32 exec_lo, exec_lo, s2
	v_and_b32_e32 v1, 0xffff0000, v4
	v_add_f32_e32 v0, v0, v1
	v_and_b32_e32 v1, 0x7f800000, v0
	v_cmp_ne_u32_e32 vcc_lo, 0x7f800000, v1
                                        ; implicit-def: $vgpr1
	s_and_saveexec_b32 s2, vcc_lo
	s_xor_b32 s2, exec_lo, s2
; %bb.66:
	v_bfe_u32 v1, v0, 16, 1
	v_add3_u32 v1, v0, v1, 0x7fff
                                        ; implicit-def: $vgpr0
; %bb.67:
	s_andn2_saveexec_b32 s2, s2
; %bb.68:
	v_mov_b32_e32 v1, 0
	v_or_b32_e32 v4, 0x10000, v0
	v_cmp_eq_u32_sdwa vcc_lo, v0, v1 src0_sel:WORD_0 src1_sel:DWORD
	v_cndmask_b32_e32 v1, v4, v0, vcc_lo
; %bb.69:
	s_or_b32 exec_lo, exec_lo, s2
.LBB588_70:
	v_lshrrev_b32_e32 v5, 16, v1
	s_or_b32 s2, s17, exec_lo
.LBB588_71:
	s_or_b32 exec_lo, exec_lo, s1
	s_andn2_b32 s1, s17, exec_lo
	s_and_b32 s2, s2, exec_lo
	s_or_b32 s17, s1, s2
.LBB588_72:
	s_or_b32 exec_lo, exec_lo, s0
.LBB588_73:
	s_and_saveexec_b32 s0, s17
	s_cbranch_execz .LBB588_75
; %bb.74:
	v_lshlrev_b64 v[0:1], 1, v[2:3]
	v_add_co_u32 v0, vcc_lo, s7, v0
	v_add_co_ci_u32_e64 v1, null, s11, v1, vcc_lo
	flat_store_short v[0:1], v5
.LBB588_75:
	s_endpgm
	.section	.rodata,"a",@progbits
	.p2align	6, 0x0
	.amdhsa_kernel _ZL20rocblas_gemvn_kernelILi64ELi4EiPK16rocblas_bfloat16fKPS0_EviiT3_lPKT2_lT1_lS8_lS9_lS5_lPT4_lS9_li
		.amdhsa_group_segment_fixed_size 4096
		.amdhsa_private_segment_fixed_size 0
		.amdhsa_kernarg_size 400
		.amdhsa_user_sgpr_count 6
		.amdhsa_user_sgpr_private_segment_buffer 1
		.amdhsa_user_sgpr_dispatch_ptr 0
		.amdhsa_user_sgpr_queue_ptr 0
		.amdhsa_user_sgpr_kernarg_segment_ptr 1
		.amdhsa_user_sgpr_dispatch_id 0
		.amdhsa_user_sgpr_flat_scratch_init 0
		.amdhsa_user_sgpr_private_segment_size 0
		.amdhsa_wavefront_size32 1
		.amdhsa_uses_dynamic_stack 0
		.amdhsa_system_sgpr_private_segment_wavefront_offset 0
		.amdhsa_system_sgpr_workgroup_id_x 1
		.amdhsa_system_sgpr_workgroup_id_y 0
		.amdhsa_system_sgpr_workgroup_id_z 1
		.amdhsa_system_sgpr_workgroup_info 0
		.amdhsa_system_vgpr_workitem_id 1
		.amdhsa_next_free_vgpr 42
		.amdhsa_next_free_sgpr 28
		.amdhsa_reserve_vcc 1
		.amdhsa_reserve_flat_scratch 1
		.amdhsa_float_round_mode_32 0
		.amdhsa_float_round_mode_16_64 0
		.amdhsa_float_denorm_mode_32 3
		.amdhsa_float_denorm_mode_16_64 3
		.amdhsa_dx10_clamp 1
		.amdhsa_ieee_mode 1
		.amdhsa_fp16_overflow 0
		.amdhsa_workgroup_processor_mode 1
		.amdhsa_memory_ordered 1
		.amdhsa_forward_progress 1
		.amdhsa_shared_vgpr_count 0
		.amdhsa_exception_fp_ieee_invalid_op 0
		.amdhsa_exception_fp_denorm_src 0
		.amdhsa_exception_fp_ieee_div_zero 0
		.amdhsa_exception_fp_ieee_overflow 0
		.amdhsa_exception_fp_ieee_underflow 0
		.amdhsa_exception_fp_ieee_inexact 0
		.amdhsa_exception_int_div_zero 0
	.end_amdhsa_kernel
	.section	.text._ZL20rocblas_gemvn_kernelILi64ELi4EiPK16rocblas_bfloat16fKPS0_EviiT3_lPKT2_lT1_lS8_lS9_lS5_lPT4_lS9_li,"axG",@progbits,_ZL20rocblas_gemvn_kernelILi64ELi4EiPK16rocblas_bfloat16fKPS0_EviiT3_lPKT2_lT1_lS8_lS9_lS5_lPT4_lS9_li,comdat
.Lfunc_end588:
	.size	_ZL20rocblas_gemvn_kernelILi64ELi4EiPK16rocblas_bfloat16fKPS0_EviiT3_lPKT2_lT1_lS8_lS9_lS5_lPT4_lS9_li, .Lfunc_end588-_ZL20rocblas_gemvn_kernelILi64ELi4EiPK16rocblas_bfloat16fKPS0_EviiT3_lPKT2_lT1_lS8_lS9_lS5_lPT4_lS9_li
                                        ; -- End function
	.set _ZL20rocblas_gemvn_kernelILi64ELi4EiPK16rocblas_bfloat16fKPS0_EviiT3_lPKT2_lT1_lS8_lS9_lS5_lPT4_lS9_li.num_vgpr, 42
	.set _ZL20rocblas_gemvn_kernelILi64ELi4EiPK16rocblas_bfloat16fKPS0_EviiT3_lPKT2_lT1_lS8_lS9_lS5_lPT4_lS9_li.num_agpr, 0
	.set _ZL20rocblas_gemvn_kernelILi64ELi4EiPK16rocblas_bfloat16fKPS0_EviiT3_lPKT2_lT1_lS8_lS9_lS5_lPT4_lS9_li.numbered_sgpr, 28
	.set _ZL20rocblas_gemvn_kernelILi64ELi4EiPK16rocblas_bfloat16fKPS0_EviiT3_lPKT2_lT1_lS8_lS9_lS5_lPT4_lS9_li.num_named_barrier, 0
	.set _ZL20rocblas_gemvn_kernelILi64ELi4EiPK16rocblas_bfloat16fKPS0_EviiT3_lPKT2_lT1_lS8_lS9_lS5_lPT4_lS9_li.private_seg_size, 0
	.set _ZL20rocblas_gemvn_kernelILi64ELi4EiPK16rocblas_bfloat16fKPS0_EviiT3_lPKT2_lT1_lS8_lS9_lS5_lPT4_lS9_li.uses_vcc, 1
	.set _ZL20rocblas_gemvn_kernelILi64ELi4EiPK16rocblas_bfloat16fKPS0_EviiT3_lPKT2_lT1_lS8_lS9_lS5_lPT4_lS9_li.uses_flat_scratch, 1
	.set _ZL20rocblas_gemvn_kernelILi64ELi4EiPK16rocblas_bfloat16fKPS0_EviiT3_lPKT2_lT1_lS8_lS9_lS5_lPT4_lS9_li.has_dyn_sized_stack, 0
	.set _ZL20rocblas_gemvn_kernelILi64ELi4EiPK16rocblas_bfloat16fKPS0_EviiT3_lPKT2_lT1_lS8_lS9_lS5_lPT4_lS9_li.has_recursion, 0
	.set _ZL20rocblas_gemvn_kernelILi64ELi4EiPK16rocblas_bfloat16fKPS0_EviiT3_lPKT2_lT1_lS8_lS9_lS5_lPT4_lS9_li.has_indirect_call, 0
	.section	.AMDGPU.csdata,"",@progbits
; Kernel info:
; codeLenInByte = 3188
; TotalNumSgprs: 30
; NumVgprs: 42
; ScratchSize: 0
; MemoryBound: 0
; FloatMode: 240
; IeeeMode: 1
; LDSByteSize: 4096 bytes/workgroup (compile time only)
; SGPRBlocks: 0
; VGPRBlocks: 5
; NumSGPRsForWavesPerEU: 30
; NumVGPRsForWavesPerEU: 42
; Occupancy: 16
; WaveLimiterHint : 1
; COMPUTE_PGM_RSRC2:SCRATCH_EN: 0
; COMPUTE_PGM_RSRC2:USER_SGPR: 6
; COMPUTE_PGM_RSRC2:TRAP_HANDLER: 0
; COMPUTE_PGM_RSRC2:TGID_X_EN: 1
; COMPUTE_PGM_RSRC2:TGID_Y_EN: 0
; COMPUTE_PGM_RSRC2:TGID_Z_EN: 1
; COMPUTE_PGM_RSRC2:TIDIG_COMP_CNT: 1
	.section	.text._ZL20rocblas_gemvn_kernelILi64ELi4ElPK16rocblas_bfloat16fKPS0_EviiT3_lPKT2_lT1_lS8_lS9_lS5_lPT4_lS9_li,"axG",@progbits,_ZL20rocblas_gemvn_kernelILi64ELi4ElPK16rocblas_bfloat16fKPS0_EviiT3_lPKT2_lT1_lS8_lS9_lS5_lPT4_lS9_li,comdat
	.globl	_ZL20rocblas_gemvn_kernelILi64ELi4ElPK16rocblas_bfloat16fKPS0_EviiT3_lPKT2_lT1_lS8_lS9_lS5_lPT4_lS9_li ; -- Begin function _ZL20rocblas_gemvn_kernelILi64ELi4ElPK16rocblas_bfloat16fKPS0_EviiT3_lPKT2_lT1_lS8_lS9_lS5_lPT4_lS9_li
	.p2align	8
	.type	_ZL20rocblas_gemvn_kernelILi64ELi4ElPK16rocblas_bfloat16fKPS0_EviiT3_lPKT2_lT1_lS8_lS9_lS5_lPT4_lS9_li,@function
_ZL20rocblas_gemvn_kernelILi64ELi4ElPK16rocblas_bfloat16fKPS0_EviiT3_lPKT2_lT1_lS8_lS9_lS5_lPT4_lS9_li: ; @_ZL20rocblas_gemvn_kernelILi64ELi4ElPK16rocblas_bfloat16fKPS0_EviiT3_lPKT2_lT1_lS8_lS9_lS5_lPT4_lS9_li
; %bb.0:
	s_load_dwordx2 s[0:1], s[4:5], 0x9c
	s_waitcnt lgkmcnt(0)
	s_lshr_b32 s2, s0, 16
	s_and_b32 s0, s0, 0xffff
	s_and_b32 s1, s1, 0xffff
	s_mul_i32 s0, s2, s0
	s_mul_i32 s0, s0, s1
	s_cmpk_lg_i32 s0, 0x100
	s_cbranch_scc1 .LBB589_75
; %bb.1:
	s_clause 0x1
	s_load_dwordx4 s[8:11], s[4:5], 0x0
	s_load_dword s26, s[4:5], 0x58
	s_mov_b32 s20, s7
	s_mov_b32 s21, 0
	s_waitcnt lgkmcnt(0)
	v_cmp_eq_f32_e64 s7, s10, 0
	v_cmp_eq_f32_e64 s0, s26, 1.0
	s_and_b32 s0, s7, s0
	s_and_b32 vcc_lo, exec_lo, s0
	s_cbranch_vccnz .LBB589_75
; %bb.2:
	s_clause 0x1
	s_load_dwordx4 s[0:3], s[4:5], 0x18
	s_load_dwordx2 s[14:15], s[4:5], 0x28
	v_cmp_neq_f32_e64 s11, s10, 0
	s_and_b32 vcc_lo, exec_lo, s11
	s_cbranch_vccnz .LBB589_4
; %bb.3:
	s_mov_b32 s13, 0
	s_mov_b32 s12, s20
	;; [unrolled: 1-line block ×3, first 2 shown]
	s_mov_b64 s[18:19], 0
	s_andn2_b32 vcc_lo, exec_lo, s16
	s_mov_b64 s[16:17], 0
	s_cbranch_vccz .LBB589_5
	s_branch .LBB589_6
.LBB589_4:
	s_mov_b64 s[12:13], s[20:21]
	s_mov_b64 s[18:19], 0
	;; [unrolled: 1-line block ×3, first 2 shown]
.LBB589_5:
	s_lshl_b64 s[16:17], s[20:21], 3
	s_waitcnt lgkmcnt(0)
	s_add_u32 s0, s0, s16
	s_addc_u32 s1, s1, s17
	s_lshl_b64 s[2:3], s[2:3], 1
	s_load_dwordx2 s[0:1], s[0:1], 0x0
	s_waitcnt lgkmcnt(0)
	s_add_u32 s16, s0, s2
	s_addc_u32 s17, s1, s3
.LBB589_6:
	s_waitcnt lgkmcnt(0)
	s_clause 0x1
	s_load_dwordx4 s[0:3], s[4:5], 0x38
	s_load_dwordx2 s[20:21], s[4:5], 0x48
	s_andn2_b32 vcc_lo, exec_lo, s11
	s_cbranch_vccnz .LBB589_8
; %bb.7:
	s_lshl_b64 s[18:19], s[12:13], 3
	s_waitcnt lgkmcnt(0)
	s_add_u32 s0, s0, s18
	s_addc_u32 s1, s1, s19
	s_lshl_b64 s[2:3], s[2:3], 1
	s_load_dwordx2 s[0:1], s[0:1], 0x0
	s_waitcnt lgkmcnt(0)
	s_add_u32 s18, s0, s2
	s_addc_u32 s19, s1, s3
.LBB589_8:
	s_waitcnt lgkmcnt(0)
	s_load_dwordx4 s[0:3], s[4:5], 0x68
	s_lshl_b64 s[22:23], s[12:13], 3
	s_load_dwordx2 s[12:13], s[4:5], 0x78
	v_lshlrev_b32_e32 v22, 6, v1
	v_add_nc_u32_e32 v21, v22, v0
	s_waitcnt lgkmcnt(0)
	s_add_u32 s0, s0, s22
	s_addc_u32 s1, s1, s23
	s_lshl_b64 s[2:3], s[2:3], 1
	s_load_dwordx2 s[22:23], s[0:1], 0x0
	v_cmp_gt_u32_e64 s0, 0x100, v21
	s_waitcnt lgkmcnt(0)
	s_add_u32 s5, s22, s2
	s_addc_u32 s11, s23, s3
	s_andn2_b32 vcc_lo, exec_lo, s7
	s_cbranch_vccnz .LBB589_19
; %bb.9:
	s_mov_b32 s1, 0
	s_mov_b32 s27, 0
                                        ; implicit-def: $vgpr5
                                        ; implicit-def: $vgpr2_vgpr3
	s_and_saveexec_b32 s2, s0
	s_cbranch_execz .LBB589_20
; %bb.10:
	v_lshl_or_b32 v4, s6, 8, v21
	v_mov_b32_e32 v5, 0
	s_ashr_i32 s23, s8, 31
	s_mov_b32 s22, s8
	s_mov_b32 s3, 0
	s_mov_b32 s0, exec_lo
                                        ; implicit-def: $vgpr2_vgpr3
	v_cmpx_gt_i64_e64 s[22:23], v[4:5]
	s_cbranch_execz .LBB589_18
; %bb.11:
	v_mad_u64_u32 v[2:3], null, s12, v4, 0
	v_cmp_eq_f32_e64 s3, s26, 0
	s_and_b32 vcc_lo, exec_lo, s3
	v_mad_u64_u32 v[3:4], null, s13, v4, v[3:4]
	s_cbranch_vccnz .LBB589_17
; %bb.12:
	v_lshlrev_b64 v[4:5], 1, v[2:3]
	v_add_co_u32 v4, vcc_lo, s5, v4
	v_add_co_ci_u32_e64 v5, null, s11, v5, vcc_lo
	flat_load_ushort v4, v[4:5]
	s_waitcnt vmcnt(0) lgkmcnt(0)
	v_lshlrev_b32_e32 v4, 16, v4
	v_mul_f32_e32 v4, s26, v4
	v_and_b32_e32 v5, 0x7f800000, v4
	v_cmp_ne_u32_e32 vcc_lo, 0x7f800000, v5
                                        ; implicit-def: $vgpr5
	s_and_saveexec_b32 s3, vcc_lo
	s_xor_b32 s3, exec_lo, s3
; %bb.13:
	v_bfe_u32 v5, v4, 16, 1
	v_add3_u32 v5, v4, v5, 0x7fff
                                        ; implicit-def: $vgpr4
; %bb.14:
	s_andn2_saveexec_b32 s3, s3
; %bb.15:
	v_mov_b32_e32 v5, 0
	v_or_b32_e32 v6, 0x10000, v4
	v_cmp_eq_u32_sdwa vcc_lo, v4, v5 src0_sel:WORD_0 src1_sel:DWORD
	v_cndmask_b32_e32 v5, v6, v4, vcc_lo
; %bb.16:
	s_or_b32 exec_lo, exec_lo, s3
	v_lshrrev_b32_e32 v5, 16, v5
.LBB589_17:
	s_mov_b32 s3, exec_lo
.LBB589_18:
	s_or_b32 exec_lo, exec_lo, s0
	s_and_b32 s27, s3, exec_lo
	s_or_b32 exec_lo, exec_lo, s2
	s_and_b32 vcc_lo, exec_lo, s1
	s_cbranch_vccnz .LBB589_21
	s_branch .LBB589_73
.LBB589_19:
	s_mov_b32 s27, 0
                                        ; implicit-def: $vgpr5
                                        ; implicit-def: $vgpr2_vgpr3
	s_cbranch_execnz .LBB589_21
	s_branch .LBB589_73
.LBB589_20:
	s_or_b32 exec_lo, exec_lo, s2
	s_and_b32 vcc_lo, exec_lo, s1
	s_cbranch_vccz .LBB589_73
.LBB589_21:
	s_ashr_i32 s0, s9, 31
	s_lshl_b32 s28, s6, 8
	s_lshr_b32 s0, s0, 28
	v_lshlrev_b32_e32 v27, 2, v1
	v_mov_b32_e32 v23, 0
	v_or_b32_e32 v2, s28, v0
	v_mov_b32_e32 v24, 0
	v_mov_b32_e32 v25, 0
	;; [unrolled: 1-line block ×3, first 2 shown]
	s_add_i32 s0, s9, s0
	s_mov_b32 s30, exec_lo
	s_and_b32 s29, s0, -16
	v_cmpx_gt_i32_e64 s29, v27
	s_cbranch_execz .LBB589_33
; %bb.22:
	v_lshlrev_b32_e32 v25, 2, v1
	v_add_nc_u32_e32 v4, 64, v2
	v_mad_u64_u32 v[7:8], null, s20, v1, 0
	v_mad_u64_u32 v[9:10], null, s14, v1, 0
	v_or_b32_e32 v26, 3, v25
	v_add_nc_u32_e32 v11, 0x80, v2
	v_add_nc_u32_e32 v12, 0xc0, v2
	v_cmp_gt_i32_e64 s0, s8, v4
	v_or_b32_e32 v32, 2, v25
	v_mad_u64_u32 v[5:6], null, s14, v26, 0
	v_cmp_gt_i32_e64 s1, s8, v11
	v_cmp_gt_i32_e64 s2, s8, v12
	v_mad_u64_u32 v[16:17], null, s14, v32, 0
	v_mad_u64_u32 v[18:19], null, s20, v26, 0
	v_mov_b32_e32 v4, v6
	v_mov_b32_e32 v6, v8
	;; [unrolled: 1-line block ×3, first 2 shown]
	v_ashrrev_i32_e32 v3, 31, v2
	s_lshl_b64 s[6:7], s[14:15], 5
	v_mad_u64_u32 v[11:12], null, s15, v26, v[4:5]
	v_mad_u64_u32 v[12:13], null, s21, v1, v[6:7]
	;; [unrolled: 1-line block ×4, first 2 shown]
	v_mov_b32_e32 v6, v11
	v_lshlrev_b64 v[3:4], 1, v[2:3]
	v_mov_b32_e32 v8, v12
	s_lshl_b64 s[22:23], s[20:21], 5
	v_mov_b32_e32 v10, v13
	v_lshlrev_b64 v[11:12], 1, v[5:6]
	s_mov_b32 s31, 0
	v_lshlrev_b64 v[5:6], 3, v[7:8]
	v_mov_b32_e32 v7, v17
	v_mov_b32_e32 v8, v15
	v_lshlrev_b64 v[9:10], 3, v[9:10]
	v_add_co_u32 v28, s3, s16, v11
	v_add_co_ci_u32_e64 v29, null, s17, v12, s3
	v_mad_u64_u32 v[11:12], null, s14, v25, s[14:15]
	v_mad_u64_u32 v[23:24], null, s15, v32, v[7:8]
	v_mov_b32_e32 v7, v19
	v_mad_u64_u32 v[19:20], null, s21, v25, v[8:9]
	v_add_co_u32 v30, s3, s16, v9
	v_mad_u64_u32 v[7:8], null, s21, v26, v[7:8]
	v_mov_b32_e32 v8, v12
	v_mov_b32_e32 v17, v23
	v_mad_u64_u32 v[23:24], null, s20, v32, 0
	v_mov_b32_e32 v15, v19
	v_mad_u64_u32 v[12:13], null, s15, v25, v[8:9]
	v_lshlrev_b64 v[16:17], 1, v[16:17]
	v_mov_b32_e32 v19, v7
	v_add_co_ci_u32_e64 v31, null, s17, v10, s3
	v_mov_b32_e32 v8, v24
	v_mov_b32_e32 v26, 0
	v_lshlrev_b64 v[11:12], 1, v[11:12]
	s_mov_b64 s[24:25], s[18:19]
	v_cmp_gt_i32_e32 vcc_lo, s8, v2
	v_mad_u64_u32 v[24:25], null, s21, v32, v[8:9]
	v_add_co_u32 v32, s3, s16, v16
	v_add_co_ci_u32_e64 v33, null, s17, v17, s3
	v_add_co_u32 v34, s3, s16, v11
	v_lshlrev_b64 v[7:8], 1, v[14:15]
	v_lshlrev_b64 v[9:10], 1, v[18:19]
	v_add_co_ci_u32_e64 v35, null, s17, v12, s3
	v_lshlrev_b64 v[11:12], 1, v[23:24]
	v_mov_b32_e32 v23, 0
	v_mov_b32_e32 v24, 0
	v_mov_b32_e32 v25, 0
	s_branch .LBB589_27
.LBB589_23:                             ;   in Loop: Header=BB589_27 Depth=1
	s_or_b32 exec_lo, exec_lo, s34
	s_waitcnt vmcnt(3) lgkmcnt(3)
	v_lshlrev_b32_e32 v13, 16, v51
	s_waitcnt vmcnt(2) lgkmcnt(2)
	v_lshlrev_b32_e32 v14, 16, v50
	v_fmac_f32_e32 v25, v43, v13
	s_waitcnt vmcnt(1) lgkmcnt(1)
	v_lshlrev_b32_e32 v13, 16, v49
	v_fmac_f32_e32 v25, v39, v14
	v_fmac_f32_e32 v25, v41, v13
	s_waitcnt vmcnt(0) lgkmcnt(0)
	v_lshlrev_b32_e32 v13, 16, v48
	v_fmac_f32_e32 v25, v37, v13
.LBB589_24:                             ;   in Loop: Header=BB589_27 Depth=1
	s_or_b32 exec_lo, exec_lo, s33
	s_waitcnt vmcnt(3) lgkmcnt(3)
	v_lshlrev_b32_e32 v13, 16, v47
	s_waitcnt vmcnt(2) lgkmcnt(2)
	v_lshlrev_b32_e32 v14, 16, v46
	v_fmac_f32_e32 v24, v43, v13
	s_waitcnt vmcnt(1) lgkmcnt(1)
	v_lshlrev_b32_e32 v13, 16, v45
	v_fmac_f32_e32 v24, v39, v14
	v_fmac_f32_e32 v24, v41, v13
	s_waitcnt vmcnt(0) lgkmcnt(0)
	v_lshlrev_b32_e32 v13, 16, v44
	v_fmac_f32_e32 v24, v37, v13
.LBB589_25:                             ;   in Loop: Header=BB589_27 Depth=1
	s_or_b32 exec_lo, exec_lo, s3
	s_waitcnt vmcnt(3) lgkmcnt(3)
	v_lshlrev_b32_e32 v13, 16, v42
	s_waitcnt vmcnt(2) lgkmcnt(2)
	v_lshlrev_b32_e32 v14, 16, v40
	v_fmac_f32_e32 v23, v43, v13
	s_waitcnt vmcnt(1) lgkmcnt(1)
	v_lshlrev_b32_e32 v13, 16, v38
	v_fmac_f32_e32 v23, v39, v14
	v_fmac_f32_e32 v23, v41, v13
	s_waitcnt vmcnt(0) lgkmcnt(0)
	v_lshlrev_b32_e32 v13, 16, v36
	v_fmac_f32_e32 v23, v37, v13
.LBB589_26:                             ;   in Loop: Header=BB589_27 Depth=1
	s_or_b32 exec_lo, exec_lo, s4
	v_add_co_u32 v28, s3, v28, s6
	v_add_nc_u32_e32 v27, 16, v27
	v_add_co_ci_u32_e64 v29, null, s7, v29, s3
	v_add_co_u32 v30, s3, v30, s6
	v_add_co_ci_u32_e64 v31, null, s7, v31, s3
	v_add_co_u32 v32, s3, v32, s6
	v_add_co_ci_u32_e64 v33, null, s7, v33, s3
	v_cmp_le_i32_e64 s3, s29, v27
	v_add_co_u32 v34, s4, v34, s6
	v_add_co_ci_u32_e64 v35, null, s7, v35, s4
	s_add_u32 s24, s24, s22
	s_addc_u32 s25, s25, s23
	s_or_b32 s31, s3, s31
	s_andn2_b32 exec_lo, exec_lo, s31
	s_cbranch_execz .LBB589_32
.LBB589_27:                             ; =>This Inner Loop Header: Depth=1
	s_and_saveexec_b32 s4, vcc_lo
	s_cbranch_execz .LBB589_26
; %bb.28:                               ;   in Loop: Header=BB589_27 Depth=1
	v_add_co_u32 v13, s3, s24, v5
	v_add_co_ci_u32_e64 v14, null, s25, v6, s3
	v_add_co_u32 v15, s3, s24, v7
	v_add_co_ci_u32_e64 v16, null, s25, v8, s3
	;; [unrolled: 2-line block ×4, first 2 shown]
	s_clause 0x3
	flat_load_ushort v37, v[13:14]
	flat_load_ushort v39, v[15:16]
	;; [unrolled: 1-line block ×4, first 2 shown]
	v_add_co_u32 v13, s3, v30, v3
	v_add_co_ci_u32_e64 v14, null, v31, v4, s3
	v_add_co_u32 v17, s3, v34, v3
	v_add_co_ci_u32_e64 v18, null, v35, v4, s3
	;; [unrolled: 2-line block ×4, first 2 shown]
	flat_load_ushort v42, v[13:14]
	flat_load_ushort v40, v[17:18]
	;; [unrolled: 1-line block ×4, first 2 shown]
	s_waitcnt vmcnt(7) lgkmcnt(7)
	v_lshlrev_b32_e32 v43, 16, v37
	s_waitcnt vmcnt(6) lgkmcnt(6)
	v_lshlrev_b32_e32 v39, 16, v39
	;; [unrolled: 2-line block ×4, first 2 shown]
	s_and_saveexec_b32 s3, s0
	s_cbranch_execz .LBB589_25
; %bb.29:                               ;   in Loop: Header=BB589_27 Depth=1
	flat_load_ushort v47, v[13:14] offset:128
	flat_load_ushort v46, v[17:18] offset:128
	flat_load_ushort v45, v[15:16] offset:128
	flat_load_ushort v44, v[19:20] offset:128
	s_and_saveexec_b32 s33, s1
	s_cbranch_execz .LBB589_24
; %bb.30:                               ;   in Loop: Header=BB589_27 Depth=1
	flat_load_ushort v51, v[13:14] offset:256
	flat_load_ushort v50, v[17:18] offset:256
	flat_load_ushort v49, v[15:16] offset:256
	flat_load_ushort v48, v[19:20] offset:256
	;; [unrolled: 7-line block ×3, first 2 shown]
	s_waitcnt vmcnt(3) lgkmcnt(3)
	v_lshlrev_b32_e32 v13, 16, v13
	s_waitcnt vmcnt(2) lgkmcnt(2)
	v_lshlrev_b32_e32 v14, 16, v14
	v_fmac_f32_e32 v26, v43, v13
	s_waitcnt vmcnt(1) lgkmcnt(1)
	v_lshlrev_b32_e32 v13, 16, v15
	v_fmac_f32_e32 v26, v39, v14
	;; [unrolled: 3-line block ×3, first 2 shown]
	v_fmac_f32_e32 v26, v37, v14
	s_branch .LBB589_23
.LBB589_32:
	s_or_b32 exec_lo, exec_lo, s31
.LBB589_33:
	s_or_b32 exec_lo, exec_lo, s30
	s_sub_i32 s0, s9, s29
	s_cmp_lt_i32 s0, 1
	s_cbranch_scc1 .LBB589_51
; %bb.34:
	v_cmp_gt_i32_e32 vcc_lo, s9, v27
	v_mov_b32_e32 v12, 0
	v_or_b32_e32 v4, 1, v27
	v_mov_b32_e32 v11, 0
	v_mov_b32_e32 v14, 0
	;; [unrolled: 1-line block ×3, first 2 shown]
	s_and_saveexec_b32 s1, vcc_lo
	s_cbranch_execz .LBB589_42
; %bb.35:
	v_mad_u64_u32 v[5:6], null, s20, v27, 0
	v_mov_b32_e32 v13, 0
	v_mov_b32_e32 v11, 0
	;; [unrolled: 1-line block ×3, first 2 shown]
	s_mov_b32 s2, exec_lo
	v_mov_b32_e32 v3, v6
	v_mad_u64_u32 v[6:7], null, s21, v27, v[3:4]
	v_lshlrev_b64 v[5:6], 1, v[5:6]
	v_add_co_u32 v5, s0, s18, v5
	v_add_co_ci_u32_e64 v6, null, s19, v6, s0
	flat_load_ushort v3, v[5:6]
	v_cmpx_gt_i32_e64 s9, v4
	s_cbranch_execz .LBB589_41
; %bb.36:
	v_mad_u64_u32 v[5:6], null, s20, v4, 0
	v_mov_b32_e32 v11, 0
	v_mov_b32_e32 v12, 0
	s_mov_b32 s3, exec_lo
	v_mad_u64_u32 v[6:7], null, s21, v4, v[6:7]
	v_lshlrev_b64 v[5:6], 1, v[5:6]
	v_add_co_u32 v5, s0, s18, v5
	v_add_co_ci_u32_e64 v6, null, s19, v6, s0
	flat_load_ushort v5, v[5:6]
	v_or_b32_e32 v6, 2, v27
	v_cmpx_gt_i32_e64 s9, v6
	s_cbranch_execz .LBB589_40
; %bb.37:
	v_mad_u64_u32 v[7:8], null, s20, v6, 0
	v_mov_b32_e32 v11, 0
	s_mov_b32 s4, exec_lo
	v_mad_u64_u32 v[8:9], null, s21, v6, v[8:9]
	v_lshlrev_b64 v[6:7], 1, v[7:8]
	v_add_co_u32 v6, s0, s18, v6
	v_add_co_ci_u32_e64 v7, null, s19, v7, s0
	flat_load_ushort v6, v[6:7]
	v_or_b32_e32 v7, 3, v27
	v_cmpx_gt_i32_e64 s9, v7
	s_cbranch_execz .LBB589_39
; %bb.38:
	v_mad_u64_u32 v[8:9], null, s20, v7, 0
	v_mad_u64_u32 v[9:10], null, s21, v7, v[9:10]
	v_lshlrev_b64 v[7:8], 1, v[8:9]
	v_add_co_u32 v7, s0, s18, v7
	v_add_co_ci_u32_e64 v8, null, s19, v8, s0
	flat_load_ushort v7, v[7:8]
	s_waitcnt vmcnt(0) lgkmcnt(0)
	v_lshlrev_b32_e32 v11, 16, v7
.LBB589_39:
	s_or_b32 exec_lo, exec_lo, s4
	s_waitcnt vmcnt(0) lgkmcnt(0)
	v_lshlrev_b32_e32 v12, 16, v6
.LBB589_40:
	s_or_b32 exec_lo, exec_lo, s3
	s_waitcnt vmcnt(0) lgkmcnt(0)
	v_lshlrev_b32_e32 v13, 16, v5
.LBB589_41:
	s_or_b32 exec_lo, exec_lo, s2
	s_waitcnt vmcnt(0) lgkmcnt(0)
	v_lshlrev_b32_e32 v14, 16, v3
.LBB589_42:
	s_or_b32 exec_lo, exec_lo, s1
	s_mov_b32 s1, exec_lo
	v_cmpx_gt_i32_e64 s8, v2
	s_cbranch_execz .LBB589_50
; %bb.43:
	v_mad_u64_u32 v[5:6], null, s14, v27, 0
	v_mad_u64_u32 v[7:8], null, s14, v4, 0
	v_ashrrev_i32_e32 v3, 31, v2
	v_or_b32_e32 v20, 2, v27
	v_or_b32_e32 v29, 3, v27
	v_cndmask_b32_e32 v5, 0, v5, vcc_lo
	v_lshlrev_b64 v[9:10], 1, v[2:3]
	v_mad_u64_u32 v[15:16], null, s15, v27, v[6:7]
	v_mov_b32_e32 v3, v8
	v_mad_u64_u32 v[16:17], null, s14, v20, 0
	v_mad_u64_u32 v[18:19], null, s14, v29, 0
	;; [unrolled: 1-line block ×3, first 2 shown]
	v_cndmask_b32_e32 v6, 0, v15, vcc_lo
	v_cmp_gt_i32_e32 vcc_lo, s9, v4
	v_mov_b32_e32 v3, v17
	v_cmp_gt_i32_e64 s0, s9, v20
	v_mov_b32_e32 v8, v19
	v_cndmask_b32_e32 v4, 0, v7, vcc_lo
	v_lshlrev_b64 v[6:7], 1, v[5:6]
	v_cndmask_b32_e32 v5, 0, v27, vcc_lo
	v_mad_u64_u32 v[19:20], null, s15, v20, v[3:4]
	v_add_co_u32 v3, vcc_lo, s16, v6
	v_add_co_ci_u32_e64 v7, null, s17, v7, vcc_lo
	v_lshlrev_b64 v[5:6], 1, v[4:5]
	v_add_co_u32 v3, vcc_lo, v3, v9
	v_add_co_ci_u32_e64 v4, null, v7, v10, vcc_lo
	v_cndmask_b32_e64 v7, 0, v16, s0
	v_mad_u64_u32 v[15:16], null, s15, v29, v[8:9]
	v_add_co_u32 v5, vcc_lo, s16, v5
	v_add_co_ci_u32_e64 v6, null, s17, v6, vcc_lo
	v_cmp_gt_i32_e32 vcc_lo, s9, v29
	v_cndmask_b32_e64 v8, 0, v19, s0
	v_add_co_u32 v5, s0, v5, v9
	v_add_co_ci_u32_e64 v6, null, v6, v10, s0
	v_cndmask_b32_e32 v16, 0, v18, vcc_lo
	v_cndmask_b32_e32 v17, 0, v15, vcc_lo
	v_lshlrev_b64 v[7:8], 1, v[7:8]
	s_clause 0x1
	flat_load_ushort v18, v[3:4]
	flat_load_ushort v19, v[5:6]
	s_mov_b32 s0, exec_lo
	v_lshlrev_b64 v[15:16], 1, v[16:17]
	v_add_co_u32 v7, vcc_lo, s16, v7
	v_add_co_ci_u32_e64 v8, null, s17, v8, vcc_lo
	v_add_co_u32 v15, vcc_lo, s16, v15
	v_add_co_ci_u32_e64 v16, null, s17, v16, vcc_lo
	v_add_co_u32 v7, vcc_lo, v7, v9
	v_add_co_ci_u32_e64 v8, null, v8, v10, vcc_lo
	v_add_co_u32 v9, vcc_lo, v15, v9
	v_add_co_ci_u32_e64 v10, null, v16, v10, vcc_lo
	s_clause 0x1
	flat_load_ushort v15, v[7:8]
	flat_load_ushort v16, v[9:10]
	s_waitcnt vmcnt(3) lgkmcnt(3)
	v_lshlrev_b32_e32 v17, 16, v18
	s_waitcnt vmcnt(2) lgkmcnt(2)
	v_lshlrev_b32_e32 v18, 16, v19
	v_fmac_f32_e32 v23, v14, v17
	v_fmac_f32_e32 v23, v13, v18
	v_add_nc_u32_e32 v18, 64, v2
	s_waitcnt vmcnt(1) lgkmcnt(1)
	v_lshlrev_b32_e32 v17, 16, v15
	s_waitcnt vmcnt(0) lgkmcnt(0)
	v_lshlrev_b32_e32 v15, 16, v16
	v_fmac_f32_e32 v23, v12, v17
	v_cmpx_gt_i32_e64 s8, v18
	s_cbranch_execz .LBB589_49
; %bb.44:
	s_clause 0x3
	flat_load_ushort v16, v[3:4] offset:128
	flat_load_ushort v17, v[5:6] offset:128
	;; [unrolled: 1-line block ×4, first 2 shown]
	s_mov_b32 s2, exec_lo
	s_waitcnt vmcnt(3) lgkmcnt(3)
	v_lshlrev_b32_e32 v16, 16, v16
	s_waitcnt vmcnt(2) lgkmcnt(2)
	v_lshlrev_b32_e32 v17, 16, v17
	;; [unrolled: 2-line block ×3, first 2 shown]
	v_fmac_f32_e32 v24, v14, v16
	s_waitcnt vmcnt(0) lgkmcnt(0)
	v_lshlrev_b32_e32 v16, 16, v19
	v_fmac_f32_e32 v24, v13, v17
	v_add_nc_u32_e32 v17, 0x80, v2
	v_fmac_f32_e32 v24, v12, v18
	v_cmpx_gt_i32_e64 s8, v17
	s_cbranch_execz .LBB589_48
; %bb.45:
	s_clause 0x3
	flat_load_ushort v17, v[3:4] offset:256
	flat_load_ushort v18, v[5:6] offset:256
	;; [unrolled: 1-line block ×4, first 2 shown]
	s_mov_b32 s3, exec_lo
	s_waitcnt vmcnt(3) lgkmcnt(3)
	v_lshlrev_b32_e32 v17, 16, v17
	s_waitcnt vmcnt(2) lgkmcnt(2)
	v_lshlrev_b32_e32 v18, 16, v18
	v_fmac_f32_e32 v25, v14, v17
	s_waitcnt vmcnt(1) lgkmcnt(1)
	v_lshlrev_b32_e32 v17, 16, v19
	v_fmac_f32_e32 v25, v13, v18
	v_add_nc_u32_e32 v18, 0xc0, v2
	s_waitcnt vmcnt(0) lgkmcnt(0)
	v_lshlrev_b32_e32 v2, 16, v20
	v_fmac_f32_e32 v25, v12, v17
	v_cmpx_gt_i32_e64 s8, v18
	s_cbranch_execz .LBB589_47
; %bb.46:
	s_clause 0x3
	flat_load_ushort v3, v[3:4] offset:384
	flat_load_ushort v4, v[5:6] offset:384
	;; [unrolled: 1-line block ×4, first 2 shown]
	s_waitcnt vmcnt(3) lgkmcnt(3)
	v_lshlrev_b32_e32 v3, 16, v3
	s_waitcnt vmcnt(2) lgkmcnt(2)
	v_lshlrev_b32_e32 v4, 16, v4
	v_fmac_f32_e32 v26, v14, v3
	s_waitcnt vmcnt(1) lgkmcnt(1)
	v_lshlrev_b32_e32 v3, 16, v5
	v_fmac_f32_e32 v26, v13, v4
	;; [unrolled: 3-line block ×3, first 2 shown]
	v_fmac_f32_e32 v26, v11, v4
.LBB589_47:
	s_or_b32 exec_lo, exec_lo, s3
	v_fmac_f32_e32 v25, v11, v2
.LBB589_48:
	s_or_b32 exec_lo, exec_lo, s2
	v_fmac_f32_e32 v24, v11, v16
.LBB589_49:
	s_or_b32 exec_lo, exec_lo, s0
	v_fmac_f32_e32 v23, v11, v15
.LBB589_50:
	s_or_b32 exec_lo, exec_lo, s1
.LBB589_51:
	v_lshlrev_b32_e32 v0, 2, v0
	s_mov_b32 s0, exec_lo
                                        ; implicit-def: $vgpr5
                                        ; implicit-def: $vgpr2_vgpr3
	v_lshl_or_b32 v1, v1, 10, v0
	ds_write2st64_b32 v1, v23, v24 offset1:1
	ds_write2st64_b32 v1, v25, v26 offset0:2 offset1:3
	s_waitcnt lgkmcnt(0)
	s_barrier
	buffer_gl0_inv
	v_cmpx_gt_u32_e32 0x100, v21
	s_cbranch_execz .LBB589_72
; %bb.52:
	v_lshl_add_u32 v4, v22, 2, v0
	s_mov_b32 s2, s27
	s_mov_b32 s1, exec_lo
                                        ; implicit-def: $vgpr5
	ds_read2st64_b32 v[0:1], v4 offset1:4
	ds_read2st64_b32 v[2:3], v4 offset0:8 offset1:12
	s_waitcnt lgkmcnt(1)
	v_add_f32_e32 v0, v0, v1
	s_waitcnt lgkmcnt(0)
	v_add_f32_e32 v1, v2, v0
	v_or_b32_e32 v0, s28, v21
	v_add_f32_e32 v1, v3, v1
                                        ; implicit-def: $vgpr2_vgpr3
	ds_write_b32 v4, v1
	v_cmpx_gt_i32_e64 s8, v0
	s_cbranch_execz .LBB589_71
; %bb.53:
	v_cmp_eq_f32_e64 s2, s26, 0
	v_mul_f32_e32 v1, s10, v1
	s_and_b32 vcc_lo, exec_lo, s2
	s_cbranch_vccz .LBB589_59
; %bb.54:
	v_and_b32_e32 v2, 0x7f800000, v1
	s_mov_b32 s2, exec_lo
                                        ; implicit-def: $vgpr5
	v_cmpx_ne_u32_e32 0x7f800000, v2
	s_xor_b32 s2, exec_lo, s2
; %bb.55:
	v_bfe_u32 v2, v1, 16, 1
	v_add3_u32 v5, v1, v2, 0x7fff
; %bb.56:
	s_andn2_saveexec_b32 s2, s2
; %bb.57:
	v_mov_b32_e32 v2, 0
	v_or_b32_e32 v3, 0x10000, v1
	v_cmp_eq_u32_sdwa vcc_lo, v1, v2 src0_sel:WORD_0 src1_sel:DWORD
	v_cndmask_b32_e32 v5, v3, v1, vcc_lo
; %bb.58:
	s_or_b32 exec_lo, exec_lo, s2
	s_mov_b32 s2, 0
	s_branch .LBB589_60
.LBB589_59:
	s_mov_b32 s2, -1
                                        ; implicit-def: $vgpr5
.LBB589_60:
	v_ashrrev_i32_e32 v2, 31, v0
	v_mul_lo_u32 v4, s13, v0
	s_andn2_b32 vcc_lo, exec_lo, s2
	v_mul_lo_u32 v6, s12, v2
	s_cbranch_vccnz .LBB589_70
; %bb.61:
	v_mad_u64_u32 v[2:3], null, s12, v0, 0
	v_add3_u32 v3, v3, v6, v4
	v_lshlrev_b64 v[2:3], 1, v[2:3]
	v_add_co_u32 v2, vcc_lo, s5, v2
	v_add_co_ci_u32_e64 v3, null, s11, v3, vcc_lo
	flat_load_ushort v2, v[2:3]
	s_waitcnt vmcnt(0) lgkmcnt(0)
	v_lshlrev_b32_e32 v2, 16, v2
	v_mul_f32_e32 v2, s26, v2
	v_and_b32_e32 v3, 0x7f800000, v2
	v_cmp_ne_u32_e32 vcc_lo, 0x7f800000, v3
                                        ; implicit-def: $vgpr3
	s_and_saveexec_b32 s2, vcc_lo
	s_xor_b32 s2, exec_lo, s2
; %bb.62:
	v_bfe_u32 v3, v2, 16, 1
	v_add3_u32 v3, v2, v3, 0x7fff
                                        ; implicit-def: $vgpr2
; %bb.63:
	s_andn2_saveexec_b32 s2, s2
; %bb.64:
	v_mov_b32_e32 v3, 0
	v_or_b32_e32 v5, 0x10000, v2
	v_cmp_eq_u32_sdwa vcc_lo, v2, v3 src0_sel:WORD_0 src1_sel:DWORD
	v_cndmask_b32_e32 v3, v5, v2, vcc_lo
; %bb.65:
	s_or_b32 exec_lo, exec_lo, s2
	v_and_b32_e32 v2, 0xffff0000, v3
	s_mov_b32 s2, exec_lo
                                        ; implicit-def: $vgpr5
	v_add_f32_e32 v1, v1, v2
	v_and_b32_e32 v2, 0x7f800000, v1
	v_cmpx_ne_u32_e32 0x7f800000, v2
	s_xor_b32 s2, exec_lo, s2
; %bb.66:
	v_bfe_u32 v2, v1, 16, 1
	v_add3_u32 v5, v1, v2, 0x7fff
                                        ; implicit-def: $vgpr1
; %bb.67:
	s_andn2_saveexec_b32 s2, s2
; %bb.68:
	v_mov_b32_e32 v2, 0
	v_or_b32_e32 v3, 0x10000, v1
	v_cmp_eq_u32_sdwa vcc_lo, v1, v2 src0_sel:WORD_0 src1_sel:DWORD
	v_cndmask_b32_e32 v5, v3, v1, vcc_lo
; %bb.69:
	s_or_b32 exec_lo, exec_lo, s2
.LBB589_70:
	v_mad_u64_u32 v[2:3], null, s12, v0, 0
	v_lshrrev_b32_e32 v5, 16, v5
	s_or_b32 s2, s27, exec_lo
	v_add3_u32 v3, v3, v6, v4
.LBB589_71:
	s_or_b32 exec_lo, exec_lo, s1
	s_andn2_b32 s1, s27, exec_lo
	s_and_b32 s2, s2, exec_lo
	s_or_b32 s27, s1, s2
.LBB589_72:
	s_or_b32 exec_lo, exec_lo, s0
.LBB589_73:
	s_and_saveexec_b32 s0, s27
	s_cbranch_execz .LBB589_75
; %bb.74:
	v_lshlrev_b64 v[0:1], 1, v[2:3]
	v_add_co_u32 v0, vcc_lo, s5, v0
	v_add_co_ci_u32_e64 v1, null, s11, v1, vcc_lo
	flat_store_short v[0:1], v5
.LBB589_75:
	s_endpgm
	.section	.rodata,"a",@progbits
	.p2align	6, 0x0
	.amdhsa_kernel _ZL20rocblas_gemvn_kernelILi64ELi4ElPK16rocblas_bfloat16fKPS0_EviiT3_lPKT2_lT1_lS8_lS9_lS5_lPT4_lS9_li
		.amdhsa_group_segment_fixed_size 4096
		.amdhsa_private_segment_fixed_size 0
		.amdhsa_kernarg_size 400
		.amdhsa_user_sgpr_count 6
		.amdhsa_user_sgpr_private_segment_buffer 1
		.amdhsa_user_sgpr_dispatch_ptr 0
		.amdhsa_user_sgpr_queue_ptr 0
		.amdhsa_user_sgpr_kernarg_segment_ptr 1
		.amdhsa_user_sgpr_dispatch_id 0
		.amdhsa_user_sgpr_flat_scratch_init 0
		.amdhsa_user_sgpr_private_segment_size 0
		.amdhsa_wavefront_size32 1
		.amdhsa_uses_dynamic_stack 0
		.amdhsa_system_sgpr_private_segment_wavefront_offset 0
		.amdhsa_system_sgpr_workgroup_id_x 1
		.amdhsa_system_sgpr_workgroup_id_y 0
		.amdhsa_system_sgpr_workgroup_id_z 1
		.amdhsa_system_sgpr_workgroup_info 0
		.amdhsa_system_vgpr_workitem_id 1
		.amdhsa_next_free_vgpr 52
		.amdhsa_next_free_sgpr 35
		.amdhsa_reserve_vcc 1
		.amdhsa_reserve_flat_scratch 1
		.amdhsa_float_round_mode_32 0
		.amdhsa_float_round_mode_16_64 0
		.amdhsa_float_denorm_mode_32 3
		.amdhsa_float_denorm_mode_16_64 3
		.amdhsa_dx10_clamp 1
		.amdhsa_ieee_mode 1
		.amdhsa_fp16_overflow 0
		.amdhsa_workgroup_processor_mode 1
		.amdhsa_memory_ordered 1
		.amdhsa_forward_progress 1
		.amdhsa_shared_vgpr_count 0
		.amdhsa_exception_fp_ieee_invalid_op 0
		.amdhsa_exception_fp_denorm_src 0
		.amdhsa_exception_fp_ieee_div_zero 0
		.amdhsa_exception_fp_ieee_overflow 0
		.amdhsa_exception_fp_ieee_underflow 0
		.amdhsa_exception_fp_ieee_inexact 0
		.amdhsa_exception_int_div_zero 0
	.end_amdhsa_kernel
	.section	.text._ZL20rocblas_gemvn_kernelILi64ELi4ElPK16rocblas_bfloat16fKPS0_EviiT3_lPKT2_lT1_lS8_lS9_lS5_lPT4_lS9_li,"axG",@progbits,_ZL20rocblas_gemvn_kernelILi64ELi4ElPK16rocblas_bfloat16fKPS0_EviiT3_lPKT2_lT1_lS8_lS9_lS5_lPT4_lS9_li,comdat
.Lfunc_end589:
	.size	_ZL20rocblas_gemvn_kernelILi64ELi4ElPK16rocblas_bfloat16fKPS0_EviiT3_lPKT2_lT1_lS8_lS9_lS5_lPT4_lS9_li, .Lfunc_end589-_ZL20rocblas_gemvn_kernelILi64ELi4ElPK16rocblas_bfloat16fKPS0_EviiT3_lPKT2_lT1_lS8_lS9_lS5_lPT4_lS9_li
                                        ; -- End function
	.set _ZL20rocblas_gemvn_kernelILi64ELi4ElPK16rocblas_bfloat16fKPS0_EviiT3_lPKT2_lT1_lS8_lS9_lS5_lPT4_lS9_li.num_vgpr, 52
	.set _ZL20rocblas_gemvn_kernelILi64ELi4ElPK16rocblas_bfloat16fKPS0_EviiT3_lPKT2_lT1_lS8_lS9_lS5_lPT4_lS9_li.num_agpr, 0
	.set _ZL20rocblas_gemvn_kernelILi64ELi4ElPK16rocblas_bfloat16fKPS0_EviiT3_lPKT2_lT1_lS8_lS9_lS5_lPT4_lS9_li.numbered_sgpr, 35
	.set _ZL20rocblas_gemvn_kernelILi64ELi4ElPK16rocblas_bfloat16fKPS0_EviiT3_lPKT2_lT1_lS8_lS9_lS5_lPT4_lS9_li.num_named_barrier, 0
	.set _ZL20rocblas_gemvn_kernelILi64ELi4ElPK16rocblas_bfloat16fKPS0_EviiT3_lPKT2_lT1_lS8_lS9_lS5_lPT4_lS9_li.private_seg_size, 0
	.set _ZL20rocblas_gemvn_kernelILi64ELi4ElPK16rocblas_bfloat16fKPS0_EviiT3_lPKT2_lT1_lS8_lS9_lS5_lPT4_lS9_li.uses_vcc, 1
	.set _ZL20rocblas_gemvn_kernelILi64ELi4ElPK16rocblas_bfloat16fKPS0_EviiT3_lPKT2_lT1_lS8_lS9_lS5_lPT4_lS9_li.uses_flat_scratch, 1
	.set _ZL20rocblas_gemvn_kernelILi64ELi4ElPK16rocblas_bfloat16fKPS0_EviiT3_lPKT2_lT1_lS8_lS9_lS5_lPT4_lS9_li.has_dyn_sized_stack, 0
	.set _ZL20rocblas_gemvn_kernelILi64ELi4ElPK16rocblas_bfloat16fKPS0_EviiT3_lPKT2_lT1_lS8_lS9_lS5_lPT4_lS9_li.has_recursion, 0
	.set _ZL20rocblas_gemvn_kernelILi64ELi4ElPK16rocblas_bfloat16fKPS0_EviiT3_lPKT2_lT1_lS8_lS9_lS5_lPT4_lS9_li.has_indirect_call, 0
	.section	.AMDGPU.csdata,"",@progbits
; Kernel info:
; codeLenInByte = 3508
; TotalNumSgprs: 37
; NumVgprs: 52
; ScratchSize: 0
; MemoryBound: 0
; FloatMode: 240
; IeeeMode: 1
; LDSByteSize: 4096 bytes/workgroup (compile time only)
; SGPRBlocks: 0
; VGPRBlocks: 6
; NumSGPRsForWavesPerEU: 37
; NumVGPRsForWavesPerEU: 52
; Occupancy: 16
; WaveLimiterHint : 1
; COMPUTE_PGM_RSRC2:SCRATCH_EN: 0
; COMPUTE_PGM_RSRC2:USER_SGPR: 6
; COMPUTE_PGM_RSRC2:TRAP_HANDLER: 0
; COMPUTE_PGM_RSRC2:TGID_X_EN: 1
; COMPUTE_PGM_RSRC2:TGID_Y_EN: 0
; COMPUTE_PGM_RSRC2:TGID_Z_EN: 1
; COMPUTE_PGM_RSRC2:TIDIG_COMP_CNT: 1
	.section	.text._ZL20rocblas_gemvn_kernelILi32ELi16EiPK16rocblas_bfloat16PKfKPS0_EviiT3_lPKT2_lT1_lSA_lSB_lS7_lPT4_lSB_li,"axG",@progbits,_ZL20rocblas_gemvn_kernelILi32ELi16EiPK16rocblas_bfloat16PKfKPS0_EviiT3_lPKT2_lT1_lSA_lSB_lS7_lPT4_lSB_li,comdat
	.globl	_ZL20rocblas_gemvn_kernelILi32ELi16EiPK16rocblas_bfloat16PKfKPS0_EviiT3_lPKT2_lT1_lSA_lSB_lS7_lPT4_lSB_li ; -- Begin function _ZL20rocblas_gemvn_kernelILi32ELi16EiPK16rocblas_bfloat16PKfKPS0_EviiT3_lPKT2_lT1_lSA_lSB_lS7_lPT4_lSB_li
	.p2align	8
	.type	_ZL20rocblas_gemvn_kernelILi32ELi16EiPK16rocblas_bfloat16PKfKPS0_EviiT3_lPKT2_lT1_lSA_lSB_lS7_lPT4_lSB_li,@function
_ZL20rocblas_gemvn_kernelILi32ELi16EiPK16rocblas_bfloat16PKfKPS0_EviiT3_lPKT2_lT1_lSA_lSB_lS7_lPT4_lSB_li: ; @_ZL20rocblas_gemvn_kernelILi32ELi16EiPK16rocblas_bfloat16PKfKPS0_EviiT3_lPKT2_lT1_lSA_lSB_lS7_lPT4_lSB_li
; %bb.0:
	s_load_dwordx2 s[2:3], s[4:5], 0x9c
	s_waitcnt lgkmcnt(0)
	s_lshr_b32 s1, s2, 16
	s_and_b32 s2, s2, 0xffff
	s_and_b32 s3, s3, 0xffff
	s_mul_i32 s1, s1, s2
	s_mul_i32 s1, s1, s3
	s_cmpk_lg_i32 s1, 0x200
	s_cbranch_scc1 .LBB590_73
; %bb.1:
	s_clause 0x1
	s_load_dwordx8 s[16:23], s[4:5], 0x8
	s_load_dwordx8 s[8:15], s[4:5], 0x58
	s_mov_b32 s0, s7
	s_waitcnt lgkmcnt(0)
	s_mul_i32 s1, s19, s7
	s_mul_hi_u32 s3, s18, s7
	s_mul_i32 s2, s18, s7
	s_add_i32 s3, s3, s1
	s_mul_i32 s1, s11, s7
	s_lshl_b64 s[2:3], s[2:3], 2
	s_mul_hi_u32 s7, s10, s7
	s_add_u32 s2, s16, s2
	s_addc_u32 s3, s17, s3
	s_add_i32 s11, s7, s1
	s_mul_i32 s10, s10, s0
	s_lshl_b64 s[10:11], s[10:11], 2
	s_add_u32 s8, s8, s10
	s_addc_u32 s9, s9, s11
	s_load_dword s19, s[2:3], 0x0
	s_load_dword s18, s[8:9], 0x0
	s_waitcnt lgkmcnt(0)
	v_cmp_eq_f32_e64 s2, s19, 0
	v_cmp_eq_f32_e64 s1, s18, 1.0
	s_and_b32 s1, s2, s1
	s_and_b32 vcc_lo, exec_lo, s1
	s_mov_b32 s1, 0
	s_cbranch_vccnz .LBB590_73
; %bb.2:
	v_cmp_neq_f32_e64 s3, s19, 0
	s_mov_b64 s[16:17], 0
	s_and_b32 vcc_lo, exec_lo, s2
	s_mov_b64 s[10:11], 0
	s_cbranch_vccnz .LBB590_4
; %bb.3:
	s_lshl_b64 s[8:9], s[0:1], 3
	s_add_u32 s8, s20, s8
	s_addc_u32 s9, s21, s9
	s_lshl_b64 s[10:11], s[22:23], 1
	s_load_dwordx2 s[8:9], s[8:9], 0x0
	s_waitcnt lgkmcnt(0)
	s_add_u32 s10, s8, s10
	s_addc_u32 s11, s9, s11
.LBB590_4:
	s_andn2_b32 vcc_lo, exec_lo, s3
	s_cbranch_vccnz .LBB590_6
; %bb.5:
	s_load_dwordx4 s[20:23], s[4:5], 0x38
	s_lshl_b64 s[8:9], s[0:1], 3
	s_waitcnt lgkmcnt(0)
	s_add_u32 s8, s20, s8
	s_addc_u32 s9, s21, s9
	s_lshl_b64 s[16:17], s[22:23], 1
	s_load_dwordx2 s[8:9], s[8:9], 0x0
	s_waitcnt lgkmcnt(0)
	s_add_u32 s16, s8, s16
	s_addc_u32 s17, s9, s17
.LBB590_6:
	s_lshl_b64 s[0:1], s[0:1], 3
	v_lshlrev_b32_e32 v14, 5, v1
	s_add_u32 s0, s12, s0
	s_addc_u32 s1, s13, s1
	s_lshl_b64 s[14:15], s[14:15], 1
	s_load_dwordx2 s[12:13], s[0:1], 0x0
	s_clause 0x1
	s_load_dwordx2 s[8:9], s[4:5], 0x0
	s_load_dword s20, s[4:5], 0x78
	v_add_nc_u32_e32 v13, v14, v0
	v_cmp_gt_u32_e64 s0, 0x80, v13
	s_waitcnt lgkmcnt(0)
	s_add_u32 s7, s12, s14
	s_addc_u32 s12, s13, s15
	s_andn2_b32 vcc_lo, exec_lo, s2
	s_cbranch_vccnz .LBB590_17
; %bb.7:
	s_mov_b32 s1, 0
	s_mov_b32 s13, 0
                                        ; implicit-def: $vgpr5
                                        ; implicit-def: $vgpr2_vgpr3
	s_and_saveexec_b32 s2, s0
	s_cbranch_execz .LBB590_18
; %bb.8:
	v_lshl_or_b32 v4, s6, 7, v13
	v_mov_b32_e32 v5, 0
	s_ashr_i32 s15, s8, 31
	s_mov_b32 s14, s8
	s_mov_b32 s3, 0
	s_mov_b32 s0, exec_lo
                                        ; implicit-def: $vgpr2_vgpr3
	v_cmpx_gt_i64_e64 s[14:15], v[4:5]
	s_cbranch_execz .LBB590_16
; %bb.9:
	v_mad_u64_u32 v[2:3], null, s20, v4, 0
	s_ashr_i32 s3, s20, 31
	v_mad_u64_u32 v[3:4], null, s3, v4, v[3:4]
	v_cmp_eq_f32_e64 s3, s18, 0
	s_and_b32 vcc_lo, exec_lo, s3
	s_cbranch_vccnz .LBB590_15
; %bb.10:
	v_lshlrev_b64 v[4:5], 1, v[2:3]
	v_add_co_u32 v4, vcc_lo, s7, v4
	v_add_co_ci_u32_e64 v5, null, s12, v5, vcc_lo
	flat_load_ushort v4, v[4:5]
	s_waitcnt vmcnt(0) lgkmcnt(0)
	v_lshlrev_b32_e32 v4, 16, v4
	v_mul_f32_e32 v4, s18, v4
	v_and_b32_e32 v5, 0x7f800000, v4
	v_cmp_ne_u32_e32 vcc_lo, 0x7f800000, v5
                                        ; implicit-def: $vgpr5
	s_and_saveexec_b32 s3, vcc_lo
	s_xor_b32 s3, exec_lo, s3
; %bb.11:
	v_bfe_u32 v5, v4, 16, 1
	v_add3_u32 v5, v4, v5, 0x7fff
                                        ; implicit-def: $vgpr4
; %bb.12:
	s_andn2_saveexec_b32 s3, s3
; %bb.13:
	v_mov_b32_e32 v5, 0
	v_or_b32_e32 v6, 0x10000, v4
	v_cmp_eq_u32_sdwa vcc_lo, v4, v5 src0_sel:WORD_0 src1_sel:DWORD
	v_cndmask_b32_e32 v5, v6, v4, vcc_lo
; %bb.14:
	s_or_b32 exec_lo, exec_lo, s3
	v_lshrrev_b32_e32 v5, 16, v5
.LBB590_15:
	s_mov_b32 s3, exec_lo
.LBB590_16:
	s_or_b32 exec_lo, exec_lo, s0
	s_and_b32 s13, s3, exec_lo
	s_or_b32 exec_lo, exec_lo, s2
	s_and_b32 vcc_lo, exec_lo, s1
	s_cbranch_vccnz .LBB590_19
	s_branch .LBB590_71
.LBB590_17:
	s_mov_b32 s13, 0
                                        ; implicit-def: $vgpr5
                                        ; implicit-def: $vgpr2_vgpr3
	s_cbranch_execnz .LBB590_19
	s_branch .LBB590_71
.LBB590_18:
	s_or_b32 exec_lo, exec_lo, s2
	s_and_b32 vcc_lo, exec_lo, s1
	s_cbranch_vccz .LBB590_71
.LBB590_19:
	s_clause 0x1
	s_load_dword s14, s[4:5], 0x28
	s_load_dword s4, s[4:5], 0x48
	s_ashr_i32 s0, s9, 31
	s_lshl_b32 s5, s6, 7
	s_lshr_b32 s0, s0, 26
	v_lshlrev_b32_e32 v20, 2, v1
	v_add_nc_u32_e32 v19, s5, v0
	v_mov_b32_e32 v15, 0
	v_mov_b32_e32 v16, 0
	;; [unrolled: 1-line block ×4, first 2 shown]
	s_add_i32 s0, s9, s0
	s_mov_b32 s15, exec_lo
	s_and_b32 s6, s0, 0xffffffc0
	v_cmpx_gt_i32_e64 s6, v20
	s_cbranch_execz .LBB590_31
; %bb.20:
	v_add_nc_u32_e32 v5, 0x60, v19
	s_waitcnt lgkmcnt(0)
	v_mul_lo_u32 v3, s14, v20
	v_add_nc_u32_e32 v2, 32, v19
	v_add_nc_u32_e32 v6, 2, v20
	;; [unrolled: 1-line block ×3, first 2 shown]
	v_cmp_gt_i32_e64 s2, s8, v5
	v_mul_lo_u32 v5, v1, s14
	v_add_nc_u32_e32 v7, 3, v20
	v_mul_lo_u32 v8, v1, s4
	v_cmp_gt_i32_e64 s0, s8, v2
	v_add3_u32 v21, v3, s14, v0
	v_mad_u64_u32 v[2:3], null, s14, v6, v[0:1]
	v_cmp_gt_i32_e64 s1, s8, v4
	v_mad_u64_u32 v[3:4], null, s14, v7, v[0:1]
	v_lshl_add_u32 v22, v5, 2, v0
	v_mad_u64_u32 v[4:5], null, s4, v20, s[4:5]
	v_mul_lo_u32 v23, s4, v6
	v_mul_lo_u32 v24, s4, v7
	v_lshlrev_b32_e32 v25, 2, v8
	v_mov_b32_e32 v15, 0
	v_mov_b32_e32 v16, 0
	;; [unrolled: 1-line block ×4, first 2 shown]
	s_lshl_b32 s21, s14, 6
	s_lshl_b32 s23, s4, 6
	s_mov_b32 s22, 0
	s_mov_b32 s24, 0
	v_cmp_gt_i32_e32 vcc_lo, s8, v19
	s_branch .LBB590_25
.LBB590_21:                             ;   in Loop: Header=BB590_25 Depth=1
	s_or_b32 exec_lo, exec_lo, s27
	s_waitcnt vmcnt(3) lgkmcnt(3)
	v_lshlrev_b32_e32 v5, 16, v41
	s_waitcnt vmcnt(2) lgkmcnt(2)
	v_lshlrev_b32_e32 v6, 16, v40
	v_fmac_f32_e32 v17, v33, v5
	s_waitcnt vmcnt(1) lgkmcnt(1)
	v_lshlrev_b32_e32 v5, 16, v39
	v_fmac_f32_e32 v17, v29, v6
	v_fmac_f32_e32 v17, v31, v5
	s_waitcnt vmcnt(0) lgkmcnt(0)
	v_lshlrev_b32_e32 v5, 16, v38
	v_fmac_f32_e32 v17, v27, v5
.LBB590_22:                             ;   in Loop: Header=BB590_25 Depth=1
	s_or_b32 exec_lo, exec_lo, s26
	s_waitcnt vmcnt(3) lgkmcnt(3)
	v_lshlrev_b32_e32 v5, 16, v37
	s_waitcnt vmcnt(2) lgkmcnt(2)
	v_lshlrev_b32_e32 v6, 16, v36
	v_fmac_f32_e32 v16, v33, v5
	s_waitcnt vmcnt(1) lgkmcnt(1)
	v_lshlrev_b32_e32 v5, 16, v35
	v_fmac_f32_e32 v16, v29, v6
	v_fmac_f32_e32 v16, v31, v5
	s_waitcnt vmcnt(0) lgkmcnt(0)
	v_lshlrev_b32_e32 v5, 16, v34
	v_fmac_f32_e32 v16, v27, v5
.LBB590_23:                             ;   in Loop: Header=BB590_25 Depth=1
	s_or_b32 exec_lo, exec_lo, s3
	s_waitcnt vmcnt(3) lgkmcnt(3)
	v_lshlrev_b32_e32 v5, 16, v32
	s_waitcnt vmcnt(2) lgkmcnt(2)
	v_lshlrev_b32_e32 v6, 16, v30
	v_fmac_f32_e32 v15, v33, v5
	s_waitcnt vmcnt(1) lgkmcnt(1)
	v_lshlrev_b32_e32 v5, 16, v28
	v_fmac_f32_e32 v15, v29, v6
	v_fmac_f32_e32 v15, v31, v5
	s_waitcnt vmcnt(0) lgkmcnt(0)
	v_lshlrev_b32_e32 v5, 16, v26
	v_fmac_f32_e32 v15, v27, v5
.LBB590_24:                             ;   in Loop: Header=BB590_25 Depth=1
	s_or_b32 exec_lo, exec_lo, s25
	v_add_nc_u32_e32 v20, 64, v20
	v_add_nc_u32_e32 v21, s21, v21
	;; [unrolled: 1-line block ×5, first 2 shown]
	v_cmp_le_i32_e64 s3, s6, v20
	s_add_i32 s24, s24, s23
	s_or_b32 s22, s3, s22
	s_andn2_b32 exec_lo, exec_lo, s22
	s_cbranch_execz .LBB590_30
.LBB590_25:                             ; =>This Inner Loop Header: Depth=1
	s_and_saveexec_b32 s25, vcc_lo
	s_cbranch_execz .LBB590_24
; %bb.26:                               ;   in Loop: Header=BB590_25 Depth=1
	v_add_nc_u32_e32 v5, s24, v25
	v_add_nc_u32_e32 v7, s24, v4
	;; [unrolled: 1-line block ×5, first 2 shown]
	v_ashrrev_i32_e32 v6, 31, v5
	v_ashrrev_i32_e32 v8, 31, v7
	;; [unrolled: 1-line block ×5, first 2 shown]
	v_lshlrev_b64 v[5:6], 1, v[5:6]
	v_lshlrev_b64 v[7:8], 1, v[7:8]
	;; [unrolled: 1-line block ×4, first 2 shown]
	v_add_nc_u32_e32 v28, s5, v21
	v_add_nc_u32_e32 v30, s5, v2
	v_add_co_u32 v5, s3, s16, v5
	v_add_co_ci_u32_e64 v6, null, s17, v6, s3
	v_add_co_u32 v7, s3, s16, v7
	v_add_co_ci_u32_e64 v8, null, s17, v8, s3
	;; [unrolled: 2-line block ×4, first 2 shown]
	v_lshlrev_b64 v[26:27], 1, v[26:27]
	s_clause 0x3
	flat_load_ushort v33, v[5:6]
	flat_load_ushort v34, v[7:8]
	;; [unrolled: 1-line block ×4, first 2 shown]
	v_add_nc_u32_e32 v9, s5, v3
	v_ashrrev_i32_e32 v29, 31, v28
	v_ashrrev_i32_e32 v31, 31, v30
	v_add_co_u32 v5, s3, s10, v26
	v_ashrrev_i32_e32 v10, 31, v9
	v_lshlrev_b64 v[7:8], 1, v[28:29]
	v_add_co_ci_u32_e64 v6, null, s11, v27, s3
	v_lshlrev_b64 v[26:27], 1, v[30:31]
	v_lshlrev_b64 v[9:10], 1, v[9:10]
	v_add_co_u32 v11, s3, s10, v7
	v_add_co_ci_u32_e64 v12, null, s11, v8, s3
	v_add_co_u32 v7, s3, s10, v26
	v_add_co_ci_u32_e64 v8, null, s11, v27, s3
	;; [unrolled: 2-line block ×3, first 2 shown]
	s_clause 0x3
	flat_load_ushort v32, v[5:6]
	flat_load_ushort v30, v[11:12]
	;; [unrolled: 1-line block ×4, first 2 shown]
	s_waitcnt vmcnt(7) lgkmcnt(7)
	v_lshlrev_b32_e32 v33, 16, v33
	s_waitcnt vmcnt(6) lgkmcnt(6)
	v_lshlrev_b32_e32 v29, 16, v34
	;; [unrolled: 2-line block ×4, first 2 shown]
	s_and_saveexec_b32 s3, s0
	s_cbranch_execz .LBB590_23
; %bb.27:                               ;   in Loop: Header=BB590_25 Depth=1
	s_clause 0x3
	flat_load_ushort v37, v[5:6] offset:64
	flat_load_ushort v36, v[11:12] offset:64
	flat_load_ushort v35, v[7:8] offset:64
	flat_load_ushort v34, v[9:10] offset:64
	s_and_saveexec_b32 s26, s1
	s_cbranch_execz .LBB590_22
; %bb.28:                               ;   in Loop: Header=BB590_25 Depth=1
	s_clause 0x3
	flat_load_ushort v41, v[5:6] offset:128
	flat_load_ushort v40, v[11:12] offset:128
	flat_load_ushort v39, v[7:8] offset:128
	flat_load_ushort v38, v[9:10] offset:128
	;; [unrolled: 8-line block ×3, first 2 shown]
	s_waitcnt vmcnt(3) lgkmcnt(3)
	v_lshlrev_b32_e32 v5, 16, v5
	s_waitcnt vmcnt(2) lgkmcnt(2)
	v_lshlrev_b32_e32 v6, 16, v6
	v_fmac_f32_e32 v18, v33, v5
	s_waitcnt vmcnt(1) lgkmcnt(1)
	v_lshlrev_b32_e32 v5, 16, v7
	v_fmac_f32_e32 v18, v29, v6
	;; [unrolled: 3-line block ×3, first 2 shown]
	v_fmac_f32_e32 v18, v27, v6
	s_branch .LBB590_21
.LBB590_30:
	s_or_b32 exec_lo, exec_lo, s22
.LBB590_31:
	s_or_b32 exec_lo, exec_lo, s15
	s_sub_i32 s0, s9, s6
	s_cmp_lt_i32 s0, 1
	s_cbranch_scc1 .LBB590_49
; %bb.32:
	v_cmp_gt_i32_e32 vcc_lo, s9, v20
	v_mov_b32_e32 v11, 0
	v_or_b32_e32 v2, 1, v20
	v_mov_b32_e32 v10, 0
	v_mov_b32_e32 v21, 0
	;; [unrolled: 1-line block ×3, first 2 shown]
	s_and_saveexec_b32 s1, vcc_lo
	s_cbranch_execz .LBB590_40
; %bb.33:
	s_waitcnt lgkmcnt(0)
	v_mul_lo_u32 v3, v20, s4
	v_mov_b32_e32 v12, 0
	v_mov_b32_e32 v10, 0
	;; [unrolled: 1-line block ×3, first 2 shown]
	s_mov_b32 s2, exec_lo
	v_ashrrev_i32_e32 v4, 31, v3
	v_lshlrev_b64 v[3:4], 1, v[3:4]
	v_add_co_u32 v3, s0, s16, v3
	v_add_co_ci_u32_e64 v4, null, s17, v4, s0
	flat_load_ushort v3, v[3:4]
	v_cmpx_gt_i32_e64 s9, v2
	s_cbranch_execz .LBB590_39
; %bb.34:
	v_mul_lo_u32 v4, v2, s4
	v_mov_b32_e32 v10, 0
	v_mov_b32_e32 v11, 0
	s_mov_b32 s3, exec_lo
	v_ashrrev_i32_e32 v5, 31, v4
	v_lshlrev_b64 v[4:5], 1, v[4:5]
	v_add_co_u32 v4, s0, s16, v4
	v_add_co_ci_u32_e64 v5, null, s17, v5, s0
	flat_load_ushort v4, v[4:5]
	v_or_b32_e32 v5, 2, v20
	v_cmpx_gt_i32_e64 s9, v5
	s_cbranch_execz .LBB590_38
; %bb.35:
	v_mul_lo_u32 v5, v5, s4
	v_mov_b32_e32 v10, 0
	s_mov_b32 s6, exec_lo
	v_ashrrev_i32_e32 v6, 31, v5
	v_lshlrev_b64 v[5:6], 1, v[5:6]
	v_add_co_u32 v5, s0, s16, v5
	v_add_co_ci_u32_e64 v6, null, s17, v6, s0
	flat_load_ushort v5, v[5:6]
	v_or_b32_e32 v6, 3, v20
	v_cmpx_gt_i32_e64 s9, v6
	s_cbranch_execz .LBB590_37
; %bb.36:
	v_mul_lo_u32 v6, v6, s4
	v_ashrrev_i32_e32 v7, 31, v6
	v_lshlrev_b64 v[6:7], 1, v[6:7]
	v_add_co_u32 v6, s0, s16, v6
	v_add_co_ci_u32_e64 v7, null, s17, v7, s0
	flat_load_ushort v6, v[6:7]
	s_waitcnt vmcnt(0) lgkmcnt(0)
	v_lshlrev_b32_e32 v10, 16, v6
.LBB590_37:
	s_or_b32 exec_lo, exec_lo, s6
	s_waitcnt vmcnt(0) lgkmcnt(0)
	v_lshlrev_b32_e32 v11, 16, v5
.LBB590_38:
	s_or_b32 exec_lo, exec_lo, s3
	s_waitcnt vmcnt(0) lgkmcnt(0)
	v_lshlrev_b32_e32 v12, 16, v4
.LBB590_39:
	s_or_b32 exec_lo, exec_lo, s2
	s_waitcnt vmcnt(0) lgkmcnt(0)
	v_lshlrev_b32_e32 v21, 16, v3
.LBB590_40:
	s_or_b32 exec_lo, exec_lo, s1
	s_mov_b32 s1, exec_lo
	v_cmpx_gt_i32_e64 s8, v19
	s_cbranch_execz .LBB590_48
; %bb.41:
	s_waitcnt lgkmcnt(0)
	v_mul_lo_u32 v3, v20, s14
	v_mul_lo_u32 v4, v2, s14
	v_or_b32_e32 v5, 2, v20
	v_or_b32_e32 v6, 3, v20
	s_mov_b32 s0, exec_lo
	v_mul_lo_u32 v7, v5, s14
	v_cndmask_b32_e32 v3, 0, v3, vcc_lo
	v_cmp_gt_i32_e32 vcc_lo, s9, v2
	v_mul_lo_u32 v8, v6, s14
	v_add_nc_u32_e32 v2, v3, v19
	v_cndmask_b32_e32 v4, 0, v4, vcc_lo
	v_cmp_gt_i32_e32 vcc_lo, s9, v5
	v_ashrrev_i32_e32 v3, 31, v2
	v_add_nc_u32_e32 v4, v4, v19
	v_cndmask_b32_e32 v7, 0, v7, vcc_lo
	v_cmp_gt_i32_e32 vcc_lo, s9, v6
	v_lshlrev_b64 v[2:3], 1, v[2:3]
	v_ashrrev_i32_e32 v5, 31, v4
	v_add_nc_u32_e32 v6, v7, v19
	v_cndmask_b32_e32 v8, 0, v8, vcc_lo
	v_lshlrev_b64 v[4:5], 1, v[4:5]
	v_ashrrev_i32_e32 v7, 31, v6
	v_add_nc_u32_e32 v8, v8, v19
	v_add_co_u32 v2, vcc_lo, s10, v2
	v_add_co_ci_u32_e64 v3, null, s11, v3, vcc_lo
	v_ashrrev_i32_e32 v9, 31, v8
	v_add_co_u32 v4, vcc_lo, s10, v4
	v_add_co_ci_u32_e64 v5, null, s11, v5, vcc_lo
	v_lshlrev_b64 v[6:7], 1, v[6:7]
	v_lshlrev_b64 v[8:9], 1, v[8:9]
	s_clause 0x1
	flat_load_ushort v20, v[2:3]
	flat_load_ushort v22, v[4:5]
	v_add_co_u32 v6, vcc_lo, s10, v6
	v_add_co_ci_u32_e64 v7, null, s11, v7, vcc_lo
	v_add_co_u32 v8, vcc_lo, s10, v8
	v_add_co_ci_u32_e64 v9, null, s11, v9, vcc_lo
	s_clause 0x1
	flat_load_ushort v23, v[6:7]
	flat_load_ushort v24, v[8:9]
	s_waitcnt vmcnt(3) lgkmcnt(3)
	v_lshlrev_b32_e32 v20, 16, v20
	s_waitcnt vmcnt(2) lgkmcnt(2)
	v_lshlrev_b32_e32 v22, 16, v22
	v_fmac_f32_e32 v15, v21, v20
	v_fmac_f32_e32 v15, v12, v22
	v_add_nc_u32_e32 v22, 32, v19
	s_waitcnt vmcnt(1) lgkmcnt(1)
	v_lshlrev_b32_e32 v23, 16, v23
	s_waitcnt vmcnt(0) lgkmcnt(0)
	v_lshlrev_b32_e32 v20, 16, v24
	v_fmac_f32_e32 v15, v11, v23
	v_cmpx_gt_i32_e64 s8, v22
	s_cbranch_execz .LBB590_47
; %bb.42:
	s_clause 0x3
	flat_load_ushort v22, v[2:3] offset:64
	flat_load_ushort v23, v[4:5] offset:64
	flat_load_ushort v24, v[6:7] offset:64
	flat_load_ushort v25, v[8:9] offset:64
	s_mov_b32 s2, exec_lo
	s_waitcnt vmcnt(3) lgkmcnt(3)
	v_lshlrev_b32_e32 v22, 16, v22
	s_waitcnt vmcnt(2) lgkmcnt(2)
	v_lshlrev_b32_e32 v23, 16, v23
	;; [unrolled: 2-line block ×3, first 2 shown]
	v_fmac_f32_e32 v16, v21, v22
	s_waitcnt vmcnt(0) lgkmcnt(0)
	v_lshlrev_b32_e32 v22, 16, v25
	v_fmac_f32_e32 v16, v12, v23
	v_add_nc_u32_e32 v23, 64, v19
	v_fmac_f32_e32 v16, v11, v24
	v_cmpx_gt_i32_e64 s8, v23
	s_cbranch_execz .LBB590_46
; %bb.43:
	s_clause 0x3
	flat_load_ushort v23, v[2:3] offset:128
	flat_load_ushort v24, v[4:5] offset:128
	;; [unrolled: 1-line block ×4, first 2 shown]
	s_mov_b32 s3, exec_lo
	s_waitcnt vmcnt(3) lgkmcnt(3)
	v_lshlrev_b32_e32 v23, 16, v23
	s_waitcnt vmcnt(2) lgkmcnt(2)
	v_lshlrev_b32_e32 v24, 16, v24
	v_fmac_f32_e32 v17, v21, v23
	s_waitcnt vmcnt(1) lgkmcnt(1)
	v_lshlrev_b32_e32 v23, 16, v25
	v_fmac_f32_e32 v17, v12, v24
	v_add_nc_u32_e32 v24, 0x60, v19
	s_waitcnt vmcnt(0) lgkmcnt(0)
	v_lshlrev_b32_e32 v19, 16, v26
	v_fmac_f32_e32 v17, v11, v23
	v_cmpx_gt_i32_e64 s8, v24
	s_cbranch_execz .LBB590_45
; %bb.44:
	s_clause 0x3
	flat_load_ushort v2, v[2:3] offset:192
	flat_load_ushort v3, v[4:5] offset:192
	flat_load_ushort v4, v[6:7] offset:192
	flat_load_ushort v5, v[8:9] offset:192
	s_waitcnt vmcnt(3) lgkmcnt(3)
	v_lshlrev_b32_e32 v2, 16, v2
	s_waitcnt vmcnt(2) lgkmcnt(2)
	v_lshlrev_b32_e32 v3, 16, v3
	v_fmac_f32_e32 v18, v21, v2
	s_waitcnt vmcnt(1) lgkmcnt(1)
	v_lshlrev_b32_e32 v2, 16, v4
	v_fmac_f32_e32 v18, v12, v3
	;; [unrolled: 3-line block ×3, first 2 shown]
	v_fmac_f32_e32 v18, v10, v3
.LBB590_45:
	s_or_b32 exec_lo, exec_lo, s3
	v_fmac_f32_e32 v17, v10, v19
.LBB590_46:
	s_or_b32 exec_lo, exec_lo, s2
	v_fmac_f32_e32 v16, v10, v22
.LBB590_47:
	s_or_b32 exec_lo, exec_lo, s0
	v_fmac_f32_e32 v15, v10, v20
.LBB590_48:
	s_or_b32 exec_lo, exec_lo, s1
.LBB590_49:
	v_lshlrev_b32_e32 v0, 2, v0
	s_mov_b32 s0, exec_lo
                                        ; implicit-def: $vgpr5
                                        ; implicit-def: $vgpr2_vgpr3
	v_lshl_add_u32 v1, v1, 9, v0
	ds_write2_b32 v1, v15, v16 offset1:32
	ds_write2_b32 v1, v17, v18 offset0:64 offset1:96
	s_waitcnt lgkmcnt(0)
	s_barrier
	buffer_gl0_inv
	v_cmpx_gt_u32_e32 0x80, v13
	s_cbranch_execz .LBB590_70
; %bb.50:
	v_lshl_add_u32 v6, v14, 2, v0
	s_mov_b32 s2, s13
	s_mov_b32 s1, exec_lo
	ds_read2st64_b32 v[0:1], v6 offset1:2
	ds_read2st64_b32 v[2:3], v6 offset0:4 offset1:6
	ds_read2st64_b32 v[4:5], v6 offset0:8 offset1:10
	s_waitcnt lgkmcnt(2)
	v_add_f32_e32 v7, v0, v1
	ds_read2st64_b32 v[0:1], v6 offset0:12 offset1:14
	s_waitcnt lgkmcnt(2)
	v_add_f32_e32 v2, v2, v7
	v_add_f32_e32 v7, v3, v2
	ds_read2st64_b32 v[2:3], v6 offset0:16 offset1:18
	s_waitcnt lgkmcnt(2)
	v_add_f32_e32 v4, v4, v7
	;; [unrolled: 4-line block ×3, first 2 shown]
	v_add_f32_e32 v0, v1, v0
	s_waitcnt lgkmcnt(1)
	v_add_f32_e32 v2, v2, v0
	ds_read2st64_b32 v[0:1], v6 offset0:24 offset1:26
	v_add_f32_e32 v2, v3, v2
	s_waitcnt lgkmcnt(1)
	v_add_f32_e32 v4, v4, v2
	ds_read2st64_b32 v[2:3], v6 offset0:28 offset1:30
	v_add_f32_e32 v4, v5, v4
                                        ; implicit-def: $vgpr5
	s_waitcnt lgkmcnt(1)
	v_add_f32_e32 v0, v0, v4
	v_or_b32_e32 v4, s5, v13
	v_add_f32_e32 v0, v1, v0
	s_waitcnt lgkmcnt(0)
	v_add_f32_e32 v0, v2, v0
	v_add_f32_e32 v0, v3, v0
                                        ; implicit-def: $vgpr2_vgpr3
	ds_write_b32 v6, v0
	v_cmpx_gt_i32_e64 s8, v4
	s_cbranch_execz .LBB590_69
; %bb.51:
	v_cmp_eq_f32_e64 s2, s18, 0
	v_mul_f32_e32 v0, s19, v0
	s_and_b32 vcc_lo, exec_lo, s2
	s_cbranch_vccz .LBB590_57
; %bb.52:
	v_and_b32_e32 v1, 0x7f800000, v0
	v_cmp_ne_u32_e32 vcc_lo, 0x7f800000, v1
                                        ; implicit-def: $vgpr1
	s_and_saveexec_b32 s2, vcc_lo
	s_xor_b32 s2, exec_lo, s2
; %bb.53:
	v_bfe_u32 v1, v0, 16, 1
	v_add3_u32 v1, v0, v1, 0x7fff
; %bb.54:
	s_andn2_saveexec_b32 s2, s2
; %bb.55:
	v_mov_b32_e32 v1, 0
	v_or_b32_e32 v2, 0x10000, v0
	v_cmp_eq_u32_sdwa vcc_lo, v0, v1 src0_sel:WORD_0 src1_sel:DWORD
	v_cndmask_b32_e32 v1, v2, v0, vcc_lo
; %bb.56:
	s_or_b32 exec_lo, exec_lo, s2
	s_mov_b32 s2, 0
	s_branch .LBB590_58
.LBB590_57:
	s_mov_b32 s2, -1
                                        ; implicit-def: $vgpr1
.LBB590_58:
	v_mul_lo_u32 v2, s20, v4
	s_andn2_b32 vcc_lo, exec_lo, s2
	v_ashrrev_i32_e32 v3, 31, v2
	s_cbranch_vccnz .LBB590_68
; %bb.59:
	v_lshlrev_b64 v[4:5], 1, v[2:3]
	v_add_co_u32 v4, vcc_lo, s7, v4
	v_add_co_ci_u32_e64 v5, null, s12, v5, vcc_lo
	flat_load_ushort v1, v[4:5]
	s_waitcnt vmcnt(0) lgkmcnt(0)
	v_lshlrev_b32_e32 v1, 16, v1
	v_mul_f32_e32 v1, s18, v1
	v_and_b32_e32 v4, 0x7f800000, v1
	v_cmp_ne_u32_e32 vcc_lo, 0x7f800000, v4
                                        ; implicit-def: $vgpr4
	s_and_saveexec_b32 s2, vcc_lo
	s_xor_b32 s2, exec_lo, s2
; %bb.60:
	v_bfe_u32 v4, v1, 16, 1
	v_add3_u32 v4, v1, v4, 0x7fff
                                        ; implicit-def: $vgpr1
; %bb.61:
	s_andn2_saveexec_b32 s2, s2
; %bb.62:
	v_mov_b32_e32 v4, 0
	v_or_b32_e32 v5, 0x10000, v1
	v_cmp_eq_u32_sdwa vcc_lo, v1, v4 src0_sel:WORD_0 src1_sel:DWORD
	v_cndmask_b32_e32 v4, v5, v1, vcc_lo
; %bb.63:
	s_or_b32 exec_lo, exec_lo, s2
	v_and_b32_e32 v1, 0xffff0000, v4
	v_add_f32_e32 v0, v0, v1
	v_and_b32_e32 v1, 0x7f800000, v0
	v_cmp_ne_u32_e32 vcc_lo, 0x7f800000, v1
                                        ; implicit-def: $vgpr1
	s_and_saveexec_b32 s2, vcc_lo
	s_xor_b32 s2, exec_lo, s2
; %bb.64:
	v_bfe_u32 v1, v0, 16, 1
	v_add3_u32 v1, v0, v1, 0x7fff
                                        ; implicit-def: $vgpr0
; %bb.65:
	s_andn2_saveexec_b32 s2, s2
; %bb.66:
	v_mov_b32_e32 v1, 0
	v_or_b32_e32 v4, 0x10000, v0
	v_cmp_eq_u32_sdwa vcc_lo, v0, v1 src0_sel:WORD_0 src1_sel:DWORD
	v_cndmask_b32_e32 v1, v4, v0, vcc_lo
; %bb.67:
	s_or_b32 exec_lo, exec_lo, s2
.LBB590_68:
	v_lshrrev_b32_e32 v5, 16, v1
	s_or_b32 s2, s13, exec_lo
.LBB590_69:
	s_or_b32 exec_lo, exec_lo, s1
	s_andn2_b32 s1, s13, exec_lo
	s_and_b32 s2, s2, exec_lo
	s_or_b32 s13, s1, s2
.LBB590_70:
	s_or_b32 exec_lo, exec_lo, s0
.LBB590_71:
	s_and_saveexec_b32 s0, s13
	s_cbranch_execz .LBB590_73
; %bb.72:
	v_lshlrev_b64 v[0:1], 1, v[2:3]
	v_add_co_u32 v0, vcc_lo, s7, v0
	v_add_co_ci_u32_e64 v1, null, s12, v1, vcc_lo
	flat_store_short v[0:1], v5
.LBB590_73:
	s_endpgm
	.section	.rodata,"a",@progbits
	.p2align	6, 0x0
	.amdhsa_kernel _ZL20rocblas_gemvn_kernelILi32ELi16EiPK16rocblas_bfloat16PKfKPS0_EviiT3_lPKT2_lT1_lSA_lSB_lS7_lPT4_lSB_li
		.amdhsa_group_segment_fixed_size 8192
		.amdhsa_private_segment_fixed_size 0
		.amdhsa_kernarg_size 400
		.amdhsa_user_sgpr_count 6
		.amdhsa_user_sgpr_private_segment_buffer 1
		.amdhsa_user_sgpr_dispatch_ptr 0
		.amdhsa_user_sgpr_queue_ptr 0
		.amdhsa_user_sgpr_kernarg_segment_ptr 1
		.amdhsa_user_sgpr_dispatch_id 0
		.amdhsa_user_sgpr_flat_scratch_init 0
		.amdhsa_user_sgpr_private_segment_size 0
		.amdhsa_wavefront_size32 1
		.amdhsa_uses_dynamic_stack 0
		.amdhsa_system_sgpr_private_segment_wavefront_offset 0
		.amdhsa_system_sgpr_workgroup_id_x 1
		.amdhsa_system_sgpr_workgroup_id_y 0
		.amdhsa_system_sgpr_workgroup_id_z 1
		.amdhsa_system_sgpr_workgroup_info 0
		.amdhsa_system_vgpr_workitem_id 1
		.amdhsa_next_free_vgpr 42
		.amdhsa_next_free_sgpr 28
		.amdhsa_reserve_vcc 1
		.amdhsa_reserve_flat_scratch 1
		.amdhsa_float_round_mode_32 0
		.amdhsa_float_round_mode_16_64 0
		.amdhsa_float_denorm_mode_32 3
		.amdhsa_float_denorm_mode_16_64 3
		.amdhsa_dx10_clamp 1
		.amdhsa_ieee_mode 1
		.amdhsa_fp16_overflow 0
		.amdhsa_workgroup_processor_mode 1
		.amdhsa_memory_ordered 1
		.amdhsa_forward_progress 1
		.amdhsa_shared_vgpr_count 0
		.amdhsa_exception_fp_ieee_invalid_op 0
		.amdhsa_exception_fp_denorm_src 0
		.amdhsa_exception_fp_ieee_div_zero 0
		.amdhsa_exception_fp_ieee_overflow 0
		.amdhsa_exception_fp_ieee_underflow 0
		.amdhsa_exception_fp_ieee_inexact 0
		.amdhsa_exception_int_div_zero 0
	.end_amdhsa_kernel
	.section	.text._ZL20rocblas_gemvn_kernelILi32ELi16EiPK16rocblas_bfloat16PKfKPS0_EviiT3_lPKT2_lT1_lSA_lSB_lS7_lPT4_lSB_li,"axG",@progbits,_ZL20rocblas_gemvn_kernelILi32ELi16EiPK16rocblas_bfloat16PKfKPS0_EviiT3_lPKT2_lT1_lSA_lSB_lS7_lPT4_lSB_li,comdat
.Lfunc_end590:
	.size	_ZL20rocblas_gemvn_kernelILi32ELi16EiPK16rocblas_bfloat16PKfKPS0_EviiT3_lPKT2_lT1_lSA_lSB_lS7_lPT4_lSB_li, .Lfunc_end590-_ZL20rocblas_gemvn_kernelILi32ELi16EiPK16rocblas_bfloat16PKfKPS0_EviiT3_lPKT2_lT1_lSA_lSB_lS7_lPT4_lSB_li
                                        ; -- End function
	.set _ZL20rocblas_gemvn_kernelILi32ELi16EiPK16rocblas_bfloat16PKfKPS0_EviiT3_lPKT2_lT1_lSA_lSB_lS7_lPT4_lSB_li.num_vgpr, 42
	.set _ZL20rocblas_gemvn_kernelILi32ELi16EiPK16rocblas_bfloat16PKfKPS0_EviiT3_lPKT2_lT1_lSA_lSB_lS7_lPT4_lSB_li.num_agpr, 0
	.set _ZL20rocblas_gemvn_kernelILi32ELi16EiPK16rocblas_bfloat16PKfKPS0_EviiT3_lPKT2_lT1_lSA_lSB_lS7_lPT4_lSB_li.numbered_sgpr, 28
	.set _ZL20rocblas_gemvn_kernelILi32ELi16EiPK16rocblas_bfloat16PKfKPS0_EviiT3_lPKT2_lT1_lSA_lSB_lS7_lPT4_lSB_li.num_named_barrier, 0
	.set _ZL20rocblas_gemvn_kernelILi32ELi16EiPK16rocblas_bfloat16PKfKPS0_EviiT3_lPKT2_lT1_lSA_lSB_lS7_lPT4_lSB_li.private_seg_size, 0
	.set _ZL20rocblas_gemvn_kernelILi32ELi16EiPK16rocblas_bfloat16PKfKPS0_EviiT3_lPKT2_lT1_lSA_lSB_lS7_lPT4_lSB_li.uses_vcc, 1
	.set _ZL20rocblas_gemvn_kernelILi32ELi16EiPK16rocblas_bfloat16PKfKPS0_EviiT3_lPKT2_lT1_lSA_lSB_lS7_lPT4_lSB_li.uses_flat_scratch, 1
	.set _ZL20rocblas_gemvn_kernelILi32ELi16EiPK16rocblas_bfloat16PKfKPS0_EviiT3_lPKT2_lT1_lSA_lSB_lS7_lPT4_lSB_li.has_dyn_sized_stack, 0
	.set _ZL20rocblas_gemvn_kernelILi32ELi16EiPK16rocblas_bfloat16PKfKPS0_EviiT3_lPKT2_lT1_lSA_lSB_lS7_lPT4_lSB_li.has_recursion, 0
	.set _ZL20rocblas_gemvn_kernelILi32ELi16EiPK16rocblas_bfloat16PKfKPS0_EviiT3_lPKT2_lT1_lSA_lSB_lS7_lPT4_lSB_li.has_indirect_call, 0
	.section	.AMDGPU.csdata,"",@progbits
; Kernel info:
; codeLenInByte = 3328
; TotalNumSgprs: 30
; NumVgprs: 42
; ScratchSize: 0
; MemoryBound: 0
; FloatMode: 240
; IeeeMode: 1
; LDSByteSize: 8192 bytes/workgroup (compile time only)
; SGPRBlocks: 0
; VGPRBlocks: 5
; NumSGPRsForWavesPerEU: 30
; NumVGPRsForWavesPerEU: 42
; Occupancy: 16
; WaveLimiterHint : 1
; COMPUTE_PGM_RSRC2:SCRATCH_EN: 0
; COMPUTE_PGM_RSRC2:USER_SGPR: 6
; COMPUTE_PGM_RSRC2:TRAP_HANDLER: 0
; COMPUTE_PGM_RSRC2:TGID_X_EN: 1
; COMPUTE_PGM_RSRC2:TGID_Y_EN: 0
; COMPUTE_PGM_RSRC2:TGID_Z_EN: 1
; COMPUTE_PGM_RSRC2:TIDIG_COMP_CNT: 1
	.section	.text._ZL20rocblas_gemvn_kernelILi32ELi16ElPK16rocblas_bfloat16PKfKPS0_EviiT3_lPKT2_lT1_lSA_lSB_lS7_lPT4_lSB_li,"axG",@progbits,_ZL20rocblas_gemvn_kernelILi32ELi16ElPK16rocblas_bfloat16PKfKPS0_EviiT3_lPKT2_lT1_lSA_lSB_lS7_lPT4_lSB_li,comdat
	.globl	_ZL20rocblas_gemvn_kernelILi32ELi16ElPK16rocblas_bfloat16PKfKPS0_EviiT3_lPKT2_lT1_lSA_lSB_lS7_lPT4_lSB_li ; -- Begin function _ZL20rocblas_gemvn_kernelILi32ELi16ElPK16rocblas_bfloat16PKfKPS0_EviiT3_lPKT2_lT1_lSA_lSB_lS7_lPT4_lSB_li
	.p2align	8
	.type	_ZL20rocblas_gemvn_kernelILi32ELi16ElPK16rocblas_bfloat16PKfKPS0_EviiT3_lPKT2_lT1_lSA_lSB_lS7_lPT4_lSB_li,@function
_ZL20rocblas_gemvn_kernelILi32ELi16ElPK16rocblas_bfloat16PKfKPS0_EviiT3_lPKT2_lT1_lSA_lSB_lS7_lPT4_lSB_li: ; @_ZL20rocblas_gemvn_kernelILi32ELi16ElPK16rocblas_bfloat16PKfKPS0_EviiT3_lPKT2_lT1_lSA_lSB_lS7_lPT4_lSB_li
; %bb.0:
	s_load_dwordx2 s[0:1], s[4:5], 0x9c
	s_waitcnt lgkmcnt(0)
	s_lshr_b32 s2, s0, 16
	s_and_b32 s0, s0, 0xffff
	s_and_b32 s1, s1, 0xffff
	s_mul_i32 s0, s2, s0
	s_mul_i32 s0, s0, s1
	s_cmpk_lg_i32 s0, 0x200
	s_cbranch_scc1 .LBB591_73
; %bb.1:
	s_clause 0x1
	s_load_dwordx8 s[16:23], s[4:5], 0x8
	s_load_dwordx8 s[8:15], s[4:5], 0x58
	s_mov_b32 s26, s7
	s_mov_b32 s27, 0
	s_waitcnt lgkmcnt(0)
	s_mul_i32 s1, s19, s7
	s_mul_hi_u32 s2, s18, s7
	s_mul_i32 s0, s18, s7
	s_add_i32 s1, s2, s1
	s_mul_i32 s2, s11, s7
	s_lshl_b64 s[0:1], s[0:1], 2
	s_mul_hi_u32 s3, s10, s7
	s_add_u32 s0, s16, s0
	s_addc_u32 s1, s17, s1
	s_add_i32 s3, s3, s2
	s_mul_i32 s2, s10, s7
	s_lshl_b64 s[2:3], s[2:3], 2
	s_add_u32 s2, s8, s2
	s_addc_u32 s3, s9, s3
	s_load_dword s29, s[0:1], 0x0
	s_load_dword s28, s[2:3], 0x0
	s_waitcnt lgkmcnt(0)
	v_cmp_eq_f32_e64 s7, s29, 0
	v_cmp_eq_f32_e64 s0, s28, 1.0
	s_and_b32 s0, s7, s0
	s_and_b32 vcc_lo, exec_lo, s0
	s_cbranch_vccnz .LBB591_73
; %bb.2:
	s_clause 0x1
	s_load_dwordx2 s[16:17], s[4:5], 0x28
	s_load_dwordx2 s[8:9], s[4:5], 0x78
	v_cmp_neq_f32_e64 s10, s29, 0
	s_mov_b64 s[24:25], 0
	s_and_b32 vcc_lo, exec_lo, s7
	s_mov_b64 s[18:19], 0
	s_cbranch_vccnz .LBB591_4
; %bb.3:
	s_lshl_b64 s[0:1], s[26:27], 3
	s_add_u32 s0, s20, s0
	s_addc_u32 s1, s21, s1
	s_lshl_b64 s[2:3], s[22:23], 1
	s_load_dwordx2 s[0:1], s[0:1], 0x0
	s_waitcnt lgkmcnt(0)
	s_add_u32 s18, s0, s2
	s_addc_u32 s19, s1, s3
.LBB591_4:
	s_clause 0x1
	s_load_dwordx4 s[0:3], s[4:5], 0x38
	s_load_dwordx2 s[20:21], s[4:5], 0x48
	s_andn2_b32 vcc_lo, exec_lo, s10
	s_cbranch_vccnz .LBB591_6
; %bb.5:
	s_lshl_b64 s[10:11], s[26:27], 3
	s_waitcnt lgkmcnt(0)
	s_add_u32 s0, s0, s10
	s_addc_u32 s1, s1, s11
	s_lshl_b64 s[2:3], s[2:3], 1
	s_load_dwordx2 s[0:1], s[0:1], 0x0
	s_waitcnt lgkmcnt(0)
	s_add_u32 s24, s0, s2
	s_addc_u32 s25, s1, s3
.LBB591_6:
	s_waitcnt lgkmcnt(0)
	s_lshl_b64 s[0:1], s[26:27], 3
	v_lshlrev_b32_e32 v22, 5, v1
	s_add_u32 s0, s12, s0
	s_addc_u32 s1, s13, s1
	s_lshl_b64 s[12:13], s[14:15], 1
	s_load_dwordx2 s[2:3], s[0:1], 0x0
	s_load_dwordx2 s[10:11], s[4:5], 0x0
	v_add_nc_u32_e32 v21, v22, v0
	v_cmp_gt_u32_e64 s0, 0x80, v21
	s_waitcnt lgkmcnt(0)
	s_add_u32 s5, s2, s12
	s_addc_u32 s22, s3, s13
	s_andn2_b32 vcc_lo, exec_lo, s7
	s_cbranch_vccnz .LBB591_17
; %bb.7:
	s_mov_b32 s1, 0
	s_mov_b32 s23, 0
                                        ; implicit-def: $vgpr5
                                        ; implicit-def: $vgpr2_vgpr3
	s_and_saveexec_b32 s2, s0
	s_cbranch_execz .LBB591_18
; %bb.8:
	v_lshl_or_b32 v4, s6, 7, v21
	v_mov_b32_e32 v5, 0
	s_ashr_i32 s13, s10, 31
	s_mov_b32 s12, s10
	s_mov_b32 s3, 0
	s_mov_b32 s0, exec_lo
                                        ; implicit-def: $vgpr2_vgpr3
	v_cmpx_gt_i64_e64 s[12:13], v[4:5]
	s_cbranch_execz .LBB591_16
; %bb.9:
	v_mad_u64_u32 v[2:3], null, s8, v4, 0
	v_cmp_eq_f32_e64 s3, s28, 0
	s_and_b32 vcc_lo, exec_lo, s3
	v_mad_u64_u32 v[3:4], null, s9, v4, v[3:4]
	s_cbranch_vccnz .LBB591_15
; %bb.10:
	v_lshlrev_b64 v[4:5], 1, v[2:3]
	v_add_co_u32 v4, vcc_lo, s5, v4
	v_add_co_ci_u32_e64 v5, null, s22, v5, vcc_lo
	flat_load_ushort v4, v[4:5]
	s_waitcnt vmcnt(0) lgkmcnt(0)
	v_lshlrev_b32_e32 v4, 16, v4
	v_mul_f32_e32 v4, s28, v4
	v_and_b32_e32 v5, 0x7f800000, v4
	v_cmp_ne_u32_e32 vcc_lo, 0x7f800000, v5
                                        ; implicit-def: $vgpr5
	s_and_saveexec_b32 s3, vcc_lo
	s_xor_b32 s3, exec_lo, s3
; %bb.11:
	v_bfe_u32 v5, v4, 16, 1
	v_add3_u32 v5, v4, v5, 0x7fff
                                        ; implicit-def: $vgpr4
; %bb.12:
	s_andn2_saveexec_b32 s3, s3
; %bb.13:
	v_mov_b32_e32 v5, 0
	v_or_b32_e32 v6, 0x10000, v4
	v_cmp_eq_u32_sdwa vcc_lo, v4, v5 src0_sel:WORD_0 src1_sel:DWORD
	v_cndmask_b32_e32 v5, v6, v4, vcc_lo
; %bb.14:
	s_or_b32 exec_lo, exec_lo, s3
	v_lshrrev_b32_e32 v5, 16, v5
.LBB591_15:
	s_mov_b32 s3, exec_lo
.LBB591_16:
	s_or_b32 exec_lo, exec_lo, s0
	s_and_b32 s23, s3, exec_lo
	s_or_b32 exec_lo, exec_lo, s2
	s_and_b32 vcc_lo, exec_lo, s1
	s_cbranch_vccnz .LBB591_19
	s_branch .LBB591_71
.LBB591_17:
	s_mov_b32 s23, 0
                                        ; implicit-def: $vgpr5
                                        ; implicit-def: $vgpr2_vgpr3
	s_cbranch_execnz .LBB591_19
	s_branch .LBB591_71
.LBB591_18:
	s_or_b32 exec_lo, exec_lo, s2
	s_and_b32 vcc_lo, exec_lo, s1
	s_cbranch_vccz .LBB591_71
.LBB591_19:
	s_ashr_i32 s0, s11, 31
	s_lshl_b32 s26, s6, 7
	s_lshr_b32 s0, s0, 26
	v_lshlrev_b32_e32 v27, 2, v1
	v_mov_b32_e32 v23, 0
	v_add_nc_u32_e32 v2, s26, v0
	v_mov_b32_e32 v24, 0
	v_mov_b32_e32 v25, 0
	;; [unrolled: 1-line block ×3, first 2 shown]
	s_add_i32 s27, s11, s0
	s_mov_b32 s30, exec_lo
	s_andn2_b32 s27, s27, 63
	v_cmpx_gt_i32_e64 s27, v27
	s_cbranch_execz .LBB591_31
; %bb.20:
	v_lshlrev_b32_e32 v25, 2, v1
	v_add_nc_u32_e32 v4, 32, v2
	v_mad_u64_u32 v[7:8], null, s20, v1, 0
	v_mad_u64_u32 v[9:10], null, s16, v1, 0
	v_or_b32_e32 v26, 3, v25
	v_add_nc_u32_e32 v11, 64, v2
	v_add_nc_u32_e32 v12, 0x60, v2
	v_cmp_gt_i32_e64 s0, s10, v4
	v_or_b32_e32 v32, 2, v25
	v_mad_u64_u32 v[5:6], null, s16, v26, 0
	v_cmp_gt_i32_e64 s1, s10, v11
	v_cmp_gt_i32_e64 s2, s10, v12
	v_mad_u64_u32 v[16:17], null, s16, v32, 0
	v_mad_u64_u32 v[18:19], null, s20, v26, 0
	v_mov_b32_e32 v4, v6
	v_mov_b32_e32 v6, v8
	;; [unrolled: 1-line block ×3, first 2 shown]
	v_ashrrev_i32_e32 v3, 31, v2
	s_lshl_b64 s[6:7], s[16:17], 7
	v_mad_u64_u32 v[11:12], null, s17, v26, v[4:5]
	v_mad_u64_u32 v[12:13], null, s21, v1, v[6:7]
	;; [unrolled: 1-line block ×4, first 2 shown]
	v_mov_b32_e32 v6, v11
	v_lshlrev_b64 v[3:4], 1, v[2:3]
	v_mov_b32_e32 v8, v12
	s_lshl_b64 s[12:13], s[20:21], 7
	v_mov_b32_e32 v10, v13
	v_lshlrev_b64 v[11:12], 1, v[5:6]
	s_mov_b32 s31, 0
	v_lshlrev_b64 v[5:6], 3, v[7:8]
	v_mov_b32_e32 v7, v17
	v_mov_b32_e32 v8, v15
	v_lshlrev_b64 v[9:10], 3, v[9:10]
	v_add_co_u32 v28, s3, s18, v11
	v_add_co_ci_u32_e64 v29, null, s19, v12, s3
	v_mad_u64_u32 v[11:12], null, s16, v25, s[16:17]
	v_mad_u64_u32 v[23:24], null, s17, v32, v[7:8]
	v_mov_b32_e32 v7, v19
	v_mad_u64_u32 v[19:20], null, s21, v25, v[8:9]
	v_add_co_u32 v30, s3, s18, v9
	v_mad_u64_u32 v[7:8], null, s21, v26, v[7:8]
	v_mov_b32_e32 v8, v12
	v_mov_b32_e32 v17, v23
	v_mad_u64_u32 v[23:24], null, s20, v32, 0
	v_mov_b32_e32 v15, v19
	v_mad_u64_u32 v[12:13], null, s17, v25, v[8:9]
	v_lshlrev_b64 v[16:17], 1, v[16:17]
	v_mov_b32_e32 v19, v7
	v_add_co_ci_u32_e64 v31, null, s19, v10, s3
	v_mov_b32_e32 v8, v24
	v_mov_b32_e32 v26, 0
	v_lshlrev_b64 v[11:12], 1, v[11:12]
	s_mov_b64 s[14:15], s[24:25]
	v_cmp_gt_i32_e32 vcc_lo, s10, v2
	v_mad_u64_u32 v[24:25], null, s21, v32, v[8:9]
	v_add_co_u32 v32, s3, s18, v16
	v_add_co_ci_u32_e64 v33, null, s19, v17, s3
	v_add_co_u32 v34, s3, s18, v11
	v_lshlrev_b64 v[7:8], 1, v[14:15]
	v_lshlrev_b64 v[9:10], 1, v[18:19]
	v_add_co_ci_u32_e64 v35, null, s19, v12, s3
	v_lshlrev_b64 v[11:12], 1, v[23:24]
	v_mov_b32_e32 v23, 0
	v_mov_b32_e32 v24, 0
	;; [unrolled: 1-line block ×3, first 2 shown]
	s_branch .LBB591_25
.LBB591_21:                             ;   in Loop: Header=BB591_25 Depth=1
	s_or_b32 exec_lo, exec_lo, s34
	s_waitcnt vmcnt(3) lgkmcnt(3)
	v_lshlrev_b32_e32 v13, 16, v51
	s_waitcnt vmcnt(2) lgkmcnt(2)
	v_lshlrev_b32_e32 v14, 16, v50
	v_fmac_f32_e32 v25, v43, v13
	s_waitcnt vmcnt(1) lgkmcnt(1)
	v_lshlrev_b32_e32 v13, 16, v49
	v_fmac_f32_e32 v25, v39, v14
	v_fmac_f32_e32 v25, v41, v13
	s_waitcnt vmcnt(0) lgkmcnt(0)
	v_lshlrev_b32_e32 v13, 16, v48
	v_fmac_f32_e32 v25, v37, v13
.LBB591_22:                             ;   in Loop: Header=BB591_25 Depth=1
	s_or_b32 exec_lo, exec_lo, s33
	s_waitcnt vmcnt(3) lgkmcnt(3)
	v_lshlrev_b32_e32 v13, 16, v47
	s_waitcnt vmcnt(2) lgkmcnt(2)
	v_lshlrev_b32_e32 v14, 16, v46
	v_fmac_f32_e32 v24, v43, v13
	s_waitcnt vmcnt(1) lgkmcnt(1)
	v_lshlrev_b32_e32 v13, 16, v45
	v_fmac_f32_e32 v24, v39, v14
	v_fmac_f32_e32 v24, v41, v13
	s_waitcnt vmcnt(0) lgkmcnt(0)
	v_lshlrev_b32_e32 v13, 16, v44
	v_fmac_f32_e32 v24, v37, v13
.LBB591_23:                             ;   in Loop: Header=BB591_25 Depth=1
	s_or_b32 exec_lo, exec_lo, s3
	s_waitcnt vmcnt(3) lgkmcnt(3)
	v_lshlrev_b32_e32 v13, 16, v42
	s_waitcnt vmcnt(2) lgkmcnt(2)
	v_lshlrev_b32_e32 v14, 16, v40
	v_fmac_f32_e32 v23, v43, v13
	s_waitcnt vmcnt(1) lgkmcnt(1)
	v_lshlrev_b32_e32 v13, 16, v38
	v_fmac_f32_e32 v23, v39, v14
	v_fmac_f32_e32 v23, v41, v13
	s_waitcnt vmcnt(0) lgkmcnt(0)
	v_lshlrev_b32_e32 v13, 16, v36
	v_fmac_f32_e32 v23, v37, v13
.LBB591_24:                             ;   in Loop: Header=BB591_25 Depth=1
	s_or_b32 exec_lo, exec_lo, s4
	v_add_co_u32 v28, s3, v28, s6
	v_add_nc_u32_e32 v27, 64, v27
	v_add_co_ci_u32_e64 v29, null, s7, v29, s3
	v_add_co_u32 v30, s3, v30, s6
	v_add_co_ci_u32_e64 v31, null, s7, v31, s3
	v_add_co_u32 v32, s3, v32, s6
	v_add_co_ci_u32_e64 v33, null, s7, v33, s3
	v_cmp_le_i32_e64 s3, s27, v27
	v_add_co_u32 v34, s4, v34, s6
	v_add_co_ci_u32_e64 v35, null, s7, v35, s4
	s_add_u32 s14, s14, s12
	s_addc_u32 s15, s15, s13
	s_or_b32 s31, s3, s31
	s_andn2_b32 exec_lo, exec_lo, s31
	s_cbranch_execz .LBB591_30
.LBB591_25:                             ; =>This Inner Loop Header: Depth=1
	s_and_saveexec_b32 s4, vcc_lo
	s_cbranch_execz .LBB591_24
; %bb.26:                               ;   in Loop: Header=BB591_25 Depth=1
	v_add_co_u32 v13, s3, s14, v5
	v_add_co_ci_u32_e64 v14, null, s15, v6, s3
	v_add_co_u32 v15, s3, s14, v7
	v_add_co_ci_u32_e64 v16, null, s15, v8, s3
	;; [unrolled: 2-line block ×4, first 2 shown]
	s_clause 0x3
	flat_load_ushort v37, v[13:14]
	flat_load_ushort v39, v[15:16]
	;; [unrolled: 1-line block ×4, first 2 shown]
	v_add_co_u32 v13, s3, v30, v3
	v_add_co_ci_u32_e64 v14, null, v31, v4, s3
	v_add_co_u32 v17, s3, v34, v3
	v_add_co_ci_u32_e64 v18, null, v35, v4, s3
	;; [unrolled: 2-line block ×4, first 2 shown]
	flat_load_ushort v42, v[13:14]
	flat_load_ushort v40, v[17:18]
	;; [unrolled: 1-line block ×4, first 2 shown]
	s_waitcnt vmcnt(7) lgkmcnt(7)
	v_lshlrev_b32_e32 v43, 16, v37
	s_waitcnt vmcnt(6) lgkmcnt(6)
	v_lshlrev_b32_e32 v39, 16, v39
	;; [unrolled: 2-line block ×4, first 2 shown]
	s_and_saveexec_b32 s3, s0
	s_cbranch_execz .LBB591_23
; %bb.27:                               ;   in Loop: Header=BB591_25 Depth=1
	flat_load_ushort v47, v[13:14] offset:64
	flat_load_ushort v46, v[17:18] offset:64
	flat_load_ushort v45, v[15:16] offset:64
	flat_load_ushort v44, v[19:20] offset:64
	s_and_saveexec_b32 s33, s1
	s_cbranch_execz .LBB591_22
; %bb.28:                               ;   in Loop: Header=BB591_25 Depth=1
	flat_load_ushort v51, v[13:14] offset:128
	flat_load_ushort v50, v[17:18] offset:128
	flat_load_ushort v49, v[15:16] offset:128
	flat_load_ushort v48, v[19:20] offset:128
	;; [unrolled: 7-line block ×3, first 2 shown]
	s_waitcnt vmcnt(3) lgkmcnt(3)
	v_lshlrev_b32_e32 v13, 16, v13
	s_waitcnt vmcnt(2) lgkmcnt(2)
	v_lshlrev_b32_e32 v14, 16, v14
	v_fmac_f32_e32 v26, v43, v13
	s_waitcnt vmcnt(1) lgkmcnt(1)
	v_lshlrev_b32_e32 v13, 16, v15
	v_fmac_f32_e32 v26, v39, v14
	;; [unrolled: 3-line block ×3, first 2 shown]
	v_fmac_f32_e32 v26, v37, v14
	s_branch .LBB591_21
.LBB591_30:
	s_or_b32 exec_lo, exec_lo, s31
.LBB591_31:
	s_or_b32 exec_lo, exec_lo, s30
	s_sub_i32 s0, s11, s27
	s_cmp_lt_i32 s0, 1
	s_cbranch_scc1 .LBB591_49
; %bb.32:
	v_cmp_gt_i32_e32 vcc_lo, s11, v27
	v_mov_b32_e32 v12, 0
	v_or_b32_e32 v4, 1, v27
	v_mov_b32_e32 v11, 0
	v_mov_b32_e32 v14, 0
	;; [unrolled: 1-line block ×3, first 2 shown]
	s_and_saveexec_b32 s1, vcc_lo
	s_cbranch_execz .LBB591_40
; %bb.33:
	v_mad_u64_u32 v[5:6], null, s20, v27, 0
	v_mov_b32_e32 v13, 0
	v_mov_b32_e32 v11, 0
	;; [unrolled: 1-line block ×3, first 2 shown]
	s_mov_b32 s2, exec_lo
	v_mov_b32_e32 v3, v6
	v_mad_u64_u32 v[6:7], null, s21, v27, v[3:4]
	v_lshlrev_b64 v[5:6], 1, v[5:6]
	v_add_co_u32 v5, s0, s24, v5
	v_add_co_ci_u32_e64 v6, null, s25, v6, s0
	flat_load_ushort v3, v[5:6]
	v_cmpx_gt_i32_e64 s11, v4
	s_cbranch_execz .LBB591_39
; %bb.34:
	v_mad_u64_u32 v[5:6], null, s20, v4, 0
	v_mov_b32_e32 v11, 0
	v_mov_b32_e32 v12, 0
	s_mov_b32 s3, exec_lo
	v_mad_u64_u32 v[6:7], null, s21, v4, v[6:7]
	v_lshlrev_b64 v[5:6], 1, v[5:6]
	v_add_co_u32 v5, s0, s24, v5
	v_add_co_ci_u32_e64 v6, null, s25, v6, s0
	flat_load_ushort v5, v[5:6]
	v_or_b32_e32 v6, 2, v27
	v_cmpx_gt_i32_e64 s11, v6
	s_cbranch_execz .LBB591_38
; %bb.35:
	v_mad_u64_u32 v[7:8], null, s20, v6, 0
	v_mov_b32_e32 v11, 0
	s_mov_b32 s4, exec_lo
	v_mad_u64_u32 v[8:9], null, s21, v6, v[8:9]
	v_lshlrev_b64 v[6:7], 1, v[7:8]
	v_add_co_u32 v6, s0, s24, v6
	v_add_co_ci_u32_e64 v7, null, s25, v7, s0
	flat_load_ushort v6, v[6:7]
	v_or_b32_e32 v7, 3, v27
	v_cmpx_gt_i32_e64 s11, v7
	s_cbranch_execz .LBB591_37
; %bb.36:
	v_mad_u64_u32 v[8:9], null, s20, v7, 0
	v_mad_u64_u32 v[9:10], null, s21, v7, v[9:10]
	v_lshlrev_b64 v[7:8], 1, v[8:9]
	v_add_co_u32 v7, s0, s24, v7
	v_add_co_ci_u32_e64 v8, null, s25, v8, s0
	flat_load_ushort v7, v[7:8]
	s_waitcnt vmcnt(0) lgkmcnt(0)
	v_lshlrev_b32_e32 v11, 16, v7
.LBB591_37:
	s_or_b32 exec_lo, exec_lo, s4
	s_waitcnt vmcnt(0) lgkmcnt(0)
	v_lshlrev_b32_e32 v12, 16, v6
.LBB591_38:
	s_or_b32 exec_lo, exec_lo, s3
	s_waitcnt vmcnt(0) lgkmcnt(0)
	v_lshlrev_b32_e32 v13, 16, v5
.LBB591_39:
	s_or_b32 exec_lo, exec_lo, s2
	s_waitcnt vmcnt(0) lgkmcnt(0)
	v_lshlrev_b32_e32 v14, 16, v3
.LBB591_40:
	s_or_b32 exec_lo, exec_lo, s1
	s_mov_b32 s1, exec_lo
	v_cmpx_gt_i32_e64 s10, v2
	s_cbranch_execz .LBB591_48
; %bb.41:
	v_mad_u64_u32 v[5:6], null, s16, v27, 0
	v_mad_u64_u32 v[7:8], null, s16, v4, 0
	v_ashrrev_i32_e32 v3, 31, v2
	v_or_b32_e32 v20, 2, v27
	v_or_b32_e32 v29, 3, v27
	v_cndmask_b32_e32 v5, 0, v5, vcc_lo
	v_lshlrev_b64 v[9:10], 1, v[2:3]
	v_mad_u64_u32 v[15:16], null, s17, v27, v[6:7]
	v_mov_b32_e32 v3, v8
	v_mad_u64_u32 v[16:17], null, s16, v20, 0
	v_mad_u64_u32 v[18:19], null, s16, v29, 0
	v_mad_u64_u32 v[27:28], null, s17, v4, v[3:4]
	v_cndmask_b32_e32 v6, 0, v15, vcc_lo
	v_cmp_gt_i32_e32 vcc_lo, s11, v4
	v_mov_b32_e32 v3, v17
	v_cmp_gt_i32_e64 s0, s11, v20
	v_mov_b32_e32 v8, v19
	v_cndmask_b32_e32 v4, 0, v7, vcc_lo
	v_lshlrev_b64 v[6:7], 1, v[5:6]
	v_cndmask_b32_e32 v5, 0, v27, vcc_lo
	v_mad_u64_u32 v[19:20], null, s17, v20, v[3:4]
	v_add_co_u32 v3, vcc_lo, s18, v6
	v_add_co_ci_u32_e64 v7, null, s19, v7, vcc_lo
	v_lshlrev_b64 v[5:6], 1, v[4:5]
	v_add_co_u32 v3, vcc_lo, v3, v9
	v_add_co_ci_u32_e64 v4, null, v7, v10, vcc_lo
	v_cndmask_b32_e64 v7, 0, v16, s0
	v_mad_u64_u32 v[15:16], null, s17, v29, v[8:9]
	v_add_co_u32 v5, vcc_lo, s18, v5
	v_add_co_ci_u32_e64 v6, null, s19, v6, vcc_lo
	v_cmp_gt_i32_e32 vcc_lo, s11, v29
	v_cndmask_b32_e64 v8, 0, v19, s0
	v_add_co_u32 v5, s0, v5, v9
	v_add_co_ci_u32_e64 v6, null, v6, v10, s0
	v_cndmask_b32_e32 v16, 0, v18, vcc_lo
	v_cndmask_b32_e32 v17, 0, v15, vcc_lo
	v_lshlrev_b64 v[7:8], 1, v[7:8]
	s_clause 0x1
	flat_load_ushort v18, v[3:4]
	flat_load_ushort v19, v[5:6]
	s_mov_b32 s0, exec_lo
	v_lshlrev_b64 v[15:16], 1, v[16:17]
	v_add_co_u32 v7, vcc_lo, s18, v7
	v_add_co_ci_u32_e64 v8, null, s19, v8, vcc_lo
	v_add_co_u32 v15, vcc_lo, s18, v15
	v_add_co_ci_u32_e64 v16, null, s19, v16, vcc_lo
	v_add_co_u32 v7, vcc_lo, v7, v9
	v_add_co_ci_u32_e64 v8, null, v8, v10, vcc_lo
	v_add_co_u32 v9, vcc_lo, v15, v9
	v_add_co_ci_u32_e64 v10, null, v16, v10, vcc_lo
	s_clause 0x1
	flat_load_ushort v15, v[7:8]
	flat_load_ushort v16, v[9:10]
	s_waitcnt vmcnt(3) lgkmcnt(3)
	v_lshlrev_b32_e32 v17, 16, v18
	s_waitcnt vmcnt(2) lgkmcnt(2)
	v_lshlrev_b32_e32 v18, 16, v19
	v_fmac_f32_e32 v23, v14, v17
	v_fmac_f32_e32 v23, v13, v18
	v_add_nc_u32_e32 v18, 32, v2
	s_waitcnt vmcnt(1) lgkmcnt(1)
	v_lshlrev_b32_e32 v17, 16, v15
	s_waitcnt vmcnt(0) lgkmcnt(0)
	v_lshlrev_b32_e32 v15, 16, v16
	v_fmac_f32_e32 v23, v12, v17
	v_cmpx_gt_i32_e64 s10, v18
	s_cbranch_execz .LBB591_47
; %bb.42:
	s_clause 0x3
	flat_load_ushort v16, v[3:4] offset:64
	flat_load_ushort v17, v[5:6] offset:64
	;; [unrolled: 1-line block ×4, first 2 shown]
	s_mov_b32 s2, exec_lo
	s_waitcnt vmcnt(3) lgkmcnt(3)
	v_lshlrev_b32_e32 v16, 16, v16
	s_waitcnt vmcnt(2) lgkmcnt(2)
	v_lshlrev_b32_e32 v17, 16, v17
	;; [unrolled: 2-line block ×3, first 2 shown]
	v_fmac_f32_e32 v24, v14, v16
	s_waitcnt vmcnt(0) lgkmcnt(0)
	v_lshlrev_b32_e32 v16, 16, v19
	v_fmac_f32_e32 v24, v13, v17
	v_add_nc_u32_e32 v17, 64, v2
	v_fmac_f32_e32 v24, v12, v18
	v_cmpx_gt_i32_e64 s10, v17
	s_cbranch_execz .LBB591_46
; %bb.43:
	s_clause 0x3
	flat_load_ushort v17, v[3:4] offset:128
	flat_load_ushort v18, v[5:6] offset:128
	flat_load_ushort v19, v[7:8] offset:128
	flat_load_ushort v20, v[9:10] offset:128
	s_mov_b32 s3, exec_lo
	s_waitcnt vmcnt(3) lgkmcnt(3)
	v_lshlrev_b32_e32 v17, 16, v17
	s_waitcnt vmcnt(2) lgkmcnt(2)
	v_lshlrev_b32_e32 v18, 16, v18
	v_fmac_f32_e32 v25, v14, v17
	s_waitcnt vmcnt(1) lgkmcnt(1)
	v_lshlrev_b32_e32 v17, 16, v19
	v_fmac_f32_e32 v25, v13, v18
	v_add_nc_u32_e32 v18, 0x60, v2
	s_waitcnt vmcnt(0) lgkmcnt(0)
	v_lshlrev_b32_e32 v2, 16, v20
	v_fmac_f32_e32 v25, v12, v17
	v_cmpx_gt_i32_e64 s10, v18
	s_cbranch_execz .LBB591_45
; %bb.44:
	s_clause 0x3
	flat_load_ushort v3, v[3:4] offset:192
	flat_load_ushort v4, v[5:6] offset:192
	;; [unrolled: 1-line block ×4, first 2 shown]
	s_waitcnt vmcnt(3) lgkmcnt(3)
	v_lshlrev_b32_e32 v3, 16, v3
	s_waitcnt vmcnt(2) lgkmcnt(2)
	v_lshlrev_b32_e32 v4, 16, v4
	v_fmac_f32_e32 v26, v14, v3
	s_waitcnt vmcnt(1) lgkmcnt(1)
	v_lshlrev_b32_e32 v3, 16, v5
	v_fmac_f32_e32 v26, v13, v4
	;; [unrolled: 3-line block ×3, first 2 shown]
	v_fmac_f32_e32 v26, v11, v4
.LBB591_45:
	s_or_b32 exec_lo, exec_lo, s3
	v_fmac_f32_e32 v25, v11, v2
.LBB591_46:
	s_or_b32 exec_lo, exec_lo, s2
	v_fmac_f32_e32 v24, v11, v16
.LBB591_47:
	s_or_b32 exec_lo, exec_lo, s0
	v_fmac_f32_e32 v23, v11, v15
.LBB591_48:
	s_or_b32 exec_lo, exec_lo, s1
.LBB591_49:
	v_lshlrev_b32_e32 v0, 2, v0
	s_mov_b32 s0, exec_lo
                                        ; implicit-def: $vgpr5
                                        ; implicit-def: $vgpr2_vgpr3
	v_lshl_add_u32 v1, v1, 9, v0
	ds_write2_b32 v1, v23, v24 offset1:32
	ds_write2_b32 v1, v25, v26 offset0:64 offset1:96
	s_waitcnt lgkmcnt(0)
	s_barrier
	buffer_gl0_inv
	v_cmpx_gt_u32_e32 0x80, v21
	s_cbranch_execz .LBB591_70
; %bb.50:
	v_lshl_add_u32 v6, v22, 2, v0
	s_mov_b32 s2, s23
	s_mov_b32 s1, exec_lo
	ds_read2st64_b32 v[0:1], v6 offset1:2
	ds_read2st64_b32 v[2:3], v6 offset0:4 offset1:6
	ds_read2st64_b32 v[4:5], v6 offset0:8 offset1:10
	s_waitcnt lgkmcnt(2)
	v_add_f32_e32 v7, v0, v1
	ds_read2st64_b32 v[0:1], v6 offset0:12 offset1:14
	s_waitcnt lgkmcnt(2)
	v_add_f32_e32 v2, v2, v7
	v_add_f32_e32 v7, v3, v2
	ds_read2st64_b32 v[2:3], v6 offset0:16 offset1:18
	s_waitcnt lgkmcnt(2)
	v_add_f32_e32 v4, v4, v7
	;; [unrolled: 4-line block ×3, first 2 shown]
	v_add_f32_e32 v0, v1, v0
	s_waitcnt lgkmcnt(1)
	v_add_f32_e32 v2, v2, v0
	ds_read2st64_b32 v[0:1], v6 offset0:24 offset1:26
	v_add_f32_e32 v2, v3, v2
	s_waitcnt lgkmcnt(1)
	v_add_f32_e32 v4, v4, v2
	ds_read2st64_b32 v[2:3], v6 offset0:28 offset1:30
	v_add_f32_e32 v4, v5, v4
                                        ; implicit-def: $vgpr5
	s_waitcnt lgkmcnt(1)
	v_add_f32_e32 v0, v0, v4
	v_add_f32_e32 v0, v1, v0
	s_waitcnt lgkmcnt(0)
	v_add_f32_e32 v1, v2, v0
	v_or_b32_e32 v0, s26, v21
	v_add_f32_e32 v1, v3, v1
                                        ; implicit-def: $vgpr2_vgpr3
	ds_write_b32 v6, v1
	v_cmpx_gt_i32_e64 s10, v0
	s_cbranch_execz .LBB591_69
; %bb.51:
	v_cmp_eq_f32_e64 s2, s28, 0
	v_mul_f32_e32 v1, s29, v1
	s_and_b32 vcc_lo, exec_lo, s2
	s_cbranch_vccz .LBB591_57
; %bb.52:
	v_and_b32_e32 v2, 0x7f800000, v1
	s_mov_b32 s2, exec_lo
                                        ; implicit-def: $vgpr5
	v_cmpx_ne_u32_e32 0x7f800000, v2
	s_xor_b32 s2, exec_lo, s2
; %bb.53:
	v_bfe_u32 v2, v1, 16, 1
	v_add3_u32 v5, v1, v2, 0x7fff
; %bb.54:
	s_andn2_saveexec_b32 s2, s2
; %bb.55:
	v_mov_b32_e32 v2, 0
	v_or_b32_e32 v3, 0x10000, v1
	v_cmp_eq_u32_sdwa vcc_lo, v1, v2 src0_sel:WORD_0 src1_sel:DWORD
	v_cndmask_b32_e32 v5, v3, v1, vcc_lo
; %bb.56:
	s_or_b32 exec_lo, exec_lo, s2
	s_mov_b32 s2, 0
	s_branch .LBB591_58
.LBB591_57:
	s_mov_b32 s2, -1
                                        ; implicit-def: $vgpr5
.LBB591_58:
	v_ashrrev_i32_e32 v2, 31, v0
	v_mul_lo_u32 v4, s9, v0
	s_andn2_b32 vcc_lo, exec_lo, s2
	v_mul_lo_u32 v6, s8, v2
	s_cbranch_vccnz .LBB591_68
; %bb.59:
	v_mad_u64_u32 v[2:3], null, s8, v0, 0
	v_add3_u32 v3, v3, v6, v4
	v_lshlrev_b64 v[2:3], 1, v[2:3]
	v_add_co_u32 v2, vcc_lo, s5, v2
	v_add_co_ci_u32_e64 v3, null, s22, v3, vcc_lo
	flat_load_ushort v2, v[2:3]
	s_waitcnt vmcnt(0) lgkmcnt(0)
	v_lshlrev_b32_e32 v2, 16, v2
	v_mul_f32_e32 v2, s28, v2
	v_and_b32_e32 v3, 0x7f800000, v2
	v_cmp_ne_u32_e32 vcc_lo, 0x7f800000, v3
                                        ; implicit-def: $vgpr3
	s_and_saveexec_b32 s2, vcc_lo
	s_xor_b32 s2, exec_lo, s2
; %bb.60:
	v_bfe_u32 v3, v2, 16, 1
	v_add3_u32 v3, v2, v3, 0x7fff
                                        ; implicit-def: $vgpr2
; %bb.61:
	s_andn2_saveexec_b32 s2, s2
; %bb.62:
	v_mov_b32_e32 v3, 0
	v_or_b32_e32 v5, 0x10000, v2
	v_cmp_eq_u32_sdwa vcc_lo, v2, v3 src0_sel:WORD_0 src1_sel:DWORD
	v_cndmask_b32_e32 v3, v5, v2, vcc_lo
; %bb.63:
	s_or_b32 exec_lo, exec_lo, s2
	v_and_b32_e32 v2, 0xffff0000, v3
	s_mov_b32 s2, exec_lo
                                        ; implicit-def: $vgpr5
	v_add_f32_e32 v1, v1, v2
	v_and_b32_e32 v2, 0x7f800000, v1
	v_cmpx_ne_u32_e32 0x7f800000, v2
	s_xor_b32 s2, exec_lo, s2
; %bb.64:
	v_bfe_u32 v2, v1, 16, 1
	v_add3_u32 v5, v1, v2, 0x7fff
                                        ; implicit-def: $vgpr1
; %bb.65:
	s_andn2_saveexec_b32 s2, s2
; %bb.66:
	v_mov_b32_e32 v2, 0
	v_or_b32_e32 v3, 0x10000, v1
	v_cmp_eq_u32_sdwa vcc_lo, v1, v2 src0_sel:WORD_0 src1_sel:DWORD
	v_cndmask_b32_e32 v5, v3, v1, vcc_lo
; %bb.67:
	s_or_b32 exec_lo, exec_lo, s2
.LBB591_68:
	v_mad_u64_u32 v[2:3], null, s8, v0, 0
	v_lshrrev_b32_e32 v5, 16, v5
	s_or_b32 s2, s23, exec_lo
	v_add3_u32 v3, v3, v6, v4
.LBB591_69:
	s_or_b32 exec_lo, exec_lo, s1
	s_andn2_b32 s1, s23, exec_lo
	s_and_b32 s2, s2, exec_lo
	s_or_b32 s23, s1, s2
.LBB591_70:
	s_or_b32 exec_lo, exec_lo, s0
.LBB591_71:
	s_and_saveexec_b32 s0, s23
	s_cbranch_execz .LBB591_73
; %bb.72:
	v_lshlrev_b64 v[0:1], 1, v[2:3]
	v_add_co_u32 v0, vcc_lo, s5, v0
	v_add_co_ci_u32_e64 v1, null, s22, v1, vcc_lo
	flat_store_short v[0:1], v5
.LBB591_73:
	s_endpgm
	.section	.rodata,"a",@progbits
	.p2align	6, 0x0
	.amdhsa_kernel _ZL20rocblas_gemvn_kernelILi32ELi16ElPK16rocblas_bfloat16PKfKPS0_EviiT3_lPKT2_lT1_lSA_lSB_lS7_lPT4_lSB_li
		.amdhsa_group_segment_fixed_size 8192
		.amdhsa_private_segment_fixed_size 0
		.amdhsa_kernarg_size 400
		.amdhsa_user_sgpr_count 6
		.amdhsa_user_sgpr_private_segment_buffer 1
		.amdhsa_user_sgpr_dispatch_ptr 0
		.amdhsa_user_sgpr_queue_ptr 0
		.amdhsa_user_sgpr_kernarg_segment_ptr 1
		.amdhsa_user_sgpr_dispatch_id 0
		.amdhsa_user_sgpr_flat_scratch_init 0
		.amdhsa_user_sgpr_private_segment_size 0
		.amdhsa_wavefront_size32 1
		.amdhsa_uses_dynamic_stack 0
		.amdhsa_system_sgpr_private_segment_wavefront_offset 0
		.amdhsa_system_sgpr_workgroup_id_x 1
		.amdhsa_system_sgpr_workgroup_id_y 0
		.amdhsa_system_sgpr_workgroup_id_z 1
		.amdhsa_system_sgpr_workgroup_info 0
		.amdhsa_system_vgpr_workitem_id 1
		.amdhsa_next_free_vgpr 52
		.amdhsa_next_free_sgpr 35
		.amdhsa_reserve_vcc 1
		.amdhsa_reserve_flat_scratch 1
		.amdhsa_float_round_mode_32 0
		.amdhsa_float_round_mode_16_64 0
		.amdhsa_float_denorm_mode_32 3
		.amdhsa_float_denorm_mode_16_64 3
		.amdhsa_dx10_clamp 1
		.amdhsa_ieee_mode 1
		.amdhsa_fp16_overflow 0
		.amdhsa_workgroup_processor_mode 1
		.amdhsa_memory_ordered 1
		.amdhsa_forward_progress 1
		.amdhsa_shared_vgpr_count 0
		.amdhsa_exception_fp_ieee_invalid_op 0
		.amdhsa_exception_fp_denorm_src 0
		.amdhsa_exception_fp_ieee_div_zero 0
		.amdhsa_exception_fp_ieee_overflow 0
		.amdhsa_exception_fp_ieee_underflow 0
		.amdhsa_exception_fp_ieee_inexact 0
		.amdhsa_exception_int_div_zero 0
	.end_amdhsa_kernel
	.section	.text._ZL20rocblas_gemvn_kernelILi32ELi16ElPK16rocblas_bfloat16PKfKPS0_EviiT3_lPKT2_lT1_lSA_lSB_lS7_lPT4_lSB_li,"axG",@progbits,_ZL20rocblas_gemvn_kernelILi32ELi16ElPK16rocblas_bfloat16PKfKPS0_EviiT3_lPKT2_lT1_lSA_lSB_lS7_lPT4_lSB_li,comdat
.Lfunc_end591:
	.size	_ZL20rocblas_gemvn_kernelILi32ELi16ElPK16rocblas_bfloat16PKfKPS0_EviiT3_lPKT2_lT1_lSA_lSB_lS7_lPT4_lSB_li, .Lfunc_end591-_ZL20rocblas_gemvn_kernelILi32ELi16ElPK16rocblas_bfloat16PKfKPS0_EviiT3_lPKT2_lT1_lSA_lSB_lS7_lPT4_lSB_li
                                        ; -- End function
	.set _ZL20rocblas_gemvn_kernelILi32ELi16ElPK16rocblas_bfloat16PKfKPS0_EviiT3_lPKT2_lT1_lSA_lSB_lS7_lPT4_lSB_li.num_vgpr, 52
	.set _ZL20rocblas_gemvn_kernelILi32ELi16ElPK16rocblas_bfloat16PKfKPS0_EviiT3_lPKT2_lT1_lSA_lSB_lS7_lPT4_lSB_li.num_agpr, 0
	.set _ZL20rocblas_gemvn_kernelILi32ELi16ElPK16rocblas_bfloat16PKfKPS0_EviiT3_lPKT2_lT1_lSA_lSB_lS7_lPT4_lSB_li.numbered_sgpr, 35
	.set _ZL20rocblas_gemvn_kernelILi32ELi16ElPK16rocblas_bfloat16PKfKPS0_EviiT3_lPKT2_lT1_lSA_lSB_lS7_lPT4_lSB_li.num_named_barrier, 0
	.set _ZL20rocblas_gemvn_kernelILi32ELi16ElPK16rocblas_bfloat16PKfKPS0_EviiT3_lPKT2_lT1_lSA_lSB_lS7_lPT4_lSB_li.private_seg_size, 0
	.set _ZL20rocblas_gemvn_kernelILi32ELi16ElPK16rocblas_bfloat16PKfKPS0_EviiT3_lPKT2_lT1_lSA_lSB_lS7_lPT4_lSB_li.uses_vcc, 1
	.set _ZL20rocblas_gemvn_kernelILi32ELi16ElPK16rocblas_bfloat16PKfKPS0_EviiT3_lPKT2_lT1_lSA_lSB_lS7_lPT4_lSB_li.uses_flat_scratch, 1
	.set _ZL20rocblas_gemvn_kernelILi32ELi16ElPK16rocblas_bfloat16PKfKPS0_EviiT3_lPKT2_lT1_lSA_lSB_lS7_lPT4_lSB_li.has_dyn_sized_stack, 0
	.set _ZL20rocblas_gemvn_kernelILi32ELi16ElPK16rocblas_bfloat16PKfKPS0_EviiT3_lPKT2_lT1_lSA_lSB_lS7_lPT4_lSB_li.has_recursion, 0
	.set _ZL20rocblas_gemvn_kernelILi32ELi16ElPK16rocblas_bfloat16PKfKPS0_EviiT3_lPKT2_lT1_lSA_lSB_lS7_lPT4_lSB_li.has_indirect_call, 0
	.section	.AMDGPU.csdata,"",@progbits
; Kernel info:
; codeLenInByte = 3640
; TotalNumSgprs: 37
; NumVgprs: 52
; ScratchSize: 0
; MemoryBound: 0
; FloatMode: 240
; IeeeMode: 1
; LDSByteSize: 8192 bytes/workgroup (compile time only)
; SGPRBlocks: 0
; VGPRBlocks: 6
; NumSGPRsForWavesPerEU: 37
; NumVGPRsForWavesPerEU: 52
; Occupancy: 16
; WaveLimiterHint : 1
; COMPUTE_PGM_RSRC2:SCRATCH_EN: 0
; COMPUTE_PGM_RSRC2:USER_SGPR: 6
; COMPUTE_PGM_RSRC2:TRAP_HANDLER: 0
; COMPUTE_PGM_RSRC2:TGID_X_EN: 1
; COMPUTE_PGM_RSRC2:TGID_Y_EN: 0
; COMPUTE_PGM_RSRC2:TGID_Z_EN: 1
; COMPUTE_PGM_RSRC2:TIDIG_COMP_CNT: 1
	.section	.text._ZL20rocblas_gemvn_kernelILi32ELi16EiPK16rocblas_bfloat16fKPS0_EviiT3_lPKT2_lT1_lS8_lS9_lS5_lPT4_lS9_li,"axG",@progbits,_ZL20rocblas_gemvn_kernelILi32ELi16EiPK16rocblas_bfloat16fKPS0_EviiT3_lPKT2_lT1_lS8_lS9_lS5_lPT4_lS9_li,comdat
	.globl	_ZL20rocblas_gemvn_kernelILi32ELi16EiPK16rocblas_bfloat16fKPS0_EviiT3_lPKT2_lT1_lS8_lS9_lS5_lPT4_lS9_li ; -- Begin function _ZL20rocblas_gemvn_kernelILi32ELi16EiPK16rocblas_bfloat16fKPS0_EviiT3_lPKT2_lT1_lS8_lS9_lS5_lPT4_lS9_li
	.p2align	8
	.type	_ZL20rocblas_gemvn_kernelILi32ELi16EiPK16rocblas_bfloat16fKPS0_EviiT3_lPKT2_lT1_lS8_lS9_lS5_lPT4_lS9_li,@function
_ZL20rocblas_gemvn_kernelILi32ELi16EiPK16rocblas_bfloat16fKPS0_EviiT3_lPKT2_lT1_lS8_lS9_lS5_lPT4_lS9_li: ; @_ZL20rocblas_gemvn_kernelILi32ELi16EiPK16rocblas_bfloat16fKPS0_EviiT3_lPKT2_lT1_lS8_lS9_lS5_lPT4_lS9_li
; %bb.0:
	s_load_dwordx2 s[0:1], s[4:5], 0x9c
	s_waitcnt lgkmcnt(0)
	s_lshr_b32 s3, s0, 16
	s_and_b32 s0, s0, 0xffff
	s_and_b32 s1, s1, 0xffff
	s_mul_i32 s0, s3, s0
	s_mul_i32 s0, s0, s1
	s_cmpk_lg_i32 s0, 0x200
	s_cbranch_scc1 .LBB592_75
; %bb.1:
	s_clause 0x1
	s_load_dwordx4 s[8:11], s[4:5], 0x0
	s_load_dword s16, s[4:5], 0x58
	s_mov_b32 s3, 0
	s_waitcnt lgkmcnt(0)
	v_cmp_eq_f32_e64 s17, s10, 0
	v_cmp_eq_f32_e64 s0, s16, 1.0
	s_and_b32 s0, s17, s0
	s_and_b32 vcc_lo, exec_lo, s0
	s_cbranch_vccnz .LBB592_75
; %bb.2:
	s_mov_b32 s2, s7
	v_cmp_neq_f32_e64 s7, s10, 0
	s_and_b32 vcc_lo, exec_lo, s7
	s_cbranch_vccnz .LBB592_4
; %bb.3:
	s_mov_b32 s1, 0
	s_mov_b32 s0, s2
	;; [unrolled: 1-line block ×3, first 2 shown]
	s_mov_b64 s[14:15], 0
	s_andn2_b32 vcc_lo, exec_lo, s11
	s_mov_b64 s[12:13], 0
	s_cbranch_vccz .LBB592_5
	s_branch .LBB592_6
.LBB592_4:
	s_mov_b64 s[0:1], s[2:3]
	s_mov_b64 s[14:15], 0
	;; [unrolled: 1-line block ×3, first 2 shown]
.LBB592_5:
	s_load_dwordx4 s[20:23], s[4:5], 0x18
	s_lshl_b64 s[2:3], s[2:3], 3
	s_waitcnt lgkmcnt(0)
	s_add_u32 s2, s20, s2
	s_addc_u32 s3, s21, s3
	s_lshl_b64 s[12:13], s[22:23], 1
	s_load_dwordx2 s[2:3], s[2:3], 0x0
	s_waitcnt lgkmcnt(0)
	s_add_u32 s12, s2, s12
	s_addc_u32 s13, s3, s13
.LBB592_6:
	s_andn2_b32 vcc_lo, exec_lo, s7
	s_cbranch_vccnz .LBB592_8
; %bb.7:
	s_load_dwordx4 s[20:23], s[4:5], 0x38
	s_lshl_b64 s[2:3], s[0:1], 3
	s_waitcnt lgkmcnt(0)
	s_add_u32 s2, s20, s2
	s_addc_u32 s3, s21, s3
	s_lshl_b64 s[14:15], s[22:23], 1
	s_load_dwordx2 s[2:3], s[2:3], 0x0
	s_waitcnt lgkmcnt(0)
	s_add_u32 s14, s2, s14
	s_addc_u32 s15, s3, s15
.LBB592_8:
	s_clause 0x1
	s_load_dwordx4 s[20:23], s[4:5], 0x68
	s_load_dword s18, s[4:5], 0x78
	s_lshl_b64 s[0:1], s[0:1], 3
	v_lshlrev_b32_e32 v14, 5, v1
	v_add_nc_u32_e32 v13, v14, v0
	s_waitcnt lgkmcnt(0)
	s_add_u32 s0, s20, s0
	s_addc_u32 s1, s21, s1
	s_lshl_b64 s[20:21], s[22:23], 1
	s_load_dwordx2 s[2:3], s[0:1], 0x0
	v_cmp_gt_u32_e64 s0, 0x80, v13
	s_waitcnt lgkmcnt(0)
	s_add_u32 s7, s2, s20
	s_addc_u32 s11, s3, s21
	s_andn2_b32 vcc_lo, exec_lo, s17
	s_cbranch_vccnz .LBB592_19
; %bb.9:
	s_mov_b32 s1, 0
	s_mov_b32 s17, 0
                                        ; implicit-def: $vgpr5
                                        ; implicit-def: $vgpr2_vgpr3
	s_and_saveexec_b32 s2, s0
	s_cbranch_execz .LBB592_20
; %bb.10:
	v_lshl_or_b32 v4, s6, 7, v13
	v_mov_b32_e32 v5, 0
	s_ashr_i32 s21, s8, 31
	s_mov_b32 s20, s8
	s_mov_b32 s3, 0
	s_mov_b32 s0, exec_lo
                                        ; implicit-def: $vgpr2_vgpr3
	v_cmpx_gt_i64_e64 s[20:21], v[4:5]
	s_cbranch_execz .LBB592_18
; %bb.11:
	v_mad_u64_u32 v[2:3], null, s18, v4, 0
	s_ashr_i32 s3, s18, 31
	v_mad_u64_u32 v[3:4], null, s3, v4, v[3:4]
	v_cmp_eq_f32_e64 s3, s16, 0
	s_and_b32 vcc_lo, exec_lo, s3
	s_cbranch_vccnz .LBB592_17
; %bb.12:
	v_lshlrev_b64 v[4:5], 1, v[2:3]
	v_add_co_u32 v4, vcc_lo, s7, v4
	v_add_co_ci_u32_e64 v5, null, s11, v5, vcc_lo
	flat_load_ushort v4, v[4:5]
	s_waitcnt vmcnt(0) lgkmcnt(0)
	v_lshlrev_b32_e32 v4, 16, v4
	v_mul_f32_e32 v4, s16, v4
	v_and_b32_e32 v5, 0x7f800000, v4
	v_cmp_ne_u32_e32 vcc_lo, 0x7f800000, v5
                                        ; implicit-def: $vgpr5
	s_and_saveexec_b32 s3, vcc_lo
	s_xor_b32 s3, exec_lo, s3
; %bb.13:
	v_bfe_u32 v5, v4, 16, 1
	v_add3_u32 v5, v4, v5, 0x7fff
                                        ; implicit-def: $vgpr4
; %bb.14:
	s_andn2_saveexec_b32 s3, s3
; %bb.15:
	v_mov_b32_e32 v5, 0
	v_or_b32_e32 v6, 0x10000, v4
	v_cmp_eq_u32_sdwa vcc_lo, v4, v5 src0_sel:WORD_0 src1_sel:DWORD
	v_cndmask_b32_e32 v5, v6, v4, vcc_lo
; %bb.16:
	s_or_b32 exec_lo, exec_lo, s3
	v_lshrrev_b32_e32 v5, 16, v5
.LBB592_17:
	s_mov_b32 s3, exec_lo
.LBB592_18:
	s_or_b32 exec_lo, exec_lo, s0
	s_and_b32 s17, s3, exec_lo
	s_or_b32 exec_lo, exec_lo, s2
	s_and_b32 vcc_lo, exec_lo, s1
	s_cbranch_vccnz .LBB592_21
	s_branch .LBB592_73
.LBB592_19:
	s_mov_b32 s17, 0
                                        ; implicit-def: $vgpr5
                                        ; implicit-def: $vgpr2_vgpr3
	s_cbranch_execnz .LBB592_21
	s_branch .LBB592_73
.LBB592_20:
	s_or_b32 exec_lo, exec_lo, s2
	s_and_b32 vcc_lo, exec_lo, s1
	s_cbranch_vccz .LBB592_73
.LBB592_21:
	s_clause 0x1
	s_load_dword s19, s[4:5], 0x28
	s_load_dword s4, s[4:5], 0x48
	s_ashr_i32 s0, s9, 31
	s_lshl_b32 s5, s6, 7
	s_lshr_b32 s0, s0, 26
	v_lshlrev_b32_e32 v20, 2, v1
	v_add_nc_u32_e32 v19, s5, v0
	v_mov_b32_e32 v15, 0
	v_mov_b32_e32 v16, 0
	v_mov_b32_e32 v17, 0
	v_mov_b32_e32 v18, 0
	s_add_i32 s0, s9, s0
	s_mov_b32 s20, exec_lo
	s_and_b32 s6, s0, 0xffffffc0
	v_cmpx_gt_i32_e64 s6, v20
	s_cbranch_execz .LBB592_33
; %bb.22:
	v_add_nc_u32_e32 v5, 0x60, v19
	s_waitcnt lgkmcnt(0)
	v_mul_lo_u32 v3, s19, v20
	v_add_nc_u32_e32 v2, 32, v19
	v_add_nc_u32_e32 v6, 2, v20
	;; [unrolled: 1-line block ×3, first 2 shown]
	v_cmp_gt_i32_e64 s2, s8, v5
	v_mul_lo_u32 v5, v1, s19
	v_add_nc_u32_e32 v7, 3, v20
	v_mul_lo_u32 v8, v1, s4
	v_cmp_gt_i32_e64 s0, s8, v2
	v_add3_u32 v21, v3, s19, v0
	v_mad_u64_u32 v[2:3], null, s19, v6, v[0:1]
	v_cmp_gt_i32_e64 s1, s8, v4
	v_mad_u64_u32 v[3:4], null, s19, v7, v[0:1]
	v_lshl_add_u32 v22, v5, 2, v0
	v_mad_u64_u32 v[4:5], null, s4, v20, s[4:5]
	v_mul_lo_u32 v23, s4, v6
	v_mul_lo_u32 v24, s4, v7
	v_lshlrev_b32_e32 v25, 2, v8
	v_mov_b32_e32 v15, 0
	v_mov_b32_e32 v16, 0
	;; [unrolled: 1-line block ×4, first 2 shown]
	s_lshl_b32 s21, s19, 6
	s_lshl_b32 s23, s4, 6
	s_mov_b32 s22, 0
	s_mov_b32 s24, 0
	v_cmp_gt_i32_e32 vcc_lo, s8, v19
	s_branch .LBB592_27
.LBB592_23:                             ;   in Loop: Header=BB592_27 Depth=1
	s_or_b32 exec_lo, exec_lo, s27
	s_waitcnt vmcnt(3) lgkmcnt(3)
	v_lshlrev_b32_e32 v5, 16, v41
	s_waitcnt vmcnt(2) lgkmcnt(2)
	v_lshlrev_b32_e32 v6, 16, v40
	v_fmac_f32_e32 v17, v33, v5
	s_waitcnt vmcnt(1) lgkmcnt(1)
	v_lshlrev_b32_e32 v5, 16, v39
	v_fmac_f32_e32 v17, v29, v6
	v_fmac_f32_e32 v17, v31, v5
	s_waitcnt vmcnt(0) lgkmcnt(0)
	v_lshlrev_b32_e32 v5, 16, v38
	v_fmac_f32_e32 v17, v27, v5
.LBB592_24:                             ;   in Loop: Header=BB592_27 Depth=1
	s_or_b32 exec_lo, exec_lo, s26
	s_waitcnt vmcnt(3) lgkmcnt(3)
	v_lshlrev_b32_e32 v5, 16, v37
	s_waitcnt vmcnt(2) lgkmcnt(2)
	v_lshlrev_b32_e32 v6, 16, v36
	v_fmac_f32_e32 v16, v33, v5
	s_waitcnt vmcnt(1) lgkmcnt(1)
	v_lshlrev_b32_e32 v5, 16, v35
	v_fmac_f32_e32 v16, v29, v6
	v_fmac_f32_e32 v16, v31, v5
	s_waitcnt vmcnt(0) lgkmcnt(0)
	v_lshlrev_b32_e32 v5, 16, v34
	v_fmac_f32_e32 v16, v27, v5
.LBB592_25:                             ;   in Loop: Header=BB592_27 Depth=1
	s_or_b32 exec_lo, exec_lo, s3
	s_waitcnt vmcnt(3) lgkmcnt(3)
	v_lshlrev_b32_e32 v5, 16, v32
	s_waitcnt vmcnt(2) lgkmcnt(2)
	v_lshlrev_b32_e32 v6, 16, v30
	v_fmac_f32_e32 v15, v33, v5
	s_waitcnt vmcnt(1) lgkmcnt(1)
	v_lshlrev_b32_e32 v5, 16, v28
	v_fmac_f32_e32 v15, v29, v6
	v_fmac_f32_e32 v15, v31, v5
	s_waitcnt vmcnt(0) lgkmcnt(0)
	v_lshlrev_b32_e32 v5, 16, v26
	v_fmac_f32_e32 v15, v27, v5
.LBB592_26:                             ;   in Loop: Header=BB592_27 Depth=1
	s_or_b32 exec_lo, exec_lo, s25
	v_add_nc_u32_e32 v20, 64, v20
	v_add_nc_u32_e32 v21, s21, v21
	;; [unrolled: 1-line block ×5, first 2 shown]
	v_cmp_le_i32_e64 s3, s6, v20
	s_add_i32 s24, s24, s23
	s_or_b32 s22, s3, s22
	s_andn2_b32 exec_lo, exec_lo, s22
	s_cbranch_execz .LBB592_32
.LBB592_27:                             ; =>This Inner Loop Header: Depth=1
	s_and_saveexec_b32 s25, vcc_lo
	s_cbranch_execz .LBB592_26
; %bb.28:                               ;   in Loop: Header=BB592_27 Depth=1
	v_add_nc_u32_e32 v5, s24, v25
	v_add_nc_u32_e32 v7, s24, v4
	v_add_nc_u32_e32 v9, s24, v23
	v_add_nc_u32_e32 v11, s24, v24
	v_add_nc_u32_e32 v26, s5, v22
	v_ashrrev_i32_e32 v6, 31, v5
	v_ashrrev_i32_e32 v8, 31, v7
	;; [unrolled: 1-line block ×5, first 2 shown]
	v_lshlrev_b64 v[5:6], 1, v[5:6]
	v_lshlrev_b64 v[7:8], 1, v[7:8]
	;; [unrolled: 1-line block ×4, first 2 shown]
	v_add_nc_u32_e32 v28, s5, v21
	v_add_nc_u32_e32 v30, s5, v2
	v_add_co_u32 v5, s3, s14, v5
	v_add_co_ci_u32_e64 v6, null, s15, v6, s3
	v_add_co_u32 v7, s3, s14, v7
	v_add_co_ci_u32_e64 v8, null, s15, v8, s3
	;; [unrolled: 2-line block ×4, first 2 shown]
	v_lshlrev_b64 v[26:27], 1, v[26:27]
	s_clause 0x3
	flat_load_ushort v33, v[5:6]
	flat_load_ushort v34, v[7:8]
	;; [unrolled: 1-line block ×4, first 2 shown]
	v_add_nc_u32_e32 v9, s5, v3
	v_ashrrev_i32_e32 v29, 31, v28
	v_ashrrev_i32_e32 v31, 31, v30
	v_add_co_u32 v5, s3, s12, v26
	v_ashrrev_i32_e32 v10, 31, v9
	v_lshlrev_b64 v[7:8], 1, v[28:29]
	v_add_co_ci_u32_e64 v6, null, s13, v27, s3
	v_lshlrev_b64 v[26:27], 1, v[30:31]
	v_lshlrev_b64 v[9:10], 1, v[9:10]
	v_add_co_u32 v11, s3, s12, v7
	v_add_co_ci_u32_e64 v12, null, s13, v8, s3
	v_add_co_u32 v7, s3, s12, v26
	v_add_co_ci_u32_e64 v8, null, s13, v27, s3
	;; [unrolled: 2-line block ×3, first 2 shown]
	s_clause 0x3
	flat_load_ushort v32, v[5:6]
	flat_load_ushort v30, v[11:12]
	;; [unrolled: 1-line block ×4, first 2 shown]
	s_waitcnt vmcnt(7) lgkmcnt(7)
	v_lshlrev_b32_e32 v33, 16, v33
	s_waitcnt vmcnt(6) lgkmcnt(6)
	v_lshlrev_b32_e32 v29, 16, v34
	;; [unrolled: 2-line block ×4, first 2 shown]
	s_and_saveexec_b32 s3, s0
	s_cbranch_execz .LBB592_25
; %bb.29:                               ;   in Loop: Header=BB592_27 Depth=1
	s_clause 0x3
	flat_load_ushort v37, v[5:6] offset:64
	flat_load_ushort v36, v[11:12] offset:64
	flat_load_ushort v35, v[7:8] offset:64
	flat_load_ushort v34, v[9:10] offset:64
	s_and_saveexec_b32 s26, s1
	s_cbranch_execz .LBB592_24
; %bb.30:                               ;   in Loop: Header=BB592_27 Depth=1
	s_clause 0x3
	flat_load_ushort v41, v[5:6] offset:128
	flat_load_ushort v40, v[11:12] offset:128
	flat_load_ushort v39, v[7:8] offset:128
	flat_load_ushort v38, v[9:10] offset:128
	;; [unrolled: 8-line block ×3, first 2 shown]
	s_waitcnt vmcnt(3) lgkmcnt(3)
	v_lshlrev_b32_e32 v5, 16, v5
	s_waitcnt vmcnt(2) lgkmcnt(2)
	v_lshlrev_b32_e32 v6, 16, v6
	v_fmac_f32_e32 v18, v33, v5
	s_waitcnt vmcnt(1) lgkmcnt(1)
	v_lshlrev_b32_e32 v5, 16, v7
	v_fmac_f32_e32 v18, v29, v6
	;; [unrolled: 3-line block ×3, first 2 shown]
	v_fmac_f32_e32 v18, v27, v6
	s_branch .LBB592_23
.LBB592_32:
	s_or_b32 exec_lo, exec_lo, s22
.LBB592_33:
	s_or_b32 exec_lo, exec_lo, s20
	s_sub_i32 s0, s9, s6
	s_cmp_lt_i32 s0, 1
	s_cbranch_scc1 .LBB592_51
; %bb.34:
	v_cmp_gt_i32_e32 vcc_lo, s9, v20
	v_mov_b32_e32 v11, 0
	v_or_b32_e32 v2, 1, v20
	v_mov_b32_e32 v10, 0
	v_mov_b32_e32 v21, 0
	;; [unrolled: 1-line block ×3, first 2 shown]
	s_and_saveexec_b32 s1, vcc_lo
	s_cbranch_execz .LBB592_42
; %bb.35:
	s_waitcnt lgkmcnt(0)
	v_mul_lo_u32 v3, v20, s4
	v_mov_b32_e32 v12, 0
	v_mov_b32_e32 v10, 0
	;; [unrolled: 1-line block ×3, first 2 shown]
	s_mov_b32 s2, exec_lo
	v_ashrrev_i32_e32 v4, 31, v3
	v_lshlrev_b64 v[3:4], 1, v[3:4]
	v_add_co_u32 v3, s0, s14, v3
	v_add_co_ci_u32_e64 v4, null, s15, v4, s0
	flat_load_ushort v3, v[3:4]
	v_cmpx_gt_i32_e64 s9, v2
	s_cbranch_execz .LBB592_41
; %bb.36:
	v_mul_lo_u32 v4, v2, s4
	v_mov_b32_e32 v10, 0
	v_mov_b32_e32 v11, 0
	s_mov_b32 s3, exec_lo
	v_ashrrev_i32_e32 v5, 31, v4
	v_lshlrev_b64 v[4:5], 1, v[4:5]
	v_add_co_u32 v4, s0, s14, v4
	v_add_co_ci_u32_e64 v5, null, s15, v5, s0
	flat_load_ushort v4, v[4:5]
	v_or_b32_e32 v5, 2, v20
	v_cmpx_gt_i32_e64 s9, v5
	s_cbranch_execz .LBB592_40
; %bb.37:
	v_mul_lo_u32 v5, v5, s4
	v_mov_b32_e32 v10, 0
	s_mov_b32 s6, exec_lo
	v_ashrrev_i32_e32 v6, 31, v5
	v_lshlrev_b64 v[5:6], 1, v[5:6]
	v_add_co_u32 v5, s0, s14, v5
	v_add_co_ci_u32_e64 v6, null, s15, v6, s0
	flat_load_ushort v5, v[5:6]
	v_or_b32_e32 v6, 3, v20
	v_cmpx_gt_i32_e64 s9, v6
	s_cbranch_execz .LBB592_39
; %bb.38:
	v_mul_lo_u32 v6, v6, s4
	v_ashrrev_i32_e32 v7, 31, v6
	v_lshlrev_b64 v[6:7], 1, v[6:7]
	v_add_co_u32 v6, s0, s14, v6
	v_add_co_ci_u32_e64 v7, null, s15, v7, s0
	flat_load_ushort v6, v[6:7]
	s_waitcnt vmcnt(0) lgkmcnt(0)
	v_lshlrev_b32_e32 v10, 16, v6
.LBB592_39:
	s_or_b32 exec_lo, exec_lo, s6
	s_waitcnt vmcnt(0) lgkmcnt(0)
	v_lshlrev_b32_e32 v11, 16, v5
.LBB592_40:
	s_or_b32 exec_lo, exec_lo, s3
	s_waitcnt vmcnt(0) lgkmcnt(0)
	v_lshlrev_b32_e32 v12, 16, v4
.LBB592_41:
	s_or_b32 exec_lo, exec_lo, s2
	s_waitcnt vmcnt(0) lgkmcnt(0)
	v_lshlrev_b32_e32 v21, 16, v3
.LBB592_42:
	s_or_b32 exec_lo, exec_lo, s1
	s_mov_b32 s1, exec_lo
	v_cmpx_gt_i32_e64 s8, v19
	s_cbranch_execz .LBB592_50
; %bb.43:
	s_waitcnt lgkmcnt(0)
	v_mul_lo_u32 v3, v20, s19
	v_mul_lo_u32 v4, v2, s19
	v_or_b32_e32 v5, 2, v20
	v_or_b32_e32 v6, 3, v20
	s_mov_b32 s0, exec_lo
	v_mul_lo_u32 v7, v5, s19
	v_cndmask_b32_e32 v3, 0, v3, vcc_lo
	v_cmp_gt_i32_e32 vcc_lo, s9, v2
	v_mul_lo_u32 v8, v6, s19
	v_add_nc_u32_e32 v2, v3, v19
	v_cndmask_b32_e32 v4, 0, v4, vcc_lo
	v_cmp_gt_i32_e32 vcc_lo, s9, v5
	v_ashrrev_i32_e32 v3, 31, v2
	v_add_nc_u32_e32 v4, v4, v19
	v_cndmask_b32_e32 v7, 0, v7, vcc_lo
	v_cmp_gt_i32_e32 vcc_lo, s9, v6
	v_lshlrev_b64 v[2:3], 1, v[2:3]
	v_ashrrev_i32_e32 v5, 31, v4
	v_add_nc_u32_e32 v6, v7, v19
	v_cndmask_b32_e32 v8, 0, v8, vcc_lo
	v_lshlrev_b64 v[4:5], 1, v[4:5]
	v_ashrrev_i32_e32 v7, 31, v6
	v_add_nc_u32_e32 v8, v8, v19
	v_add_co_u32 v2, vcc_lo, s12, v2
	v_add_co_ci_u32_e64 v3, null, s13, v3, vcc_lo
	v_ashrrev_i32_e32 v9, 31, v8
	v_add_co_u32 v4, vcc_lo, s12, v4
	v_add_co_ci_u32_e64 v5, null, s13, v5, vcc_lo
	v_lshlrev_b64 v[6:7], 1, v[6:7]
	v_lshlrev_b64 v[8:9], 1, v[8:9]
	s_clause 0x1
	flat_load_ushort v20, v[2:3]
	flat_load_ushort v22, v[4:5]
	v_add_co_u32 v6, vcc_lo, s12, v6
	v_add_co_ci_u32_e64 v7, null, s13, v7, vcc_lo
	v_add_co_u32 v8, vcc_lo, s12, v8
	v_add_co_ci_u32_e64 v9, null, s13, v9, vcc_lo
	s_clause 0x1
	flat_load_ushort v23, v[6:7]
	flat_load_ushort v24, v[8:9]
	s_waitcnt vmcnt(3) lgkmcnt(3)
	v_lshlrev_b32_e32 v20, 16, v20
	s_waitcnt vmcnt(2) lgkmcnt(2)
	v_lshlrev_b32_e32 v22, 16, v22
	v_fmac_f32_e32 v15, v21, v20
	v_fmac_f32_e32 v15, v12, v22
	v_add_nc_u32_e32 v22, 32, v19
	s_waitcnt vmcnt(1) lgkmcnt(1)
	v_lshlrev_b32_e32 v23, 16, v23
	s_waitcnt vmcnt(0) lgkmcnt(0)
	v_lshlrev_b32_e32 v20, 16, v24
	v_fmac_f32_e32 v15, v11, v23
	v_cmpx_gt_i32_e64 s8, v22
	s_cbranch_execz .LBB592_49
; %bb.44:
	s_clause 0x3
	flat_load_ushort v22, v[2:3] offset:64
	flat_load_ushort v23, v[4:5] offset:64
	;; [unrolled: 1-line block ×4, first 2 shown]
	s_mov_b32 s2, exec_lo
	s_waitcnt vmcnt(3) lgkmcnt(3)
	v_lshlrev_b32_e32 v22, 16, v22
	s_waitcnt vmcnt(2) lgkmcnt(2)
	v_lshlrev_b32_e32 v23, 16, v23
	;; [unrolled: 2-line block ×3, first 2 shown]
	v_fmac_f32_e32 v16, v21, v22
	s_waitcnt vmcnt(0) lgkmcnt(0)
	v_lshlrev_b32_e32 v22, 16, v25
	v_fmac_f32_e32 v16, v12, v23
	v_add_nc_u32_e32 v23, 64, v19
	v_fmac_f32_e32 v16, v11, v24
	v_cmpx_gt_i32_e64 s8, v23
	s_cbranch_execz .LBB592_48
; %bb.45:
	s_clause 0x3
	flat_load_ushort v23, v[2:3] offset:128
	flat_load_ushort v24, v[4:5] offset:128
	;; [unrolled: 1-line block ×4, first 2 shown]
	s_mov_b32 s3, exec_lo
	s_waitcnt vmcnt(3) lgkmcnt(3)
	v_lshlrev_b32_e32 v23, 16, v23
	s_waitcnt vmcnt(2) lgkmcnt(2)
	v_lshlrev_b32_e32 v24, 16, v24
	v_fmac_f32_e32 v17, v21, v23
	s_waitcnt vmcnt(1) lgkmcnt(1)
	v_lshlrev_b32_e32 v23, 16, v25
	v_fmac_f32_e32 v17, v12, v24
	v_add_nc_u32_e32 v24, 0x60, v19
	s_waitcnt vmcnt(0) lgkmcnt(0)
	v_lshlrev_b32_e32 v19, 16, v26
	v_fmac_f32_e32 v17, v11, v23
	v_cmpx_gt_i32_e64 s8, v24
	s_cbranch_execz .LBB592_47
; %bb.46:
	s_clause 0x3
	flat_load_ushort v2, v[2:3] offset:192
	flat_load_ushort v3, v[4:5] offset:192
	;; [unrolled: 1-line block ×4, first 2 shown]
	s_waitcnt vmcnt(3) lgkmcnt(3)
	v_lshlrev_b32_e32 v2, 16, v2
	s_waitcnt vmcnt(2) lgkmcnt(2)
	v_lshlrev_b32_e32 v3, 16, v3
	v_fmac_f32_e32 v18, v21, v2
	s_waitcnt vmcnt(1) lgkmcnt(1)
	v_lshlrev_b32_e32 v2, 16, v4
	v_fmac_f32_e32 v18, v12, v3
	;; [unrolled: 3-line block ×3, first 2 shown]
	v_fmac_f32_e32 v18, v10, v3
.LBB592_47:
	s_or_b32 exec_lo, exec_lo, s3
	v_fmac_f32_e32 v17, v10, v19
.LBB592_48:
	s_or_b32 exec_lo, exec_lo, s2
	v_fmac_f32_e32 v16, v10, v22
.LBB592_49:
	s_or_b32 exec_lo, exec_lo, s0
	v_fmac_f32_e32 v15, v10, v20
.LBB592_50:
	s_or_b32 exec_lo, exec_lo, s1
.LBB592_51:
	v_lshlrev_b32_e32 v0, 2, v0
	s_mov_b32 s0, exec_lo
                                        ; implicit-def: $vgpr5
                                        ; implicit-def: $vgpr2_vgpr3
	v_lshl_add_u32 v1, v1, 9, v0
	ds_write2_b32 v1, v15, v16 offset1:32
	ds_write2_b32 v1, v17, v18 offset0:64 offset1:96
	s_waitcnt lgkmcnt(0)
	s_barrier
	buffer_gl0_inv
	v_cmpx_gt_u32_e32 0x80, v13
	s_cbranch_execz .LBB592_72
; %bb.52:
	v_lshl_add_u32 v6, v14, 2, v0
	s_mov_b32 s2, s17
	s_mov_b32 s1, exec_lo
	ds_read2st64_b32 v[0:1], v6 offset1:2
	ds_read2st64_b32 v[2:3], v6 offset0:4 offset1:6
	ds_read2st64_b32 v[4:5], v6 offset0:8 offset1:10
	s_waitcnt lgkmcnt(2)
	v_add_f32_e32 v7, v0, v1
	ds_read2st64_b32 v[0:1], v6 offset0:12 offset1:14
	s_waitcnt lgkmcnt(2)
	v_add_f32_e32 v2, v2, v7
	v_add_f32_e32 v7, v3, v2
	ds_read2st64_b32 v[2:3], v6 offset0:16 offset1:18
	s_waitcnt lgkmcnt(2)
	v_add_f32_e32 v4, v4, v7
	;; [unrolled: 4-line block ×3, first 2 shown]
	v_add_f32_e32 v0, v1, v0
	s_waitcnt lgkmcnt(1)
	v_add_f32_e32 v2, v2, v0
	ds_read2st64_b32 v[0:1], v6 offset0:24 offset1:26
	v_add_f32_e32 v2, v3, v2
	s_waitcnt lgkmcnt(1)
	v_add_f32_e32 v4, v4, v2
	ds_read2st64_b32 v[2:3], v6 offset0:28 offset1:30
	v_add_f32_e32 v4, v5, v4
                                        ; implicit-def: $vgpr5
	s_waitcnt lgkmcnt(1)
	v_add_f32_e32 v0, v0, v4
	v_or_b32_e32 v4, s5, v13
	v_add_f32_e32 v0, v1, v0
	s_waitcnt lgkmcnt(0)
	v_add_f32_e32 v0, v2, v0
	v_add_f32_e32 v0, v3, v0
                                        ; implicit-def: $vgpr2_vgpr3
	ds_write_b32 v6, v0
	v_cmpx_gt_i32_e64 s8, v4
	s_cbranch_execz .LBB592_71
; %bb.53:
	v_cmp_eq_f32_e64 s2, s16, 0
	v_mul_f32_e32 v0, s10, v0
	s_and_b32 vcc_lo, exec_lo, s2
	s_cbranch_vccz .LBB592_59
; %bb.54:
	v_and_b32_e32 v1, 0x7f800000, v0
	v_cmp_ne_u32_e32 vcc_lo, 0x7f800000, v1
                                        ; implicit-def: $vgpr1
	s_and_saveexec_b32 s2, vcc_lo
	s_xor_b32 s2, exec_lo, s2
; %bb.55:
	v_bfe_u32 v1, v0, 16, 1
	v_add3_u32 v1, v0, v1, 0x7fff
; %bb.56:
	s_andn2_saveexec_b32 s2, s2
; %bb.57:
	v_mov_b32_e32 v1, 0
	v_or_b32_e32 v2, 0x10000, v0
	v_cmp_eq_u32_sdwa vcc_lo, v0, v1 src0_sel:WORD_0 src1_sel:DWORD
	v_cndmask_b32_e32 v1, v2, v0, vcc_lo
; %bb.58:
	s_or_b32 exec_lo, exec_lo, s2
	s_mov_b32 s2, 0
	s_branch .LBB592_60
.LBB592_59:
	s_mov_b32 s2, -1
                                        ; implicit-def: $vgpr1
.LBB592_60:
	v_mul_lo_u32 v2, s18, v4
	s_andn2_b32 vcc_lo, exec_lo, s2
	v_ashrrev_i32_e32 v3, 31, v2
	s_cbranch_vccnz .LBB592_70
; %bb.61:
	v_lshlrev_b64 v[4:5], 1, v[2:3]
	v_add_co_u32 v4, vcc_lo, s7, v4
	v_add_co_ci_u32_e64 v5, null, s11, v5, vcc_lo
	flat_load_ushort v1, v[4:5]
	s_waitcnt vmcnt(0) lgkmcnt(0)
	v_lshlrev_b32_e32 v1, 16, v1
	v_mul_f32_e32 v1, s16, v1
	v_and_b32_e32 v4, 0x7f800000, v1
	v_cmp_ne_u32_e32 vcc_lo, 0x7f800000, v4
                                        ; implicit-def: $vgpr4
	s_and_saveexec_b32 s2, vcc_lo
	s_xor_b32 s2, exec_lo, s2
; %bb.62:
	v_bfe_u32 v4, v1, 16, 1
	v_add3_u32 v4, v1, v4, 0x7fff
                                        ; implicit-def: $vgpr1
; %bb.63:
	s_andn2_saveexec_b32 s2, s2
; %bb.64:
	v_mov_b32_e32 v4, 0
	v_or_b32_e32 v5, 0x10000, v1
	v_cmp_eq_u32_sdwa vcc_lo, v1, v4 src0_sel:WORD_0 src1_sel:DWORD
	v_cndmask_b32_e32 v4, v5, v1, vcc_lo
; %bb.65:
	s_or_b32 exec_lo, exec_lo, s2
	v_and_b32_e32 v1, 0xffff0000, v4
	v_add_f32_e32 v0, v0, v1
	v_and_b32_e32 v1, 0x7f800000, v0
	v_cmp_ne_u32_e32 vcc_lo, 0x7f800000, v1
                                        ; implicit-def: $vgpr1
	s_and_saveexec_b32 s2, vcc_lo
	s_xor_b32 s2, exec_lo, s2
; %bb.66:
	v_bfe_u32 v1, v0, 16, 1
	v_add3_u32 v1, v0, v1, 0x7fff
                                        ; implicit-def: $vgpr0
; %bb.67:
	s_andn2_saveexec_b32 s2, s2
; %bb.68:
	v_mov_b32_e32 v1, 0
	v_or_b32_e32 v4, 0x10000, v0
	v_cmp_eq_u32_sdwa vcc_lo, v0, v1 src0_sel:WORD_0 src1_sel:DWORD
	v_cndmask_b32_e32 v1, v4, v0, vcc_lo
; %bb.69:
	s_or_b32 exec_lo, exec_lo, s2
.LBB592_70:
	v_lshrrev_b32_e32 v5, 16, v1
	s_or_b32 s2, s17, exec_lo
.LBB592_71:
	s_or_b32 exec_lo, exec_lo, s1
	s_andn2_b32 s1, s17, exec_lo
	s_and_b32 s2, s2, exec_lo
	s_or_b32 s17, s1, s2
.LBB592_72:
	s_or_b32 exec_lo, exec_lo, s0
.LBB592_73:
	s_and_saveexec_b32 s0, s17
	s_cbranch_execz .LBB592_75
; %bb.74:
	v_lshlrev_b64 v[0:1], 1, v[2:3]
	v_add_co_u32 v0, vcc_lo, s7, v0
	v_add_co_ci_u32_e64 v1, null, s11, v1, vcc_lo
	flat_store_short v[0:1], v5
.LBB592_75:
	s_endpgm
	.section	.rodata,"a",@progbits
	.p2align	6, 0x0
	.amdhsa_kernel _ZL20rocblas_gemvn_kernelILi32ELi16EiPK16rocblas_bfloat16fKPS0_EviiT3_lPKT2_lT1_lS8_lS9_lS5_lPT4_lS9_li
		.amdhsa_group_segment_fixed_size 8192
		.amdhsa_private_segment_fixed_size 0
		.amdhsa_kernarg_size 400
		.amdhsa_user_sgpr_count 6
		.amdhsa_user_sgpr_private_segment_buffer 1
		.amdhsa_user_sgpr_dispatch_ptr 0
		.amdhsa_user_sgpr_queue_ptr 0
		.amdhsa_user_sgpr_kernarg_segment_ptr 1
		.amdhsa_user_sgpr_dispatch_id 0
		.amdhsa_user_sgpr_flat_scratch_init 0
		.amdhsa_user_sgpr_private_segment_size 0
		.amdhsa_wavefront_size32 1
		.amdhsa_uses_dynamic_stack 0
		.amdhsa_system_sgpr_private_segment_wavefront_offset 0
		.amdhsa_system_sgpr_workgroup_id_x 1
		.amdhsa_system_sgpr_workgroup_id_y 0
		.amdhsa_system_sgpr_workgroup_id_z 1
		.amdhsa_system_sgpr_workgroup_info 0
		.amdhsa_system_vgpr_workitem_id 1
		.amdhsa_next_free_vgpr 42
		.amdhsa_next_free_sgpr 28
		.amdhsa_reserve_vcc 1
		.amdhsa_reserve_flat_scratch 1
		.amdhsa_float_round_mode_32 0
		.amdhsa_float_round_mode_16_64 0
		.amdhsa_float_denorm_mode_32 3
		.amdhsa_float_denorm_mode_16_64 3
		.amdhsa_dx10_clamp 1
		.amdhsa_ieee_mode 1
		.amdhsa_fp16_overflow 0
		.amdhsa_workgroup_processor_mode 1
		.amdhsa_memory_ordered 1
		.amdhsa_forward_progress 1
		.amdhsa_shared_vgpr_count 0
		.amdhsa_exception_fp_ieee_invalid_op 0
		.amdhsa_exception_fp_denorm_src 0
		.amdhsa_exception_fp_ieee_div_zero 0
		.amdhsa_exception_fp_ieee_overflow 0
		.amdhsa_exception_fp_ieee_underflow 0
		.amdhsa_exception_fp_ieee_inexact 0
		.amdhsa_exception_int_div_zero 0
	.end_amdhsa_kernel
	.section	.text._ZL20rocblas_gemvn_kernelILi32ELi16EiPK16rocblas_bfloat16fKPS0_EviiT3_lPKT2_lT1_lS8_lS9_lS5_lPT4_lS9_li,"axG",@progbits,_ZL20rocblas_gemvn_kernelILi32ELi16EiPK16rocblas_bfloat16fKPS0_EviiT3_lPKT2_lT1_lS8_lS9_lS5_lPT4_lS9_li,comdat
.Lfunc_end592:
	.size	_ZL20rocblas_gemvn_kernelILi32ELi16EiPK16rocblas_bfloat16fKPS0_EviiT3_lPKT2_lT1_lS8_lS9_lS5_lPT4_lS9_li, .Lfunc_end592-_ZL20rocblas_gemvn_kernelILi32ELi16EiPK16rocblas_bfloat16fKPS0_EviiT3_lPKT2_lT1_lS8_lS9_lS5_lPT4_lS9_li
                                        ; -- End function
	.set _ZL20rocblas_gemvn_kernelILi32ELi16EiPK16rocblas_bfloat16fKPS0_EviiT3_lPKT2_lT1_lS8_lS9_lS5_lPT4_lS9_li.num_vgpr, 42
	.set _ZL20rocblas_gemvn_kernelILi32ELi16EiPK16rocblas_bfloat16fKPS0_EviiT3_lPKT2_lT1_lS8_lS9_lS5_lPT4_lS9_li.num_agpr, 0
	.set _ZL20rocblas_gemvn_kernelILi32ELi16EiPK16rocblas_bfloat16fKPS0_EviiT3_lPKT2_lT1_lS8_lS9_lS5_lPT4_lS9_li.numbered_sgpr, 28
	.set _ZL20rocblas_gemvn_kernelILi32ELi16EiPK16rocblas_bfloat16fKPS0_EviiT3_lPKT2_lT1_lS8_lS9_lS5_lPT4_lS9_li.num_named_barrier, 0
	.set _ZL20rocblas_gemvn_kernelILi32ELi16EiPK16rocblas_bfloat16fKPS0_EviiT3_lPKT2_lT1_lS8_lS9_lS5_lPT4_lS9_li.private_seg_size, 0
	.set _ZL20rocblas_gemvn_kernelILi32ELi16EiPK16rocblas_bfloat16fKPS0_EviiT3_lPKT2_lT1_lS8_lS9_lS5_lPT4_lS9_li.uses_vcc, 1
	.set _ZL20rocblas_gemvn_kernelILi32ELi16EiPK16rocblas_bfloat16fKPS0_EviiT3_lPKT2_lT1_lS8_lS9_lS5_lPT4_lS9_li.uses_flat_scratch, 1
	.set _ZL20rocblas_gemvn_kernelILi32ELi16EiPK16rocblas_bfloat16fKPS0_EviiT3_lPKT2_lT1_lS8_lS9_lS5_lPT4_lS9_li.has_dyn_sized_stack, 0
	.set _ZL20rocblas_gemvn_kernelILi32ELi16EiPK16rocblas_bfloat16fKPS0_EviiT3_lPKT2_lT1_lS8_lS9_lS5_lPT4_lS9_li.has_recursion, 0
	.set _ZL20rocblas_gemvn_kernelILi32ELi16EiPK16rocblas_bfloat16fKPS0_EviiT3_lPKT2_lT1_lS8_lS9_lS5_lPT4_lS9_li.has_indirect_call, 0
	.section	.AMDGPU.csdata,"",@progbits
; Kernel info:
; codeLenInByte = 3304
; TotalNumSgprs: 30
; NumVgprs: 42
; ScratchSize: 0
; MemoryBound: 0
; FloatMode: 240
; IeeeMode: 1
; LDSByteSize: 8192 bytes/workgroup (compile time only)
; SGPRBlocks: 0
; VGPRBlocks: 5
; NumSGPRsForWavesPerEU: 30
; NumVGPRsForWavesPerEU: 42
; Occupancy: 16
; WaveLimiterHint : 1
; COMPUTE_PGM_RSRC2:SCRATCH_EN: 0
; COMPUTE_PGM_RSRC2:USER_SGPR: 6
; COMPUTE_PGM_RSRC2:TRAP_HANDLER: 0
; COMPUTE_PGM_RSRC2:TGID_X_EN: 1
; COMPUTE_PGM_RSRC2:TGID_Y_EN: 0
; COMPUTE_PGM_RSRC2:TGID_Z_EN: 1
; COMPUTE_PGM_RSRC2:TIDIG_COMP_CNT: 1
	.section	.text._ZL20rocblas_gemvn_kernelILi32ELi16ElPK16rocblas_bfloat16fKPS0_EviiT3_lPKT2_lT1_lS8_lS9_lS5_lPT4_lS9_li,"axG",@progbits,_ZL20rocblas_gemvn_kernelILi32ELi16ElPK16rocblas_bfloat16fKPS0_EviiT3_lPKT2_lT1_lS8_lS9_lS5_lPT4_lS9_li,comdat
	.globl	_ZL20rocblas_gemvn_kernelILi32ELi16ElPK16rocblas_bfloat16fKPS0_EviiT3_lPKT2_lT1_lS8_lS9_lS5_lPT4_lS9_li ; -- Begin function _ZL20rocblas_gemvn_kernelILi32ELi16ElPK16rocblas_bfloat16fKPS0_EviiT3_lPKT2_lT1_lS8_lS9_lS5_lPT4_lS9_li
	.p2align	8
	.type	_ZL20rocblas_gemvn_kernelILi32ELi16ElPK16rocblas_bfloat16fKPS0_EviiT3_lPKT2_lT1_lS8_lS9_lS5_lPT4_lS9_li,@function
_ZL20rocblas_gemvn_kernelILi32ELi16ElPK16rocblas_bfloat16fKPS0_EviiT3_lPKT2_lT1_lS8_lS9_lS5_lPT4_lS9_li: ; @_ZL20rocblas_gemvn_kernelILi32ELi16ElPK16rocblas_bfloat16fKPS0_EviiT3_lPKT2_lT1_lS8_lS9_lS5_lPT4_lS9_li
; %bb.0:
	s_load_dwordx2 s[0:1], s[4:5], 0x9c
	s_waitcnt lgkmcnt(0)
	s_lshr_b32 s2, s0, 16
	s_and_b32 s0, s0, 0xffff
	s_and_b32 s1, s1, 0xffff
	s_mul_i32 s0, s2, s0
	s_mul_i32 s0, s0, s1
	s_cmpk_lg_i32 s0, 0x200
	s_cbranch_scc1 .LBB593_75
; %bb.1:
	s_clause 0x1
	s_load_dwordx4 s[8:11], s[4:5], 0x0
	s_load_dword s26, s[4:5], 0x58
	s_mov_b32 s20, s7
	s_mov_b32 s21, 0
	s_waitcnt lgkmcnt(0)
	v_cmp_eq_f32_e64 s7, s10, 0
	v_cmp_eq_f32_e64 s0, s26, 1.0
	s_and_b32 s0, s7, s0
	s_and_b32 vcc_lo, exec_lo, s0
	s_cbranch_vccnz .LBB593_75
; %bb.2:
	s_clause 0x1
	s_load_dwordx4 s[0:3], s[4:5], 0x18
	s_load_dwordx2 s[14:15], s[4:5], 0x28
	v_cmp_neq_f32_e64 s11, s10, 0
	s_and_b32 vcc_lo, exec_lo, s11
	s_cbranch_vccnz .LBB593_4
; %bb.3:
	s_mov_b32 s13, 0
	s_mov_b32 s12, s20
	;; [unrolled: 1-line block ×3, first 2 shown]
	s_mov_b64 s[18:19], 0
	s_andn2_b32 vcc_lo, exec_lo, s16
	s_mov_b64 s[16:17], 0
	s_cbranch_vccz .LBB593_5
	s_branch .LBB593_6
.LBB593_4:
	s_mov_b64 s[12:13], s[20:21]
	s_mov_b64 s[18:19], 0
	;; [unrolled: 1-line block ×3, first 2 shown]
.LBB593_5:
	s_lshl_b64 s[16:17], s[20:21], 3
	s_waitcnt lgkmcnt(0)
	s_add_u32 s0, s0, s16
	s_addc_u32 s1, s1, s17
	s_lshl_b64 s[2:3], s[2:3], 1
	s_load_dwordx2 s[0:1], s[0:1], 0x0
	s_waitcnt lgkmcnt(0)
	s_add_u32 s16, s0, s2
	s_addc_u32 s17, s1, s3
.LBB593_6:
	s_waitcnt lgkmcnt(0)
	s_clause 0x1
	s_load_dwordx4 s[0:3], s[4:5], 0x38
	s_load_dwordx2 s[20:21], s[4:5], 0x48
	s_andn2_b32 vcc_lo, exec_lo, s11
	s_cbranch_vccnz .LBB593_8
; %bb.7:
	s_lshl_b64 s[18:19], s[12:13], 3
	s_waitcnt lgkmcnt(0)
	s_add_u32 s0, s0, s18
	s_addc_u32 s1, s1, s19
	s_lshl_b64 s[2:3], s[2:3], 1
	s_load_dwordx2 s[0:1], s[0:1], 0x0
	s_waitcnt lgkmcnt(0)
	s_add_u32 s18, s0, s2
	s_addc_u32 s19, s1, s3
.LBB593_8:
	s_waitcnt lgkmcnt(0)
	s_load_dwordx4 s[0:3], s[4:5], 0x68
	s_lshl_b64 s[22:23], s[12:13], 3
	s_load_dwordx2 s[12:13], s[4:5], 0x78
	v_lshlrev_b32_e32 v22, 5, v1
	v_add_nc_u32_e32 v21, v22, v0
	s_waitcnt lgkmcnt(0)
	s_add_u32 s0, s0, s22
	s_addc_u32 s1, s1, s23
	s_lshl_b64 s[2:3], s[2:3], 1
	s_load_dwordx2 s[22:23], s[0:1], 0x0
	v_cmp_gt_u32_e64 s0, 0x80, v21
	s_waitcnt lgkmcnt(0)
	s_add_u32 s5, s22, s2
	s_addc_u32 s11, s23, s3
	s_andn2_b32 vcc_lo, exec_lo, s7
	s_cbranch_vccnz .LBB593_19
; %bb.9:
	s_mov_b32 s1, 0
	s_mov_b32 s27, 0
                                        ; implicit-def: $vgpr5
                                        ; implicit-def: $vgpr2_vgpr3
	s_and_saveexec_b32 s2, s0
	s_cbranch_execz .LBB593_20
; %bb.10:
	v_lshl_or_b32 v4, s6, 7, v21
	v_mov_b32_e32 v5, 0
	s_ashr_i32 s23, s8, 31
	s_mov_b32 s22, s8
	s_mov_b32 s3, 0
	s_mov_b32 s0, exec_lo
                                        ; implicit-def: $vgpr2_vgpr3
	v_cmpx_gt_i64_e64 s[22:23], v[4:5]
	s_cbranch_execz .LBB593_18
; %bb.11:
	v_mad_u64_u32 v[2:3], null, s12, v4, 0
	v_cmp_eq_f32_e64 s3, s26, 0
	s_and_b32 vcc_lo, exec_lo, s3
	v_mad_u64_u32 v[3:4], null, s13, v4, v[3:4]
	s_cbranch_vccnz .LBB593_17
; %bb.12:
	v_lshlrev_b64 v[4:5], 1, v[2:3]
	v_add_co_u32 v4, vcc_lo, s5, v4
	v_add_co_ci_u32_e64 v5, null, s11, v5, vcc_lo
	flat_load_ushort v4, v[4:5]
	s_waitcnt vmcnt(0) lgkmcnt(0)
	v_lshlrev_b32_e32 v4, 16, v4
	v_mul_f32_e32 v4, s26, v4
	v_and_b32_e32 v5, 0x7f800000, v4
	v_cmp_ne_u32_e32 vcc_lo, 0x7f800000, v5
                                        ; implicit-def: $vgpr5
	s_and_saveexec_b32 s3, vcc_lo
	s_xor_b32 s3, exec_lo, s3
; %bb.13:
	v_bfe_u32 v5, v4, 16, 1
	v_add3_u32 v5, v4, v5, 0x7fff
                                        ; implicit-def: $vgpr4
; %bb.14:
	s_andn2_saveexec_b32 s3, s3
; %bb.15:
	v_mov_b32_e32 v5, 0
	v_or_b32_e32 v6, 0x10000, v4
	v_cmp_eq_u32_sdwa vcc_lo, v4, v5 src0_sel:WORD_0 src1_sel:DWORD
	v_cndmask_b32_e32 v5, v6, v4, vcc_lo
; %bb.16:
	s_or_b32 exec_lo, exec_lo, s3
	v_lshrrev_b32_e32 v5, 16, v5
.LBB593_17:
	s_mov_b32 s3, exec_lo
.LBB593_18:
	s_or_b32 exec_lo, exec_lo, s0
	s_and_b32 s27, s3, exec_lo
	s_or_b32 exec_lo, exec_lo, s2
	s_and_b32 vcc_lo, exec_lo, s1
	s_cbranch_vccnz .LBB593_21
	s_branch .LBB593_73
.LBB593_19:
	s_mov_b32 s27, 0
                                        ; implicit-def: $vgpr5
                                        ; implicit-def: $vgpr2_vgpr3
	s_cbranch_execnz .LBB593_21
	s_branch .LBB593_73
.LBB593_20:
	s_or_b32 exec_lo, exec_lo, s2
	s_and_b32 vcc_lo, exec_lo, s1
	s_cbranch_vccz .LBB593_73
.LBB593_21:
	s_ashr_i32 s0, s9, 31
	s_lshl_b32 s28, s6, 7
	s_lshr_b32 s0, s0, 26
	v_lshlrev_b32_e32 v27, 2, v1
	v_mov_b32_e32 v23, 0
	v_add_nc_u32_e32 v2, s28, v0
	v_mov_b32_e32 v24, 0
	v_mov_b32_e32 v25, 0
	;; [unrolled: 1-line block ×3, first 2 shown]
	s_add_i32 s29, s9, s0
	s_mov_b32 s30, exec_lo
	s_andn2_b32 s29, s29, 63
	v_cmpx_gt_i32_e64 s29, v27
	s_cbranch_execz .LBB593_33
; %bb.22:
	v_lshlrev_b32_e32 v25, 2, v1
	v_add_nc_u32_e32 v4, 32, v2
	v_mad_u64_u32 v[7:8], null, s20, v1, 0
	v_mad_u64_u32 v[9:10], null, s14, v1, 0
	v_or_b32_e32 v26, 3, v25
	v_add_nc_u32_e32 v11, 64, v2
	v_add_nc_u32_e32 v12, 0x60, v2
	v_cmp_gt_i32_e64 s0, s8, v4
	v_or_b32_e32 v32, 2, v25
	v_mad_u64_u32 v[5:6], null, s14, v26, 0
	v_cmp_gt_i32_e64 s1, s8, v11
	v_cmp_gt_i32_e64 s2, s8, v12
	v_mad_u64_u32 v[16:17], null, s14, v32, 0
	v_mad_u64_u32 v[18:19], null, s20, v26, 0
	v_mov_b32_e32 v4, v6
	v_mov_b32_e32 v6, v8
	;; [unrolled: 1-line block ×3, first 2 shown]
	v_ashrrev_i32_e32 v3, 31, v2
	s_lshl_b64 s[6:7], s[14:15], 7
	v_mad_u64_u32 v[11:12], null, s15, v26, v[4:5]
	v_mad_u64_u32 v[12:13], null, s21, v1, v[6:7]
	;; [unrolled: 1-line block ×4, first 2 shown]
	v_mov_b32_e32 v6, v11
	v_lshlrev_b64 v[3:4], 1, v[2:3]
	v_mov_b32_e32 v8, v12
	s_lshl_b64 s[22:23], s[20:21], 7
	v_mov_b32_e32 v10, v13
	v_lshlrev_b64 v[11:12], 1, v[5:6]
	s_mov_b32 s31, 0
	v_lshlrev_b64 v[5:6], 3, v[7:8]
	v_mov_b32_e32 v7, v17
	v_mov_b32_e32 v8, v15
	v_lshlrev_b64 v[9:10], 3, v[9:10]
	v_add_co_u32 v28, s3, s16, v11
	v_add_co_ci_u32_e64 v29, null, s17, v12, s3
	v_mad_u64_u32 v[11:12], null, s14, v25, s[14:15]
	v_mad_u64_u32 v[23:24], null, s15, v32, v[7:8]
	v_mov_b32_e32 v7, v19
	v_mad_u64_u32 v[19:20], null, s21, v25, v[8:9]
	v_add_co_u32 v30, s3, s16, v9
	v_mad_u64_u32 v[7:8], null, s21, v26, v[7:8]
	v_mov_b32_e32 v8, v12
	v_mov_b32_e32 v17, v23
	v_mad_u64_u32 v[23:24], null, s20, v32, 0
	v_mov_b32_e32 v15, v19
	v_mad_u64_u32 v[12:13], null, s15, v25, v[8:9]
	v_lshlrev_b64 v[16:17], 1, v[16:17]
	v_mov_b32_e32 v19, v7
	v_add_co_ci_u32_e64 v31, null, s17, v10, s3
	v_mov_b32_e32 v8, v24
	v_mov_b32_e32 v26, 0
	v_lshlrev_b64 v[11:12], 1, v[11:12]
	s_mov_b64 s[24:25], s[18:19]
	v_cmp_gt_i32_e32 vcc_lo, s8, v2
	v_mad_u64_u32 v[24:25], null, s21, v32, v[8:9]
	v_add_co_u32 v32, s3, s16, v16
	v_add_co_ci_u32_e64 v33, null, s17, v17, s3
	v_add_co_u32 v34, s3, s16, v11
	v_lshlrev_b64 v[7:8], 1, v[14:15]
	v_lshlrev_b64 v[9:10], 1, v[18:19]
	v_add_co_ci_u32_e64 v35, null, s17, v12, s3
	v_lshlrev_b64 v[11:12], 1, v[23:24]
	v_mov_b32_e32 v23, 0
	v_mov_b32_e32 v24, 0
	;; [unrolled: 1-line block ×3, first 2 shown]
	s_branch .LBB593_27
.LBB593_23:                             ;   in Loop: Header=BB593_27 Depth=1
	s_or_b32 exec_lo, exec_lo, s34
	s_waitcnt vmcnt(3) lgkmcnt(3)
	v_lshlrev_b32_e32 v13, 16, v51
	s_waitcnt vmcnt(2) lgkmcnt(2)
	v_lshlrev_b32_e32 v14, 16, v50
	v_fmac_f32_e32 v25, v43, v13
	s_waitcnt vmcnt(1) lgkmcnt(1)
	v_lshlrev_b32_e32 v13, 16, v49
	v_fmac_f32_e32 v25, v39, v14
	v_fmac_f32_e32 v25, v41, v13
	s_waitcnt vmcnt(0) lgkmcnt(0)
	v_lshlrev_b32_e32 v13, 16, v48
	v_fmac_f32_e32 v25, v37, v13
.LBB593_24:                             ;   in Loop: Header=BB593_27 Depth=1
	s_or_b32 exec_lo, exec_lo, s33
	s_waitcnt vmcnt(3) lgkmcnt(3)
	v_lshlrev_b32_e32 v13, 16, v47
	s_waitcnt vmcnt(2) lgkmcnt(2)
	v_lshlrev_b32_e32 v14, 16, v46
	v_fmac_f32_e32 v24, v43, v13
	s_waitcnt vmcnt(1) lgkmcnt(1)
	v_lshlrev_b32_e32 v13, 16, v45
	v_fmac_f32_e32 v24, v39, v14
	v_fmac_f32_e32 v24, v41, v13
	s_waitcnt vmcnt(0) lgkmcnt(0)
	v_lshlrev_b32_e32 v13, 16, v44
	v_fmac_f32_e32 v24, v37, v13
.LBB593_25:                             ;   in Loop: Header=BB593_27 Depth=1
	s_or_b32 exec_lo, exec_lo, s3
	s_waitcnt vmcnt(3) lgkmcnt(3)
	v_lshlrev_b32_e32 v13, 16, v42
	s_waitcnt vmcnt(2) lgkmcnt(2)
	v_lshlrev_b32_e32 v14, 16, v40
	v_fmac_f32_e32 v23, v43, v13
	s_waitcnt vmcnt(1) lgkmcnt(1)
	v_lshlrev_b32_e32 v13, 16, v38
	v_fmac_f32_e32 v23, v39, v14
	v_fmac_f32_e32 v23, v41, v13
	s_waitcnt vmcnt(0) lgkmcnt(0)
	v_lshlrev_b32_e32 v13, 16, v36
	v_fmac_f32_e32 v23, v37, v13
.LBB593_26:                             ;   in Loop: Header=BB593_27 Depth=1
	s_or_b32 exec_lo, exec_lo, s4
	v_add_co_u32 v28, s3, v28, s6
	v_add_nc_u32_e32 v27, 64, v27
	v_add_co_ci_u32_e64 v29, null, s7, v29, s3
	v_add_co_u32 v30, s3, v30, s6
	v_add_co_ci_u32_e64 v31, null, s7, v31, s3
	v_add_co_u32 v32, s3, v32, s6
	v_add_co_ci_u32_e64 v33, null, s7, v33, s3
	v_cmp_le_i32_e64 s3, s29, v27
	v_add_co_u32 v34, s4, v34, s6
	v_add_co_ci_u32_e64 v35, null, s7, v35, s4
	s_add_u32 s24, s24, s22
	s_addc_u32 s25, s25, s23
	s_or_b32 s31, s3, s31
	s_andn2_b32 exec_lo, exec_lo, s31
	s_cbranch_execz .LBB593_32
.LBB593_27:                             ; =>This Inner Loop Header: Depth=1
	s_and_saveexec_b32 s4, vcc_lo
	s_cbranch_execz .LBB593_26
; %bb.28:                               ;   in Loop: Header=BB593_27 Depth=1
	v_add_co_u32 v13, s3, s24, v5
	v_add_co_ci_u32_e64 v14, null, s25, v6, s3
	v_add_co_u32 v15, s3, s24, v7
	v_add_co_ci_u32_e64 v16, null, s25, v8, s3
	;; [unrolled: 2-line block ×4, first 2 shown]
	s_clause 0x3
	flat_load_ushort v37, v[13:14]
	flat_load_ushort v39, v[15:16]
	;; [unrolled: 1-line block ×4, first 2 shown]
	v_add_co_u32 v13, s3, v30, v3
	v_add_co_ci_u32_e64 v14, null, v31, v4, s3
	v_add_co_u32 v17, s3, v34, v3
	v_add_co_ci_u32_e64 v18, null, v35, v4, s3
	;; [unrolled: 2-line block ×4, first 2 shown]
	flat_load_ushort v42, v[13:14]
	flat_load_ushort v40, v[17:18]
	;; [unrolled: 1-line block ×4, first 2 shown]
	s_waitcnt vmcnt(7) lgkmcnt(7)
	v_lshlrev_b32_e32 v43, 16, v37
	s_waitcnt vmcnt(6) lgkmcnt(6)
	v_lshlrev_b32_e32 v39, 16, v39
	;; [unrolled: 2-line block ×4, first 2 shown]
	s_and_saveexec_b32 s3, s0
	s_cbranch_execz .LBB593_25
; %bb.29:                               ;   in Loop: Header=BB593_27 Depth=1
	flat_load_ushort v47, v[13:14] offset:64
	flat_load_ushort v46, v[17:18] offset:64
	flat_load_ushort v45, v[15:16] offset:64
	flat_load_ushort v44, v[19:20] offset:64
	s_and_saveexec_b32 s33, s1
	s_cbranch_execz .LBB593_24
; %bb.30:                               ;   in Loop: Header=BB593_27 Depth=1
	flat_load_ushort v51, v[13:14] offset:128
	flat_load_ushort v50, v[17:18] offset:128
	flat_load_ushort v49, v[15:16] offset:128
	flat_load_ushort v48, v[19:20] offset:128
	;; [unrolled: 7-line block ×3, first 2 shown]
	s_waitcnt vmcnt(3) lgkmcnt(3)
	v_lshlrev_b32_e32 v13, 16, v13
	s_waitcnt vmcnt(2) lgkmcnt(2)
	v_lshlrev_b32_e32 v14, 16, v14
	v_fmac_f32_e32 v26, v43, v13
	s_waitcnt vmcnt(1) lgkmcnt(1)
	v_lshlrev_b32_e32 v13, 16, v15
	v_fmac_f32_e32 v26, v39, v14
	;; [unrolled: 3-line block ×3, first 2 shown]
	v_fmac_f32_e32 v26, v37, v14
	s_branch .LBB593_23
.LBB593_32:
	s_or_b32 exec_lo, exec_lo, s31
.LBB593_33:
	s_or_b32 exec_lo, exec_lo, s30
	s_sub_i32 s0, s9, s29
	s_cmp_lt_i32 s0, 1
	s_cbranch_scc1 .LBB593_51
; %bb.34:
	v_cmp_gt_i32_e32 vcc_lo, s9, v27
	v_mov_b32_e32 v12, 0
	v_or_b32_e32 v4, 1, v27
	v_mov_b32_e32 v11, 0
	v_mov_b32_e32 v14, 0
	v_mov_b32_e32 v13, 0
	s_and_saveexec_b32 s1, vcc_lo
	s_cbranch_execz .LBB593_42
; %bb.35:
	v_mad_u64_u32 v[5:6], null, s20, v27, 0
	v_mov_b32_e32 v13, 0
	v_mov_b32_e32 v11, 0
	;; [unrolled: 1-line block ×3, first 2 shown]
	s_mov_b32 s2, exec_lo
	v_mov_b32_e32 v3, v6
	v_mad_u64_u32 v[6:7], null, s21, v27, v[3:4]
	v_lshlrev_b64 v[5:6], 1, v[5:6]
	v_add_co_u32 v5, s0, s18, v5
	v_add_co_ci_u32_e64 v6, null, s19, v6, s0
	flat_load_ushort v3, v[5:6]
	v_cmpx_gt_i32_e64 s9, v4
	s_cbranch_execz .LBB593_41
; %bb.36:
	v_mad_u64_u32 v[5:6], null, s20, v4, 0
	v_mov_b32_e32 v11, 0
	v_mov_b32_e32 v12, 0
	s_mov_b32 s3, exec_lo
	v_mad_u64_u32 v[6:7], null, s21, v4, v[6:7]
	v_lshlrev_b64 v[5:6], 1, v[5:6]
	v_add_co_u32 v5, s0, s18, v5
	v_add_co_ci_u32_e64 v6, null, s19, v6, s0
	flat_load_ushort v5, v[5:6]
	v_or_b32_e32 v6, 2, v27
	v_cmpx_gt_i32_e64 s9, v6
	s_cbranch_execz .LBB593_40
; %bb.37:
	v_mad_u64_u32 v[7:8], null, s20, v6, 0
	v_mov_b32_e32 v11, 0
	s_mov_b32 s4, exec_lo
	v_mad_u64_u32 v[8:9], null, s21, v6, v[8:9]
	v_lshlrev_b64 v[6:7], 1, v[7:8]
	v_add_co_u32 v6, s0, s18, v6
	v_add_co_ci_u32_e64 v7, null, s19, v7, s0
	flat_load_ushort v6, v[6:7]
	v_or_b32_e32 v7, 3, v27
	v_cmpx_gt_i32_e64 s9, v7
	s_cbranch_execz .LBB593_39
; %bb.38:
	v_mad_u64_u32 v[8:9], null, s20, v7, 0
	v_mad_u64_u32 v[9:10], null, s21, v7, v[9:10]
	v_lshlrev_b64 v[7:8], 1, v[8:9]
	v_add_co_u32 v7, s0, s18, v7
	v_add_co_ci_u32_e64 v8, null, s19, v8, s0
	flat_load_ushort v7, v[7:8]
	s_waitcnt vmcnt(0) lgkmcnt(0)
	v_lshlrev_b32_e32 v11, 16, v7
.LBB593_39:
	s_or_b32 exec_lo, exec_lo, s4
	s_waitcnt vmcnt(0) lgkmcnt(0)
	v_lshlrev_b32_e32 v12, 16, v6
.LBB593_40:
	s_or_b32 exec_lo, exec_lo, s3
	s_waitcnt vmcnt(0) lgkmcnt(0)
	v_lshlrev_b32_e32 v13, 16, v5
.LBB593_41:
	s_or_b32 exec_lo, exec_lo, s2
	s_waitcnt vmcnt(0) lgkmcnt(0)
	v_lshlrev_b32_e32 v14, 16, v3
.LBB593_42:
	s_or_b32 exec_lo, exec_lo, s1
	s_mov_b32 s1, exec_lo
	v_cmpx_gt_i32_e64 s8, v2
	s_cbranch_execz .LBB593_50
; %bb.43:
	v_mad_u64_u32 v[5:6], null, s14, v27, 0
	v_mad_u64_u32 v[7:8], null, s14, v4, 0
	v_ashrrev_i32_e32 v3, 31, v2
	v_or_b32_e32 v20, 2, v27
	v_or_b32_e32 v29, 3, v27
	v_cndmask_b32_e32 v5, 0, v5, vcc_lo
	v_lshlrev_b64 v[9:10], 1, v[2:3]
	v_mad_u64_u32 v[15:16], null, s15, v27, v[6:7]
	v_mov_b32_e32 v3, v8
	v_mad_u64_u32 v[16:17], null, s14, v20, 0
	v_mad_u64_u32 v[18:19], null, s14, v29, 0
	;; [unrolled: 1-line block ×3, first 2 shown]
	v_cndmask_b32_e32 v6, 0, v15, vcc_lo
	v_cmp_gt_i32_e32 vcc_lo, s9, v4
	v_mov_b32_e32 v3, v17
	v_cmp_gt_i32_e64 s0, s9, v20
	v_mov_b32_e32 v8, v19
	v_cndmask_b32_e32 v4, 0, v7, vcc_lo
	v_lshlrev_b64 v[6:7], 1, v[5:6]
	v_cndmask_b32_e32 v5, 0, v27, vcc_lo
	v_mad_u64_u32 v[19:20], null, s15, v20, v[3:4]
	v_add_co_u32 v3, vcc_lo, s16, v6
	v_add_co_ci_u32_e64 v7, null, s17, v7, vcc_lo
	v_lshlrev_b64 v[5:6], 1, v[4:5]
	v_add_co_u32 v3, vcc_lo, v3, v9
	v_add_co_ci_u32_e64 v4, null, v7, v10, vcc_lo
	v_cndmask_b32_e64 v7, 0, v16, s0
	v_mad_u64_u32 v[15:16], null, s15, v29, v[8:9]
	v_add_co_u32 v5, vcc_lo, s16, v5
	v_add_co_ci_u32_e64 v6, null, s17, v6, vcc_lo
	v_cmp_gt_i32_e32 vcc_lo, s9, v29
	v_cndmask_b32_e64 v8, 0, v19, s0
	v_add_co_u32 v5, s0, v5, v9
	v_add_co_ci_u32_e64 v6, null, v6, v10, s0
	v_cndmask_b32_e32 v16, 0, v18, vcc_lo
	v_cndmask_b32_e32 v17, 0, v15, vcc_lo
	v_lshlrev_b64 v[7:8], 1, v[7:8]
	s_clause 0x1
	flat_load_ushort v18, v[3:4]
	flat_load_ushort v19, v[5:6]
	s_mov_b32 s0, exec_lo
	v_lshlrev_b64 v[15:16], 1, v[16:17]
	v_add_co_u32 v7, vcc_lo, s16, v7
	v_add_co_ci_u32_e64 v8, null, s17, v8, vcc_lo
	v_add_co_u32 v15, vcc_lo, s16, v15
	v_add_co_ci_u32_e64 v16, null, s17, v16, vcc_lo
	;; [unrolled: 2-line block ×4, first 2 shown]
	s_clause 0x1
	flat_load_ushort v15, v[7:8]
	flat_load_ushort v16, v[9:10]
	s_waitcnt vmcnt(3) lgkmcnt(3)
	v_lshlrev_b32_e32 v17, 16, v18
	s_waitcnt vmcnt(2) lgkmcnt(2)
	v_lshlrev_b32_e32 v18, 16, v19
	v_fmac_f32_e32 v23, v14, v17
	v_fmac_f32_e32 v23, v13, v18
	v_add_nc_u32_e32 v18, 32, v2
	s_waitcnt vmcnt(1) lgkmcnt(1)
	v_lshlrev_b32_e32 v17, 16, v15
	s_waitcnt vmcnt(0) lgkmcnt(0)
	v_lshlrev_b32_e32 v15, 16, v16
	v_fmac_f32_e32 v23, v12, v17
	v_cmpx_gt_i32_e64 s8, v18
	s_cbranch_execz .LBB593_49
; %bb.44:
	s_clause 0x3
	flat_load_ushort v16, v[3:4] offset:64
	flat_load_ushort v17, v[5:6] offset:64
	;; [unrolled: 1-line block ×4, first 2 shown]
	s_mov_b32 s2, exec_lo
	s_waitcnt vmcnt(3) lgkmcnt(3)
	v_lshlrev_b32_e32 v16, 16, v16
	s_waitcnt vmcnt(2) lgkmcnt(2)
	v_lshlrev_b32_e32 v17, 16, v17
	;; [unrolled: 2-line block ×3, first 2 shown]
	v_fmac_f32_e32 v24, v14, v16
	s_waitcnt vmcnt(0) lgkmcnt(0)
	v_lshlrev_b32_e32 v16, 16, v19
	v_fmac_f32_e32 v24, v13, v17
	v_add_nc_u32_e32 v17, 64, v2
	v_fmac_f32_e32 v24, v12, v18
	v_cmpx_gt_i32_e64 s8, v17
	s_cbranch_execz .LBB593_48
; %bb.45:
	s_clause 0x3
	flat_load_ushort v17, v[3:4] offset:128
	flat_load_ushort v18, v[5:6] offset:128
	;; [unrolled: 1-line block ×4, first 2 shown]
	s_mov_b32 s3, exec_lo
	s_waitcnt vmcnt(3) lgkmcnt(3)
	v_lshlrev_b32_e32 v17, 16, v17
	s_waitcnt vmcnt(2) lgkmcnt(2)
	v_lshlrev_b32_e32 v18, 16, v18
	v_fmac_f32_e32 v25, v14, v17
	s_waitcnt vmcnt(1) lgkmcnt(1)
	v_lshlrev_b32_e32 v17, 16, v19
	v_fmac_f32_e32 v25, v13, v18
	v_add_nc_u32_e32 v18, 0x60, v2
	s_waitcnt vmcnt(0) lgkmcnt(0)
	v_lshlrev_b32_e32 v2, 16, v20
	v_fmac_f32_e32 v25, v12, v17
	v_cmpx_gt_i32_e64 s8, v18
	s_cbranch_execz .LBB593_47
; %bb.46:
	s_clause 0x3
	flat_load_ushort v3, v[3:4] offset:192
	flat_load_ushort v4, v[5:6] offset:192
	;; [unrolled: 1-line block ×4, first 2 shown]
	s_waitcnt vmcnt(3) lgkmcnt(3)
	v_lshlrev_b32_e32 v3, 16, v3
	s_waitcnt vmcnt(2) lgkmcnt(2)
	v_lshlrev_b32_e32 v4, 16, v4
	v_fmac_f32_e32 v26, v14, v3
	s_waitcnt vmcnt(1) lgkmcnt(1)
	v_lshlrev_b32_e32 v3, 16, v5
	v_fmac_f32_e32 v26, v13, v4
	;; [unrolled: 3-line block ×3, first 2 shown]
	v_fmac_f32_e32 v26, v11, v4
.LBB593_47:
	s_or_b32 exec_lo, exec_lo, s3
	v_fmac_f32_e32 v25, v11, v2
.LBB593_48:
	s_or_b32 exec_lo, exec_lo, s2
	v_fmac_f32_e32 v24, v11, v16
.LBB593_49:
	s_or_b32 exec_lo, exec_lo, s0
	v_fmac_f32_e32 v23, v11, v15
.LBB593_50:
	s_or_b32 exec_lo, exec_lo, s1
.LBB593_51:
	v_lshlrev_b32_e32 v0, 2, v0
	s_mov_b32 s0, exec_lo
                                        ; implicit-def: $vgpr5
                                        ; implicit-def: $vgpr2_vgpr3
	v_lshl_add_u32 v1, v1, 9, v0
	ds_write2_b32 v1, v23, v24 offset1:32
	ds_write2_b32 v1, v25, v26 offset0:64 offset1:96
	s_waitcnt lgkmcnt(0)
	s_barrier
	buffer_gl0_inv
	v_cmpx_gt_u32_e32 0x80, v21
	s_cbranch_execz .LBB593_72
; %bb.52:
	v_lshl_add_u32 v6, v22, 2, v0
	s_mov_b32 s2, s27
	s_mov_b32 s1, exec_lo
	ds_read2st64_b32 v[0:1], v6 offset1:2
	ds_read2st64_b32 v[2:3], v6 offset0:4 offset1:6
	ds_read2st64_b32 v[4:5], v6 offset0:8 offset1:10
	s_waitcnt lgkmcnt(2)
	v_add_f32_e32 v7, v0, v1
	ds_read2st64_b32 v[0:1], v6 offset0:12 offset1:14
	s_waitcnt lgkmcnt(2)
	v_add_f32_e32 v2, v2, v7
	v_add_f32_e32 v7, v3, v2
	ds_read2st64_b32 v[2:3], v6 offset0:16 offset1:18
	s_waitcnt lgkmcnt(2)
	v_add_f32_e32 v4, v4, v7
	;; [unrolled: 4-line block ×3, first 2 shown]
	v_add_f32_e32 v0, v1, v0
	s_waitcnt lgkmcnt(1)
	v_add_f32_e32 v2, v2, v0
	ds_read2st64_b32 v[0:1], v6 offset0:24 offset1:26
	v_add_f32_e32 v2, v3, v2
	s_waitcnt lgkmcnt(1)
	v_add_f32_e32 v4, v4, v2
	ds_read2st64_b32 v[2:3], v6 offset0:28 offset1:30
	v_add_f32_e32 v4, v5, v4
                                        ; implicit-def: $vgpr5
	s_waitcnt lgkmcnt(1)
	v_add_f32_e32 v0, v0, v4
	v_add_f32_e32 v0, v1, v0
	s_waitcnt lgkmcnt(0)
	v_add_f32_e32 v1, v2, v0
	v_or_b32_e32 v0, s28, v21
	v_add_f32_e32 v1, v3, v1
                                        ; implicit-def: $vgpr2_vgpr3
	ds_write_b32 v6, v1
	v_cmpx_gt_i32_e64 s8, v0
	s_cbranch_execz .LBB593_71
; %bb.53:
	v_cmp_eq_f32_e64 s2, s26, 0
	v_mul_f32_e32 v1, s10, v1
	s_and_b32 vcc_lo, exec_lo, s2
	s_cbranch_vccz .LBB593_59
; %bb.54:
	v_and_b32_e32 v2, 0x7f800000, v1
	s_mov_b32 s2, exec_lo
                                        ; implicit-def: $vgpr5
	v_cmpx_ne_u32_e32 0x7f800000, v2
	s_xor_b32 s2, exec_lo, s2
; %bb.55:
	v_bfe_u32 v2, v1, 16, 1
	v_add3_u32 v5, v1, v2, 0x7fff
; %bb.56:
	s_andn2_saveexec_b32 s2, s2
; %bb.57:
	v_mov_b32_e32 v2, 0
	v_or_b32_e32 v3, 0x10000, v1
	v_cmp_eq_u32_sdwa vcc_lo, v1, v2 src0_sel:WORD_0 src1_sel:DWORD
	v_cndmask_b32_e32 v5, v3, v1, vcc_lo
; %bb.58:
	s_or_b32 exec_lo, exec_lo, s2
	s_mov_b32 s2, 0
	s_branch .LBB593_60
.LBB593_59:
	s_mov_b32 s2, -1
                                        ; implicit-def: $vgpr5
.LBB593_60:
	v_ashrrev_i32_e32 v2, 31, v0
	v_mul_lo_u32 v4, s13, v0
	s_andn2_b32 vcc_lo, exec_lo, s2
	v_mul_lo_u32 v6, s12, v2
	s_cbranch_vccnz .LBB593_70
; %bb.61:
	v_mad_u64_u32 v[2:3], null, s12, v0, 0
	v_add3_u32 v3, v3, v6, v4
	v_lshlrev_b64 v[2:3], 1, v[2:3]
	v_add_co_u32 v2, vcc_lo, s5, v2
	v_add_co_ci_u32_e64 v3, null, s11, v3, vcc_lo
	flat_load_ushort v2, v[2:3]
	s_waitcnt vmcnt(0) lgkmcnt(0)
	v_lshlrev_b32_e32 v2, 16, v2
	v_mul_f32_e32 v2, s26, v2
	v_and_b32_e32 v3, 0x7f800000, v2
	v_cmp_ne_u32_e32 vcc_lo, 0x7f800000, v3
                                        ; implicit-def: $vgpr3
	s_and_saveexec_b32 s2, vcc_lo
	s_xor_b32 s2, exec_lo, s2
; %bb.62:
	v_bfe_u32 v3, v2, 16, 1
	v_add3_u32 v3, v2, v3, 0x7fff
                                        ; implicit-def: $vgpr2
; %bb.63:
	s_andn2_saveexec_b32 s2, s2
; %bb.64:
	v_mov_b32_e32 v3, 0
	v_or_b32_e32 v5, 0x10000, v2
	v_cmp_eq_u32_sdwa vcc_lo, v2, v3 src0_sel:WORD_0 src1_sel:DWORD
	v_cndmask_b32_e32 v3, v5, v2, vcc_lo
; %bb.65:
	s_or_b32 exec_lo, exec_lo, s2
	v_and_b32_e32 v2, 0xffff0000, v3
	s_mov_b32 s2, exec_lo
                                        ; implicit-def: $vgpr5
	v_add_f32_e32 v1, v1, v2
	v_and_b32_e32 v2, 0x7f800000, v1
	v_cmpx_ne_u32_e32 0x7f800000, v2
	s_xor_b32 s2, exec_lo, s2
; %bb.66:
	v_bfe_u32 v2, v1, 16, 1
	v_add3_u32 v5, v1, v2, 0x7fff
                                        ; implicit-def: $vgpr1
; %bb.67:
	s_andn2_saveexec_b32 s2, s2
; %bb.68:
	v_mov_b32_e32 v2, 0
	v_or_b32_e32 v3, 0x10000, v1
	v_cmp_eq_u32_sdwa vcc_lo, v1, v2 src0_sel:WORD_0 src1_sel:DWORD
	v_cndmask_b32_e32 v5, v3, v1, vcc_lo
; %bb.69:
	s_or_b32 exec_lo, exec_lo, s2
.LBB593_70:
	v_mad_u64_u32 v[2:3], null, s12, v0, 0
	v_lshrrev_b32_e32 v5, 16, v5
	s_or_b32 s2, s27, exec_lo
	v_add3_u32 v3, v3, v6, v4
.LBB593_71:
	s_or_b32 exec_lo, exec_lo, s1
	s_andn2_b32 s1, s27, exec_lo
	s_and_b32 s2, s2, exec_lo
	s_or_b32 s27, s1, s2
.LBB593_72:
	s_or_b32 exec_lo, exec_lo, s0
.LBB593_73:
	s_and_saveexec_b32 s0, s27
	s_cbranch_execz .LBB593_75
; %bb.74:
	v_lshlrev_b64 v[0:1], 1, v[2:3]
	v_add_co_u32 v0, vcc_lo, s5, v0
	v_add_co_ci_u32_e64 v1, null, s11, v1, vcc_lo
	flat_store_short v[0:1], v5
.LBB593_75:
	s_endpgm
	.section	.rodata,"a",@progbits
	.p2align	6, 0x0
	.amdhsa_kernel _ZL20rocblas_gemvn_kernelILi32ELi16ElPK16rocblas_bfloat16fKPS0_EviiT3_lPKT2_lT1_lS8_lS9_lS5_lPT4_lS9_li
		.amdhsa_group_segment_fixed_size 8192
		.amdhsa_private_segment_fixed_size 0
		.amdhsa_kernarg_size 400
		.amdhsa_user_sgpr_count 6
		.amdhsa_user_sgpr_private_segment_buffer 1
		.amdhsa_user_sgpr_dispatch_ptr 0
		.amdhsa_user_sgpr_queue_ptr 0
		.amdhsa_user_sgpr_kernarg_segment_ptr 1
		.amdhsa_user_sgpr_dispatch_id 0
		.amdhsa_user_sgpr_flat_scratch_init 0
		.amdhsa_user_sgpr_private_segment_size 0
		.amdhsa_wavefront_size32 1
		.amdhsa_uses_dynamic_stack 0
		.amdhsa_system_sgpr_private_segment_wavefront_offset 0
		.amdhsa_system_sgpr_workgroup_id_x 1
		.amdhsa_system_sgpr_workgroup_id_y 0
		.amdhsa_system_sgpr_workgroup_id_z 1
		.amdhsa_system_sgpr_workgroup_info 0
		.amdhsa_system_vgpr_workitem_id 1
		.amdhsa_next_free_vgpr 52
		.amdhsa_next_free_sgpr 35
		.amdhsa_reserve_vcc 1
		.amdhsa_reserve_flat_scratch 1
		.amdhsa_float_round_mode_32 0
		.amdhsa_float_round_mode_16_64 0
		.amdhsa_float_denorm_mode_32 3
		.amdhsa_float_denorm_mode_16_64 3
		.amdhsa_dx10_clamp 1
		.amdhsa_ieee_mode 1
		.amdhsa_fp16_overflow 0
		.amdhsa_workgroup_processor_mode 1
		.amdhsa_memory_ordered 1
		.amdhsa_forward_progress 1
		.amdhsa_shared_vgpr_count 0
		.amdhsa_exception_fp_ieee_invalid_op 0
		.amdhsa_exception_fp_denorm_src 0
		.amdhsa_exception_fp_ieee_div_zero 0
		.amdhsa_exception_fp_ieee_overflow 0
		.amdhsa_exception_fp_ieee_underflow 0
		.amdhsa_exception_fp_ieee_inexact 0
		.amdhsa_exception_int_div_zero 0
	.end_amdhsa_kernel
	.section	.text._ZL20rocblas_gemvn_kernelILi32ELi16ElPK16rocblas_bfloat16fKPS0_EviiT3_lPKT2_lT1_lS8_lS9_lS5_lPT4_lS9_li,"axG",@progbits,_ZL20rocblas_gemvn_kernelILi32ELi16ElPK16rocblas_bfloat16fKPS0_EviiT3_lPKT2_lT1_lS8_lS9_lS5_lPT4_lS9_li,comdat
.Lfunc_end593:
	.size	_ZL20rocblas_gemvn_kernelILi32ELi16ElPK16rocblas_bfloat16fKPS0_EviiT3_lPKT2_lT1_lS8_lS9_lS5_lPT4_lS9_li, .Lfunc_end593-_ZL20rocblas_gemvn_kernelILi32ELi16ElPK16rocblas_bfloat16fKPS0_EviiT3_lPKT2_lT1_lS8_lS9_lS5_lPT4_lS9_li
                                        ; -- End function
	.set _ZL20rocblas_gemvn_kernelILi32ELi16ElPK16rocblas_bfloat16fKPS0_EviiT3_lPKT2_lT1_lS8_lS9_lS5_lPT4_lS9_li.num_vgpr, 52
	.set _ZL20rocblas_gemvn_kernelILi32ELi16ElPK16rocblas_bfloat16fKPS0_EviiT3_lPKT2_lT1_lS8_lS9_lS5_lPT4_lS9_li.num_agpr, 0
	.set _ZL20rocblas_gemvn_kernelILi32ELi16ElPK16rocblas_bfloat16fKPS0_EviiT3_lPKT2_lT1_lS8_lS9_lS5_lPT4_lS9_li.numbered_sgpr, 35
	.set _ZL20rocblas_gemvn_kernelILi32ELi16ElPK16rocblas_bfloat16fKPS0_EviiT3_lPKT2_lT1_lS8_lS9_lS5_lPT4_lS9_li.num_named_barrier, 0
	.set _ZL20rocblas_gemvn_kernelILi32ELi16ElPK16rocblas_bfloat16fKPS0_EviiT3_lPKT2_lT1_lS8_lS9_lS5_lPT4_lS9_li.private_seg_size, 0
	.set _ZL20rocblas_gemvn_kernelILi32ELi16ElPK16rocblas_bfloat16fKPS0_EviiT3_lPKT2_lT1_lS8_lS9_lS5_lPT4_lS9_li.uses_vcc, 1
	.set _ZL20rocblas_gemvn_kernelILi32ELi16ElPK16rocblas_bfloat16fKPS0_EviiT3_lPKT2_lT1_lS8_lS9_lS5_lPT4_lS9_li.uses_flat_scratch, 1
	.set _ZL20rocblas_gemvn_kernelILi32ELi16ElPK16rocblas_bfloat16fKPS0_EviiT3_lPKT2_lT1_lS8_lS9_lS5_lPT4_lS9_li.has_dyn_sized_stack, 0
	.set _ZL20rocblas_gemvn_kernelILi32ELi16ElPK16rocblas_bfloat16fKPS0_EviiT3_lPKT2_lT1_lS8_lS9_lS5_lPT4_lS9_li.has_recursion, 0
	.set _ZL20rocblas_gemvn_kernelILi32ELi16ElPK16rocblas_bfloat16fKPS0_EviiT3_lPKT2_lT1_lS8_lS9_lS5_lPT4_lS9_li.has_indirect_call, 0
	.section	.AMDGPU.csdata,"",@progbits
; Kernel info:
; codeLenInByte = 3620
; TotalNumSgprs: 37
; NumVgprs: 52
; ScratchSize: 0
; MemoryBound: 0
; FloatMode: 240
; IeeeMode: 1
; LDSByteSize: 8192 bytes/workgroup (compile time only)
; SGPRBlocks: 0
; VGPRBlocks: 6
; NumSGPRsForWavesPerEU: 37
; NumVGPRsForWavesPerEU: 52
; Occupancy: 16
; WaveLimiterHint : 1
; COMPUTE_PGM_RSRC2:SCRATCH_EN: 0
; COMPUTE_PGM_RSRC2:USER_SGPR: 6
; COMPUTE_PGM_RSRC2:TRAP_HANDLER: 0
; COMPUTE_PGM_RSRC2:TGID_X_EN: 1
; COMPUTE_PGM_RSRC2:TGID_Y_EN: 0
; COMPUTE_PGM_RSRC2:TGID_Z_EN: 1
; COMPUTE_PGM_RSRC2:TIDIG_COMP_CNT: 1
	.section	.text._ZL20rocblas_gemvn_kernelILi64ELi16EiPK16rocblas_bfloat16PKfKPS0_EviiT3_lPKT2_lT1_lSA_lSB_lS7_lPT4_lSB_li,"axG",@progbits,_ZL20rocblas_gemvn_kernelILi64ELi16EiPK16rocblas_bfloat16PKfKPS0_EviiT3_lPKT2_lT1_lSA_lSB_lS7_lPT4_lSB_li,comdat
	.globl	_ZL20rocblas_gemvn_kernelILi64ELi16EiPK16rocblas_bfloat16PKfKPS0_EviiT3_lPKT2_lT1_lSA_lSB_lS7_lPT4_lSB_li ; -- Begin function _ZL20rocblas_gemvn_kernelILi64ELi16EiPK16rocblas_bfloat16PKfKPS0_EviiT3_lPKT2_lT1_lSA_lSB_lS7_lPT4_lSB_li
	.p2align	8
	.type	_ZL20rocblas_gemvn_kernelILi64ELi16EiPK16rocblas_bfloat16PKfKPS0_EviiT3_lPKT2_lT1_lSA_lSB_lS7_lPT4_lSB_li,@function
_ZL20rocblas_gemvn_kernelILi64ELi16EiPK16rocblas_bfloat16PKfKPS0_EviiT3_lPKT2_lT1_lSA_lSB_lS7_lPT4_lSB_li: ; @_ZL20rocblas_gemvn_kernelILi64ELi16EiPK16rocblas_bfloat16PKfKPS0_EviiT3_lPKT2_lT1_lSA_lSB_lS7_lPT4_lSB_li
; %bb.0:
	s_load_dwordx2 s[2:3], s[4:5], 0x9c
	s_waitcnt lgkmcnt(0)
	s_lshr_b32 s1, s2, 16
	s_and_b32 s2, s2, 0xffff
	s_and_b32 s3, s3, 0xffff
	s_mul_i32 s1, s1, s2
	s_mul_i32 s1, s1, s3
	s_cmpk_lg_i32 s1, 0x400
	s_cbranch_scc1 .LBB594_73
; %bb.1:
	s_clause 0x1
	s_load_dwordx8 s[16:23], s[4:5], 0x8
	s_load_dwordx8 s[8:15], s[4:5], 0x58
	s_mov_b32 s0, s7
	s_waitcnt lgkmcnt(0)
	s_mul_i32 s1, s19, s7
	s_mul_hi_u32 s3, s18, s7
	s_mul_i32 s2, s18, s7
	s_add_i32 s3, s3, s1
	s_mul_i32 s1, s11, s7
	s_lshl_b64 s[2:3], s[2:3], 2
	s_mul_hi_u32 s7, s10, s7
	s_add_u32 s2, s16, s2
	s_addc_u32 s3, s17, s3
	s_add_i32 s11, s7, s1
	s_mul_i32 s10, s10, s0
	s_lshl_b64 s[10:11], s[10:11], 2
	s_add_u32 s8, s8, s10
	s_addc_u32 s9, s9, s11
	s_load_dword s19, s[2:3], 0x0
	s_load_dword s18, s[8:9], 0x0
	s_waitcnt lgkmcnt(0)
	v_cmp_eq_f32_e64 s2, s19, 0
	v_cmp_eq_f32_e64 s1, s18, 1.0
	s_and_b32 s1, s2, s1
	s_and_b32 vcc_lo, exec_lo, s1
	s_mov_b32 s1, 0
	s_cbranch_vccnz .LBB594_73
; %bb.2:
	v_cmp_neq_f32_e64 s3, s19, 0
	s_mov_b64 s[16:17], 0
	s_and_b32 vcc_lo, exec_lo, s2
	s_mov_b64 s[10:11], 0
	s_cbranch_vccnz .LBB594_4
; %bb.3:
	s_lshl_b64 s[8:9], s[0:1], 3
	s_add_u32 s8, s20, s8
	s_addc_u32 s9, s21, s9
	s_lshl_b64 s[10:11], s[22:23], 1
	s_load_dwordx2 s[8:9], s[8:9], 0x0
	s_waitcnt lgkmcnt(0)
	s_add_u32 s10, s8, s10
	s_addc_u32 s11, s9, s11
.LBB594_4:
	s_andn2_b32 vcc_lo, exec_lo, s3
	s_cbranch_vccnz .LBB594_6
; %bb.5:
	s_load_dwordx4 s[20:23], s[4:5], 0x38
	s_lshl_b64 s[8:9], s[0:1], 3
	s_waitcnt lgkmcnt(0)
	s_add_u32 s8, s20, s8
	s_addc_u32 s9, s21, s9
	s_lshl_b64 s[16:17], s[22:23], 1
	s_load_dwordx2 s[8:9], s[8:9], 0x0
	s_waitcnt lgkmcnt(0)
	s_add_u32 s16, s8, s16
	s_addc_u32 s17, s9, s17
.LBB594_6:
	s_lshl_b64 s[0:1], s[0:1], 3
	v_lshlrev_b32_e32 v14, 6, v1
	s_add_u32 s0, s12, s0
	s_addc_u32 s1, s13, s1
	s_lshl_b64 s[14:15], s[14:15], 1
	s_load_dwordx2 s[12:13], s[0:1], 0x0
	s_clause 0x1
	s_load_dwordx2 s[8:9], s[4:5], 0x0
	s_load_dword s20, s[4:5], 0x78
	v_add_nc_u32_e32 v13, v14, v0
	v_cmp_gt_u32_e64 s0, 0x100, v13
	s_waitcnt lgkmcnt(0)
	s_add_u32 s7, s12, s14
	s_addc_u32 s12, s13, s15
	s_andn2_b32 vcc_lo, exec_lo, s2
	s_cbranch_vccnz .LBB594_17
; %bb.7:
	s_mov_b32 s1, 0
	s_mov_b32 s13, 0
                                        ; implicit-def: $vgpr5
                                        ; implicit-def: $vgpr2_vgpr3
	s_and_saveexec_b32 s2, s0
	s_cbranch_execz .LBB594_18
; %bb.8:
	v_lshl_or_b32 v4, s6, 8, v13
	v_mov_b32_e32 v5, 0
	s_ashr_i32 s15, s8, 31
	s_mov_b32 s14, s8
	s_mov_b32 s3, 0
	s_mov_b32 s0, exec_lo
                                        ; implicit-def: $vgpr2_vgpr3
	v_cmpx_gt_i64_e64 s[14:15], v[4:5]
	s_cbranch_execz .LBB594_16
; %bb.9:
	v_mad_u64_u32 v[2:3], null, s20, v4, 0
	s_ashr_i32 s3, s20, 31
	v_mad_u64_u32 v[3:4], null, s3, v4, v[3:4]
	v_cmp_eq_f32_e64 s3, s18, 0
	s_and_b32 vcc_lo, exec_lo, s3
	s_cbranch_vccnz .LBB594_15
; %bb.10:
	v_lshlrev_b64 v[4:5], 1, v[2:3]
	v_add_co_u32 v4, vcc_lo, s7, v4
	v_add_co_ci_u32_e64 v5, null, s12, v5, vcc_lo
	flat_load_ushort v4, v[4:5]
	s_waitcnt vmcnt(0) lgkmcnt(0)
	v_lshlrev_b32_e32 v4, 16, v4
	v_mul_f32_e32 v4, s18, v4
	v_and_b32_e32 v5, 0x7f800000, v4
	v_cmp_ne_u32_e32 vcc_lo, 0x7f800000, v5
                                        ; implicit-def: $vgpr5
	s_and_saveexec_b32 s3, vcc_lo
	s_xor_b32 s3, exec_lo, s3
; %bb.11:
	v_bfe_u32 v5, v4, 16, 1
	v_add3_u32 v5, v4, v5, 0x7fff
                                        ; implicit-def: $vgpr4
; %bb.12:
	s_andn2_saveexec_b32 s3, s3
; %bb.13:
	v_mov_b32_e32 v5, 0
	v_or_b32_e32 v6, 0x10000, v4
	v_cmp_eq_u32_sdwa vcc_lo, v4, v5 src0_sel:WORD_0 src1_sel:DWORD
	v_cndmask_b32_e32 v5, v6, v4, vcc_lo
; %bb.14:
	s_or_b32 exec_lo, exec_lo, s3
	v_lshrrev_b32_e32 v5, 16, v5
.LBB594_15:
	s_mov_b32 s3, exec_lo
.LBB594_16:
	s_or_b32 exec_lo, exec_lo, s0
	s_and_b32 s13, s3, exec_lo
	s_or_b32 exec_lo, exec_lo, s2
	s_and_b32 vcc_lo, exec_lo, s1
	s_cbranch_vccnz .LBB594_19
	s_branch .LBB594_71
.LBB594_17:
	s_mov_b32 s13, 0
                                        ; implicit-def: $vgpr5
                                        ; implicit-def: $vgpr2_vgpr3
	s_cbranch_execnz .LBB594_19
	s_branch .LBB594_71
.LBB594_18:
	s_or_b32 exec_lo, exec_lo, s2
	s_and_b32 vcc_lo, exec_lo, s1
	s_cbranch_vccz .LBB594_71
.LBB594_19:
	s_clause 0x1
	s_load_dword s14, s[4:5], 0x28
	s_load_dword s4, s[4:5], 0x48
	s_ashr_i32 s0, s9, 31
	s_lshl_b32 s5, s6, 8
	s_lshr_b32 s0, s0, 26
	v_lshlrev_b32_e32 v20, 2, v1
	v_add_nc_u32_e32 v19, s5, v0
	v_mov_b32_e32 v15, 0
	v_mov_b32_e32 v16, 0
	;; [unrolled: 1-line block ×4, first 2 shown]
	s_add_i32 s0, s9, s0
	s_mov_b32 s15, exec_lo
	s_and_b32 s6, s0, 0xffffffc0
	v_cmpx_gt_i32_e64 s6, v20
	s_cbranch_execz .LBB594_31
; %bb.20:
	v_add_nc_u32_e32 v5, 0xc0, v19
	s_waitcnt lgkmcnt(0)
	v_mul_lo_u32 v3, s14, v20
	v_add_nc_u32_e32 v2, 64, v19
	v_add_nc_u32_e32 v6, 2, v20
	;; [unrolled: 1-line block ×3, first 2 shown]
	v_cmp_gt_i32_e64 s2, s8, v5
	v_mul_lo_u32 v5, v1, s14
	v_add_nc_u32_e32 v7, 3, v20
	v_mul_lo_u32 v8, v1, s4
	v_cmp_gt_i32_e64 s0, s8, v2
	v_add3_u32 v21, v3, s14, v0
	v_mad_u64_u32 v[2:3], null, s14, v6, v[0:1]
	v_cmp_gt_i32_e64 s1, s8, v4
	v_mad_u64_u32 v[3:4], null, s14, v7, v[0:1]
	v_lshl_add_u32 v22, v5, 2, v0
	v_mad_u64_u32 v[4:5], null, s4, v20, s[4:5]
	v_mul_lo_u32 v23, s4, v6
	v_mul_lo_u32 v24, s4, v7
	v_lshlrev_b32_e32 v25, 2, v8
	v_mov_b32_e32 v15, 0
	v_mov_b32_e32 v16, 0
	;; [unrolled: 1-line block ×4, first 2 shown]
	s_lshl_b32 s21, s14, 6
	s_lshl_b32 s23, s4, 6
	s_mov_b32 s22, 0
	s_mov_b32 s24, 0
	v_cmp_gt_i32_e32 vcc_lo, s8, v19
	s_branch .LBB594_25
.LBB594_21:                             ;   in Loop: Header=BB594_25 Depth=1
	s_or_b32 exec_lo, exec_lo, s27
	s_waitcnt vmcnt(3) lgkmcnt(3)
	v_lshlrev_b32_e32 v5, 16, v41
	s_waitcnt vmcnt(2) lgkmcnt(2)
	v_lshlrev_b32_e32 v6, 16, v40
	v_fmac_f32_e32 v17, v33, v5
	s_waitcnt vmcnt(1) lgkmcnt(1)
	v_lshlrev_b32_e32 v5, 16, v39
	v_fmac_f32_e32 v17, v29, v6
	v_fmac_f32_e32 v17, v31, v5
	s_waitcnt vmcnt(0) lgkmcnt(0)
	v_lshlrev_b32_e32 v5, 16, v38
	v_fmac_f32_e32 v17, v27, v5
.LBB594_22:                             ;   in Loop: Header=BB594_25 Depth=1
	s_or_b32 exec_lo, exec_lo, s26
	s_waitcnt vmcnt(3) lgkmcnt(3)
	v_lshlrev_b32_e32 v5, 16, v37
	s_waitcnt vmcnt(2) lgkmcnt(2)
	v_lshlrev_b32_e32 v6, 16, v36
	v_fmac_f32_e32 v16, v33, v5
	s_waitcnt vmcnt(1) lgkmcnt(1)
	v_lshlrev_b32_e32 v5, 16, v35
	v_fmac_f32_e32 v16, v29, v6
	v_fmac_f32_e32 v16, v31, v5
	s_waitcnt vmcnt(0) lgkmcnt(0)
	v_lshlrev_b32_e32 v5, 16, v34
	v_fmac_f32_e32 v16, v27, v5
.LBB594_23:                             ;   in Loop: Header=BB594_25 Depth=1
	s_or_b32 exec_lo, exec_lo, s3
	s_waitcnt vmcnt(3) lgkmcnt(3)
	v_lshlrev_b32_e32 v5, 16, v32
	s_waitcnt vmcnt(2) lgkmcnt(2)
	v_lshlrev_b32_e32 v6, 16, v30
	v_fmac_f32_e32 v15, v33, v5
	s_waitcnt vmcnt(1) lgkmcnt(1)
	v_lshlrev_b32_e32 v5, 16, v28
	v_fmac_f32_e32 v15, v29, v6
	v_fmac_f32_e32 v15, v31, v5
	s_waitcnt vmcnt(0) lgkmcnt(0)
	v_lshlrev_b32_e32 v5, 16, v26
	v_fmac_f32_e32 v15, v27, v5
.LBB594_24:                             ;   in Loop: Header=BB594_25 Depth=1
	s_or_b32 exec_lo, exec_lo, s25
	v_add_nc_u32_e32 v20, 64, v20
	v_add_nc_u32_e32 v21, s21, v21
	v_add_nc_u32_e32 v2, s21, v2
	v_add_nc_u32_e32 v3, s21, v3
	v_add_nc_u32_e32 v22, s21, v22
	v_cmp_le_i32_e64 s3, s6, v20
	s_add_i32 s24, s24, s23
	s_or_b32 s22, s3, s22
	s_andn2_b32 exec_lo, exec_lo, s22
	s_cbranch_execz .LBB594_30
.LBB594_25:                             ; =>This Inner Loop Header: Depth=1
	s_and_saveexec_b32 s25, vcc_lo
	s_cbranch_execz .LBB594_24
; %bb.26:                               ;   in Loop: Header=BB594_25 Depth=1
	v_add_nc_u32_e32 v5, s24, v25
	v_add_nc_u32_e32 v7, s24, v4
	;; [unrolled: 1-line block ×5, first 2 shown]
	v_ashrrev_i32_e32 v6, 31, v5
	v_ashrrev_i32_e32 v8, 31, v7
	v_ashrrev_i32_e32 v10, 31, v9
	v_ashrrev_i32_e32 v12, 31, v11
	v_ashrrev_i32_e32 v27, 31, v26
	v_lshlrev_b64 v[5:6], 1, v[5:6]
	v_lshlrev_b64 v[7:8], 1, v[7:8]
	;; [unrolled: 1-line block ×4, first 2 shown]
	v_add_nc_u32_e32 v28, s5, v21
	v_add_nc_u32_e32 v30, s5, v2
	v_add_co_u32 v5, s3, s16, v5
	v_add_co_ci_u32_e64 v6, null, s17, v6, s3
	v_add_co_u32 v7, s3, s16, v7
	v_add_co_ci_u32_e64 v8, null, s17, v8, s3
	;; [unrolled: 2-line block ×4, first 2 shown]
	v_lshlrev_b64 v[26:27], 1, v[26:27]
	s_clause 0x3
	flat_load_ushort v33, v[5:6]
	flat_load_ushort v34, v[7:8]
	;; [unrolled: 1-line block ×4, first 2 shown]
	v_add_nc_u32_e32 v9, s5, v3
	v_ashrrev_i32_e32 v29, 31, v28
	v_ashrrev_i32_e32 v31, 31, v30
	v_add_co_u32 v5, s3, s10, v26
	v_ashrrev_i32_e32 v10, 31, v9
	v_lshlrev_b64 v[7:8], 1, v[28:29]
	v_add_co_ci_u32_e64 v6, null, s11, v27, s3
	v_lshlrev_b64 v[26:27], 1, v[30:31]
	v_lshlrev_b64 v[9:10], 1, v[9:10]
	v_add_co_u32 v11, s3, s10, v7
	v_add_co_ci_u32_e64 v12, null, s11, v8, s3
	v_add_co_u32 v7, s3, s10, v26
	v_add_co_ci_u32_e64 v8, null, s11, v27, s3
	;; [unrolled: 2-line block ×3, first 2 shown]
	s_clause 0x3
	flat_load_ushort v32, v[5:6]
	flat_load_ushort v30, v[11:12]
	;; [unrolled: 1-line block ×4, first 2 shown]
	s_waitcnt vmcnt(7) lgkmcnt(7)
	v_lshlrev_b32_e32 v33, 16, v33
	s_waitcnt vmcnt(6) lgkmcnt(6)
	v_lshlrev_b32_e32 v29, 16, v34
	;; [unrolled: 2-line block ×4, first 2 shown]
	s_and_saveexec_b32 s3, s0
	s_cbranch_execz .LBB594_23
; %bb.27:                               ;   in Loop: Header=BB594_25 Depth=1
	s_clause 0x3
	flat_load_ushort v37, v[5:6] offset:128
	flat_load_ushort v36, v[11:12] offset:128
	flat_load_ushort v35, v[7:8] offset:128
	flat_load_ushort v34, v[9:10] offset:128
	s_and_saveexec_b32 s26, s1
	s_cbranch_execz .LBB594_22
; %bb.28:                               ;   in Loop: Header=BB594_25 Depth=1
	s_clause 0x3
	flat_load_ushort v41, v[5:6] offset:256
	flat_load_ushort v40, v[11:12] offset:256
	flat_load_ushort v39, v[7:8] offset:256
	flat_load_ushort v38, v[9:10] offset:256
	;; [unrolled: 8-line block ×3, first 2 shown]
	s_waitcnt vmcnt(3) lgkmcnt(3)
	v_lshlrev_b32_e32 v5, 16, v5
	s_waitcnt vmcnt(2) lgkmcnt(2)
	v_lshlrev_b32_e32 v6, 16, v6
	v_fmac_f32_e32 v18, v33, v5
	s_waitcnt vmcnt(1) lgkmcnt(1)
	v_lshlrev_b32_e32 v5, 16, v7
	v_fmac_f32_e32 v18, v29, v6
	;; [unrolled: 3-line block ×3, first 2 shown]
	v_fmac_f32_e32 v18, v27, v6
	s_branch .LBB594_21
.LBB594_30:
	s_or_b32 exec_lo, exec_lo, s22
.LBB594_31:
	s_or_b32 exec_lo, exec_lo, s15
	s_sub_i32 s0, s9, s6
	s_cmp_lt_i32 s0, 1
	s_cbranch_scc1 .LBB594_49
; %bb.32:
	v_cmp_gt_i32_e32 vcc_lo, s9, v20
	v_mov_b32_e32 v11, 0
	v_or_b32_e32 v2, 1, v20
	v_mov_b32_e32 v10, 0
	v_mov_b32_e32 v21, 0
	;; [unrolled: 1-line block ×3, first 2 shown]
	s_and_saveexec_b32 s1, vcc_lo
	s_cbranch_execz .LBB594_40
; %bb.33:
	s_waitcnt lgkmcnt(0)
	v_mul_lo_u32 v3, v20, s4
	v_mov_b32_e32 v12, 0
	v_mov_b32_e32 v10, 0
	;; [unrolled: 1-line block ×3, first 2 shown]
	s_mov_b32 s2, exec_lo
	v_ashrrev_i32_e32 v4, 31, v3
	v_lshlrev_b64 v[3:4], 1, v[3:4]
	v_add_co_u32 v3, s0, s16, v3
	v_add_co_ci_u32_e64 v4, null, s17, v4, s0
	flat_load_ushort v3, v[3:4]
	v_cmpx_gt_i32_e64 s9, v2
	s_cbranch_execz .LBB594_39
; %bb.34:
	v_mul_lo_u32 v4, v2, s4
	v_mov_b32_e32 v10, 0
	v_mov_b32_e32 v11, 0
	s_mov_b32 s3, exec_lo
	v_ashrrev_i32_e32 v5, 31, v4
	v_lshlrev_b64 v[4:5], 1, v[4:5]
	v_add_co_u32 v4, s0, s16, v4
	v_add_co_ci_u32_e64 v5, null, s17, v5, s0
	flat_load_ushort v4, v[4:5]
	v_or_b32_e32 v5, 2, v20
	v_cmpx_gt_i32_e64 s9, v5
	s_cbranch_execz .LBB594_38
; %bb.35:
	v_mul_lo_u32 v5, v5, s4
	v_mov_b32_e32 v10, 0
	s_mov_b32 s6, exec_lo
	v_ashrrev_i32_e32 v6, 31, v5
	v_lshlrev_b64 v[5:6], 1, v[5:6]
	v_add_co_u32 v5, s0, s16, v5
	v_add_co_ci_u32_e64 v6, null, s17, v6, s0
	flat_load_ushort v5, v[5:6]
	v_or_b32_e32 v6, 3, v20
	v_cmpx_gt_i32_e64 s9, v6
	s_cbranch_execz .LBB594_37
; %bb.36:
	v_mul_lo_u32 v6, v6, s4
	v_ashrrev_i32_e32 v7, 31, v6
	v_lshlrev_b64 v[6:7], 1, v[6:7]
	v_add_co_u32 v6, s0, s16, v6
	v_add_co_ci_u32_e64 v7, null, s17, v7, s0
	flat_load_ushort v6, v[6:7]
	s_waitcnt vmcnt(0) lgkmcnt(0)
	v_lshlrev_b32_e32 v10, 16, v6
.LBB594_37:
	s_or_b32 exec_lo, exec_lo, s6
	s_waitcnt vmcnt(0) lgkmcnt(0)
	v_lshlrev_b32_e32 v11, 16, v5
.LBB594_38:
	s_or_b32 exec_lo, exec_lo, s3
	s_waitcnt vmcnt(0) lgkmcnt(0)
	v_lshlrev_b32_e32 v12, 16, v4
.LBB594_39:
	s_or_b32 exec_lo, exec_lo, s2
	s_waitcnt vmcnt(0) lgkmcnt(0)
	v_lshlrev_b32_e32 v21, 16, v3
.LBB594_40:
	s_or_b32 exec_lo, exec_lo, s1
	s_mov_b32 s1, exec_lo
	v_cmpx_gt_i32_e64 s8, v19
	s_cbranch_execz .LBB594_48
; %bb.41:
	s_waitcnt lgkmcnt(0)
	v_mul_lo_u32 v3, v20, s14
	v_mul_lo_u32 v4, v2, s14
	v_or_b32_e32 v5, 2, v20
	v_or_b32_e32 v6, 3, v20
	s_mov_b32 s0, exec_lo
	v_mul_lo_u32 v7, v5, s14
	v_cndmask_b32_e32 v3, 0, v3, vcc_lo
	v_cmp_gt_i32_e32 vcc_lo, s9, v2
	v_mul_lo_u32 v8, v6, s14
	v_add_nc_u32_e32 v2, v3, v19
	v_cndmask_b32_e32 v4, 0, v4, vcc_lo
	v_cmp_gt_i32_e32 vcc_lo, s9, v5
	v_ashrrev_i32_e32 v3, 31, v2
	v_add_nc_u32_e32 v4, v4, v19
	v_cndmask_b32_e32 v7, 0, v7, vcc_lo
	v_cmp_gt_i32_e32 vcc_lo, s9, v6
	v_lshlrev_b64 v[2:3], 1, v[2:3]
	v_ashrrev_i32_e32 v5, 31, v4
	v_add_nc_u32_e32 v6, v7, v19
	v_cndmask_b32_e32 v8, 0, v8, vcc_lo
	v_lshlrev_b64 v[4:5], 1, v[4:5]
	v_ashrrev_i32_e32 v7, 31, v6
	v_add_nc_u32_e32 v8, v8, v19
	v_add_co_u32 v2, vcc_lo, s10, v2
	v_add_co_ci_u32_e64 v3, null, s11, v3, vcc_lo
	v_ashrrev_i32_e32 v9, 31, v8
	v_add_co_u32 v4, vcc_lo, s10, v4
	v_add_co_ci_u32_e64 v5, null, s11, v5, vcc_lo
	v_lshlrev_b64 v[6:7], 1, v[6:7]
	v_lshlrev_b64 v[8:9], 1, v[8:9]
	s_clause 0x1
	flat_load_ushort v20, v[2:3]
	flat_load_ushort v22, v[4:5]
	v_add_co_u32 v6, vcc_lo, s10, v6
	v_add_co_ci_u32_e64 v7, null, s11, v7, vcc_lo
	v_add_co_u32 v8, vcc_lo, s10, v8
	v_add_co_ci_u32_e64 v9, null, s11, v9, vcc_lo
	s_clause 0x1
	flat_load_ushort v23, v[6:7]
	flat_load_ushort v24, v[8:9]
	s_waitcnt vmcnt(3) lgkmcnt(3)
	v_lshlrev_b32_e32 v20, 16, v20
	s_waitcnt vmcnt(2) lgkmcnt(2)
	v_lshlrev_b32_e32 v22, 16, v22
	v_fmac_f32_e32 v15, v21, v20
	v_fmac_f32_e32 v15, v12, v22
	v_add_nc_u32_e32 v22, 64, v19
	s_waitcnt vmcnt(1) lgkmcnt(1)
	v_lshlrev_b32_e32 v23, 16, v23
	s_waitcnt vmcnt(0) lgkmcnt(0)
	v_lshlrev_b32_e32 v20, 16, v24
	v_fmac_f32_e32 v15, v11, v23
	v_cmpx_gt_i32_e64 s8, v22
	s_cbranch_execz .LBB594_47
; %bb.42:
	s_clause 0x3
	flat_load_ushort v22, v[2:3] offset:128
	flat_load_ushort v23, v[4:5] offset:128
	;; [unrolled: 1-line block ×4, first 2 shown]
	s_mov_b32 s2, exec_lo
	s_waitcnt vmcnt(3) lgkmcnt(3)
	v_lshlrev_b32_e32 v22, 16, v22
	s_waitcnt vmcnt(2) lgkmcnt(2)
	v_lshlrev_b32_e32 v23, 16, v23
	;; [unrolled: 2-line block ×3, first 2 shown]
	v_fmac_f32_e32 v16, v21, v22
	s_waitcnt vmcnt(0) lgkmcnt(0)
	v_lshlrev_b32_e32 v22, 16, v25
	v_fmac_f32_e32 v16, v12, v23
	v_add_nc_u32_e32 v23, 0x80, v19
	v_fmac_f32_e32 v16, v11, v24
	v_cmpx_gt_i32_e64 s8, v23
	s_cbranch_execz .LBB594_46
; %bb.43:
	s_clause 0x3
	flat_load_ushort v23, v[2:3] offset:256
	flat_load_ushort v24, v[4:5] offset:256
	;; [unrolled: 1-line block ×4, first 2 shown]
	s_mov_b32 s3, exec_lo
	s_waitcnt vmcnt(3) lgkmcnt(3)
	v_lshlrev_b32_e32 v23, 16, v23
	s_waitcnt vmcnt(2) lgkmcnt(2)
	v_lshlrev_b32_e32 v24, 16, v24
	v_fmac_f32_e32 v17, v21, v23
	s_waitcnt vmcnt(1) lgkmcnt(1)
	v_lshlrev_b32_e32 v23, 16, v25
	v_fmac_f32_e32 v17, v12, v24
	v_add_nc_u32_e32 v24, 0xc0, v19
	s_waitcnt vmcnt(0) lgkmcnt(0)
	v_lshlrev_b32_e32 v19, 16, v26
	v_fmac_f32_e32 v17, v11, v23
	v_cmpx_gt_i32_e64 s8, v24
	s_cbranch_execz .LBB594_45
; %bb.44:
	s_clause 0x3
	flat_load_ushort v2, v[2:3] offset:384
	flat_load_ushort v3, v[4:5] offset:384
	;; [unrolled: 1-line block ×4, first 2 shown]
	s_waitcnt vmcnt(3) lgkmcnt(3)
	v_lshlrev_b32_e32 v2, 16, v2
	s_waitcnt vmcnt(2) lgkmcnt(2)
	v_lshlrev_b32_e32 v3, 16, v3
	v_fmac_f32_e32 v18, v21, v2
	s_waitcnt vmcnt(1) lgkmcnt(1)
	v_lshlrev_b32_e32 v2, 16, v4
	v_fmac_f32_e32 v18, v12, v3
	;; [unrolled: 3-line block ×3, first 2 shown]
	v_fmac_f32_e32 v18, v10, v3
.LBB594_45:
	s_or_b32 exec_lo, exec_lo, s3
	v_fmac_f32_e32 v17, v10, v19
.LBB594_46:
	s_or_b32 exec_lo, exec_lo, s2
	v_fmac_f32_e32 v16, v10, v22
.LBB594_47:
	s_or_b32 exec_lo, exec_lo, s0
	v_fmac_f32_e32 v15, v10, v20
.LBB594_48:
	s_or_b32 exec_lo, exec_lo, s1
.LBB594_49:
	v_lshlrev_b32_e32 v0, 2, v0
	s_mov_b32 s0, exec_lo
                                        ; implicit-def: $vgpr5
                                        ; implicit-def: $vgpr2_vgpr3
	v_lshl_add_u32 v1, v1, 10, v0
	ds_write2st64_b32 v1, v15, v16 offset1:1
	ds_write2st64_b32 v1, v17, v18 offset0:2 offset1:3
	s_waitcnt lgkmcnt(0)
	s_barrier
	buffer_gl0_inv
	v_cmpx_gt_u32_e32 0x100, v13
	s_cbranch_execz .LBB594_70
; %bb.50:
	v_lshl_add_u32 v6, v14, 2, v0
	s_mov_b32 s2, s13
	s_mov_b32 s1, exec_lo
	ds_read2st64_b32 v[0:1], v6 offset1:4
	ds_read2st64_b32 v[2:3], v6 offset0:8 offset1:12
	ds_read2st64_b32 v[4:5], v6 offset0:16 offset1:20
	s_waitcnt lgkmcnt(2)
	v_add_f32_e32 v7, v0, v1
	ds_read2st64_b32 v[0:1], v6 offset0:24 offset1:28
	s_waitcnt lgkmcnt(2)
	v_add_f32_e32 v2, v2, v7
	v_add_f32_e32 v7, v3, v2
	ds_read2st64_b32 v[2:3], v6 offset0:32 offset1:36
	s_waitcnt lgkmcnt(2)
	v_add_f32_e32 v4, v4, v7
	;; [unrolled: 4-line block ×3, first 2 shown]
	v_add_f32_e32 v0, v1, v0
	s_waitcnt lgkmcnt(1)
	v_add_f32_e32 v2, v2, v0
	ds_read2st64_b32 v[0:1], v6 offset0:48 offset1:52
	v_add_f32_e32 v2, v3, v2
	s_waitcnt lgkmcnt(1)
	v_add_f32_e32 v4, v4, v2
	ds_read2st64_b32 v[2:3], v6 offset0:56 offset1:60
	v_add_f32_e32 v4, v5, v4
                                        ; implicit-def: $vgpr5
	s_waitcnt lgkmcnt(1)
	v_add_f32_e32 v0, v0, v4
	v_or_b32_e32 v4, s5, v13
	v_add_f32_e32 v0, v1, v0
	s_waitcnt lgkmcnt(0)
	v_add_f32_e32 v0, v2, v0
	v_add_f32_e32 v0, v3, v0
                                        ; implicit-def: $vgpr2_vgpr3
	ds_write_b32 v6, v0
	v_cmpx_gt_i32_e64 s8, v4
	s_cbranch_execz .LBB594_69
; %bb.51:
	v_cmp_eq_f32_e64 s2, s18, 0
	v_mul_f32_e32 v0, s19, v0
	s_and_b32 vcc_lo, exec_lo, s2
	s_cbranch_vccz .LBB594_57
; %bb.52:
	v_and_b32_e32 v1, 0x7f800000, v0
	v_cmp_ne_u32_e32 vcc_lo, 0x7f800000, v1
                                        ; implicit-def: $vgpr1
	s_and_saveexec_b32 s2, vcc_lo
	s_xor_b32 s2, exec_lo, s2
; %bb.53:
	v_bfe_u32 v1, v0, 16, 1
	v_add3_u32 v1, v0, v1, 0x7fff
; %bb.54:
	s_andn2_saveexec_b32 s2, s2
; %bb.55:
	v_mov_b32_e32 v1, 0
	v_or_b32_e32 v2, 0x10000, v0
	v_cmp_eq_u32_sdwa vcc_lo, v0, v1 src0_sel:WORD_0 src1_sel:DWORD
	v_cndmask_b32_e32 v1, v2, v0, vcc_lo
; %bb.56:
	s_or_b32 exec_lo, exec_lo, s2
	s_mov_b32 s2, 0
	s_branch .LBB594_58
.LBB594_57:
	s_mov_b32 s2, -1
                                        ; implicit-def: $vgpr1
.LBB594_58:
	v_mul_lo_u32 v2, s20, v4
	s_andn2_b32 vcc_lo, exec_lo, s2
	v_ashrrev_i32_e32 v3, 31, v2
	s_cbranch_vccnz .LBB594_68
; %bb.59:
	v_lshlrev_b64 v[4:5], 1, v[2:3]
	v_add_co_u32 v4, vcc_lo, s7, v4
	v_add_co_ci_u32_e64 v5, null, s12, v5, vcc_lo
	flat_load_ushort v1, v[4:5]
	s_waitcnt vmcnt(0) lgkmcnt(0)
	v_lshlrev_b32_e32 v1, 16, v1
	v_mul_f32_e32 v1, s18, v1
	v_and_b32_e32 v4, 0x7f800000, v1
	v_cmp_ne_u32_e32 vcc_lo, 0x7f800000, v4
                                        ; implicit-def: $vgpr4
	s_and_saveexec_b32 s2, vcc_lo
	s_xor_b32 s2, exec_lo, s2
; %bb.60:
	v_bfe_u32 v4, v1, 16, 1
	v_add3_u32 v4, v1, v4, 0x7fff
                                        ; implicit-def: $vgpr1
; %bb.61:
	s_andn2_saveexec_b32 s2, s2
; %bb.62:
	v_mov_b32_e32 v4, 0
	v_or_b32_e32 v5, 0x10000, v1
	v_cmp_eq_u32_sdwa vcc_lo, v1, v4 src0_sel:WORD_0 src1_sel:DWORD
	v_cndmask_b32_e32 v4, v5, v1, vcc_lo
; %bb.63:
	s_or_b32 exec_lo, exec_lo, s2
	v_and_b32_e32 v1, 0xffff0000, v4
	v_add_f32_e32 v0, v0, v1
	v_and_b32_e32 v1, 0x7f800000, v0
	v_cmp_ne_u32_e32 vcc_lo, 0x7f800000, v1
                                        ; implicit-def: $vgpr1
	s_and_saveexec_b32 s2, vcc_lo
	s_xor_b32 s2, exec_lo, s2
; %bb.64:
	v_bfe_u32 v1, v0, 16, 1
	v_add3_u32 v1, v0, v1, 0x7fff
                                        ; implicit-def: $vgpr0
; %bb.65:
	s_andn2_saveexec_b32 s2, s2
; %bb.66:
	v_mov_b32_e32 v1, 0
	v_or_b32_e32 v4, 0x10000, v0
	v_cmp_eq_u32_sdwa vcc_lo, v0, v1 src0_sel:WORD_0 src1_sel:DWORD
	v_cndmask_b32_e32 v1, v4, v0, vcc_lo
; %bb.67:
	s_or_b32 exec_lo, exec_lo, s2
.LBB594_68:
	v_lshrrev_b32_e32 v5, 16, v1
	s_or_b32 s2, s13, exec_lo
.LBB594_69:
	s_or_b32 exec_lo, exec_lo, s1
	s_andn2_b32 s1, s13, exec_lo
	s_and_b32 s2, s2, exec_lo
	s_or_b32 s13, s1, s2
.LBB594_70:
	s_or_b32 exec_lo, exec_lo, s0
.LBB594_71:
	s_and_saveexec_b32 s0, s13
	s_cbranch_execz .LBB594_73
; %bb.72:
	v_lshlrev_b64 v[0:1], 1, v[2:3]
	v_add_co_u32 v0, vcc_lo, s7, v0
	v_add_co_ci_u32_e64 v1, null, s12, v1, vcc_lo
	flat_store_short v[0:1], v5
.LBB594_73:
	s_endpgm
	.section	.rodata,"a",@progbits
	.p2align	6, 0x0
	.amdhsa_kernel _ZL20rocblas_gemvn_kernelILi64ELi16EiPK16rocblas_bfloat16PKfKPS0_EviiT3_lPKT2_lT1_lSA_lSB_lS7_lPT4_lSB_li
		.amdhsa_group_segment_fixed_size 16384
		.amdhsa_private_segment_fixed_size 0
		.amdhsa_kernarg_size 400
		.amdhsa_user_sgpr_count 6
		.amdhsa_user_sgpr_private_segment_buffer 1
		.amdhsa_user_sgpr_dispatch_ptr 0
		.amdhsa_user_sgpr_queue_ptr 0
		.amdhsa_user_sgpr_kernarg_segment_ptr 1
		.amdhsa_user_sgpr_dispatch_id 0
		.amdhsa_user_sgpr_flat_scratch_init 0
		.amdhsa_user_sgpr_private_segment_size 0
		.amdhsa_wavefront_size32 1
		.amdhsa_uses_dynamic_stack 0
		.amdhsa_system_sgpr_private_segment_wavefront_offset 0
		.amdhsa_system_sgpr_workgroup_id_x 1
		.amdhsa_system_sgpr_workgroup_id_y 0
		.amdhsa_system_sgpr_workgroup_id_z 1
		.amdhsa_system_sgpr_workgroup_info 0
		.amdhsa_system_vgpr_workitem_id 1
		.amdhsa_next_free_vgpr 42
		.amdhsa_next_free_sgpr 28
		.amdhsa_reserve_vcc 1
		.amdhsa_reserve_flat_scratch 1
		.amdhsa_float_round_mode_32 0
		.amdhsa_float_round_mode_16_64 0
		.amdhsa_float_denorm_mode_32 3
		.amdhsa_float_denorm_mode_16_64 3
		.amdhsa_dx10_clamp 1
		.amdhsa_ieee_mode 1
		.amdhsa_fp16_overflow 0
		.amdhsa_workgroup_processor_mode 1
		.amdhsa_memory_ordered 1
		.amdhsa_forward_progress 1
		.amdhsa_shared_vgpr_count 0
		.amdhsa_exception_fp_ieee_invalid_op 0
		.amdhsa_exception_fp_denorm_src 0
		.amdhsa_exception_fp_ieee_div_zero 0
		.amdhsa_exception_fp_ieee_overflow 0
		.amdhsa_exception_fp_ieee_underflow 0
		.amdhsa_exception_fp_ieee_inexact 0
		.amdhsa_exception_int_div_zero 0
	.end_amdhsa_kernel
	.section	.text._ZL20rocblas_gemvn_kernelILi64ELi16EiPK16rocblas_bfloat16PKfKPS0_EviiT3_lPKT2_lT1_lSA_lSB_lS7_lPT4_lSB_li,"axG",@progbits,_ZL20rocblas_gemvn_kernelILi64ELi16EiPK16rocblas_bfloat16PKfKPS0_EviiT3_lPKT2_lT1_lSA_lSB_lS7_lPT4_lSB_li,comdat
.Lfunc_end594:
	.size	_ZL20rocblas_gemvn_kernelILi64ELi16EiPK16rocblas_bfloat16PKfKPS0_EviiT3_lPKT2_lT1_lSA_lSB_lS7_lPT4_lSB_li, .Lfunc_end594-_ZL20rocblas_gemvn_kernelILi64ELi16EiPK16rocblas_bfloat16PKfKPS0_EviiT3_lPKT2_lT1_lSA_lSB_lS7_lPT4_lSB_li
                                        ; -- End function
	.set _ZL20rocblas_gemvn_kernelILi64ELi16EiPK16rocblas_bfloat16PKfKPS0_EviiT3_lPKT2_lT1_lSA_lSB_lS7_lPT4_lSB_li.num_vgpr, 42
	.set _ZL20rocblas_gemvn_kernelILi64ELi16EiPK16rocblas_bfloat16PKfKPS0_EviiT3_lPKT2_lT1_lSA_lSB_lS7_lPT4_lSB_li.num_agpr, 0
	.set _ZL20rocblas_gemvn_kernelILi64ELi16EiPK16rocblas_bfloat16PKfKPS0_EviiT3_lPKT2_lT1_lSA_lSB_lS7_lPT4_lSB_li.numbered_sgpr, 28
	.set _ZL20rocblas_gemvn_kernelILi64ELi16EiPK16rocblas_bfloat16PKfKPS0_EviiT3_lPKT2_lT1_lSA_lSB_lS7_lPT4_lSB_li.num_named_barrier, 0
	.set _ZL20rocblas_gemvn_kernelILi64ELi16EiPK16rocblas_bfloat16PKfKPS0_EviiT3_lPKT2_lT1_lSA_lSB_lS7_lPT4_lSB_li.private_seg_size, 0
	.set _ZL20rocblas_gemvn_kernelILi64ELi16EiPK16rocblas_bfloat16PKfKPS0_EviiT3_lPKT2_lT1_lSA_lSB_lS7_lPT4_lSB_li.uses_vcc, 1
	.set _ZL20rocblas_gemvn_kernelILi64ELi16EiPK16rocblas_bfloat16PKfKPS0_EviiT3_lPKT2_lT1_lSA_lSB_lS7_lPT4_lSB_li.uses_flat_scratch, 1
	.set _ZL20rocblas_gemvn_kernelILi64ELi16EiPK16rocblas_bfloat16PKfKPS0_EviiT3_lPKT2_lT1_lSA_lSB_lS7_lPT4_lSB_li.has_dyn_sized_stack, 0
	.set _ZL20rocblas_gemvn_kernelILi64ELi16EiPK16rocblas_bfloat16PKfKPS0_EviiT3_lPKT2_lT1_lSA_lSB_lS7_lPT4_lSB_li.has_recursion, 0
	.set _ZL20rocblas_gemvn_kernelILi64ELi16EiPK16rocblas_bfloat16PKfKPS0_EviiT3_lPKT2_lT1_lSA_lSB_lS7_lPT4_lSB_li.has_indirect_call, 0
	.section	.AMDGPU.csdata,"",@progbits
; Kernel info:
; codeLenInByte = 3336
; TotalNumSgprs: 30
; NumVgprs: 42
; ScratchSize: 0
; MemoryBound: 0
; FloatMode: 240
; IeeeMode: 1
; LDSByteSize: 16384 bytes/workgroup (compile time only)
; SGPRBlocks: 0
; VGPRBlocks: 5
; NumSGPRsForWavesPerEU: 30
; NumVGPRsForWavesPerEU: 42
; Occupancy: 16
; WaveLimiterHint : 1
; COMPUTE_PGM_RSRC2:SCRATCH_EN: 0
; COMPUTE_PGM_RSRC2:USER_SGPR: 6
; COMPUTE_PGM_RSRC2:TRAP_HANDLER: 0
; COMPUTE_PGM_RSRC2:TGID_X_EN: 1
; COMPUTE_PGM_RSRC2:TGID_Y_EN: 0
; COMPUTE_PGM_RSRC2:TGID_Z_EN: 1
; COMPUTE_PGM_RSRC2:TIDIG_COMP_CNT: 1
	.section	.text._ZL20rocblas_gemvn_kernelILi64ELi16ElPK16rocblas_bfloat16PKfKPS0_EviiT3_lPKT2_lT1_lSA_lSB_lS7_lPT4_lSB_li,"axG",@progbits,_ZL20rocblas_gemvn_kernelILi64ELi16ElPK16rocblas_bfloat16PKfKPS0_EviiT3_lPKT2_lT1_lSA_lSB_lS7_lPT4_lSB_li,comdat
	.globl	_ZL20rocblas_gemvn_kernelILi64ELi16ElPK16rocblas_bfloat16PKfKPS0_EviiT3_lPKT2_lT1_lSA_lSB_lS7_lPT4_lSB_li ; -- Begin function _ZL20rocblas_gemvn_kernelILi64ELi16ElPK16rocblas_bfloat16PKfKPS0_EviiT3_lPKT2_lT1_lSA_lSB_lS7_lPT4_lSB_li
	.p2align	8
	.type	_ZL20rocblas_gemvn_kernelILi64ELi16ElPK16rocblas_bfloat16PKfKPS0_EviiT3_lPKT2_lT1_lSA_lSB_lS7_lPT4_lSB_li,@function
_ZL20rocblas_gemvn_kernelILi64ELi16ElPK16rocblas_bfloat16PKfKPS0_EviiT3_lPKT2_lT1_lSA_lSB_lS7_lPT4_lSB_li: ; @_ZL20rocblas_gemvn_kernelILi64ELi16ElPK16rocblas_bfloat16PKfKPS0_EviiT3_lPKT2_lT1_lSA_lSB_lS7_lPT4_lSB_li
; %bb.0:
	s_load_dwordx2 s[0:1], s[4:5], 0x9c
	s_waitcnt lgkmcnt(0)
	s_lshr_b32 s2, s0, 16
	s_and_b32 s0, s0, 0xffff
	s_and_b32 s1, s1, 0xffff
	s_mul_i32 s0, s2, s0
	s_mul_i32 s0, s0, s1
	s_cmpk_lg_i32 s0, 0x400
	s_cbranch_scc1 .LBB595_73
; %bb.1:
	s_clause 0x1
	s_load_dwordx8 s[16:23], s[4:5], 0x8
	s_load_dwordx8 s[8:15], s[4:5], 0x58
	s_mov_b32 s26, s7
	s_mov_b32 s27, 0
	s_waitcnt lgkmcnt(0)
	s_mul_i32 s1, s19, s7
	s_mul_hi_u32 s2, s18, s7
	s_mul_i32 s0, s18, s7
	s_add_i32 s1, s2, s1
	s_mul_i32 s2, s11, s7
	s_lshl_b64 s[0:1], s[0:1], 2
	s_mul_hi_u32 s3, s10, s7
	s_add_u32 s0, s16, s0
	s_addc_u32 s1, s17, s1
	s_add_i32 s3, s3, s2
	s_mul_i32 s2, s10, s7
	s_lshl_b64 s[2:3], s[2:3], 2
	s_add_u32 s2, s8, s2
	s_addc_u32 s3, s9, s3
	s_load_dword s29, s[0:1], 0x0
	s_load_dword s28, s[2:3], 0x0
	s_waitcnt lgkmcnt(0)
	v_cmp_eq_f32_e64 s7, s29, 0
	v_cmp_eq_f32_e64 s0, s28, 1.0
	s_and_b32 s0, s7, s0
	s_and_b32 vcc_lo, exec_lo, s0
	s_cbranch_vccnz .LBB595_73
; %bb.2:
	s_clause 0x1
	s_load_dwordx2 s[16:17], s[4:5], 0x28
	s_load_dwordx2 s[8:9], s[4:5], 0x78
	v_cmp_neq_f32_e64 s10, s29, 0
	s_mov_b64 s[24:25], 0
	s_and_b32 vcc_lo, exec_lo, s7
	s_mov_b64 s[18:19], 0
	s_cbranch_vccnz .LBB595_4
; %bb.3:
	s_lshl_b64 s[0:1], s[26:27], 3
	s_add_u32 s0, s20, s0
	s_addc_u32 s1, s21, s1
	s_lshl_b64 s[2:3], s[22:23], 1
	s_load_dwordx2 s[0:1], s[0:1], 0x0
	s_waitcnt lgkmcnt(0)
	s_add_u32 s18, s0, s2
	s_addc_u32 s19, s1, s3
.LBB595_4:
	s_clause 0x1
	s_load_dwordx4 s[0:3], s[4:5], 0x38
	s_load_dwordx2 s[20:21], s[4:5], 0x48
	s_andn2_b32 vcc_lo, exec_lo, s10
	s_cbranch_vccnz .LBB595_6
; %bb.5:
	s_lshl_b64 s[10:11], s[26:27], 3
	s_waitcnt lgkmcnt(0)
	s_add_u32 s0, s0, s10
	s_addc_u32 s1, s1, s11
	s_lshl_b64 s[2:3], s[2:3], 1
	s_load_dwordx2 s[0:1], s[0:1], 0x0
	s_waitcnt lgkmcnt(0)
	s_add_u32 s24, s0, s2
	s_addc_u32 s25, s1, s3
.LBB595_6:
	s_waitcnt lgkmcnt(0)
	s_lshl_b64 s[0:1], s[26:27], 3
	v_lshlrev_b32_e32 v22, 6, v1
	s_add_u32 s0, s12, s0
	s_addc_u32 s1, s13, s1
	s_lshl_b64 s[12:13], s[14:15], 1
	s_load_dwordx2 s[2:3], s[0:1], 0x0
	s_load_dwordx2 s[10:11], s[4:5], 0x0
	v_add_nc_u32_e32 v21, v22, v0
	v_cmp_gt_u32_e64 s0, 0x100, v21
	s_waitcnt lgkmcnt(0)
	s_add_u32 s5, s2, s12
	s_addc_u32 s22, s3, s13
	s_andn2_b32 vcc_lo, exec_lo, s7
	s_cbranch_vccnz .LBB595_17
; %bb.7:
	s_mov_b32 s1, 0
	s_mov_b32 s23, 0
                                        ; implicit-def: $vgpr5
                                        ; implicit-def: $vgpr2_vgpr3
	s_and_saveexec_b32 s2, s0
	s_cbranch_execz .LBB595_18
; %bb.8:
	v_lshl_or_b32 v4, s6, 8, v21
	v_mov_b32_e32 v5, 0
	s_ashr_i32 s13, s10, 31
	s_mov_b32 s12, s10
	s_mov_b32 s3, 0
	s_mov_b32 s0, exec_lo
                                        ; implicit-def: $vgpr2_vgpr3
	v_cmpx_gt_i64_e64 s[12:13], v[4:5]
	s_cbranch_execz .LBB595_16
; %bb.9:
	v_mad_u64_u32 v[2:3], null, s8, v4, 0
	v_cmp_eq_f32_e64 s3, s28, 0
	s_and_b32 vcc_lo, exec_lo, s3
	v_mad_u64_u32 v[3:4], null, s9, v4, v[3:4]
	s_cbranch_vccnz .LBB595_15
; %bb.10:
	v_lshlrev_b64 v[4:5], 1, v[2:3]
	v_add_co_u32 v4, vcc_lo, s5, v4
	v_add_co_ci_u32_e64 v5, null, s22, v5, vcc_lo
	flat_load_ushort v4, v[4:5]
	s_waitcnt vmcnt(0) lgkmcnt(0)
	v_lshlrev_b32_e32 v4, 16, v4
	v_mul_f32_e32 v4, s28, v4
	v_and_b32_e32 v5, 0x7f800000, v4
	v_cmp_ne_u32_e32 vcc_lo, 0x7f800000, v5
                                        ; implicit-def: $vgpr5
	s_and_saveexec_b32 s3, vcc_lo
	s_xor_b32 s3, exec_lo, s3
; %bb.11:
	v_bfe_u32 v5, v4, 16, 1
	v_add3_u32 v5, v4, v5, 0x7fff
                                        ; implicit-def: $vgpr4
; %bb.12:
	s_andn2_saveexec_b32 s3, s3
; %bb.13:
	v_mov_b32_e32 v5, 0
	v_or_b32_e32 v6, 0x10000, v4
	v_cmp_eq_u32_sdwa vcc_lo, v4, v5 src0_sel:WORD_0 src1_sel:DWORD
	v_cndmask_b32_e32 v5, v6, v4, vcc_lo
; %bb.14:
	s_or_b32 exec_lo, exec_lo, s3
	v_lshrrev_b32_e32 v5, 16, v5
.LBB595_15:
	s_mov_b32 s3, exec_lo
.LBB595_16:
	s_or_b32 exec_lo, exec_lo, s0
	s_and_b32 s23, s3, exec_lo
	s_or_b32 exec_lo, exec_lo, s2
	s_and_b32 vcc_lo, exec_lo, s1
	s_cbranch_vccnz .LBB595_19
	s_branch .LBB595_71
.LBB595_17:
	s_mov_b32 s23, 0
                                        ; implicit-def: $vgpr5
                                        ; implicit-def: $vgpr2_vgpr3
	s_cbranch_execnz .LBB595_19
	s_branch .LBB595_71
.LBB595_18:
	s_or_b32 exec_lo, exec_lo, s2
	s_and_b32 vcc_lo, exec_lo, s1
	s_cbranch_vccz .LBB595_71
.LBB595_19:
	s_ashr_i32 s0, s11, 31
	s_lshl_b32 s26, s6, 8
	s_lshr_b32 s0, s0, 26
	v_lshlrev_b32_e32 v27, 2, v1
	v_mov_b32_e32 v23, 0
	v_add_nc_u32_e32 v2, s26, v0
	v_mov_b32_e32 v24, 0
	v_mov_b32_e32 v25, 0
	;; [unrolled: 1-line block ×3, first 2 shown]
	s_add_i32 s27, s11, s0
	s_mov_b32 s30, exec_lo
	s_andn2_b32 s27, s27, 63
	v_cmpx_gt_i32_e64 s27, v27
	s_cbranch_execz .LBB595_31
; %bb.20:
	v_lshlrev_b32_e32 v25, 2, v1
	v_add_nc_u32_e32 v4, 64, v2
	v_mad_u64_u32 v[7:8], null, s20, v1, 0
	v_mad_u64_u32 v[9:10], null, s16, v1, 0
	v_or_b32_e32 v26, 3, v25
	v_add_nc_u32_e32 v11, 0x80, v2
	v_add_nc_u32_e32 v12, 0xc0, v2
	v_cmp_gt_i32_e64 s0, s10, v4
	v_or_b32_e32 v32, 2, v25
	v_mad_u64_u32 v[5:6], null, s16, v26, 0
	v_cmp_gt_i32_e64 s1, s10, v11
	v_cmp_gt_i32_e64 s2, s10, v12
	v_mad_u64_u32 v[16:17], null, s16, v32, 0
	v_mad_u64_u32 v[18:19], null, s20, v26, 0
	v_mov_b32_e32 v4, v6
	v_mov_b32_e32 v6, v8
	;; [unrolled: 1-line block ×3, first 2 shown]
	v_ashrrev_i32_e32 v3, 31, v2
	s_lshl_b64 s[6:7], s[16:17], 7
	v_mad_u64_u32 v[11:12], null, s17, v26, v[4:5]
	v_mad_u64_u32 v[12:13], null, s21, v1, v[6:7]
	;; [unrolled: 1-line block ×4, first 2 shown]
	v_mov_b32_e32 v6, v11
	v_lshlrev_b64 v[3:4], 1, v[2:3]
	v_mov_b32_e32 v8, v12
	s_lshl_b64 s[12:13], s[20:21], 7
	v_mov_b32_e32 v10, v13
	v_lshlrev_b64 v[11:12], 1, v[5:6]
	s_mov_b32 s31, 0
	v_lshlrev_b64 v[5:6], 3, v[7:8]
	v_mov_b32_e32 v7, v17
	v_mov_b32_e32 v8, v15
	v_lshlrev_b64 v[9:10], 3, v[9:10]
	v_add_co_u32 v28, s3, s18, v11
	v_add_co_ci_u32_e64 v29, null, s19, v12, s3
	v_mad_u64_u32 v[11:12], null, s16, v25, s[16:17]
	v_mad_u64_u32 v[23:24], null, s17, v32, v[7:8]
	v_mov_b32_e32 v7, v19
	v_mad_u64_u32 v[19:20], null, s21, v25, v[8:9]
	v_add_co_u32 v30, s3, s18, v9
	v_mad_u64_u32 v[7:8], null, s21, v26, v[7:8]
	v_mov_b32_e32 v8, v12
	v_mov_b32_e32 v17, v23
	v_mad_u64_u32 v[23:24], null, s20, v32, 0
	v_mov_b32_e32 v15, v19
	v_mad_u64_u32 v[12:13], null, s17, v25, v[8:9]
	v_lshlrev_b64 v[16:17], 1, v[16:17]
	v_mov_b32_e32 v19, v7
	v_add_co_ci_u32_e64 v31, null, s19, v10, s3
	v_mov_b32_e32 v8, v24
	v_mov_b32_e32 v26, 0
	v_lshlrev_b64 v[11:12], 1, v[11:12]
	s_mov_b64 s[14:15], s[24:25]
	v_cmp_gt_i32_e32 vcc_lo, s10, v2
	v_mad_u64_u32 v[24:25], null, s21, v32, v[8:9]
	v_add_co_u32 v32, s3, s18, v16
	v_add_co_ci_u32_e64 v33, null, s19, v17, s3
	v_add_co_u32 v34, s3, s18, v11
	v_lshlrev_b64 v[7:8], 1, v[14:15]
	v_lshlrev_b64 v[9:10], 1, v[18:19]
	v_add_co_ci_u32_e64 v35, null, s19, v12, s3
	v_lshlrev_b64 v[11:12], 1, v[23:24]
	v_mov_b32_e32 v23, 0
	v_mov_b32_e32 v24, 0
	;; [unrolled: 1-line block ×3, first 2 shown]
	s_branch .LBB595_25
.LBB595_21:                             ;   in Loop: Header=BB595_25 Depth=1
	s_or_b32 exec_lo, exec_lo, s34
	s_waitcnt vmcnt(3) lgkmcnt(3)
	v_lshlrev_b32_e32 v13, 16, v51
	s_waitcnt vmcnt(2) lgkmcnt(2)
	v_lshlrev_b32_e32 v14, 16, v50
	v_fmac_f32_e32 v25, v43, v13
	s_waitcnt vmcnt(1) lgkmcnt(1)
	v_lshlrev_b32_e32 v13, 16, v49
	v_fmac_f32_e32 v25, v39, v14
	v_fmac_f32_e32 v25, v41, v13
	s_waitcnt vmcnt(0) lgkmcnt(0)
	v_lshlrev_b32_e32 v13, 16, v48
	v_fmac_f32_e32 v25, v37, v13
.LBB595_22:                             ;   in Loop: Header=BB595_25 Depth=1
	s_or_b32 exec_lo, exec_lo, s33
	s_waitcnt vmcnt(3) lgkmcnt(3)
	v_lshlrev_b32_e32 v13, 16, v47
	s_waitcnt vmcnt(2) lgkmcnt(2)
	v_lshlrev_b32_e32 v14, 16, v46
	v_fmac_f32_e32 v24, v43, v13
	s_waitcnt vmcnt(1) lgkmcnt(1)
	v_lshlrev_b32_e32 v13, 16, v45
	v_fmac_f32_e32 v24, v39, v14
	v_fmac_f32_e32 v24, v41, v13
	s_waitcnt vmcnt(0) lgkmcnt(0)
	v_lshlrev_b32_e32 v13, 16, v44
	v_fmac_f32_e32 v24, v37, v13
.LBB595_23:                             ;   in Loop: Header=BB595_25 Depth=1
	s_or_b32 exec_lo, exec_lo, s3
	s_waitcnt vmcnt(3) lgkmcnt(3)
	v_lshlrev_b32_e32 v13, 16, v42
	s_waitcnt vmcnt(2) lgkmcnt(2)
	v_lshlrev_b32_e32 v14, 16, v40
	v_fmac_f32_e32 v23, v43, v13
	s_waitcnt vmcnt(1) lgkmcnt(1)
	v_lshlrev_b32_e32 v13, 16, v38
	v_fmac_f32_e32 v23, v39, v14
	v_fmac_f32_e32 v23, v41, v13
	s_waitcnt vmcnt(0) lgkmcnt(0)
	v_lshlrev_b32_e32 v13, 16, v36
	v_fmac_f32_e32 v23, v37, v13
.LBB595_24:                             ;   in Loop: Header=BB595_25 Depth=1
	s_or_b32 exec_lo, exec_lo, s4
	v_add_co_u32 v28, s3, v28, s6
	v_add_nc_u32_e32 v27, 64, v27
	v_add_co_ci_u32_e64 v29, null, s7, v29, s3
	v_add_co_u32 v30, s3, v30, s6
	v_add_co_ci_u32_e64 v31, null, s7, v31, s3
	v_add_co_u32 v32, s3, v32, s6
	v_add_co_ci_u32_e64 v33, null, s7, v33, s3
	v_cmp_le_i32_e64 s3, s27, v27
	v_add_co_u32 v34, s4, v34, s6
	v_add_co_ci_u32_e64 v35, null, s7, v35, s4
	s_add_u32 s14, s14, s12
	s_addc_u32 s15, s15, s13
	s_or_b32 s31, s3, s31
	s_andn2_b32 exec_lo, exec_lo, s31
	s_cbranch_execz .LBB595_30
.LBB595_25:                             ; =>This Inner Loop Header: Depth=1
	s_and_saveexec_b32 s4, vcc_lo
	s_cbranch_execz .LBB595_24
; %bb.26:                               ;   in Loop: Header=BB595_25 Depth=1
	v_add_co_u32 v13, s3, s14, v5
	v_add_co_ci_u32_e64 v14, null, s15, v6, s3
	v_add_co_u32 v15, s3, s14, v7
	v_add_co_ci_u32_e64 v16, null, s15, v8, s3
	;; [unrolled: 2-line block ×4, first 2 shown]
	s_clause 0x3
	flat_load_ushort v37, v[13:14]
	flat_load_ushort v39, v[15:16]
	;; [unrolled: 1-line block ×4, first 2 shown]
	v_add_co_u32 v13, s3, v30, v3
	v_add_co_ci_u32_e64 v14, null, v31, v4, s3
	v_add_co_u32 v17, s3, v34, v3
	v_add_co_ci_u32_e64 v18, null, v35, v4, s3
	;; [unrolled: 2-line block ×4, first 2 shown]
	flat_load_ushort v42, v[13:14]
	flat_load_ushort v40, v[17:18]
	;; [unrolled: 1-line block ×4, first 2 shown]
	s_waitcnt vmcnt(7) lgkmcnt(7)
	v_lshlrev_b32_e32 v43, 16, v37
	s_waitcnt vmcnt(6) lgkmcnt(6)
	v_lshlrev_b32_e32 v39, 16, v39
	;; [unrolled: 2-line block ×4, first 2 shown]
	s_and_saveexec_b32 s3, s0
	s_cbranch_execz .LBB595_23
; %bb.27:                               ;   in Loop: Header=BB595_25 Depth=1
	flat_load_ushort v47, v[13:14] offset:128
	flat_load_ushort v46, v[17:18] offset:128
	flat_load_ushort v45, v[15:16] offset:128
	flat_load_ushort v44, v[19:20] offset:128
	s_and_saveexec_b32 s33, s1
	s_cbranch_execz .LBB595_22
; %bb.28:                               ;   in Loop: Header=BB595_25 Depth=1
	flat_load_ushort v51, v[13:14] offset:256
	flat_load_ushort v50, v[17:18] offset:256
	flat_load_ushort v49, v[15:16] offset:256
	flat_load_ushort v48, v[19:20] offset:256
	;; [unrolled: 7-line block ×3, first 2 shown]
	s_waitcnt vmcnt(3) lgkmcnt(3)
	v_lshlrev_b32_e32 v13, 16, v13
	s_waitcnt vmcnt(2) lgkmcnt(2)
	v_lshlrev_b32_e32 v14, 16, v14
	v_fmac_f32_e32 v26, v43, v13
	s_waitcnt vmcnt(1) lgkmcnt(1)
	v_lshlrev_b32_e32 v13, 16, v15
	v_fmac_f32_e32 v26, v39, v14
	;; [unrolled: 3-line block ×3, first 2 shown]
	v_fmac_f32_e32 v26, v37, v14
	s_branch .LBB595_21
.LBB595_30:
	s_or_b32 exec_lo, exec_lo, s31
.LBB595_31:
	s_or_b32 exec_lo, exec_lo, s30
	s_sub_i32 s0, s11, s27
	s_cmp_lt_i32 s0, 1
	s_cbranch_scc1 .LBB595_49
; %bb.32:
	v_cmp_gt_i32_e32 vcc_lo, s11, v27
	v_mov_b32_e32 v12, 0
	v_or_b32_e32 v4, 1, v27
	v_mov_b32_e32 v11, 0
	v_mov_b32_e32 v14, 0
	;; [unrolled: 1-line block ×3, first 2 shown]
	s_and_saveexec_b32 s1, vcc_lo
	s_cbranch_execz .LBB595_40
; %bb.33:
	v_mad_u64_u32 v[5:6], null, s20, v27, 0
	v_mov_b32_e32 v13, 0
	v_mov_b32_e32 v11, 0
	;; [unrolled: 1-line block ×3, first 2 shown]
	s_mov_b32 s2, exec_lo
	v_mov_b32_e32 v3, v6
	v_mad_u64_u32 v[6:7], null, s21, v27, v[3:4]
	v_lshlrev_b64 v[5:6], 1, v[5:6]
	v_add_co_u32 v5, s0, s24, v5
	v_add_co_ci_u32_e64 v6, null, s25, v6, s0
	flat_load_ushort v3, v[5:6]
	v_cmpx_gt_i32_e64 s11, v4
	s_cbranch_execz .LBB595_39
; %bb.34:
	v_mad_u64_u32 v[5:6], null, s20, v4, 0
	v_mov_b32_e32 v11, 0
	v_mov_b32_e32 v12, 0
	s_mov_b32 s3, exec_lo
	v_mad_u64_u32 v[6:7], null, s21, v4, v[6:7]
	v_lshlrev_b64 v[5:6], 1, v[5:6]
	v_add_co_u32 v5, s0, s24, v5
	v_add_co_ci_u32_e64 v6, null, s25, v6, s0
	flat_load_ushort v5, v[5:6]
	v_or_b32_e32 v6, 2, v27
	v_cmpx_gt_i32_e64 s11, v6
	s_cbranch_execz .LBB595_38
; %bb.35:
	v_mad_u64_u32 v[7:8], null, s20, v6, 0
	v_mov_b32_e32 v11, 0
	s_mov_b32 s4, exec_lo
	v_mad_u64_u32 v[8:9], null, s21, v6, v[8:9]
	v_lshlrev_b64 v[6:7], 1, v[7:8]
	v_add_co_u32 v6, s0, s24, v6
	v_add_co_ci_u32_e64 v7, null, s25, v7, s0
	flat_load_ushort v6, v[6:7]
	v_or_b32_e32 v7, 3, v27
	v_cmpx_gt_i32_e64 s11, v7
	s_cbranch_execz .LBB595_37
; %bb.36:
	v_mad_u64_u32 v[8:9], null, s20, v7, 0
	v_mad_u64_u32 v[9:10], null, s21, v7, v[9:10]
	v_lshlrev_b64 v[7:8], 1, v[8:9]
	v_add_co_u32 v7, s0, s24, v7
	v_add_co_ci_u32_e64 v8, null, s25, v8, s0
	flat_load_ushort v7, v[7:8]
	s_waitcnt vmcnt(0) lgkmcnt(0)
	v_lshlrev_b32_e32 v11, 16, v7
.LBB595_37:
	s_or_b32 exec_lo, exec_lo, s4
	s_waitcnt vmcnt(0) lgkmcnt(0)
	v_lshlrev_b32_e32 v12, 16, v6
.LBB595_38:
	s_or_b32 exec_lo, exec_lo, s3
	s_waitcnt vmcnt(0) lgkmcnt(0)
	v_lshlrev_b32_e32 v13, 16, v5
.LBB595_39:
	s_or_b32 exec_lo, exec_lo, s2
	s_waitcnt vmcnt(0) lgkmcnt(0)
	v_lshlrev_b32_e32 v14, 16, v3
.LBB595_40:
	s_or_b32 exec_lo, exec_lo, s1
	s_mov_b32 s1, exec_lo
	v_cmpx_gt_i32_e64 s10, v2
	s_cbranch_execz .LBB595_48
; %bb.41:
	v_mad_u64_u32 v[5:6], null, s16, v27, 0
	v_mad_u64_u32 v[7:8], null, s16, v4, 0
	v_ashrrev_i32_e32 v3, 31, v2
	v_or_b32_e32 v20, 2, v27
	v_or_b32_e32 v29, 3, v27
	v_cndmask_b32_e32 v5, 0, v5, vcc_lo
	v_lshlrev_b64 v[9:10], 1, v[2:3]
	v_mad_u64_u32 v[15:16], null, s17, v27, v[6:7]
	v_mov_b32_e32 v3, v8
	v_mad_u64_u32 v[16:17], null, s16, v20, 0
	v_mad_u64_u32 v[18:19], null, s16, v29, 0
	;; [unrolled: 1-line block ×3, first 2 shown]
	v_cndmask_b32_e32 v6, 0, v15, vcc_lo
	v_cmp_gt_i32_e32 vcc_lo, s11, v4
	v_mov_b32_e32 v3, v17
	v_cmp_gt_i32_e64 s0, s11, v20
	v_mov_b32_e32 v8, v19
	v_cndmask_b32_e32 v4, 0, v7, vcc_lo
	v_lshlrev_b64 v[6:7], 1, v[5:6]
	v_cndmask_b32_e32 v5, 0, v27, vcc_lo
	v_mad_u64_u32 v[19:20], null, s17, v20, v[3:4]
	v_add_co_u32 v3, vcc_lo, s18, v6
	v_add_co_ci_u32_e64 v7, null, s19, v7, vcc_lo
	v_lshlrev_b64 v[5:6], 1, v[4:5]
	v_add_co_u32 v3, vcc_lo, v3, v9
	v_add_co_ci_u32_e64 v4, null, v7, v10, vcc_lo
	v_cndmask_b32_e64 v7, 0, v16, s0
	v_mad_u64_u32 v[15:16], null, s17, v29, v[8:9]
	v_add_co_u32 v5, vcc_lo, s18, v5
	v_add_co_ci_u32_e64 v6, null, s19, v6, vcc_lo
	v_cmp_gt_i32_e32 vcc_lo, s11, v29
	v_cndmask_b32_e64 v8, 0, v19, s0
	v_add_co_u32 v5, s0, v5, v9
	v_add_co_ci_u32_e64 v6, null, v6, v10, s0
	v_cndmask_b32_e32 v16, 0, v18, vcc_lo
	v_cndmask_b32_e32 v17, 0, v15, vcc_lo
	v_lshlrev_b64 v[7:8], 1, v[7:8]
	s_clause 0x1
	flat_load_ushort v18, v[3:4]
	flat_load_ushort v19, v[5:6]
	s_mov_b32 s0, exec_lo
	v_lshlrev_b64 v[15:16], 1, v[16:17]
	v_add_co_u32 v7, vcc_lo, s18, v7
	v_add_co_ci_u32_e64 v8, null, s19, v8, vcc_lo
	v_add_co_u32 v15, vcc_lo, s18, v15
	v_add_co_ci_u32_e64 v16, null, s19, v16, vcc_lo
	;; [unrolled: 2-line block ×4, first 2 shown]
	s_clause 0x1
	flat_load_ushort v15, v[7:8]
	flat_load_ushort v16, v[9:10]
	s_waitcnt vmcnt(3) lgkmcnt(3)
	v_lshlrev_b32_e32 v17, 16, v18
	s_waitcnt vmcnt(2) lgkmcnt(2)
	v_lshlrev_b32_e32 v18, 16, v19
	v_fmac_f32_e32 v23, v14, v17
	v_fmac_f32_e32 v23, v13, v18
	v_add_nc_u32_e32 v18, 64, v2
	s_waitcnt vmcnt(1) lgkmcnt(1)
	v_lshlrev_b32_e32 v17, 16, v15
	s_waitcnt vmcnt(0) lgkmcnt(0)
	v_lshlrev_b32_e32 v15, 16, v16
	v_fmac_f32_e32 v23, v12, v17
	v_cmpx_gt_i32_e64 s10, v18
	s_cbranch_execz .LBB595_47
; %bb.42:
	s_clause 0x3
	flat_load_ushort v16, v[3:4] offset:128
	flat_load_ushort v17, v[5:6] offset:128
	;; [unrolled: 1-line block ×4, first 2 shown]
	s_mov_b32 s2, exec_lo
	s_waitcnt vmcnt(3) lgkmcnt(3)
	v_lshlrev_b32_e32 v16, 16, v16
	s_waitcnt vmcnt(2) lgkmcnt(2)
	v_lshlrev_b32_e32 v17, 16, v17
	;; [unrolled: 2-line block ×3, first 2 shown]
	v_fmac_f32_e32 v24, v14, v16
	s_waitcnt vmcnt(0) lgkmcnt(0)
	v_lshlrev_b32_e32 v16, 16, v19
	v_fmac_f32_e32 v24, v13, v17
	v_add_nc_u32_e32 v17, 0x80, v2
	v_fmac_f32_e32 v24, v12, v18
	v_cmpx_gt_i32_e64 s10, v17
	s_cbranch_execz .LBB595_46
; %bb.43:
	s_clause 0x3
	flat_load_ushort v17, v[3:4] offset:256
	flat_load_ushort v18, v[5:6] offset:256
	;; [unrolled: 1-line block ×4, first 2 shown]
	s_mov_b32 s3, exec_lo
	s_waitcnt vmcnt(3) lgkmcnt(3)
	v_lshlrev_b32_e32 v17, 16, v17
	s_waitcnt vmcnt(2) lgkmcnt(2)
	v_lshlrev_b32_e32 v18, 16, v18
	v_fmac_f32_e32 v25, v14, v17
	s_waitcnt vmcnt(1) lgkmcnt(1)
	v_lshlrev_b32_e32 v17, 16, v19
	v_fmac_f32_e32 v25, v13, v18
	v_add_nc_u32_e32 v18, 0xc0, v2
	s_waitcnt vmcnt(0) lgkmcnt(0)
	v_lshlrev_b32_e32 v2, 16, v20
	v_fmac_f32_e32 v25, v12, v17
	v_cmpx_gt_i32_e64 s10, v18
	s_cbranch_execz .LBB595_45
; %bb.44:
	s_clause 0x3
	flat_load_ushort v3, v[3:4] offset:384
	flat_load_ushort v4, v[5:6] offset:384
	;; [unrolled: 1-line block ×4, first 2 shown]
	s_waitcnt vmcnt(3) lgkmcnt(3)
	v_lshlrev_b32_e32 v3, 16, v3
	s_waitcnt vmcnt(2) lgkmcnt(2)
	v_lshlrev_b32_e32 v4, 16, v4
	v_fmac_f32_e32 v26, v14, v3
	s_waitcnt vmcnt(1) lgkmcnt(1)
	v_lshlrev_b32_e32 v3, 16, v5
	v_fmac_f32_e32 v26, v13, v4
	;; [unrolled: 3-line block ×3, first 2 shown]
	v_fmac_f32_e32 v26, v11, v4
.LBB595_45:
	s_or_b32 exec_lo, exec_lo, s3
	v_fmac_f32_e32 v25, v11, v2
.LBB595_46:
	s_or_b32 exec_lo, exec_lo, s2
	v_fmac_f32_e32 v24, v11, v16
.LBB595_47:
	s_or_b32 exec_lo, exec_lo, s0
	v_fmac_f32_e32 v23, v11, v15
.LBB595_48:
	s_or_b32 exec_lo, exec_lo, s1
.LBB595_49:
	v_lshlrev_b32_e32 v0, 2, v0
	s_mov_b32 s0, exec_lo
                                        ; implicit-def: $vgpr5
                                        ; implicit-def: $vgpr2_vgpr3
	v_lshl_add_u32 v1, v1, 10, v0
	ds_write2st64_b32 v1, v23, v24 offset1:1
	ds_write2st64_b32 v1, v25, v26 offset0:2 offset1:3
	s_waitcnt lgkmcnt(0)
	s_barrier
	buffer_gl0_inv
	v_cmpx_gt_u32_e32 0x100, v21
	s_cbranch_execz .LBB595_70
; %bb.50:
	v_lshl_add_u32 v6, v22, 2, v0
	s_mov_b32 s2, s23
	s_mov_b32 s1, exec_lo
	ds_read2st64_b32 v[0:1], v6 offset1:4
	ds_read2st64_b32 v[2:3], v6 offset0:8 offset1:12
	ds_read2st64_b32 v[4:5], v6 offset0:16 offset1:20
	s_waitcnt lgkmcnt(2)
	v_add_f32_e32 v7, v0, v1
	ds_read2st64_b32 v[0:1], v6 offset0:24 offset1:28
	s_waitcnt lgkmcnt(2)
	v_add_f32_e32 v2, v2, v7
	v_add_f32_e32 v7, v3, v2
	ds_read2st64_b32 v[2:3], v6 offset0:32 offset1:36
	s_waitcnt lgkmcnt(2)
	v_add_f32_e32 v4, v4, v7
	;; [unrolled: 4-line block ×3, first 2 shown]
	v_add_f32_e32 v0, v1, v0
	s_waitcnt lgkmcnt(1)
	v_add_f32_e32 v2, v2, v0
	ds_read2st64_b32 v[0:1], v6 offset0:48 offset1:52
	v_add_f32_e32 v2, v3, v2
	s_waitcnt lgkmcnt(1)
	v_add_f32_e32 v4, v4, v2
	ds_read2st64_b32 v[2:3], v6 offset0:56 offset1:60
	v_add_f32_e32 v4, v5, v4
                                        ; implicit-def: $vgpr5
	s_waitcnt lgkmcnt(1)
	v_add_f32_e32 v0, v0, v4
	v_add_f32_e32 v0, v1, v0
	s_waitcnt lgkmcnt(0)
	v_add_f32_e32 v1, v2, v0
	v_or_b32_e32 v0, s26, v21
	v_add_f32_e32 v1, v3, v1
                                        ; implicit-def: $vgpr2_vgpr3
	ds_write_b32 v6, v1
	v_cmpx_gt_i32_e64 s10, v0
	s_cbranch_execz .LBB595_69
; %bb.51:
	v_cmp_eq_f32_e64 s2, s28, 0
	v_mul_f32_e32 v1, s29, v1
	s_and_b32 vcc_lo, exec_lo, s2
	s_cbranch_vccz .LBB595_57
; %bb.52:
	v_and_b32_e32 v2, 0x7f800000, v1
	s_mov_b32 s2, exec_lo
                                        ; implicit-def: $vgpr5
	v_cmpx_ne_u32_e32 0x7f800000, v2
	s_xor_b32 s2, exec_lo, s2
; %bb.53:
	v_bfe_u32 v2, v1, 16, 1
	v_add3_u32 v5, v1, v2, 0x7fff
; %bb.54:
	s_andn2_saveexec_b32 s2, s2
; %bb.55:
	v_mov_b32_e32 v2, 0
	v_or_b32_e32 v3, 0x10000, v1
	v_cmp_eq_u32_sdwa vcc_lo, v1, v2 src0_sel:WORD_0 src1_sel:DWORD
	v_cndmask_b32_e32 v5, v3, v1, vcc_lo
; %bb.56:
	s_or_b32 exec_lo, exec_lo, s2
	s_mov_b32 s2, 0
	s_branch .LBB595_58
.LBB595_57:
	s_mov_b32 s2, -1
                                        ; implicit-def: $vgpr5
.LBB595_58:
	v_ashrrev_i32_e32 v2, 31, v0
	v_mul_lo_u32 v4, s9, v0
	s_andn2_b32 vcc_lo, exec_lo, s2
	v_mul_lo_u32 v6, s8, v2
	s_cbranch_vccnz .LBB595_68
; %bb.59:
	v_mad_u64_u32 v[2:3], null, s8, v0, 0
	v_add3_u32 v3, v3, v6, v4
	v_lshlrev_b64 v[2:3], 1, v[2:3]
	v_add_co_u32 v2, vcc_lo, s5, v2
	v_add_co_ci_u32_e64 v3, null, s22, v3, vcc_lo
	flat_load_ushort v2, v[2:3]
	s_waitcnt vmcnt(0) lgkmcnt(0)
	v_lshlrev_b32_e32 v2, 16, v2
	v_mul_f32_e32 v2, s28, v2
	v_and_b32_e32 v3, 0x7f800000, v2
	v_cmp_ne_u32_e32 vcc_lo, 0x7f800000, v3
                                        ; implicit-def: $vgpr3
	s_and_saveexec_b32 s2, vcc_lo
	s_xor_b32 s2, exec_lo, s2
; %bb.60:
	v_bfe_u32 v3, v2, 16, 1
	v_add3_u32 v3, v2, v3, 0x7fff
                                        ; implicit-def: $vgpr2
; %bb.61:
	s_andn2_saveexec_b32 s2, s2
; %bb.62:
	v_mov_b32_e32 v3, 0
	v_or_b32_e32 v5, 0x10000, v2
	v_cmp_eq_u32_sdwa vcc_lo, v2, v3 src0_sel:WORD_0 src1_sel:DWORD
	v_cndmask_b32_e32 v3, v5, v2, vcc_lo
; %bb.63:
	s_or_b32 exec_lo, exec_lo, s2
	v_and_b32_e32 v2, 0xffff0000, v3
	s_mov_b32 s2, exec_lo
                                        ; implicit-def: $vgpr5
	v_add_f32_e32 v1, v1, v2
	v_and_b32_e32 v2, 0x7f800000, v1
	v_cmpx_ne_u32_e32 0x7f800000, v2
	s_xor_b32 s2, exec_lo, s2
; %bb.64:
	v_bfe_u32 v2, v1, 16, 1
	v_add3_u32 v5, v1, v2, 0x7fff
                                        ; implicit-def: $vgpr1
; %bb.65:
	s_andn2_saveexec_b32 s2, s2
; %bb.66:
	v_mov_b32_e32 v2, 0
	v_or_b32_e32 v3, 0x10000, v1
	v_cmp_eq_u32_sdwa vcc_lo, v1, v2 src0_sel:WORD_0 src1_sel:DWORD
	v_cndmask_b32_e32 v5, v3, v1, vcc_lo
; %bb.67:
	s_or_b32 exec_lo, exec_lo, s2
.LBB595_68:
	v_mad_u64_u32 v[2:3], null, s8, v0, 0
	v_lshrrev_b32_e32 v5, 16, v5
	s_or_b32 s2, s23, exec_lo
	v_add3_u32 v3, v3, v6, v4
.LBB595_69:
	s_or_b32 exec_lo, exec_lo, s1
	s_andn2_b32 s1, s23, exec_lo
	s_and_b32 s2, s2, exec_lo
	s_or_b32 s23, s1, s2
.LBB595_70:
	s_or_b32 exec_lo, exec_lo, s0
.LBB595_71:
	s_and_saveexec_b32 s0, s23
	s_cbranch_execz .LBB595_73
; %bb.72:
	v_lshlrev_b64 v[0:1], 1, v[2:3]
	v_add_co_u32 v0, vcc_lo, s5, v0
	v_add_co_ci_u32_e64 v1, null, s22, v1, vcc_lo
	flat_store_short v[0:1], v5
.LBB595_73:
	s_endpgm
	.section	.rodata,"a",@progbits
	.p2align	6, 0x0
	.amdhsa_kernel _ZL20rocblas_gemvn_kernelILi64ELi16ElPK16rocblas_bfloat16PKfKPS0_EviiT3_lPKT2_lT1_lSA_lSB_lS7_lPT4_lSB_li
		.amdhsa_group_segment_fixed_size 16384
		.amdhsa_private_segment_fixed_size 0
		.amdhsa_kernarg_size 400
		.amdhsa_user_sgpr_count 6
		.amdhsa_user_sgpr_private_segment_buffer 1
		.amdhsa_user_sgpr_dispatch_ptr 0
		.amdhsa_user_sgpr_queue_ptr 0
		.amdhsa_user_sgpr_kernarg_segment_ptr 1
		.amdhsa_user_sgpr_dispatch_id 0
		.amdhsa_user_sgpr_flat_scratch_init 0
		.amdhsa_user_sgpr_private_segment_size 0
		.amdhsa_wavefront_size32 1
		.amdhsa_uses_dynamic_stack 0
		.amdhsa_system_sgpr_private_segment_wavefront_offset 0
		.amdhsa_system_sgpr_workgroup_id_x 1
		.amdhsa_system_sgpr_workgroup_id_y 0
		.amdhsa_system_sgpr_workgroup_id_z 1
		.amdhsa_system_sgpr_workgroup_info 0
		.amdhsa_system_vgpr_workitem_id 1
		.amdhsa_next_free_vgpr 52
		.amdhsa_next_free_sgpr 35
		.amdhsa_reserve_vcc 1
		.amdhsa_reserve_flat_scratch 1
		.amdhsa_float_round_mode_32 0
		.amdhsa_float_round_mode_16_64 0
		.amdhsa_float_denorm_mode_32 3
		.amdhsa_float_denorm_mode_16_64 3
		.amdhsa_dx10_clamp 1
		.amdhsa_ieee_mode 1
		.amdhsa_fp16_overflow 0
		.amdhsa_workgroup_processor_mode 1
		.amdhsa_memory_ordered 1
		.amdhsa_forward_progress 1
		.amdhsa_shared_vgpr_count 0
		.amdhsa_exception_fp_ieee_invalid_op 0
		.amdhsa_exception_fp_denorm_src 0
		.amdhsa_exception_fp_ieee_div_zero 0
		.amdhsa_exception_fp_ieee_overflow 0
		.amdhsa_exception_fp_ieee_underflow 0
		.amdhsa_exception_fp_ieee_inexact 0
		.amdhsa_exception_int_div_zero 0
	.end_amdhsa_kernel
	.section	.text._ZL20rocblas_gemvn_kernelILi64ELi16ElPK16rocblas_bfloat16PKfKPS0_EviiT3_lPKT2_lT1_lSA_lSB_lS7_lPT4_lSB_li,"axG",@progbits,_ZL20rocblas_gemvn_kernelILi64ELi16ElPK16rocblas_bfloat16PKfKPS0_EviiT3_lPKT2_lT1_lSA_lSB_lS7_lPT4_lSB_li,comdat
.Lfunc_end595:
	.size	_ZL20rocblas_gemvn_kernelILi64ELi16ElPK16rocblas_bfloat16PKfKPS0_EviiT3_lPKT2_lT1_lSA_lSB_lS7_lPT4_lSB_li, .Lfunc_end595-_ZL20rocblas_gemvn_kernelILi64ELi16ElPK16rocblas_bfloat16PKfKPS0_EviiT3_lPKT2_lT1_lSA_lSB_lS7_lPT4_lSB_li
                                        ; -- End function
	.set _ZL20rocblas_gemvn_kernelILi64ELi16ElPK16rocblas_bfloat16PKfKPS0_EviiT3_lPKT2_lT1_lSA_lSB_lS7_lPT4_lSB_li.num_vgpr, 52
	.set _ZL20rocblas_gemvn_kernelILi64ELi16ElPK16rocblas_bfloat16PKfKPS0_EviiT3_lPKT2_lT1_lSA_lSB_lS7_lPT4_lSB_li.num_agpr, 0
	.set _ZL20rocblas_gemvn_kernelILi64ELi16ElPK16rocblas_bfloat16PKfKPS0_EviiT3_lPKT2_lT1_lSA_lSB_lS7_lPT4_lSB_li.numbered_sgpr, 35
	.set _ZL20rocblas_gemvn_kernelILi64ELi16ElPK16rocblas_bfloat16PKfKPS0_EviiT3_lPKT2_lT1_lSA_lSB_lS7_lPT4_lSB_li.num_named_barrier, 0
	.set _ZL20rocblas_gemvn_kernelILi64ELi16ElPK16rocblas_bfloat16PKfKPS0_EviiT3_lPKT2_lT1_lSA_lSB_lS7_lPT4_lSB_li.private_seg_size, 0
	.set _ZL20rocblas_gemvn_kernelILi64ELi16ElPK16rocblas_bfloat16PKfKPS0_EviiT3_lPKT2_lT1_lSA_lSB_lS7_lPT4_lSB_li.uses_vcc, 1
	.set _ZL20rocblas_gemvn_kernelILi64ELi16ElPK16rocblas_bfloat16PKfKPS0_EviiT3_lPKT2_lT1_lSA_lSB_lS7_lPT4_lSB_li.uses_flat_scratch, 1
	.set _ZL20rocblas_gemvn_kernelILi64ELi16ElPK16rocblas_bfloat16PKfKPS0_EviiT3_lPKT2_lT1_lSA_lSB_lS7_lPT4_lSB_li.has_dyn_sized_stack, 0
	.set _ZL20rocblas_gemvn_kernelILi64ELi16ElPK16rocblas_bfloat16PKfKPS0_EviiT3_lPKT2_lT1_lSA_lSB_lS7_lPT4_lSB_li.has_recursion, 0
	.set _ZL20rocblas_gemvn_kernelILi64ELi16ElPK16rocblas_bfloat16PKfKPS0_EviiT3_lPKT2_lT1_lSA_lSB_lS7_lPT4_lSB_li.has_indirect_call, 0
	.section	.AMDGPU.csdata,"",@progbits
; Kernel info:
; codeLenInByte = 3648
; TotalNumSgprs: 37
; NumVgprs: 52
; ScratchSize: 0
; MemoryBound: 0
; FloatMode: 240
; IeeeMode: 1
; LDSByteSize: 16384 bytes/workgroup (compile time only)
; SGPRBlocks: 0
; VGPRBlocks: 6
; NumSGPRsForWavesPerEU: 37
; NumVGPRsForWavesPerEU: 52
; Occupancy: 16
; WaveLimiterHint : 1
; COMPUTE_PGM_RSRC2:SCRATCH_EN: 0
; COMPUTE_PGM_RSRC2:USER_SGPR: 6
; COMPUTE_PGM_RSRC2:TRAP_HANDLER: 0
; COMPUTE_PGM_RSRC2:TGID_X_EN: 1
; COMPUTE_PGM_RSRC2:TGID_Y_EN: 0
; COMPUTE_PGM_RSRC2:TGID_Z_EN: 1
; COMPUTE_PGM_RSRC2:TIDIG_COMP_CNT: 1
	.section	.text._ZL20rocblas_gemvn_kernelILi64ELi16EiPK16rocblas_bfloat16fKPS0_EviiT3_lPKT2_lT1_lS8_lS9_lS5_lPT4_lS9_li,"axG",@progbits,_ZL20rocblas_gemvn_kernelILi64ELi16EiPK16rocblas_bfloat16fKPS0_EviiT3_lPKT2_lT1_lS8_lS9_lS5_lPT4_lS9_li,comdat
	.globl	_ZL20rocblas_gemvn_kernelILi64ELi16EiPK16rocblas_bfloat16fKPS0_EviiT3_lPKT2_lT1_lS8_lS9_lS5_lPT4_lS9_li ; -- Begin function _ZL20rocblas_gemvn_kernelILi64ELi16EiPK16rocblas_bfloat16fKPS0_EviiT3_lPKT2_lT1_lS8_lS9_lS5_lPT4_lS9_li
	.p2align	8
	.type	_ZL20rocblas_gemvn_kernelILi64ELi16EiPK16rocblas_bfloat16fKPS0_EviiT3_lPKT2_lT1_lS8_lS9_lS5_lPT4_lS9_li,@function
_ZL20rocblas_gemvn_kernelILi64ELi16EiPK16rocblas_bfloat16fKPS0_EviiT3_lPKT2_lT1_lS8_lS9_lS5_lPT4_lS9_li: ; @_ZL20rocblas_gemvn_kernelILi64ELi16EiPK16rocblas_bfloat16fKPS0_EviiT3_lPKT2_lT1_lS8_lS9_lS5_lPT4_lS9_li
; %bb.0:
	s_load_dwordx2 s[0:1], s[4:5], 0x9c
	s_waitcnt lgkmcnt(0)
	s_lshr_b32 s3, s0, 16
	s_and_b32 s0, s0, 0xffff
	s_and_b32 s1, s1, 0xffff
	s_mul_i32 s0, s3, s0
	s_mul_i32 s0, s0, s1
	s_cmpk_lg_i32 s0, 0x400
	s_cbranch_scc1 .LBB596_75
; %bb.1:
	s_clause 0x1
	s_load_dwordx4 s[8:11], s[4:5], 0x0
	s_load_dword s16, s[4:5], 0x58
	s_mov_b32 s3, 0
	s_waitcnt lgkmcnt(0)
	v_cmp_eq_f32_e64 s17, s10, 0
	v_cmp_eq_f32_e64 s0, s16, 1.0
	s_and_b32 s0, s17, s0
	s_and_b32 vcc_lo, exec_lo, s0
	s_cbranch_vccnz .LBB596_75
; %bb.2:
	s_mov_b32 s2, s7
	v_cmp_neq_f32_e64 s7, s10, 0
	s_and_b32 vcc_lo, exec_lo, s7
	s_cbranch_vccnz .LBB596_4
; %bb.3:
	s_mov_b32 s1, 0
	s_mov_b32 s0, s2
	;; [unrolled: 1-line block ×3, first 2 shown]
	s_mov_b64 s[14:15], 0
	s_andn2_b32 vcc_lo, exec_lo, s11
	s_mov_b64 s[12:13], 0
	s_cbranch_vccz .LBB596_5
	s_branch .LBB596_6
.LBB596_4:
	s_mov_b64 s[0:1], s[2:3]
	s_mov_b64 s[14:15], 0
	;; [unrolled: 1-line block ×3, first 2 shown]
.LBB596_5:
	s_load_dwordx4 s[20:23], s[4:5], 0x18
	s_lshl_b64 s[2:3], s[2:3], 3
	s_waitcnt lgkmcnt(0)
	s_add_u32 s2, s20, s2
	s_addc_u32 s3, s21, s3
	s_lshl_b64 s[12:13], s[22:23], 1
	s_load_dwordx2 s[2:3], s[2:3], 0x0
	s_waitcnt lgkmcnt(0)
	s_add_u32 s12, s2, s12
	s_addc_u32 s13, s3, s13
.LBB596_6:
	s_andn2_b32 vcc_lo, exec_lo, s7
	s_cbranch_vccnz .LBB596_8
; %bb.7:
	s_load_dwordx4 s[20:23], s[4:5], 0x38
	s_lshl_b64 s[2:3], s[0:1], 3
	s_waitcnt lgkmcnt(0)
	s_add_u32 s2, s20, s2
	s_addc_u32 s3, s21, s3
	s_lshl_b64 s[14:15], s[22:23], 1
	s_load_dwordx2 s[2:3], s[2:3], 0x0
	s_waitcnt lgkmcnt(0)
	s_add_u32 s14, s2, s14
	s_addc_u32 s15, s3, s15
.LBB596_8:
	s_clause 0x1
	s_load_dwordx4 s[20:23], s[4:5], 0x68
	s_load_dword s18, s[4:5], 0x78
	s_lshl_b64 s[0:1], s[0:1], 3
	v_lshlrev_b32_e32 v14, 6, v1
	v_add_nc_u32_e32 v13, v14, v0
	s_waitcnt lgkmcnt(0)
	s_add_u32 s0, s20, s0
	s_addc_u32 s1, s21, s1
	s_lshl_b64 s[20:21], s[22:23], 1
	s_load_dwordx2 s[2:3], s[0:1], 0x0
	v_cmp_gt_u32_e64 s0, 0x100, v13
	s_waitcnt lgkmcnt(0)
	s_add_u32 s7, s2, s20
	s_addc_u32 s11, s3, s21
	s_andn2_b32 vcc_lo, exec_lo, s17
	s_cbranch_vccnz .LBB596_19
; %bb.9:
	s_mov_b32 s1, 0
	s_mov_b32 s17, 0
                                        ; implicit-def: $vgpr5
                                        ; implicit-def: $vgpr2_vgpr3
	s_and_saveexec_b32 s2, s0
	s_cbranch_execz .LBB596_20
; %bb.10:
	v_lshl_or_b32 v4, s6, 8, v13
	v_mov_b32_e32 v5, 0
	s_ashr_i32 s21, s8, 31
	s_mov_b32 s20, s8
	s_mov_b32 s3, 0
	s_mov_b32 s0, exec_lo
                                        ; implicit-def: $vgpr2_vgpr3
	v_cmpx_gt_i64_e64 s[20:21], v[4:5]
	s_cbranch_execz .LBB596_18
; %bb.11:
	v_mad_u64_u32 v[2:3], null, s18, v4, 0
	s_ashr_i32 s3, s18, 31
	v_mad_u64_u32 v[3:4], null, s3, v4, v[3:4]
	v_cmp_eq_f32_e64 s3, s16, 0
	s_and_b32 vcc_lo, exec_lo, s3
	s_cbranch_vccnz .LBB596_17
; %bb.12:
	v_lshlrev_b64 v[4:5], 1, v[2:3]
	v_add_co_u32 v4, vcc_lo, s7, v4
	v_add_co_ci_u32_e64 v5, null, s11, v5, vcc_lo
	flat_load_ushort v4, v[4:5]
	s_waitcnt vmcnt(0) lgkmcnt(0)
	v_lshlrev_b32_e32 v4, 16, v4
	v_mul_f32_e32 v4, s16, v4
	v_and_b32_e32 v5, 0x7f800000, v4
	v_cmp_ne_u32_e32 vcc_lo, 0x7f800000, v5
                                        ; implicit-def: $vgpr5
	s_and_saveexec_b32 s3, vcc_lo
	s_xor_b32 s3, exec_lo, s3
; %bb.13:
	v_bfe_u32 v5, v4, 16, 1
	v_add3_u32 v5, v4, v5, 0x7fff
                                        ; implicit-def: $vgpr4
; %bb.14:
	s_andn2_saveexec_b32 s3, s3
; %bb.15:
	v_mov_b32_e32 v5, 0
	v_or_b32_e32 v6, 0x10000, v4
	v_cmp_eq_u32_sdwa vcc_lo, v4, v5 src0_sel:WORD_0 src1_sel:DWORD
	v_cndmask_b32_e32 v5, v6, v4, vcc_lo
; %bb.16:
	s_or_b32 exec_lo, exec_lo, s3
	v_lshrrev_b32_e32 v5, 16, v5
.LBB596_17:
	s_mov_b32 s3, exec_lo
.LBB596_18:
	s_or_b32 exec_lo, exec_lo, s0
	s_and_b32 s17, s3, exec_lo
	s_or_b32 exec_lo, exec_lo, s2
	s_and_b32 vcc_lo, exec_lo, s1
	s_cbranch_vccnz .LBB596_21
	s_branch .LBB596_73
.LBB596_19:
	s_mov_b32 s17, 0
                                        ; implicit-def: $vgpr5
                                        ; implicit-def: $vgpr2_vgpr3
	s_cbranch_execnz .LBB596_21
	s_branch .LBB596_73
.LBB596_20:
	s_or_b32 exec_lo, exec_lo, s2
	s_and_b32 vcc_lo, exec_lo, s1
	s_cbranch_vccz .LBB596_73
.LBB596_21:
	s_clause 0x1
	s_load_dword s19, s[4:5], 0x28
	s_load_dword s4, s[4:5], 0x48
	s_ashr_i32 s0, s9, 31
	s_lshl_b32 s5, s6, 8
	s_lshr_b32 s0, s0, 26
	v_lshlrev_b32_e32 v20, 2, v1
	v_add_nc_u32_e32 v19, s5, v0
	v_mov_b32_e32 v15, 0
	v_mov_b32_e32 v16, 0
	;; [unrolled: 1-line block ×4, first 2 shown]
	s_add_i32 s0, s9, s0
	s_mov_b32 s20, exec_lo
	s_and_b32 s6, s0, 0xffffffc0
	v_cmpx_gt_i32_e64 s6, v20
	s_cbranch_execz .LBB596_33
; %bb.22:
	v_add_nc_u32_e32 v5, 0xc0, v19
	s_waitcnt lgkmcnt(0)
	v_mul_lo_u32 v3, s19, v20
	v_add_nc_u32_e32 v2, 64, v19
	v_add_nc_u32_e32 v6, 2, v20
	;; [unrolled: 1-line block ×3, first 2 shown]
	v_cmp_gt_i32_e64 s2, s8, v5
	v_mul_lo_u32 v5, v1, s19
	v_add_nc_u32_e32 v7, 3, v20
	v_mul_lo_u32 v8, v1, s4
	v_cmp_gt_i32_e64 s0, s8, v2
	v_add3_u32 v21, v3, s19, v0
	v_mad_u64_u32 v[2:3], null, s19, v6, v[0:1]
	v_cmp_gt_i32_e64 s1, s8, v4
	v_mad_u64_u32 v[3:4], null, s19, v7, v[0:1]
	v_lshl_add_u32 v22, v5, 2, v0
	v_mad_u64_u32 v[4:5], null, s4, v20, s[4:5]
	v_mul_lo_u32 v23, s4, v6
	v_mul_lo_u32 v24, s4, v7
	v_lshlrev_b32_e32 v25, 2, v8
	v_mov_b32_e32 v15, 0
	v_mov_b32_e32 v16, 0
	;; [unrolled: 1-line block ×4, first 2 shown]
	s_lshl_b32 s21, s19, 6
	s_lshl_b32 s23, s4, 6
	s_mov_b32 s22, 0
	s_mov_b32 s24, 0
	v_cmp_gt_i32_e32 vcc_lo, s8, v19
	s_branch .LBB596_27
.LBB596_23:                             ;   in Loop: Header=BB596_27 Depth=1
	s_or_b32 exec_lo, exec_lo, s27
	s_waitcnt vmcnt(3) lgkmcnt(3)
	v_lshlrev_b32_e32 v5, 16, v41
	s_waitcnt vmcnt(2) lgkmcnt(2)
	v_lshlrev_b32_e32 v6, 16, v40
	v_fmac_f32_e32 v17, v33, v5
	s_waitcnt vmcnt(1) lgkmcnt(1)
	v_lshlrev_b32_e32 v5, 16, v39
	v_fmac_f32_e32 v17, v29, v6
	v_fmac_f32_e32 v17, v31, v5
	s_waitcnt vmcnt(0) lgkmcnt(0)
	v_lshlrev_b32_e32 v5, 16, v38
	v_fmac_f32_e32 v17, v27, v5
.LBB596_24:                             ;   in Loop: Header=BB596_27 Depth=1
	s_or_b32 exec_lo, exec_lo, s26
	s_waitcnt vmcnt(3) lgkmcnt(3)
	v_lshlrev_b32_e32 v5, 16, v37
	s_waitcnt vmcnt(2) lgkmcnt(2)
	v_lshlrev_b32_e32 v6, 16, v36
	v_fmac_f32_e32 v16, v33, v5
	s_waitcnt vmcnt(1) lgkmcnt(1)
	v_lshlrev_b32_e32 v5, 16, v35
	v_fmac_f32_e32 v16, v29, v6
	v_fmac_f32_e32 v16, v31, v5
	s_waitcnt vmcnt(0) lgkmcnt(0)
	v_lshlrev_b32_e32 v5, 16, v34
	v_fmac_f32_e32 v16, v27, v5
.LBB596_25:                             ;   in Loop: Header=BB596_27 Depth=1
	s_or_b32 exec_lo, exec_lo, s3
	s_waitcnt vmcnt(3) lgkmcnt(3)
	v_lshlrev_b32_e32 v5, 16, v32
	s_waitcnt vmcnt(2) lgkmcnt(2)
	v_lshlrev_b32_e32 v6, 16, v30
	v_fmac_f32_e32 v15, v33, v5
	s_waitcnt vmcnt(1) lgkmcnt(1)
	v_lshlrev_b32_e32 v5, 16, v28
	v_fmac_f32_e32 v15, v29, v6
	v_fmac_f32_e32 v15, v31, v5
	s_waitcnt vmcnt(0) lgkmcnt(0)
	v_lshlrev_b32_e32 v5, 16, v26
	v_fmac_f32_e32 v15, v27, v5
.LBB596_26:                             ;   in Loop: Header=BB596_27 Depth=1
	s_or_b32 exec_lo, exec_lo, s25
	v_add_nc_u32_e32 v20, 64, v20
	v_add_nc_u32_e32 v21, s21, v21
	;; [unrolled: 1-line block ×5, first 2 shown]
	v_cmp_le_i32_e64 s3, s6, v20
	s_add_i32 s24, s24, s23
	s_or_b32 s22, s3, s22
	s_andn2_b32 exec_lo, exec_lo, s22
	s_cbranch_execz .LBB596_32
.LBB596_27:                             ; =>This Inner Loop Header: Depth=1
	s_and_saveexec_b32 s25, vcc_lo
	s_cbranch_execz .LBB596_26
; %bb.28:                               ;   in Loop: Header=BB596_27 Depth=1
	v_add_nc_u32_e32 v5, s24, v25
	v_add_nc_u32_e32 v7, s24, v4
	;; [unrolled: 1-line block ×5, first 2 shown]
	v_ashrrev_i32_e32 v6, 31, v5
	v_ashrrev_i32_e32 v8, 31, v7
	;; [unrolled: 1-line block ×5, first 2 shown]
	v_lshlrev_b64 v[5:6], 1, v[5:6]
	v_lshlrev_b64 v[7:8], 1, v[7:8]
	;; [unrolled: 1-line block ×4, first 2 shown]
	v_add_nc_u32_e32 v28, s5, v21
	v_add_nc_u32_e32 v30, s5, v2
	v_add_co_u32 v5, s3, s14, v5
	v_add_co_ci_u32_e64 v6, null, s15, v6, s3
	v_add_co_u32 v7, s3, s14, v7
	v_add_co_ci_u32_e64 v8, null, s15, v8, s3
	;; [unrolled: 2-line block ×4, first 2 shown]
	v_lshlrev_b64 v[26:27], 1, v[26:27]
	s_clause 0x3
	flat_load_ushort v33, v[5:6]
	flat_load_ushort v34, v[7:8]
	;; [unrolled: 1-line block ×4, first 2 shown]
	v_add_nc_u32_e32 v9, s5, v3
	v_ashrrev_i32_e32 v29, 31, v28
	v_ashrrev_i32_e32 v31, 31, v30
	v_add_co_u32 v5, s3, s12, v26
	v_ashrrev_i32_e32 v10, 31, v9
	v_lshlrev_b64 v[7:8], 1, v[28:29]
	v_add_co_ci_u32_e64 v6, null, s13, v27, s3
	v_lshlrev_b64 v[26:27], 1, v[30:31]
	v_lshlrev_b64 v[9:10], 1, v[9:10]
	v_add_co_u32 v11, s3, s12, v7
	v_add_co_ci_u32_e64 v12, null, s13, v8, s3
	v_add_co_u32 v7, s3, s12, v26
	v_add_co_ci_u32_e64 v8, null, s13, v27, s3
	;; [unrolled: 2-line block ×3, first 2 shown]
	s_clause 0x3
	flat_load_ushort v32, v[5:6]
	flat_load_ushort v30, v[11:12]
	;; [unrolled: 1-line block ×4, first 2 shown]
	s_waitcnt vmcnt(7) lgkmcnt(7)
	v_lshlrev_b32_e32 v33, 16, v33
	s_waitcnt vmcnt(6) lgkmcnt(6)
	v_lshlrev_b32_e32 v29, 16, v34
	;; [unrolled: 2-line block ×4, first 2 shown]
	s_and_saveexec_b32 s3, s0
	s_cbranch_execz .LBB596_25
; %bb.29:                               ;   in Loop: Header=BB596_27 Depth=1
	s_clause 0x3
	flat_load_ushort v37, v[5:6] offset:128
	flat_load_ushort v36, v[11:12] offset:128
	flat_load_ushort v35, v[7:8] offset:128
	flat_load_ushort v34, v[9:10] offset:128
	s_and_saveexec_b32 s26, s1
	s_cbranch_execz .LBB596_24
; %bb.30:                               ;   in Loop: Header=BB596_27 Depth=1
	s_clause 0x3
	flat_load_ushort v41, v[5:6] offset:256
	flat_load_ushort v40, v[11:12] offset:256
	flat_load_ushort v39, v[7:8] offset:256
	flat_load_ushort v38, v[9:10] offset:256
	;; [unrolled: 8-line block ×3, first 2 shown]
	s_waitcnt vmcnt(3) lgkmcnt(3)
	v_lshlrev_b32_e32 v5, 16, v5
	s_waitcnt vmcnt(2) lgkmcnt(2)
	v_lshlrev_b32_e32 v6, 16, v6
	v_fmac_f32_e32 v18, v33, v5
	s_waitcnt vmcnt(1) lgkmcnt(1)
	v_lshlrev_b32_e32 v5, 16, v7
	v_fmac_f32_e32 v18, v29, v6
	;; [unrolled: 3-line block ×3, first 2 shown]
	v_fmac_f32_e32 v18, v27, v6
	s_branch .LBB596_23
.LBB596_32:
	s_or_b32 exec_lo, exec_lo, s22
.LBB596_33:
	s_or_b32 exec_lo, exec_lo, s20
	s_sub_i32 s0, s9, s6
	s_cmp_lt_i32 s0, 1
	s_cbranch_scc1 .LBB596_51
; %bb.34:
	v_cmp_gt_i32_e32 vcc_lo, s9, v20
	v_mov_b32_e32 v11, 0
	v_or_b32_e32 v2, 1, v20
	v_mov_b32_e32 v10, 0
	v_mov_b32_e32 v21, 0
	;; [unrolled: 1-line block ×3, first 2 shown]
	s_and_saveexec_b32 s1, vcc_lo
	s_cbranch_execz .LBB596_42
; %bb.35:
	s_waitcnt lgkmcnt(0)
	v_mul_lo_u32 v3, v20, s4
	v_mov_b32_e32 v12, 0
	v_mov_b32_e32 v10, 0
	;; [unrolled: 1-line block ×3, first 2 shown]
	s_mov_b32 s2, exec_lo
	v_ashrrev_i32_e32 v4, 31, v3
	v_lshlrev_b64 v[3:4], 1, v[3:4]
	v_add_co_u32 v3, s0, s14, v3
	v_add_co_ci_u32_e64 v4, null, s15, v4, s0
	flat_load_ushort v3, v[3:4]
	v_cmpx_gt_i32_e64 s9, v2
	s_cbranch_execz .LBB596_41
; %bb.36:
	v_mul_lo_u32 v4, v2, s4
	v_mov_b32_e32 v10, 0
	v_mov_b32_e32 v11, 0
	s_mov_b32 s3, exec_lo
	v_ashrrev_i32_e32 v5, 31, v4
	v_lshlrev_b64 v[4:5], 1, v[4:5]
	v_add_co_u32 v4, s0, s14, v4
	v_add_co_ci_u32_e64 v5, null, s15, v5, s0
	flat_load_ushort v4, v[4:5]
	v_or_b32_e32 v5, 2, v20
	v_cmpx_gt_i32_e64 s9, v5
	s_cbranch_execz .LBB596_40
; %bb.37:
	v_mul_lo_u32 v5, v5, s4
	v_mov_b32_e32 v10, 0
	s_mov_b32 s6, exec_lo
	v_ashrrev_i32_e32 v6, 31, v5
	v_lshlrev_b64 v[5:6], 1, v[5:6]
	v_add_co_u32 v5, s0, s14, v5
	v_add_co_ci_u32_e64 v6, null, s15, v6, s0
	flat_load_ushort v5, v[5:6]
	v_or_b32_e32 v6, 3, v20
	v_cmpx_gt_i32_e64 s9, v6
	s_cbranch_execz .LBB596_39
; %bb.38:
	v_mul_lo_u32 v6, v6, s4
	v_ashrrev_i32_e32 v7, 31, v6
	v_lshlrev_b64 v[6:7], 1, v[6:7]
	v_add_co_u32 v6, s0, s14, v6
	v_add_co_ci_u32_e64 v7, null, s15, v7, s0
	flat_load_ushort v6, v[6:7]
	s_waitcnt vmcnt(0) lgkmcnt(0)
	v_lshlrev_b32_e32 v10, 16, v6
.LBB596_39:
	s_or_b32 exec_lo, exec_lo, s6
	s_waitcnt vmcnt(0) lgkmcnt(0)
	v_lshlrev_b32_e32 v11, 16, v5
.LBB596_40:
	s_or_b32 exec_lo, exec_lo, s3
	s_waitcnt vmcnt(0) lgkmcnt(0)
	v_lshlrev_b32_e32 v12, 16, v4
.LBB596_41:
	s_or_b32 exec_lo, exec_lo, s2
	s_waitcnt vmcnt(0) lgkmcnt(0)
	v_lshlrev_b32_e32 v21, 16, v3
.LBB596_42:
	s_or_b32 exec_lo, exec_lo, s1
	s_mov_b32 s1, exec_lo
	v_cmpx_gt_i32_e64 s8, v19
	s_cbranch_execz .LBB596_50
; %bb.43:
	s_waitcnt lgkmcnt(0)
	v_mul_lo_u32 v3, v20, s19
	v_mul_lo_u32 v4, v2, s19
	v_or_b32_e32 v5, 2, v20
	v_or_b32_e32 v6, 3, v20
	s_mov_b32 s0, exec_lo
	v_mul_lo_u32 v7, v5, s19
	v_cndmask_b32_e32 v3, 0, v3, vcc_lo
	v_cmp_gt_i32_e32 vcc_lo, s9, v2
	v_mul_lo_u32 v8, v6, s19
	v_add_nc_u32_e32 v2, v3, v19
	v_cndmask_b32_e32 v4, 0, v4, vcc_lo
	v_cmp_gt_i32_e32 vcc_lo, s9, v5
	v_ashrrev_i32_e32 v3, 31, v2
	v_add_nc_u32_e32 v4, v4, v19
	v_cndmask_b32_e32 v7, 0, v7, vcc_lo
	v_cmp_gt_i32_e32 vcc_lo, s9, v6
	v_lshlrev_b64 v[2:3], 1, v[2:3]
	v_ashrrev_i32_e32 v5, 31, v4
	v_add_nc_u32_e32 v6, v7, v19
	v_cndmask_b32_e32 v8, 0, v8, vcc_lo
	v_lshlrev_b64 v[4:5], 1, v[4:5]
	v_ashrrev_i32_e32 v7, 31, v6
	v_add_nc_u32_e32 v8, v8, v19
	v_add_co_u32 v2, vcc_lo, s12, v2
	v_add_co_ci_u32_e64 v3, null, s13, v3, vcc_lo
	v_ashrrev_i32_e32 v9, 31, v8
	v_add_co_u32 v4, vcc_lo, s12, v4
	v_add_co_ci_u32_e64 v5, null, s13, v5, vcc_lo
	v_lshlrev_b64 v[6:7], 1, v[6:7]
	v_lshlrev_b64 v[8:9], 1, v[8:9]
	s_clause 0x1
	flat_load_ushort v20, v[2:3]
	flat_load_ushort v22, v[4:5]
	v_add_co_u32 v6, vcc_lo, s12, v6
	v_add_co_ci_u32_e64 v7, null, s13, v7, vcc_lo
	v_add_co_u32 v8, vcc_lo, s12, v8
	v_add_co_ci_u32_e64 v9, null, s13, v9, vcc_lo
	s_clause 0x1
	flat_load_ushort v23, v[6:7]
	flat_load_ushort v24, v[8:9]
	s_waitcnt vmcnt(3) lgkmcnt(3)
	v_lshlrev_b32_e32 v20, 16, v20
	s_waitcnt vmcnt(2) lgkmcnt(2)
	v_lshlrev_b32_e32 v22, 16, v22
	v_fmac_f32_e32 v15, v21, v20
	v_fmac_f32_e32 v15, v12, v22
	v_add_nc_u32_e32 v22, 64, v19
	s_waitcnt vmcnt(1) lgkmcnt(1)
	v_lshlrev_b32_e32 v23, 16, v23
	s_waitcnt vmcnt(0) lgkmcnt(0)
	v_lshlrev_b32_e32 v20, 16, v24
	v_fmac_f32_e32 v15, v11, v23
	v_cmpx_gt_i32_e64 s8, v22
	s_cbranch_execz .LBB596_49
; %bb.44:
	s_clause 0x3
	flat_load_ushort v22, v[2:3] offset:128
	flat_load_ushort v23, v[4:5] offset:128
	flat_load_ushort v24, v[6:7] offset:128
	flat_load_ushort v25, v[8:9] offset:128
	s_mov_b32 s2, exec_lo
	s_waitcnt vmcnt(3) lgkmcnt(3)
	v_lshlrev_b32_e32 v22, 16, v22
	s_waitcnt vmcnt(2) lgkmcnt(2)
	v_lshlrev_b32_e32 v23, 16, v23
	;; [unrolled: 2-line block ×3, first 2 shown]
	v_fmac_f32_e32 v16, v21, v22
	s_waitcnt vmcnt(0) lgkmcnt(0)
	v_lshlrev_b32_e32 v22, 16, v25
	v_fmac_f32_e32 v16, v12, v23
	v_add_nc_u32_e32 v23, 0x80, v19
	v_fmac_f32_e32 v16, v11, v24
	v_cmpx_gt_i32_e64 s8, v23
	s_cbranch_execz .LBB596_48
; %bb.45:
	s_clause 0x3
	flat_load_ushort v23, v[2:3] offset:256
	flat_load_ushort v24, v[4:5] offset:256
	;; [unrolled: 1-line block ×4, first 2 shown]
	s_mov_b32 s3, exec_lo
	s_waitcnt vmcnt(3) lgkmcnt(3)
	v_lshlrev_b32_e32 v23, 16, v23
	s_waitcnt vmcnt(2) lgkmcnt(2)
	v_lshlrev_b32_e32 v24, 16, v24
	v_fmac_f32_e32 v17, v21, v23
	s_waitcnt vmcnt(1) lgkmcnt(1)
	v_lshlrev_b32_e32 v23, 16, v25
	v_fmac_f32_e32 v17, v12, v24
	v_add_nc_u32_e32 v24, 0xc0, v19
	s_waitcnt vmcnt(0) lgkmcnt(0)
	v_lshlrev_b32_e32 v19, 16, v26
	v_fmac_f32_e32 v17, v11, v23
	v_cmpx_gt_i32_e64 s8, v24
	s_cbranch_execz .LBB596_47
; %bb.46:
	s_clause 0x3
	flat_load_ushort v2, v[2:3] offset:384
	flat_load_ushort v3, v[4:5] offset:384
	;; [unrolled: 1-line block ×4, first 2 shown]
	s_waitcnt vmcnt(3) lgkmcnt(3)
	v_lshlrev_b32_e32 v2, 16, v2
	s_waitcnt vmcnt(2) lgkmcnt(2)
	v_lshlrev_b32_e32 v3, 16, v3
	v_fmac_f32_e32 v18, v21, v2
	s_waitcnt vmcnt(1) lgkmcnt(1)
	v_lshlrev_b32_e32 v2, 16, v4
	v_fmac_f32_e32 v18, v12, v3
	;; [unrolled: 3-line block ×3, first 2 shown]
	v_fmac_f32_e32 v18, v10, v3
.LBB596_47:
	s_or_b32 exec_lo, exec_lo, s3
	v_fmac_f32_e32 v17, v10, v19
.LBB596_48:
	s_or_b32 exec_lo, exec_lo, s2
	v_fmac_f32_e32 v16, v10, v22
.LBB596_49:
	s_or_b32 exec_lo, exec_lo, s0
	v_fmac_f32_e32 v15, v10, v20
.LBB596_50:
	s_or_b32 exec_lo, exec_lo, s1
.LBB596_51:
	v_lshlrev_b32_e32 v0, 2, v0
	s_mov_b32 s0, exec_lo
                                        ; implicit-def: $vgpr5
                                        ; implicit-def: $vgpr2_vgpr3
	v_lshl_add_u32 v1, v1, 10, v0
	ds_write2st64_b32 v1, v15, v16 offset1:1
	ds_write2st64_b32 v1, v17, v18 offset0:2 offset1:3
	s_waitcnt lgkmcnt(0)
	s_barrier
	buffer_gl0_inv
	v_cmpx_gt_u32_e32 0x100, v13
	s_cbranch_execz .LBB596_72
; %bb.52:
	v_lshl_add_u32 v6, v14, 2, v0
	s_mov_b32 s2, s17
	s_mov_b32 s1, exec_lo
	ds_read2st64_b32 v[0:1], v6 offset1:4
	ds_read2st64_b32 v[2:3], v6 offset0:8 offset1:12
	ds_read2st64_b32 v[4:5], v6 offset0:16 offset1:20
	s_waitcnt lgkmcnt(2)
	v_add_f32_e32 v7, v0, v1
	ds_read2st64_b32 v[0:1], v6 offset0:24 offset1:28
	s_waitcnt lgkmcnt(2)
	v_add_f32_e32 v2, v2, v7
	v_add_f32_e32 v7, v3, v2
	ds_read2st64_b32 v[2:3], v6 offset0:32 offset1:36
	s_waitcnt lgkmcnt(2)
	v_add_f32_e32 v4, v4, v7
	;; [unrolled: 4-line block ×3, first 2 shown]
	v_add_f32_e32 v0, v1, v0
	s_waitcnt lgkmcnt(1)
	v_add_f32_e32 v2, v2, v0
	ds_read2st64_b32 v[0:1], v6 offset0:48 offset1:52
	v_add_f32_e32 v2, v3, v2
	s_waitcnt lgkmcnt(1)
	v_add_f32_e32 v4, v4, v2
	ds_read2st64_b32 v[2:3], v6 offset0:56 offset1:60
	v_add_f32_e32 v4, v5, v4
                                        ; implicit-def: $vgpr5
	s_waitcnt lgkmcnt(1)
	v_add_f32_e32 v0, v0, v4
	v_or_b32_e32 v4, s5, v13
	v_add_f32_e32 v0, v1, v0
	s_waitcnt lgkmcnt(0)
	v_add_f32_e32 v0, v2, v0
	v_add_f32_e32 v0, v3, v0
                                        ; implicit-def: $vgpr2_vgpr3
	ds_write_b32 v6, v0
	v_cmpx_gt_i32_e64 s8, v4
	s_cbranch_execz .LBB596_71
; %bb.53:
	v_cmp_eq_f32_e64 s2, s16, 0
	v_mul_f32_e32 v0, s10, v0
	s_and_b32 vcc_lo, exec_lo, s2
	s_cbranch_vccz .LBB596_59
; %bb.54:
	v_and_b32_e32 v1, 0x7f800000, v0
	v_cmp_ne_u32_e32 vcc_lo, 0x7f800000, v1
                                        ; implicit-def: $vgpr1
	s_and_saveexec_b32 s2, vcc_lo
	s_xor_b32 s2, exec_lo, s2
; %bb.55:
	v_bfe_u32 v1, v0, 16, 1
	v_add3_u32 v1, v0, v1, 0x7fff
; %bb.56:
	s_andn2_saveexec_b32 s2, s2
; %bb.57:
	v_mov_b32_e32 v1, 0
	v_or_b32_e32 v2, 0x10000, v0
	v_cmp_eq_u32_sdwa vcc_lo, v0, v1 src0_sel:WORD_0 src1_sel:DWORD
	v_cndmask_b32_e32 v1, v2, v0, vcc_lo
; %bb.58:
	s_or_b32 exec_lo, exec_lo, s2
	s_mov_b32 s2, 0
	s_branch .LBB596_60
.LBB596_59:
	s_mov_b32 s2, -1
                                        ; implicit-def: $vgpr1
.LBB596_60:
	v_mul_lo_u32 v2, s18, v4
	s_andn2_b32 vcc_lo, exec_lo, s2
	v_ashrrev_i32_e32 v3, 31, v2
	s_cbranch_vccnz .LBB596_70
; %bb.61:
	v_lshlrev_b64 v[4:5], 1, v[2:3]
	v_add_co_u32 v4, vcc_lo, s7, v4
	v_add_co_ci_u32_e64 v5, null, s11, v5, vcc_lo
	flat_load_ushort v1, v[4:5]
	s_waitcnt vmcnt(0) lgkmcnt(0)
	v_lshlrev_b32_e32 v1, 16, v1
	v_mul_f32_e32 v1, s16, v1
	v_and_b32_e32 v4, 0x7f800000, v1
	v_cmp_ne_u32_e32 vcc_lo, 0x7f800000, v4
                                        ; implicit-def: $vgpr4
	s_and_saveexec_b32 s2, vcc_lo
	s_xor_b32 s2, exec_lo, s2
; %bb.62:
	v_bfe_u32 v4, v1, 16, 1
	v_add3_u32 v4, v1, v4, 0x7fff
                                        ; implicit-def: $vgpr1
; %bb.63:
	s_andn2_saveexec_b32 s2, s2
; %bb.64:
	v_mov_b32_e32 v4, 0
	v_or_b32_e32 v5, 0x10000, v1
	v_cmp_eq_u32_sdwa vcc_lo, v1, v4 src0_sel:WORD_0 src1_sel:DWORD
	v_cndmask_b32_e32 v4, v5, v1, vcc_lo
; %bb.65:
	s_or_b32 exec_lo, exec_lo, s2
	v_and_b32_e32 v1, 0xffff0000, v4
	v_add_f32_e32 v0, v0, v1
	v_and_b32_e32 v1, 0x7f800000, v0
	v_cmp_ne_u32_e32 vcc_lo, 0x7f800000, v1
                                        ; implicit-def: $vgpr1
	s_and_saveexec_b32 s2, vcc_lo
	s_xor_b32 s2, exec_lo, s2
; %bb.66:
	v_bfe_u32 v1, v0, 16, 1
	v_add3_u32 v1, v0, v1, 0x7fff
                                        ; implicit-def: $vgpr0
; %bb.67:
	s_andn2_saveexec_b32 s2, s2
; %bb.68:
	v_mov_b32_e32 v1, 0
	v_or_b32_e32 v4, 0x10000, v0
	v_cmp_eq_u32_sdwa vcc_lo, v0, v1 src0_sel:WORD_0 src1_sel:DWORD
	v_cndmask_b32_e32 v1, v4, v0, vcc_lo
; %bb.69:
	s_or_b32 exec_lo, exec_lo, s2
.LBB596_70:
	v_lshrrev_b32_e32 v5, 16, v1
	s_or_b32 s2, s17, exec_lo
.LBB596_71:
	s_or_b32 exec_lo, exec_lo, s1
	s_andn2_b32 s1, s17, exec_lo
	s_and_b32 s2, s2, exec_lo
	s_or_b32 s17, s1, s2
.LBB596_72:
	s_or_b32 exec_lo, exec_lo, s0
.LBB596_73:
	s_and_saveexec_b32 s0, s17
	s_cbranch_execz .LBB596_75
; %bb.74:
	v_lshlrev_b64 v[0:1], 1, v[2:3]
	v_add_co_u32 v0, vcc_lo, s7, v0
	v_add_co_ci_u32_e64 v1, null, s11, v1, vcc_lo
	flat_store_short v[0:1], v5
.LBB596_75:
	s_endpgm
	.section	.rodata,"a",@progbits
	.p2align	6, 0x0
	.amdhsa_kernel _ZL20rocblas_gemvn_kernelILi64ELi16EiPK16rocblas_bfloat16fKPS0_EviiT3_lPKT2_lT1_lS8_lS9_lS5_lPT4_lS9_li
		.amdhsa_group_segment_fixed_size 16384
		.amdhsa_private_segment_fixed_size 0
		.amdhsa_kernarg_size 400
		.amdhsa_user_sgpr_count 6
		.amdhsa_user_sgpr_private_segment_buffer 1
		.amdhsa_user_sgpr_dispatch_ptr 0
		.amdhsa_user_sgpr_queue_ptr 0
		.amdhsa_user_sgpr_kernarg_segment_ptr 1
		.amdhsa_user_sgpr_dispatch_id 0
		.amdhsa_user_sgpr_flat_scratch_init 0
		.amdhsa_user_sgpr_private_segment_size 0
		.amdhsa_wavefront_size32 1
		.amdhsa_uses_dynamic_stack 0
		.amdhsa_system_sgpr_private_segment_wavefront_offset 0
		.amdhsa_system_sgpr_workgroup_id_x 1
		.amdhsa_system_sgpr_workgroup_id_y 0
		.amdhsa_system_sgpr_workgroup_id_z 1
		.amdhsa_system_sgpr_workgroup_info 0
		.amdhsa_system_vgpr_workitem_id 1
		.amdhsa_next_free_vgpr 42
		.amdhsa_next_free_sgpr 28
		.amdhsa_reserve_vcc 1
		.amdhsa_reserve_flat_scratch 1
		.amdhsa_float_round_mode_32 0
		.amdhsa_float_round_mode_16_64 0
		.amdhsa_float_denorm_mode_32 3
		.amdhsa_float_denorm_mode_16_64 3
		.amdhsa_dx10_clamp 1
		.amdhsa_ieee_mode 1
		.amdhsa_fp16_overflow 0
		.amdhsa_workgroup_processor_mode 1
		.amdhsa_memory_ordered 1
		.amdhsa_forward_progress 1
		.amdhsa_shared_vgpr_count 0
		.amdhsa_exception_fp_ieee_invalid_op 0
		.amdhsa_exception_fp_denorm_src 0
		.amdhsa_exception_fp_ieee_div_zero 0
		.amdhsa_exception_fp_ieee_overflow 0
		.amdhsa_exception_fp_ieee_underflow 0
		.amdhsa_exception_fp_ieee_inexact 0
		.amdhsa_exception_int_div_zero 0
	.end_amdhsa_kernel
	.section	.text._ZL20rocblas_gemvn_kernelILi64ELi16EiPK16rocblas_bfloat16fKPS0_EviiT3_lPKT2_lT1_lS8_lS9_lS5_lPT4_lS9_li,"axG",@progbits,_ZL20rocblas_gemvn_kernelILi64ELi16EiPK16rocblas_bfloat16fKPS0_EviiT3_lPKT2_lT1_lS8_lS9_lS5_lPT4_lS9_li,comdat
.Lfunc_end596:
	.size	_ZL20rocblas_gemvn_kernelILi64ELi16EiPK16rocblas_bfloat16fKPS0_EviiT3_lPKT2_lT1_lS8_lS9_lS5_lPT4_lS9_li, .Lfunc_end596-_ZL20rocblas_gemvn_kernelILi64ELi16EiPK16rocblas_bfloat16fKPS0_EviiT3_lPKT2_lT1_lS8_lS9_lS5_lPT4_lS9_li
                                        ; -- End function
	.set _ZL20rocblas_gemvn_kernelILi64ELi16EiPK16rocblas_bfloat16fKPS0_EviiT3_lPKT2_lT1_lS8_lS9_lS5_lPT4_lS9_li.num_vgpr, 42
	.set _ZL20rocblas_gemvn_kernelILi64ELi16EiPK16rocblas_bfloat16fKPS0_EviiT3_lPKT2_lT1_lS8_lS9_lS5_lPT4_lS9_li.num_agpr, 0
	.set _ZL20rocblas_gemvn_kernelILi64ELi16EiPK16rocblas_bfloat16fKPS0_EviiT3_lPKT2_lT1_lS8_lS9_lS5_lPT4_lS9_li.numbered_sgpr, 28
	.set _ZL20rocblas_gemvn_kernelILi64ELi16EiPK16rocblas_bfloat16fKPS0_EviiT3_lPKT2_lT1_lS8_lS9_lS5_lPT4_lS9_li.num_named_barrier, 0
	.set _ZL20rocblas_gemvn_kernelILi64ELi16EiPK16rocblas_bfloat16fKPS0_EviiT3_lPKT2_lT1_lS8_lS9_lS5_lPT4_lS9_li.private_seg_size, 0
	.set _ZL20rocblas_gemvn_kernelILi64ELi16EiPK16rocblas_bfloat16fKPS0_EviiT3_lPKT2_lT1_lS8_lS9_lS5_lPT4_lS9_li.uses_vcc, 1
	.set _ZL20rocblas_gemvn_kernelILi64ELi16EiPK16rocblas_bfloat16fKPS0_EviiT3_lPKT2_lT1_lS8_lS9_lS5_lPT4_lS9_li.uses_flat_scratch, 1
	.set _ZL20rocblas_gemvn_kernelILi64ELi16EiPK16rocblas_bfloat16fKPS0_EviiT3_lPKT2_lT1_lS8_lS9_lS5_lPT4_lS9_li.has_dyn_sized_stack, 0
	.set _ZL20rocblas_gemvn_kernelILi64ELi16EiPK16rocblas_bfloat16fKPS0_EviiT3_lPKT2_lT1_lS8_lS9_lS5_lPT4_lS9_li.has_recursion, 0
	.set _ZL20rocblas_gemvn_kernelILi64ELi16EiPK16rocblas_bfloat16fKPS0_EviiT3_lPKT2_lT1_lS8_lS9_lS5_lPT4_lS9_li.has_indirect_call, 0
	.section	.AMDGPU.csdata,"",@progbits
; Kernel info:
; codeLenInByte = 3312
; TotalNumSgprs: 30
; NumVgprs: 42
; ScratchSize: 0
; MemoryBound: 0
; FloatMode: 240
; IeeeMode: 1
; LDSByteSize: 16384 bytes/workgroup (compile time only)
; SGPRBlocks: 0
; VGPRBlocks: 5
; NumSGPRsForWavesPerEU: 30
; NumVGPRsForWavesPerEU: 42
; Occupancy: 16
; WaveLimiterHint : 1
; COMPUTE_PGM_RSRC2:SCRATCH_EN: 0
; COMPUTE_PGM_RSRC2:USER_SGPR: 6
; COMPUTE_PGM_RSRC2:TRAP_HANDLER: 0
; COMPUTE_PGM_RSRC2:TGID_X_EN: 1
; COMPUTE_PGM_RSRC2:TGID_Y_EN: 0
; COMPUTE_PGM_RSRC2:TGID_Z_EN: 1
; COMPUTE_PGM_RSRC2:TIDIG_COMP_CNT: 1
	.section	.text._ZL20rocblas_gemvn_kernelILi64ELi16ElPK16rocblas_bfloat16fKPS0_EviiT3_lPKT2_lT1_lS8_lS9_lS5_lPT4_lS9_li,"axG",@progbits,_ZL20rocblas_gemvn_kernelILi64ELi16ElPK16rocblas_bfloat16fKPS0_EviiT3_lPKT2_lT1_lS8_lS9_lS5_lPT4_lS9_li,comdat
	.globl	_ZL20rocblas_gemvn_kernelILi64ELi16ElPK16rocblas_bfloat16fKPS0_EviiT3_lPKT2_lT1_lS8_lS9_lS5_lPT4_lS9_li ; -- Begin function _ZL20rocblas_gemvn_kernelILi64ELi16ElPK16rocblas_bfloat16fKPS0_EviiT3_lPKT2_lT1_lS8_lS9_lS5_lPT4_lS9_li
	.p2align	8
	.type	_ZL20rocblas_gemvn_kernelILi64ELi16ElPK16rocblas_bfloat16fKPS0_EviiT3_lPKT2_lT1_lS8_lS9_lS5_lPT4_lS9_li,@function
_ZL20rocblas_gemvn_kernelILi64ELi16ElPK16rocblas_bfloat16fKPS0_EviiT3_lPKT2_lT1_lS8_lS9_lS5_lPT4_lS9_li: ; @_ZL20rocblas_gemvn_kernelILi64ELi16ElPK16rocblas_bfloat16fKPS0_EviiT3_lPKT2_lT1_lS8_lS9_lS5_lPT4_lS9_li
; %bb.0:
	s_load_dwordx2 s[0:1], s[4:5], 0x9c
	s_waitcnt lgkmcnt(0)
	s_lshr_b32 s2, s0, 16
	s_and_b32 s0, s0, 0xffff
	s_and_b32 s1, s1, 0xffff
	s_mul_i32 s0, s2, s0
	s_mul_i32 s0, s0, s1
	s_cmpk_lg_i32 s0, 0x400
	s_cbranch_scc1 .LBB597_75
; %bb.1:
	s_clause 0x1
	s_load_dwordx4 s[8:11], s[4:5], 0x0
	s_load_dword s26, s[4:5], 0x58
	s_mov_b32 s20, s7
	s_mov_b32 s21, 0
	s_waitcnt lgkmcnt(0)
	v_cmp_eq_f32_e64 s7, s10, 0
	v_cmp_eq_f32_e64 s0, s26, 1.0
	s_and_b32 s0, s7, s0
	s_and_b32 vcc_lo, exec_lo, s0
	s_cbranch_vccnz .LBB597_75
; %bb.2:
	s_clause 0x1
	s_load_dwordx4 s[0:3], s[4:5], 0x18
	s_load_dwordx2 s[14:15], s[4:5], 0x28
	v_cmp_neq_f32_e64 s11, s10, 0
	s_and_b32 vcc_lo, exec_lo, s11
	s_cbranch_vccnz .LBB597_4
; %bb.3:
	s_mov_b32 s13, 0
	s_mov_b32 s12, s20
	;; [unrolled: 1-line block ×3, first 2 shown]
	s_mov_b64 s[18:19], 0
	s_andn2_b32 vcc_lo, exec_lo, s16
	s_mov_b64 s[16:17], 0
	s_cbranch_vccz .LBB597_5
	s_branch .LBB597_6
.LBB597_4:
	s_mov_b64 s[12:13], s[20:21]
	s_mov_b64 s[18:19], 0
	;; [unrolled: 1-line block ×3, first 2 shown]
.LBB597_5:
	s_lshl_b64 s[16:17], s[20:21], 3
	s_waitcnt lgkmcnt(0)
	s_add_u32 s0, s0, s16
	s_addc_u32 s1, s1, s17
	s_lshl_b64 s[2:3], s[2:3], 1
	s_load_dwordx2 s[0:1], s[0:1], 0x0
	s_waitcnt lgkmcnt(0)
	s_add_u32 s16, s0, s2
	s_addc_u32 s17, s1, s3
.LBB597_6:
	s_waitcnt lgkmcnt(0)
	s_clause 0x1
	s_load_dwordx4 s[0:3], s[4:5], 0x38
	s_load_dwordx2 s[20:21], s[4:5], 0x48
	s_andn2_b32 vcc_lo, exec_lo, s11
	s_cbranch_vccnz .LBB597_8
; %bb.7:
	s_lshl_b64 s[18:19], s[12:13], 3
	s_waitcnt lgkmcnt(0)
	s_add_u32 s0, s0, s18
	s_addc_u32 s1, s1, s19
	s_lshl_b64 s[2:3], s[2:3], 1
	s_load_dwordx2 s[0:1], s[0:1], 0x0
	s_waitcnt lgkmcnt(0)
	s_add_u32 s18, s0, s2
	s_addc_u32 s19, s1, s3
.LBB597_8:
	s_waitcnt lgkmcnt(0)
	s_load_dwordx4 s[0:3], s[4:5], 0x68
	s_lshl_b64 s[22:23], s[12:13], 3
	s_load_dwordx2 s[12:13], s[4:5], 0x78
	v_lshlrev_b32_e32 v22, 6, v1
	v_add_nc_u32_e32 v21, v22, v0
	s_waitcnt lgkmcnt(0)
	s_add_u32 s0, s0, s22
	s_addc_u32 s1, s1, s23
	s_lshl_b64 s[2:3], s[2:3], 1
	s_load_dwordx2 s[22:23], s[0:1], 0x0
	v_cmp_gt_u32_e64 s0, 0x100, v21
	s_waitcnt lgkmcnt(0)
	s_add_u32 s5, s22, s2
	s_addc_u32 s11, s23, s3
	s_andn2_b32 vcc_lo, exec_lo, s7
	s_cbranch_vccnz .LBB597_19
; %bb.9:
	s_mov_b32 s1, 0
	s_mov_b32 s27, 0
                                        ; implicit-def: $vgpr5
                                        ; implicit-def: $vgpr2_vgpr3
	s_and_saveexec_b32 s2, s0
	s_cbranch_execz .LBB597_20
; %bb.10:
	v_lshl_or_b32 v4, s6, 8, v21
	v_mov_b32_e32 v5, 0
	s_ashr_i32 s23, s8, 31
	s_mov_b32 s22, s8
	s_mov_b32 s3, 0
	s_mov_b32 s0, exec_lo
                                        ; implicit-def: $vgpr2_vgpr3
	v_cmpx_gt_i64_e64 s[22:23], v[4:5]
	s_cbranch_execz .LBB597_18
; %bb.11:
	v_mad_u64_u32 v[2:3], null, s12, v4, 0
	v_cmp_eq_f32_e64 s3, s26, 0
	s_and_b32 vcc_lo, exec_lo, s3
	v_mad_u64_u32 v[3:4], null, s13, v4, v[3:4]
	s_cbranch_vccnz .LBB597_17
; %bb.12:
	v_lshlrev_b64 v[4:5], 1, v[2:3]
	v_add_co_u32 v4, vcc_lo, s5, v4
	v_add_co_ci_u32_e64 v5, null, s11, v5, vcc_lo
	flat_load_ushort v4, v[4:5]
	s_waitcnt vmcnt(0) lgkmcnt(0)
	v_lshlrev_b32_e32 v4, 16, v4
	v_mul_f32_e32 v4, s26, v4
	v_and_b32_e32 v5, 0x7f800000, v4
	v_cmp_ne_u32_e32 vcc_lo, 0x7f800000, v5
                                        ; implicit-def: $vgpr5
	s_and_saveexec_b32 s3, vcc_lo
	s_xor_b32 s3, exec_lo, s3
; %bb.13:
	v_bfe_u32 v5, v4, 16, 1
	v_add3_u32 v5, v4, v5, 0x7fff
                                        ; implicit-def: $vgpr4
; %bb.14:
	s_andn2_saveexec_b32 s3, s3
; %bb.15:
	v_mov_b32_e32 v5, 0
	v_or_b32_e32 v6, 0x10000, v4
	v_cmp_eq_u32_sdwa vcc_lo, v4, v5 src0_sel:WORD_0 src1_sel:DWORD
	v_cndmask_b32_e32 v5, v6, v4, vcc_lo
; %bb.16:
	s_or_b32 exec_lo, exec_lo, s3
	v_lshrrev_b32_e32 v5, 16, v5
.LBB597_17:
	s_mov_b32 s3, exec_lo
.LBB597_18:
	s_or_b32 exec_lo, exec_lo, s0
	s_and_b32 s27, s3, exec_lo
	s_or_b32 exec_lo, exec_lo, s2
	s_and_b32 vcc_lo, exec_lo, s1
	s_cbranch_vccnz .LBB597_21
	s_branch .LBB597_73
.LBB597_19:
	s_mov_b32 s27, 0
                                        ; implicit-def: $vgpr5
                                        ; implicit-def: $vgpr2_vgpr3
	s_cbranch_execnz .LBB597_21
	s_branch .LBB597_73
.LBB597_20:
	s_or_b32 exec_lo, exec_lo, s2
	s_and_b32 vcc_lo, exec_lo, s1
	s_cbranch_vccz .LBB597_73
.LBB597_21:
	s_ashr_i32 s0, s9, 31
	s_lshl_b32 s28, s6, 8
	s_lshr_b32 s0, s0, 26
	v_lshlrev_b32_e32 v27, 2, v1
	v_mov_b32_e32 v23, 0
	v_add_nc_u32_e32 v2, s28, v0
	v_mov_b32_e32 v24, 0
	v_mov_b32_e32 v25, 0
	;; [unrolled: 1-line block ×3, first 2 shown]
	s_add_i32 s29, s9, s0
	s_mov_b32 s30, exec_lo
	s_andn2_b32 s29, s29, 63
	v_cmpx_gt_i32_e64 s29, v27
	s_cbranch_execz .LBB597_33
; %bb.22:
	v_lshlrev_b32_e32 v25, 2, v1
	v_add_nc_u32_e32 v4, 64, v2
	v_mad_u64_u32 v[7:8], null, s20, v1, 0
	v_mad_u64_u32 v[9:10], null, s14, v1, 0
	v_or_b32_e32 v26, 3, v25
	v_add_nc_u32_e32 v11, 0x80, v2
	v_add_nc_u32_e32 v12, 0xc0, v2
	v_cmp_gt_i32_e64 s0, s8, v4
	v_or_b32_e32 v32, 2, v25
	v_mad_u64_u32 v[5:6], null, s14, v26, 0
	v_cmp_gt_i32_e64 s1, s8, v11
	v_cmp_gt_i32_e64 s2, s8, v12
	v_mad_u64_u32 v[16:17], null, s14, v32, 0
	v_mad_u64_u32 v[18:19], null, s20, v26, 0
	v_mov_b32_e32 v4, v6
	v_mov_b32_e32 v6, v8
	v_mov_b32_e32 v8, v10
	v_ashrrev_i32_e32 v3, 31, v2
	s_lshl_b64 s[6:7], s[14:15], 7
	v_mad_u64_u32 v[11:12], null, s15, v26, v[4:5]
	v_mad_u64_u32 v[12:13], null, s21, v1, v[6:7]
	;; [unrolled: 1-line block ×4, first 2 shown]
	v_mov_b32_e32 v6, v11
	v_lshlrev_b64 v[3:4], 1, v[2:3]
	v_mov_b32_e32 v8, v12
	s_lshl_b64 s[22:23], s[20:21], 7
	v_mov_b32_e32 v10, v13
	v_lshlrev_b64 v[11:12], 1, v[5:6]
	s_mov_b32 s31, 0
	v_lshlrev_b64 v[5:6], 3, v[7:8]
	v_mov_b32_e32 v7, v17
	v_mov_b32_e32 v8, v15
	v_lshlrev_b64 v[9:10], 3, v[9:10]
	v_add_co_u32 v28, s3, s16, v11
	v_add_co_ci_u32_e64 v29, null, s17, v12, s3
	v_mad_u64_u32 v[11:12], null, s14, v25, s[14:15]
	v_mad_u64_u32 v[23:24], null, s15, v32, v[7:8]
	v_mov_b32_e32 v7, v19
	v_mad_u64_u32 v[19:20], null, s21, v25, v[8:9]
	v_add_co_u32 v30, s3, s16, v9
	v_mad_u64_u32 v[7:8], null, s21, v26, v[7:8]
	v_mov_b32_e32 v8, v12
	v_mov_b32_e32 v17, v23
	v_mad_u64_u32 v[23:24], null, s20, v32, 0
	v_mov_b32_e32 v15, v19
	v_mad_u64_u32 v[12:13], null, s15, v25, v[8:9]
	v_lshlrev_b64 v[16:17], 1, v[16:17]
	v_mov_b32_e32 v19, v7
	v_add_co_ci_u32_e64 v31, null, s17, v10, s3
	v_mov_b32_e32 v8, v24
	v_mov_b32_e32 v26, 0
	v_lshlrev_b64 v[11:12], 1, v[11:12]
	s_mov_b64 s[24:25], s[18:19]
	v_cmp_gt_i32_e32 vcc_lo, s8, v2
	v_mad_u64_u32 v[24:25], null, s21, v32, v[8:9]
	v_add_co_u32 v32, s3, s16, v16
	v_add_co_ci_u32_e64 v33, null, s17, v17, s3
	v_add_co_u32 v34, s3, s16, v11
	v_lshlrev_b64 v[7:8], 1, v[14:15]
	v_lshlrev_b64 v[9:10], 1, v[18:19]
	v_add_co_ci_u32_e64 v35, null, s17, v12, s3
	v_lshlrev_b64 v[11:12], 1, v[23:24]
	v_mov_b32_e32 v23, 0
	v_mov_b32_e32 v24, 0
	;; [unrolled: 1-line block ×3, first 2 shown]
	s_branch .LBB597_27
.LBB597_23:                             ;   in Loop: Header=BB597_27 Depth=1
	s_or_b32 exec_lo, exec_lo, s34
	s_waitcnt vmcnt(3) lgkmcnt(3)
	v_lshlrev_b32_e32 v13, 16, v51
	s_waitcnt vmcnt(2) lgkmcnt(2)
	v_lshlrev_b32_e32 v14, 16, v50
	v_fmac_f32_e32 v25, v43, v13
	s_waitcnt vmcnt(1) lgkmcnt(1)
	v_lshlrev_b32_e32 v13, 16, v49
	v_fmac_f32_e32 v25, v39, v14
	v_fmac_f32_e32 v25, v41, v13
	s_waitcnt vmcnt(0) lgkmcnt(0)
	v_lshlrev_b32_e32 v13, 16, v48
	v_fmac_f32_e32 v25, v37, v13
.LBB597_24:                             ;   in Loop: Header=BB597_27 Depth=1
	s_or_b32 exec_lo, exec_lo, s33
	s_waitcnt vmcnt(3) lgkmcnt(3)
	v_lshlrev_b32_e32 v13, 16, v47
	s_waitcnt vmcnt(2) lgkmcnt(2)
	v_lshlrev_b32_e32 v14, 16, v46
	v_fmac_f32_e32 v24, v43, v13
	s_waitcnt vmcnt(1) lgkmcnt(1)
	v_lshlrev_b32_e32 v13, 16, v45
	v_fmac_f32_e32 v24, v39, v14
	v_fmac_f32_e32 v24, v41, v13
	s_waitcnt vmcnt(0) lgkmcnt(0)
	v_lshlrev_b32_e32 v13, 16, v44
	v_fmac_f32_e32 v24, v37, v13
.LBB597_25:                             ;   in Loop: Header=BB597_27 Depth=1
	s_or_b32 exec_lo, exec_lo, s3
	s_waitcnt vmcnt(3) lgkmcnt(3)
	v_lshlrev_b32_e32 v13, 16, v42
	s_waitcnt vmcnt(2) lgkmcnt(2)
	v_lshlrev_b32_e32 v14, 16, v40
	v_fmac_f32_e32 v23, v43, v13
	s_waitcnt vmcnt(1) lgkmcnt(1)
	v_lshlrev_b32_e32 v13, 16, v38
	v_fmac_f32_e32 v23, v39, v14
	v_fmac_f32_e32 v23, v41, v13
	s_waitcnt vmcnt(0) lgkmcnt(0)
	v_lshlrev_b32_e32 v13, 16, v36
	v_fmac_f32_e32 v23, v37, v13
.LBB597_26:                             ;   in Loop: Header=BB597_27 Depth=1
	s_or_b32 exec_lo, exec_lo, s4
	v_add_co_u32 v28, s3, v28, s6
	v_add_nc_u32_e32 v27, 64, v27
	v_add_co_ci_u32_e64 v29, null, s7, v29, s3
	v_add_co_u32 v30, s3, v30, s6
	v_add_co_ci_u32_e64 v31, null, s7, v31, s3
	v_add_co_u32 v32, s3, v32, s6
	v_add_co_ci_u32_e64 v33, null, s7, v33, s3
	v_cmp_le_i32_e64 s3, s29, v27
	v_add_co_u32 v34, s4, v34, s6
	v_add_co_ci_u32_e64 v35, null, s7, v35, s4
	s_add_u32 s24, s24, s22
	s_addc_u32 s25, s25, s23
	s_or_b32 s31, s3, s31
	s_andn2_b32 exec_lo, exec_lo, s31
	s_cbranch_execz .LBB597_32
.LBB597_27:                             ; =>This Inner Loop Header: Depth=1
	s_and_saveexec_b32 s4, vcc_lo
	s_cbranch_execz .LBB597_26
; %bb.28:                               ;   in Loop: Header=BB597_27 Depth=1
	v_add_co_u32 v13, s3, s24, v5
	v_add_co_ci_u32_e64 v14, null, s25, v6, s3
	v_add_co_u32 v15, s3, s24, v7
	v_add_co_ci_u32_e64 v16, null, s25, v8, s3
	;; [unrolled: 2-line block ×4, first 2 shown]
	s_clause 0x3
	flat_load_ushort v37, v[13:14]
	flat_load_ushort v39, v[15:16]
	;; [unrolled: 1-line block ×4, first 2 shown]
	v_add_co_u32 v13, s3, v30, v3
	v_add_co_ci_u32_e64 v14, null, v31, v4, s3
	v_add_co_u32 v17, s3, v34, v3
	v_add_co_ci_u32_e64 v18, null, v35, v4, s3
	;; [unrolled: 2-line block ×4, first 2 shown]
	flat_load_ushort v42, v[13:14]
	flat_load_ushort v40, v[17:18]
	;; [unrolled: 1-line block ×4, first 2 shown]
	s_waitcnt vmcnt(7) lgkmcnt(7)
	v_lshlrev_b32_e32 v43, 16, v37
	s_waitcnt vmcnt(6) lgkmcnt(6)
	v_lshlrev_b32_e32 v39, 16, v39
	;; [unrolled: 2-line block ×4, first 2 shown]
	s_and_saveexec_b32 s3, s0
	s_cbranch_execz .LBB597_25
; %bb.29:                               ;   in Loop: Header=BB597_27 Depth=1
	flat_load_ushort v47, v[13:14] offset:128
	flat_load_ushort v46, v[17:18] offset:128
	flat_load_ushort v45, v[15:16] offset:128
	flat_load_ushort v44, v[19:20] offset:128
	s_and_saveexec_b32 s33, s1
	s_cbranch_execz .LBB597_24
; %bb.30:                               ;   in Loop: Header=BB597_27 Depth=1
	flat_load_ushort v51, v[13:14] offset:256
	flat_load_ushort v50, v[17:18] offset:256
	flat_load_ushort v49, v[15:16] offset:256
	flat_load_ushort v48, v[19:20] offset:256
	s_and_saveexec_b32 s34, s2
	s_cbranch_execz .LBB597_23
; %bb.31:                               ;   in Loop: Header=BB597_27 Depth=1
	flat_load_ushort v13, v[13:14] offset:384
	flat_load_ushort v14, v[17:18] offset:384
	flat_load_ushort v15, v[15:16] offset:384
	flat_load_ushort v16, v[19:20] offset:384
	s_waitcnt vmcnt(3) lgkmcnt(3)
	v_lshlrev_b32_e32 v13, 16, v13
	s_waitcnt vmcnt(2) lgkmcnt(2)
	v_lshlrev_b32_e32 v14, 16, v14
	v_fmac_f32_e32 v26, v43, v13
	s_waitcnt vmcnt(1) lgkmcnt(1)
	v_lshlrev_b32_e32 v13, 16, v15
	v_fmac_f32_e32 v26, v39, v14
	;; [unrolled: 3-line block ×3, first 2 shown]
	v_fmac_f32_e32 v26, v37, v14
	s_branch .LBB597_23
.LBB597_32:
	s_or_b32 exec_lo, exec_lo, s31
.LBB597_33:
	s_or_b32 exec_lo, exec_lo, s30
	s_sub_i32 s0, s9, s29
	s_cmp_lt_i32 s0, 1
	s_cbranch_scc1 .LBB597_51
; %bb.34:
	v_cmp_gt_i32_e32 vcc_lo, s9, v27
	v_mov_b32_e32 v12, 0
	v_or_b32_e32 v4, 1, v27
	v_mov_b32_e32 v11, 0
	v_mov_b32_e32 v14, 0
	;; [unrolled: 1-line block ×3, first 2 shown]
	s_and_saveexec_b32 s1, vcc_lo
	s_cbranch_execz .LBB597_42
; %bb.35:
	v_mad_u64_u32 v[5:6], null, s20, v27, 0
	v_mov_b32_e32 v13, 0
	v_mov_b32_e32 v11, 0
	;; [unrolled: 1-line block ×3, first 2 shown]
	s_mov_b32 s2, exec_lo
	v_mov_b32_e32 v3, v6
	v_mad_u64_u32 v[6:7], null, s21, v27, v[3:4]
	v_lshlrev_b64 v[5:6], 1, v[5:6]
	v_add_co_u32 v5, s0, s18, v5
	v_add_co_ci_u32_e64 v6, null, s19, v6, s0
	flat_load_ushort v3, v[5:6]
	v_cmpx_gt_i32_e64 s9, v4
	s_cbranch_execz .LBB597_41
; %bb.36:
	v_mad_u64_u32 v[5:6], null, s20, v4, 0
	v_mov_b32_e32 v11, 0
	v_mov_b32_e32 v12, 0
	s_mov_b32 s3, exec_lo
	v_mad_u64_u32 v[6:7], null, s21, v4, v[6:7]
	v_lshlrev_b64 v[5:6], 1, v[5:6]
	v_add_co_u32 v5, s0, s18, v5
	v_add_co_ci_u32_e64 v6, null, s19, v6, s0
	flat_load_ushort v5, v[5:6]
	v_or_b32_e32 v6, 2, v27
	v_cmpx_gt_i32_e64 s9, v6
	s_cbranch_execz .LBB597_40
; %bb.37:
	v_mad_u64_u32 v[7:8], null, s20, v6, 0
	v_mov_b32_e32 v11, 0
	s_mov_b32 s4, exec_lo
	v_mad_u64_u32 v[8:9], null, s21, v6, v[8:9]
	v_lshlrev_b64 v[6:7], 1, v[7:8]
	v_add_co_u32 v6, s0, s18, v6
	v_add_co_ci_u32_e64 v7, null, s19, v7, s0
	flat_load_ushort v6, v[6:7]
	v_or_b32_e32 v7, 3, v27
	v_cmpx_gt_i32_e64 s9, v7
	s_cbranch_execz .LBB597_39
; %bb.38:
	v_mad_u64_u32 v[8:9], null, s20, v7, 0
	v_mad_u64_u32 v[9:10], null, s21, v7, v[9:10]
	v_lshlrev_b64 v[7:8], 1, v[8:9]
	v_add_co_u32 v7, s0, s18, v7
	v_add_co_ci_u32_e64 v8, null, s19, v8, s0
	flat_load_ushort v7, v[7:8]
	s_waitcnt vmcnt(0) lgkmcnt(0)
	v_lshlrev_b32_e32 v11, 16, v7
.LBB597_39:
	s_or_b32 exec_lo, exec_lo, s4
	s_waitcnt vmcnt(0) lgkmcnt(0)
	v_lshlrev_b32_e32 v12, 16, v6
.LBB597_40:
	s_or_b32 exec_lo, exec_lo, s3
	s_waitcnt vmcnt(0) lgkmcnt(0)
	v_lshlrev_b32_e32 v13, 16, v5
.LBB597_41:
	s_or_b32 exec_lo, exec_lo, s2
	s_waitcnt vmcnt(0) lgkmcnt(0)
	v_lshlrev_b32_e32 v14, 16, v3
.LBB597_42:
	s_or_b32 exec_lo, exec_lo, s1
	s_mov_b32 s1, exec_lo
	v_cmpx_gt_i32_e64 s8, v2
	s_cbranch_execz .LBB597_50
; %bb.43:
	v_mad_u64_u32 v[5:6], null, s14, v27, 0
	v_mad_u64_u32 v[7:8], null, s14, v4, 0
	v_ashrrev_i32_e32 v3, 31, v2
	v_or_b32_e32 v20, 2, v27
	v_or_b32_e32 v29, 3, v27
	v_cndmask_b32_e32 v5, 0, v5, vcc_lo
	v_lshlrev_b64 v[9:10], 1, v[2:3]
	v_mad_u64_u32 v[15:16], null, s15, v27, v[6:7]
	v_mov_b32_e32 v3, v8
	v_mad_u64_u32 v[16:17], null, s14, v20, 0
	v_mad_u64_u32 v[18:19], null, s14, v29, 0
	;; [unrolled: 1-line block ×3, first 2 shown]
	v_cndmask_b32_e32 v6, 0, v15, vcc_lo
	v_cmp_gt_i32_e32 vcc_lo, s9, v4
	v_mov_b32_e32 v3, v17
	v_cmp_gt_i32_e64 s0, s9, v20
	v_mov_b32_e32 v8, v19
	v_cndmask_b32_e32 v4, 0, v7, vcc_lo
	v_lshlrev_b64 v[6:7], 1, v[5:6]
	v_cndmask_b32_e32 v5, 0, v27, vcc_lo
	v_mad_u64_u32 v[19:20], null, s15, v20, v[3:4]
	v_add_co_u32 v3, vcc_lo, s16, v6
	v_add_co_ci_u32_e64 v7, null, s17, v7, vcc_lo
	v_lshlrev_b64 v[5:6], 1, v[4:5]
	v_add_co_u32 v3, vcc_lo, v3, v9
	v_add_co_ci_u32_e64 v4, null, v7, v10, vcc_lo
	v_cndmask_b32_e64 v7, 0, v16, s0
	v_mad_u64_u32 v[15:16], null, s15, v29, v[8:9]
	v_add_co_u32 v5, vcc_lo, s16, v5
	v_add_co_ci_u32_e64 v6, null, s17, v6, vcc_lo
	v_cmp_gt_i32_e32 vcc_lo, s9, v29
	v_cndmask_b32_e64 v8, 0, v19, s0
	v_add_co_u32 v5, s0, v5, v9
	v_add_co_ci_u32_e64 v6, null, v6, v10, s0
	v_cndmask_b32_e32 v16, 0, v18, vcc_lo
	v_cndmask_b32_e32 v17, 0, v15, vcc_lo
	v_lshlrev_b64 v[7:8], 1, v[7:8]
	s_clause 0x1
	flat_load_ushort v18, v[3:4]
	flat_load_ushort v19, v[5:6]
	s_mov_b32 s0, exec_lo
	v_lshlrev_b64 v[15:16], 1, v[16:17]
	v_add_co_u32 v7, vcc_lo, s16, v7
	v_add_co_ci_u32_e64 v8, null, s17, v8, vcc_lo
	v_add_co_u32 v15, vcc_lo, s16, v15
	v_add_co_ci_u32_e64 v16, null, s17, v16, vcc_lo
	;; [unrolled: 2-line block ×4, first 2 shown]
	s_clause 0x1
	flat_load_ushort v15, v[7:8]
	flat_load_ushort v16, v[9:10]
	s_waitcnt vmcnt(3) lgkmcnt(3)
	v_lshlrev_b32_e32 v17, 16, v18
	s_waitcnt vmcnt(2) lgkmcnt(2)
	v_lshlrev_b32_e32 v18, 16, v19
	v_fmac_f32_e32 v23, v14, v17
	v_fmac_f32_e32 v23, v13, v18
	v_add_nc_u32_e32 v18, 64, v2
	s_waitcnt vmcnt(1) lgkmcnt(1)
	v_lshlrev_b32_e32 v17, 16, v15
	s_waitcnt vmcnt(0) lgkmcnt(0)
	v_lshlrev_b32_e32 v15, 16, v16
	v_fmac_f32_e32 v23, v12, v17
	v_cmpx_gt_i32_e64 s8, v18
	s_cbranch_execz .LBB597_49
; %bb.44:
	s_clause 0x3
	flat_load_ushort v16, v[3:4] offset:128
	flat_load_ushort v17, v[5:6] offset:128
	;; [unrolled: 1-line block ×4, first 2 shown]
	s_mov_b32 s2, exec_lo
	s_waitcnt vmcnt(3) lgkmcnt(3)
	v_lshlrev_b32_e32 v16, 16, v16
	s_waitcnt vmcnt(2) lgkmcnt(2)
	v_lshlrev_b32_e32 v17, 16, v17
	s_waitcnt vmcnt(1) lgkmcnt(1)
	v_lshlrev_b32_e32 v18, 16, v18
	v_fmac_f32_e32 v24, v14, v16
	s_waitcnt vmcnt(0) lgkmcnt(0)
	v_lshlrev_b32_e32 v16, 16, v19
	v_fmac_f32_e32 v24, v13, v17
	v_add_nc_u32_e32 v17, 0x80, v2
	v_fmac_f32_e32 v24, v12, v18
	v_cmpx_gt_i32_e64 s8, v17
	s_cbranch_execz .LBB597_48
; %bb.45:
	s_clause 0x3
	flat_load_ushort v17, v[3:4] offset:256
	flat_load_ushort v18, v[5:6] offset:256
	;; [unrolled: 1-line block ×4, first 2 shown]
	s_mov_b32 s3, exec_lo
	s_waitcnt vmcnt(3) lgkmcnt(3)
	v_lshlrev_b32_e32 v17, 16, v17
	s_waitcnt vmcnt(2) lgkmcnt(2)
	v_lshlrev_b32_e32 v18, 16, v18
	v_fmac_f32_e32 v25, v14, v17
	s_waitcnt vmcnt(1) lgkmcnt(1)
	v_lshlrev_b32_e32 v17, 16, v19
	v_fmac_f32_e32 v25, v13, v18
	v_add_nc_u32_e32 v18, 0xc0, v2
	s_waitcnt vmcnt(0) lgkmcnt(0)
	v_lshlrev_b32_e32 v2, 16, v20
	v_fmac_f32_e32 v25, v12, v17
	v_cmpx_gt_i32_e64 s8, v18
	s_cbranch_execz .LBB597_47
; %bb.46:
	s_clause 0x3
	flat_load_ushort v3, v[3:4] offset:384
	flat_load_ushort v4, v[5:6] offset:384
	;; [unrolled: 1-line block ×4, first 2 shown]
	s_waitcnt vmcnt(3) lgkmcnt(3)
	v_lshlrev_b32_e32 v3, 16, v3
	s_waitcnt vmcnt(2) lgkmcnt(2)
	v_lshlrev_b32_e32 v4, 16, v4
	v_fmac_f32_e32 v26, v14, v3
	s_waitcnt vmcnt(1) lgkmcnt(1)
	v_lshlrev_b32_e32 v3, 16, v5
	v_fmac_f32_e32 v26, v13, v4
	;; [unrolled: 3-line block ×3, first 2 shown]
	v_fmac_f32_e32 v26, v11, v4
.LBB597_47:
	s_or_b32 exec_lo, exec_lo, s3
	v_fmac_f32_e32 v25, v11, v2
.LBB597_48:
	s_or_b32 exec_lo, exec_lo, s2
	v_fmac_f32_e32 v24, v11, v16
.LBB597_49:
	s_or_b32 exec_lo, exec_lo, s0
	v_fmac_f32_e32 v23, v11, v15
.LBB597_50:
	s_or_b32 exec_lo, exec_lo, s1
.LBB597_51:
	v_lshlrev_b32_e32 v0, 2, v0
	s_mov_b32 s0, exec_lo
                                        ; implicit-def: $vgpr5
                                        ; implicit-def: $vgpr2_vgpr3
	v_lshl_add_u32 v1, v1, 10, v0
	ds_write2st64_b32 v1, v23, v24 offset1:1
	ds_write2st64_b32 v1, v25, v26 offset0:2 offset1:3
	s_waitcnt lgkmcnt(0)
	s_barrier
	buffer_gl0_inv
	v_cmpx_gt_u32_e32 0x100, v21
	s_cbranch_execz .LBB597_72
; %bb.52:
	v_lshl_add_u32 v6, v22, 2, v0
	s_mov_b32 s2, s27
	s_mov_b32 s1, exec_lo
	ds_read2st64_b32 v[0:1], v6 offset1:4
	ds_read2st64_b32 v[2:3], v6 offset0:8 offset1:12
	ds_read2st64_b32 v[4:5], v6 offset0:16 offset1:20
	s_waitcnt lgkmcnt(2)
	v_add_f32_e32 v7, v0, v1
	ds_read2st64_b32 v[0:1], v6 offset0:24 offset1:28
	s_waitcnt lgkmcnt(2)
	v_add_f32_e32 v2, v2, v7
	v_add_f32_e32 v7, v3, v2
	ds_read2st64_b32 v[2:3], v6 offset0:32 offset1:36
	s_waitcnt lgkmcnt(2)
	v_add_f32_e32 v4, v4, v7
	;; [unrolled: 4-line block ×3, first 2 shown]
	v_add_f32_e32 v0, v1, v0
	s_waitcnt lgkmcnt(1)
	v_add_f32_e32 v2, v2, v0
	ds_read2st64_b32 v[0:1], v6 offset0:48 offset1:52
	v_add_f32_e32 v2, v3, v2
	s_waitcnt lgkmcnt(1)
	v_add_f32_e32 v4, v4, v2
	ds_read2st64_b32 v[2:3], v6 offset0:56 offset1:60
	v_add_f32_e32 v4, v5, v4
                                        ; implicit-def: $vgpr5
	s_waitcnt lgkmcnt(1)
	v_add_f32_e32 v0, v0, v4
	v_add_f32_e32 v0, v1, v0
	s_waitcnt lgkmcnt(0)
	v_add_f32_e32 v1, v2, v0
	v_or_b32_e32 v0, s28, v21
	v_add_f32_e32 v1, v3, v1
                                        ; implicit-def: $vgpr2_vgpr3
	ds_write_b32 v6, v1
	v_cmpx_gt_i32_e64 s8, v0
	s_cbranch_execz .LBB597_71
; %bb.53:
	v_cmp_eq_f32_e64 s2, s26, 0
	v_mul_f32_e32 v1, s10, v1
	s_and_b32 vcc_lo, exec_lo, s2
	s_cbranch_vccz .LBB597_59
; %bb.54:
	v_and_b32_e32 v2, 0x7f800000, v1
	s_mov_b32 s2, exec_lo
                                        ; implicit-def: $vgpr5
	v_cmpx_ne_u32_e32 0x7f800000, v2
	s_xor_b32 s2, exec_lo, s2
; %bb.55:
	v_bfe_u32 v2, v1, 16, 1
	v_add3_u32 v5, v1, v2, 0x7fff
; %bb.56:
	s_andn2_saveexec_b32 s2, s2
; %bb.57:
	v_mov_b32_e32 v2, 0
	v_or_b32_e32 v3, 0x10000, v1
	v_cmp_eq_u32_sdwa vcc_lo, v1, v2 src0_sel:WORD_0 src1_sel:DWORD
	v_cndmask_b32_e32 v5, v3, v1, vcc_lo
; %bb.58:
	s_or_b32 exec_lo, exec_lo, s2
	s_mov_b32 s2, 0
	s_branch .LBB597_60
.LBB597_59:
	s_mov_b32 s2, -1
                                        ; implicit-def: $vgpr5
.LBB597_60:
	v_ashrrev_i32_e32 v2, 31, v0
	v_mul_lo_u32 v4, s13, v0
	s_andn2_b32 vcc_lo, exec_lo, s2
	v_mul_lo_u32 v6, s12, v2
	s_cbranch_vccnz .LBB597_70
; %bb.61:
	v_mad_u64_u32 v[2:3], null, s12, v0, 0
	v_add3_u32 v3, v3, v6, v4
	v_lshlrev_b64 v[2:3], 1, v[2:3]
	v_add_co_u32 v2, vcc_lo, s5, v2
	v_add_co_ci_u32_e64 v3, null, s11, v3, vcc_lo
	flat_load_ushort v2, v[2:3]
	s_waitcnt vmcnt(0) lgkmcnt(0)
	v_lshlrev_b32_e32 v2, 16, v2
	v_mul_f32_e32 v2, s26, v2
	v_and_b32_e32 v3, 0x7f800000, v2
	v_cmp_ne_u32_e32 vcc_lo, 0x7f800000, v3
                                        ; implicit-def: $vgpr3
	s_and_saveexec_b32 s2, vcc_lo
	s_xor_b32 s2, exec_lo, s2
; %bb.62:
	v_bfe_u32 v3, v2, 16, 1
	v_add3_u32 v3, v2, v3, 0x7fff
                                        ; implicit-def: $vgpr2
; %bb.63:
	s_andn2_saveexec_b32 s2, s2
; %bb.64:
	v_mov_b32_e32 v3, 0
	v_or_b32_e32 v5, 0x10000, v2
	v_cmp_eq_u32_sdwa vcc_lo, v2, v3 src0_sel:WORD_0 src1_sel:DWORD
	v_cndmask_b32_e32 v3, v5, v2, vcc_lo
; %bb.65:
	s_or_b32 exec_lo, exec_lo, s2
	v_and_b32_e32 v2, 0xffff0000, v3
	s_mov_b32 s2, exec_lo
                                        ; implicit-def: $vgpr5
	v_add_f32_e32 v1, v1, v2
	v_and_b32_e32 v2, 0x7f800000, v1
	v_cmpx_ne_u32_e32 0x7f800000, v2
	s_xor_b32 s2, exec_lo, s2
; %bb.66:
	v_bfe_u32 v2, v1, 16, 1
	v_add3_u32 v5, v1, v2, 0x7fff
                                        ; implicit-def: $vgpr1
; %bb.67:
	s_andn2_saveexec_b32 s2, s2
; %bb.68:
	v_mov_b32_e32 v2, 0
	v_or_b32_e32 v3, 0x10000, v1
	v_cmp_eq_u32_sdwa vcc_lo, v1, v2 src0_sel:WORD_0 src1_sel:DWORD
	v_cndmask_b32_e32 v5, v3, v1, vcc_lo
; %bb.69:
	s_or_b32 exec_lo, exec_lo, s2
.LBB597_70:
	v_mad_u64_u32 v[2:3], null, s12, v0, 0
	v_lshrrev_b32_e32 v5, 16, v5
	s_or_b32 s2, s27, exec_lo
	v_add3_u32 v3, v3, v6, v4
.LBB597_71:
	s_or_b32 exec_lo, exec_lo, s1
	s_andn2_b32 s1, s27, exec_lo
	s_and_b32 s2, s2, exec_lo
	s_or_b32 s27, s1, s2
.LBB597_72:
	s_or_b32 exec_lo, exec_lo, s0
.LBB597_73:
	s_and_saveexec_b32 s0, s27
	s_cbranch_execz .LBB597_75
; %bb.74:
	v_lshlrev_b64 v[0:1], 1, v[2:3]
	v_add_co_u32 v0, vcc_lo, s5, v0
	v_add_co_ci_u32_e64 v1, null, s11, v1, vcc_lo
	flat_store_short v[0:1], v5
.LBB597_75:
	s_endpgm
	.section	.rodata,"a",@progbits
	.p2align	6, 0x0
	.amdhsa_kernel _ZL20rocblas_gemvn_kernelILi64ELi16ElPK16rocblas_bfloat16fKPS0_EviiT3_lPKT2_lT1_lS8_lS9_lS5_lPT4_lS9_li
		.amdhsa_group_segment_fixed_size 16384
		.amdhsa_private_segment_fixed_size 0
		.amdhsa_kernarg_size 400
		.amdhsa_user_sgpr_count 6
		.amdhsa_user_sgpr_private_segment_buffer 1
		.amdhsa_user_sgpr_dispatch_ptr 0
		.amdhsa_user_sgpr_queue_ptr 0
		.amdhsa_user_sgpr_kernarg_segment_ptr 1
		.amdhsa_user_sgpr_dispatch_id 0
		.amdhsa_user_sgpr_flat_scratch_init 0
		.amdhsa_user_sgpr_private_segment_size 0
		.amdhsa_wavefront_size32 1
		.amdhsa_uses_dynamic_stack 0
		.amdhsa_system_sgpr_private_segment_wavefront_offset 0
		.amdhsa_system_sgpr_workgroup_id_x 1
		.amdhsa_system_sgpr_workgroup_id_y 0
		.amdhsa_system_sgpr_workgroup_id_z 1
		.amdhsa_system_sgpr_workgroup_info 0
		.amdhsa_system_vgpr_workitem_id 1
		.amdhsa_next_free_vgpr 52
		.amdhsa_next_free_sgpr 35
		.amdhsa_reserve_vcc 1
		.amdhsa_reserve_flat_scratch 1
		.amdhsa_float_round_mode_32 0
		.amdhsa_float_round_mode_16_64 0
		.amdhsa_float_denorm_mode_32 3
		.amdhsa_float_denorm_mode_16_64 3
		.amdhsa_dx10_clamp 1
		.amdhsa_ieee_mode 1
		.amdhsa_fp16_overflow 0
		.amdhsa_workgroup_processor_mode 1
		.amdhsa_memory_ordered 1
		.amdhsa_forward_progress 1
		.amdhsa_shared_vgpr_count 0
		.amdhsa_exception_fp_ieee_invalid_op 0
		.amdhsa_exception_fp_denorm_src 0
		.amdhsa_exception_fp_ieee_div_zero 0
		.amdhsa_exception_fp_ieee_overflow 0
		.amdhsa_exception_fp_ieee_underflow 0
		.amdhsa_exception_fp_ieee_inexact 0
		.amdhsa_exception_int_div_zero 0
	.end_amdhsa_kernel
	.section	.text._ZL20rocblas_gemvn_kernelILi64ELi16ElPK16rocblas_bfloat16fKPS0_EviiT3_lPKT2_lT1_lS8_lS9_lS5_lPT4_lS9_li,"axG",@progbits,_ZL20rocblas_gemvn_kernelILi64ELi16ElPK16rocblas_bfloat16fKPS0_EviiT3_lPKT2_lT1_lS8_lS9_lS5_lPT4_lS9_li,comdat
.Lfunc_end597:
	.size	_ZL20rocblas_gemvn_kernelILi64ELi16ElPK16rocblas_bfloat16fKPS0_EviiT3_lPKT2_lT1_lS8_lS9_lS5_lPT4_lS9_li, .Lfunc_end597-_ZL20rocblas_gemvn_kernelILi64ELi16ElPK16rocblas_bfloat16fKPS0_EviiT3_lPKT2_lT1_lS8_lS9_lS5_lPT4_lS9_li
                                        ; -- End function
	.set _ZL20rocblas_gemvn_kernelILi64ELi16ElPK16rocblas_bfloat16fKPS0_EviiT3_lPKT2_lT1_lS8_lS9_lS5_lPT4_lS9_li.num_vgpr, 52
	.set _ZL20rocblas_gemvn_kernelILi64ELi16ElPK16rocblas_bfloat16fKPS0_EviiT3_lPKT2_lT1_lS8_lS9_lS5_lPT4_lS9_li.num_agpr, 0
	.set _ZL20rocblas_gemvn_kernelILi64ELi16ElPK16rocblas_bfloat16fKPS0_EviiT3_lPKT2_lT1_lS8_lS9_lS5_lPT4_lS9_li.numbered_sgpr, 35
	.set _ZL20rocblas_gemvn_kernelILi64ELi16ElPK16rocblas_bfloat16fKPS0_EviiT3_lPKT2_lT1_lS8_lS9_lS5_lPT4_lS9_li.num_named_barrier, 0
	.set _ZL20rocblas_gemvn_kernelILi64ELi16ElPK16rocblas_bfloat16fKPS0_EviiT3_lPKT2_lT1_lS8_lS9_lS5_lPT4_lS9_li.private_seg_size, 0
	.set _ZL20rocblas_gemvn_kernelILi64ELi16ElPK16rocblas_bfloat16fKPS0_EviiT3_lPKT2_lT1_lS8_lS9_lS5_lPT4_lS9_li.uses_vcc, 1
	.set _ZL20rocblas_gemvn_kernelILi64ELi16ElPK16rocblas_bfloat16fKPS0_EviiT3_lPKT2_lT1_lS8_lS9_lS5_lPT4_lS9_li.uses_flat_scratch, 1
	.set _ZL20rocblas_gemvn_kernelILi64ELi16ElPK16rocblas_bfloat16fKPS0_EviiT3_lPKT2_lT1_lS8_lS9_lS5_lPT4_lS9_li.has_dyn_sized_stack, 0
	.set _ZL20rocblas_gemvn_kernelILi64ELi16ElPK16rocblas_bfloat16fKPS0_EviiT3_lPKT2_lT1_lS8_lS9_lS5_lPT4_lS9_li.has_recursion, 0
	.set _ZL20rocblas_gemvn_kernelILi64ELi16ElPK16rocblas_bfloat16fKPS0_EviiT3_lPKT2_lT1_lS8_lS9_lS5_lPT4_lS9_li.has_indirect_call, 0
	.section	.AMDGPU.csdata,"",@progbits
; Kernel info:
; codeLenInByte = 3628
; TotalNumSgprs: 37
; NumVgprs: 52
; ScratchSize: 0
; MemoryBound: 0
; FloatMode: 240
; IeeeMode: 1
; LDSByteSize: 16384 bytes/workgroup (compile time only)
; SGPRBlocks: 0
; VGPRBlocks: 6
; NumSGPRsForWavesPerEU: 37
; NumVGPRsForWavesPerEU: 52
; Occupancy: 16
; WaveLimiterHint : 1
; COMPUTE_PGM_RSRC2:SCRATCH_EN: 0
; COMPUTE_PGM_RSRC2:USER_SGPR: 6
; COMPUTE_PGM_RSRC2:TRAP_HANDLER: 0
; COMPUTE_PGM_RSRC2:TGID_X_EN: 1
; COMPUTE_PGM_RSRC2:TGID_Y_EN: 0
; COMPUTE_PGM_RSRC2:TGID_Z_EN: 1
; COMPUTE_PGM_RSRC2:TIDIG_COMP_CNT: 1
	.section	.text._ZL22rocblas_gemvtsm_kernelILb0ELi256EPK16rocblas_bfloat16PKfKPS0_EviiT2_lPKT1_lilSA_lilS7_lPT3_lil,"axG",@progbits,_ZL22rocblas_gemvtsm_kernelILb0ELi256EPK16rocblas_bfloat16PKfKPS0_EviiT2_lPKT1_lilSA_lilS7_lPT3_lil,comdat
	.globl	_ZL22rocblas_gemvtsm_kernelILb0ELi256EPK16rocblas_bfloat16PKfKPS0_EviiT2_lPKT1_lilSA_lilS7_lPT3_lil ; -- Begin function _ZL22rocblas_gemvtsm_kernelILb0ELi256EPK16rocblas_bfloat16PKfKPS0_EviiT2_lPKT1_lilSA_lilS7_lPT3_lil
	.p2align	8
	.type	_ZL22rocblas_gemvtsm_kernelILb0ELi256EPK16rocblas_bfloat16PKfKPS0_EviiT2_lPKT1_lilSA_lilS7_lPT3_lil,@function
_ZL22rocblas_gemvtsm_kernelILb0ELi256EPK16rocblas_bfloat16PKfKPS0_EviiT2_lPKT1_lilSA_lilS7_lPT3_lil: ; @_ZL22rocblas_gemvtsm_kernelILb0ELi256EPK16rocblas_bfloat16PKfKPS0_EviiT2_lPKT1_lilSA_lilS7_lPT3_lil
; %bb.0:
	s_clause 0x1
	s_load_dwordx8 s[16:23], s[4:5], 0x8
	s_load_dwordx8 s[8:15], s[4:5], 0x58
	s_mov_b32 s7, 0
	s_waitcnt lgkmcnt(0)
	s_mul_i32 s1, s19, s6
	s_mul_hi_u32 s2, s18, s6
	s_mul_i32 s0, s18, s6
	s_add_i32 s1, s2, s1
	s_mul_i32 s2, s11, s6
	s_lshl_b64 s[0:1], s[0:1], 2
	s_mul_hi_u32 s3, s10, s6
	s_add_u32 s0, s16, s0
	s_addc_u32 s1, s17, s1
	s_add_i32 s3, s3, s2
	s_mul_i32 s2, s10, s6
	s_lshl_b64 s[2:3], s[2:3], 2
	s_add_u32 s2, s8, s2
	s_addc_u32 s3, s9, s3
	s_load_dword s19, s[0:1], 0x0
	s_load_dword s18, s[2:3], 0x0
	s_waitcnt lgkmcnt(0)
	v_cmp_eq_f32_e64 s0, s19, 0
	v_cmp_eq_f32_e64 s1, s18, 1.0
	s_and_b32 s1, s0, s1
	s_and_b32 vcc_lo, exec_lo, s1
	s_cbranch_vccnz .LBB598_74
; %bb.1:
	v_cmp_neq_f32_e64 s1, s19, 0
	s_mov_b64 s[16:17], 0
	s_and_b32 vcc_lo, exec_lo, s0
	s_mov_b64 s[8:9], 0
	s_cbranch_vccnz .LBB598_3
; %bb.2:
	s_lshl_b64 s[2:3], s[6:7], 3
	s_add_u32 s2, s20, s2
	s_addc_u32 s3, s21, s3
	s_lshl_b64 s[8:9], s[22:23], 1
	s_load_dwordx2 s[2:3], s[2:3], 0x0
	s_waitcnt lgkmcnt(0)
	s_add_u32 s8, s2, s8
	s_addc_u32 s9, s3, s9
.LBB598_3:
	s_andn2_b32 vcc_lo, exec_lo, s1
	s_cbranch_vccnz .LBB598_5
; %bb.4:
	s_load_dwordx4 s[20:23], s[4:5], 0x38
	s_lshl_b64 s[2:3], s[6:7], 3
	s_waitcnt lgkmcnt(0)
	s_add_u32 s2, s20, s2
	s_addc_u32 s3, s21, s3
	s_lshl_b64 s[10:11], s[22:23], 1
	s_load_dwordx2 s[2:3], s[2:3], 0x0
	s_waitcnt lgkmcnt(0)
	s_add_u32 s16, s2, s10
	s_addc_u32 s17, s3, s11
.LBB598_5:
	s_lshl_b64 s[2:3], s[6:7], 3
	s_add_u32 s10, s12, s2
	s_addc_u32 s11, s13, s3
	s_clause 0x1
	s_load_dwordx2 s[2:3], s[4:5], 0x0
	s_load_dword s6, s[4:5], 0x78
	s_load_dwordx2 s[10:11], s[10:11], 0x0
	s_andn2_b32 vcc_lo, exec_lo, s0
	s_mov_b32 s0, -1
	s_cbranch_vccnz .LBB598_24
; %bb.6:
	s_waitcnt lgkmcnt(0)
	s_cmp_gt_i32 s3, 0
	v_cmp_neq_f32_e64 s0, s18, 0
	s_cselect_b32 s12, -1, 0
	v_cndmask_b32_e64 v1, 0, 1, s12
	s_and_b32 vcc_lo, exec_lo, s0
	v_cmp_ne_u32_e64 s0, 1, v1
	s_cbranch_vccnz .LBB598_13
; %bb.7:
	s_and_b32 vcc_lo, exec_lo, s0
	s_cbranch_vccnz .LBB598_12
; %bb.8:
	v_mad_i64_i32 v[1:2], null, s6, v0, 0
	s_lshl_b64 s[0:1], s[14:15], 1
	s_ashr_i32 s7, s6, 31
	s_add_u32 s0, s10, s0
	s_addc_u32 s1, s11, s1
	v_mov_b32_e32 v3, 0
	v_lshlrev_b64 v[1:2], 1, v[1:2]
	v_add_co_u32 v1, vcc_lo, s0, v1
	v_add_co_ci_u32_e64 v2, null, s1, v2, vcc_lo
	s_lshl_b64 s[0:1], s[6:7], 9
	s_mov_b32 s7, 0
	s_branch .LBB598_10
.LBB598_9:                              ;   in Loop: Header=BB598_10 Depth=1
	s_or_b32 exec_lo, exec_lo, s13
	v_add_co_u32 v1, vcc_lo, v1, s0
	v_add_co_ci_u32_e64 v2, null, s1, v2, vcc_lo
	s_addk_i32 s7, 0x100
	s_cmp_ge_i32 s7, s3
	s_cbranch_scc1 .LBB598_12
.LBB598_10:                             ; =>This Inner Loop Header: Depth=1
	v_add_nc_u32_e32 v4, s7, v0
	s_mov_b32 s13, exec_lo
	v_cmpx_gt_i32_e64 s3, v4
	s_cbranch_execz .LBB598_9
; %bb.11:                               ;   in Loop: Header=BB598_10 Depth=1
	flat_store_short v[1:2], v3
	s_branch .LBB598_9
.LBB598_12:
	s_cbranch_execz .LBB598_14
	s_branch .LBB598_23
.LBB598_13:
.LBB598_14:
	s_andn2_b32 vcc_lo, exec_lo, s12
	s_cbranch_vccnz .LBB598_23
; %bb.15:
	v_mad_i64_i32 v[1:2], null, s6, v0, 0
	s_lshl_b64 s[0:1], s[14:15], 1
	s_ashr_i32 s7, s6, 31
	s_add_u32 s0, s10, s0
	s_addc_u32 s1, s11, s1
	v_mov_b32_e32 v3, 0
	v_lshlrev_b64 v[1:2], 1, v[1:2]
	v_add_co_u32 v1, vcc_lo, s0, v1
	v_add_co_ci_u32_e64 v2, null, s1, v2, vcc_lo
	s_lshl_b64 s[0:1], s[6:7], 9
	s_mov_b32 s7, 0
	s_inst_prefetch 0x1
	s_branch .LBB598_18
	.p2align	6
.LBB598_16:                             ;   in Loop: Header=BB598_18 Depth=1
	s_or_b32 exec_lo, exec_lo, s13
	flat_store_short_d16_hi v[1:2], v5
.LBB598_17:                             ;   in Loop: Header=BB598_18 Depth=1
	s_or_b32 exec_lo, exec_lo, s12
	v_add_co_u32 v1, vcc_lo, v1, s0
	v_add_co_ci_u32_e64 v2, null, s1, v2, vcc_lo
	s_addk_i32 s7, 0x100
	s_cmp_ge_i32 s7, s3
	s_cbranch_scc1 .LBB598_23
.LBB598_18:                             ; =>This Inner Loop Header: Depth=1
	v_add_nc_u32_e32 v4, s7, v0
	s_mov_b32 s12, exec_lo
	v_cmpx_gt_i32_e64 s3, v4
	s_cbranch_execz .LBB598_17
; %bb.19:                               ;   in Loop: Header=BB598_18 Depth=1
	flat_load_ushort v4, v[1:2]
	s_waitcnt vmcnt(0) lgkmcnt(0)
	v_lshlrev_b32_e32 v4, 16, v4
	v_mul_f32_e32 v4, s18, v4
	v_and_b32_e32 v5, 0x7f800000, v4
	v_cmp_ne_u32_e32 vcc_lo, 0x7f800000, v5
                                        ; implicit-def: $vgpr5
	s_and_saveexec_b32 s13, vcc_lo
	s_xor_b32 s13, exec_lo, s13
; %bb.20:                               ;   in Loop: Header=BB598_18 Depth=1
	v_bfe_u32 v5, v4, 16, 1
	v_add3_u32 v5, v4, v5, 0x7fff
                                        ; implicit-def: $vgpr4
; %bb.21:                               ;   in Loop: Header=BB598_18 Depth=1
	s_andn2_saveexec_b32 s13, s13
	s_cbranch_execz .LBB598_16
; %bb.22:                               ;   in Loop: Header=BB598_18 Depth=1
	v_or_b32_e32 v5, 0x10000, v4
	v_cmp_eq_u32_sdwa vcc_lo, v4, v3 src0_sel:WORD_0 src1_sel:DWORD
	v_cndmask_b32_e32 v5, v5, v4, vcc_lo
	s_branch .LBB598_16
.LBB598_23:
	s_inst_prefetch 0x2
	s_mov_b32 s0, 0
.LBB598_24:
	s_andn2_b32 vcc_lo, exec_lo, s0
	s_cbranch_vccnz .LBB598_74
; %bb.25:
	s_mov_b32 s0, exec_lo
	s_waitcnt lgkmcnt(0)
	v_cmpx_gt_i32_e64 s2, v0
	s_cbranch_execz .LBB598_31
; %bb.26:
	s_load_dword s1, s[4:5], 0x48
	s_waitcnt lgkmcnt(0)
	v_mad_i64_i32 v[1:2], null, s1, v0, 0
	v_lshlrev_b64 v[1:2], 1, v[1:2]
	v_add_co_u32 v1, vcc_lo, s16, v1
	v_add_co_ci_u32_e64 v2, null, s17, v2, vcc_lo
	flat_load_ushort v1, v[1:2]
	s_waitcnt vmcnt(0) lgkmcnt(0)
	v_lshlrev_b32_e32 v1, 16, v1
	v_mul_f32_e32 v1, s19, v1
	v_and_b32_e32 v2, 0x7f800000, v1
	v_cmp_ne_u32_e32 vcc_lo, 0x7f800000, v2
                                        ; implicit-def: $vgpr2
	s_and_saveexec_b32 s1, vcc_lo
	s_xor_b32 s1, exec_lo, s1
; %bb.27:
	v_bfe_u32 v2, v1, 16, 1
	v_add3_u32 v2, v1, v2, 0x7fff
                                        ; implicit-def: $vgpr1
; %bb.28:
	s_andn2_saveexec_b32 s1, s1
; %bb.29:
	v_mov_b32_e32 v2, 0
	v_or_b32_e32 v3, 0x10000, v1
	v_cmp_eq_u32_sdwa vcc_lo, v1, v2 src0_sel:WORD_0 src1_sel:DWORD
	v_cndmask_b32_e32 v2, v3, v1, vcc_lo
; %bb.30:
	s_or_b32 exec_lo, exec_lo, s1
	v_and_b32_e32 v1, 0xffff0000, v2
	v_lshlrev_b32_e32 v2, 2, v0
	ds_write_b32 v2, v1
.LBB598_31:
	s_or_b32 exec_lo, exec_lo, s0
	s_cmp_lt_i32 s3, 1
	s_waitcnt lgkmcnt(0)
	s_waitcnt_vscnt null, 0x0
	s_barrier
	buffer_gl0_inv
	s_cbranch_scc1 .LBB598_74
; %bb.32:
	s_load_dword s0, s[4:5], 0x28
	s_lshl_b64 s[4:5], s[14:15], 1
	v_mov_b32_e32 v7, 0
	s_add_u32 s4, s10, s4
	s_addc_u32 s5, s11, s5
	s_ashr_i32 s7, s6, 31
	v_cmp_neq_f32_e64 s10, s18, 0
	s_waitcnt lgkmcnt(0)
	v_mad_i64_i32 v[1:2], null, s0, v0, 0
	s_ashr_i32 s1, s0, 31
	s_cmp_gt_i32 s2, 0
	s_cselect_b32 s11, -1, 0
	s_and_b32 s12, s2, 3
	s_cmp_gt_u32 s2, 3
	v_lshlrev_b64 v[1:2], 1, v[1:2]
	s_cselect_b32 s13, -1, 0
	s_and_b32 s2, s2, 0x7ffffffc
	s_cmp_lg_u32 s12, 0
	s_cselect_b32 s14, -1, 0
	v_add_co_u32 v1, vcc_lo, s8, v1
	v_add_co_ci_u32_e64 v2, null, s9, v2, vcc_lo
	s_mov_b32 s8, 0
	s_lshl_b64 s[0:1], s[0:1], 9
	s_branch .LBB598_35
.LBB598_33:                             ;   in Loop: Header=BB598_35 Depth=1
	s_or_b32 exec_lo, exec_lo, s15
	v_add_co_u32 v3, vcc_lo, s4, v3
	v_add_co_ci_u32_e64 v4, null, s5, v4, vcc_lo
	flat_store_short_d16_hi v[3:4], v5
.LBB598_34:                             ;   in Loop: Header=BB598_35 Depth=1
	s_or_b32 exec_lo, exec_lo, s9
	v_add_co_u32 v1, vcc_lo, v1, s0
	v_add_co_ci_u32_e64 v2, null, s1, v2, vcc_lo
	s_addk_i32 s8, 0x100
	s_cmp_ge_i32 s8, s3
	s_cbranch_scc1 .LBB598_74
.LBB598_35:                             ; =>This Loop Header: Depth=1
                                        ;     Child Loop BB598_46 Depth 2
                                        ;     Child Loop BB598_66 Depth 2
	v_add_nc_u32_e32 v3, s8, v0
	s_mov_b32 s9, exec_lo
	v_cmpx_gt_i32_e64 s3, v3
	s_cbranch_execz .LBB598_34
; %bb.36:                               ;   in Loop: Header=BB598_35 Depth=1
	v_mad_u64_u32 v[4:5], null, v3, s6, 0
	s_andn2_b32 vcc_lo, exec_lo, s10
	v_mad_u64_u32 v[5:6], null, v3, s7, v[5:6]
	v_lshlrev_b64 v[3:4], 1, v[4:5]
	s_cbranch_vccnz .LBB598_42
; %bb.37:                               ;   in Loop: Header=BB598_35 Depth=1
	v_add_co_u32 v5, vcc_lo, s4, v3
	v_add_co_ci_u32_e64 v6, null, s5, v4, vcc_lo
	flat_load_ushort v5, v[5:6]
	s_waitcnt vmcnt(0) lgkmcnt(0)
	v_lshlrev_b32_e32 v5, 16, v5
	v_mul_f32_e32 v5, s18, v5
	v_and_b32_e32 v6, 0x7f800000, v5
	v_cmp_ne_u32_e32 vcc_lo, 0x7f800000, v6
                                        ; implicit-def: $vgpr6
	s_and_saveexec_b32 s15, vcc_lo
	s_xor_b32 s15, exec_lo, s15
; %bb.38:                               ;   in Loop: Header=BB598_35 Depth=1
	v_bfe_u32 v6, v5, 16, 1
	v_add3_u32 v6, v5, v6, 0x7fff
                                        ; implicit-def: $vgpr5
; %bb.39:                               ;   in Loop: Header=BB598_35 Depth=1
	s_andn2_saveexec_b32 s15, s15
; %bb.40:                               ;   in Loop: Header=BB598_35 Depth=1
	v_or_b32_e32 v6, 0x10000, v5
	v_cmp_eq_u32_sdwa vcc_lo, v5, v7 src0_sel:WORD_0 src1_sel:DWORD
	v_cndmask_b32_e32 v6, v6, v5, vcc_lo
; %bb.41:                               ;   in Loop: Header=BB598_35 Depth=1
	s_or_b32 exec_lo, exec_lo, s15
	v_and_b32_e32 v5, 0xffff0000, v6
	v_cvt_i32_f32_e32 v5, v5
	v_cvt_f32_i32_e32 v8, v5
	s_andn2_b32 vcc_lo, exec_lo, s11
	s_cbranch_vccz .LBB598_43
	s_branch .LBB598_70
.LBB598_42:                             ;   in Loop: Header=BB598_35 Depth=1
	v_mov_b32_e32 v8, 0
	s_andn2_b32 vcc_lo, exec_lo, s11
	s_cbranch_vccnz .LBB598_70
.LBB598_43:                             ;   in Loop: Header=BB598_35 Depth=1
	s_andn2_b32 vcc_lo, exec_lo, s13
	s_mov_b32 s15, 0
	s_cbranch_vccnz .LBB598_63
; %bb.44:                               ;   in Loop: Header=BB598_35 Depth=1
	v_mov_b32_e32 v6, v2
	v_mov_b32_e32 v5, v1
	s_mov_b32 s16, 0
	s_branch .LBB598_46
.LBB598_45:                             ;   in Loop: Header=BB598_46 Depth=2
	s_or_b32 exec_lo, exec_lo, s17
	v_and_b32_e32 v9, 0xffff0000, v9
	v_and_b32_e32 v10, 0xffff0000, v10
	v_add_co_u32 v5, vcc_lo, v5, 8
	v_add_co_ci_u32_e64 v6, null, 0, v6, vcc_lo
	v_add_f32_e32 v8, v8, v9
	v_and_b32_e32 v9, 0xffff0000, v11
	s_add_i32 s16, s16, 4
	s_add_i32 s15, s15, 16
	s_cmp_eq_u32 s2, s16
	v_add_f32_e32 v8, v8, v10
	v_and_b32_e32 v10, 0xffff0000, v12
	v_add_f32_e32 v8, v8, v9
	v_add_f32_e32 v8, v8, v10
	s_cbranch_scc1 .LBB598_62
.LBB598_46:                             ;   Parent Loop BB598_35 Depth=1
                                        ; =>  This Inner Loop Header: Depth=2
	flat_load_ushort v9, v[5:6]
	v_mov_b32_e32 v10, s15
	ds_read_b32 v10, v10
	s_waitcnt vmcnt(0) lgkmcnt(1)
	v_lshlrev_b32_e32 v9, 16, v9
	s_waitcnt lgkmcnt(0)
	v_mul_f32_e32 v10, v10, v9
	v_and_b32_e32 v9, 0x7f800000, v10
	v_cmp_ne_u32_e32 vcc_lo, 0x7f800000, v9
                                        ; implicit-def: $vgpr9
	s_and_saveexec_b32 s17, vcc_lo
	s_xor_b32 s17, exec_lo, s17
; %bb.47:                               ;   in Loop: Header=BB598_46 Depth=2
	v_bfe_u32 v9, v10, 16, 1
	v_add3_u32 v9, v10, v9, 0x7fff
                                        ; implicit-def: $vgpr10
; %bb.48:                               ;   in Loop: Header=BB598_46 Depth=2
	s_andn2_saveexec_b32 s17, s17
; %bb.49:                               ;   in Loop: Header=BB598_46 Depth=2
	v_or_b32_e32 v9, 0x10000, v10
	v_cmp_eq_u32_sdwa vcc_lo, v10, v7 src0_sel:WORD_0 src1_sel:DWORD
	v_cndmask_b32_e32 v9, v9, v10, vcc_lo
; %bb.50:                               ;   in Loop: Header=BB598_46 Depth=2
	s_or_b32 exec_lo, exec_lo, s17
	flat_load_ushort v10, v[5:6] offset:2
	v_mov_b32_e32 v11, s15
	ds_read_b32 v11, v11 offset:4
	s_waitcnt vmcnt(0) lgkmcnt(1)
	v_lshlrev_b32_e32 v10, 16, v10
	s_waitcnt lgkmcnt(0)
	v_mul_f32_e32 v11, v11, v10
	v_and_b32_e32 v10, 0x7f800000, v11
	v_cmp_ne_u32_e32 vcc_lo, 0x7f800000, v10
                                        ; implicit-def: $vgpr10
	s_and_saveexec_b32 s17, vcc_lo
	s_xor_b32 s17, exec_lo, s17
; %bb.51:                               ;   in Loop: Header=BB598_46 Depth=2
	v_bfe_u32 v10, v11, 16, 1
	v_add3_u32 v10, v11, v10, 0x7fff
                                        ; implicit-def: $vgpr11
; %bb.52:                               ;   in Loop: Header=BB598_46 Depth=2
	s_andn2_saveexec_b32 s17, s17
; %bb.53:                               ;   in Loop: Header=BB598_46 Depth=2
	v_or_b32_e32 v10, 0x10000, v11
	v_cmp_eq_u32_sdwa vcc_lo, v11, v7 src0_sel:WORD_0 src1_sel:DWORD
	v_cndmask_b32_e32 v10, v10, v11, vcc_lo
; %bb.54:                               ;   in Loop: Header=BB598_46 Depth=2
	s_or_b32 exec_lo, exec_lo, s17
	flat_load_ushort v11, v[5:6] offset:4
	v_mov_b32_e32 v12, s15
	ds_read_b32 v12, v12 offset:8
	s_waitcnt vmcnt(0) lgkmcnt(1)
	v_lshlrev_b32_e32 v11, 16, v11
	s_waitcnt lgkmcnt(0)
	v_mul_f32_e32 v12, v12, v11
	v_and_b32_e32 v11, 0x7f800000, v12
	v_cmp_ne_u32_e32 vcc_lo, 0x7f800000, v11
                                        ; implicit-def: $vgpr11
	s_and_saveexec_b32 s17, vcc_lo
	s_xor_b32 s17, exec_lo, s17
; %bb.55:                               ;   in Loop: Header=BB598_46 Depth=2
	v_bfe_u32 v11, v12, 16, 1
	v_add3_u32 v11, v12, v11, 0x7fff
                                        ; implicit-def: $vgpr12
; %bb.56:                               ;   in Loop: Header=BB598_46 Depth=2
	s_andn2_saveexec_b32 s17, s17
; %bb.57:                               ;   in Loop: Header=BB598_46 Depth=2
	v_or_b32_e32 v11, 0x10000, v12
	v_cmp_eq_u32_sdwa vcc_lo, v12, v7 src0_sel:WORD_0 src1_sel:DWORD
	v_cndmask_b32_e32 v11, v11, v12, vcc_lo
; %bb.58:                               ;   in Loop: Header=BB598_46 Depth=2
	s_or_b32 exec_lo, exec_lo, s17
	flat_load_ushort v12, v[5:6] offset:6
	v_mov_b32_e32 v13, s15
	ds_read_b32 v13, v13 offset:12
	s_waitcnt vmcnt(0) lgkmcnt(1)
	v_lshlrev_b32_e32 v12, 16, v12
	s_waitcnt lgkmcnt(0)
	v_mul_f32_e32 v13, v13, v12
	v_and_b32_e32 v12, 0x7f800000, v13
	v_cmp_ne_u32_e32 vcc_lo, 0x7f800000, v12
                                        ; implicit-def: $vgpr12
	s_and_saveexec_b32 s17, vcc_lo
	s_xor_b32 s17, exec_lo, s17
; %bb.59:                               ;   in Loop: Header=BB598_46 Depth=2
	v_bfe_u32 v12, v13, 16, 1
	v_add3_u32 v12, v13, v12, 0x7fff
                                        ; implicit-def: $vgpr13
; %bb.60:                               ;   in Loop: Header=BB598_46 Depth=2
	s_andn2_saveexec_b32 s17, s17
	s_cbranch_execz .LBB598_45
; %bb.61:                               ;   in Loop: Header=BB598_46 Depth=2
	v_or_b32_e32 v12, 0x10000, v13
	v_cmp_eq_u32_sdwa vcc_lo, v13, v7 src0_sel:WORD_0 src1_sel:DWORD
	v_cndmask_b32_e32 v12, v12, v13, vcc_lo
	s_branch .LBB598_45
.LBB598_62:                             ;   in Loop: Header=BB598_35 Depth=1
	s_mov_b32 s15, s2
.LBB598_63:                             ;   in Loop: Header=BB598_35 Depth=1
	s_andn2_b32 vcc_lo, exec_lo, s14
	s_cbranch_vccnz .LBB598_70
; %bb.64:                               ;   in Loop: Header=BB598_35 Depth=1
	s_lshl_b32 s16, s15, 1
	s_lshl_b32 s15, s15, 2
	v_add_co_u32 v5, vcc_lo, v1, s16
	v_add_co_ci_u32_e64 v6, null, 0, v2, vcc_lo
	s_mov_b32 s16, s12
	s_inst_prefetch 0x1
	s_branch .LBB598_66
	.p2align	6
.LBB598_65:                             ;   in Loop: Header=BB598_66 Depth=2
	s_or_b32 exec_lo, exec_lo, s17
	v_and_b32_e32 v9, 0xffff0000, v10
	v_add_co_u32 v5, vcc_lo, v5, 2
	v_add_co_ci_u32_e64 v6, null, 0, v6, vcc_lo
	v_add_f32_e32 v8, v8, v9
	s_add_i32 s16, s16, -1
	s_add_i32 s15, s15, 4
	s_cmp_lg_u32 s16, 0
	s_cbranch_scc0 .LBB598_70
.LBB598_66:                             ;   Parent Loop BB598_35 Depth=1
                                        ; =>  This Inner Loop Header: Depth=2
	flat_load_ushort v9, v[5:6]
	v_mov_b32_e32 v10, s15
	ds_read_b32 v10, v10
	s_waitcnt vmcnt(0) lgkmcnt(1)
	v_lshlrev_b32_e32 v9, 16, v9
	s_waitcnt lgkmcnt(0)
	v_mul_f32_e32 v9, v10, v9
	v_and_b32_e32 v10, 0x7f800000, v9
	v_cmp_ne_u32_e32 vcc_lo, 0x7f800000, v10
                                        ; implicit-def: $vgpr10
	s_and_saveexec_b32 s17, vcc_lo
	s_xor_b32 s17, exec_lo, s17
; %bb.67:                               ;   in Loop: Header=BB598_66 Depth=2
	v_bfe_u32 v10, v9, 16, 1
	v_add3_u32 v10, v9, v10, 0x7fff
                                        ; implicit-def: $vgpr9
; %bb.68:                               ;   in Loop: Header=BB598_66 Depth=2
	s_andn2_saveexec_b32 s17, s17
	s_cbranch_execz .LBB598_65
; %bb.69:                               ;   in Loop: Header=BB598_66 Depth=2
	v_or_b32_e32 v10, 0x10000, v9
	v_cmp_eq_u32_sdwa vcc_lo, v9, v7 src0_sel:WORD_0 src1_sel:DWORD
	v_cndmask_b32_e32 v10, v10, v9, vcc_lo
	s_branch .LBB598_65
.LBB598_70:                             ;   in Loop: Header=BB598_35 Depth=1
	s_inst_prefetch 0x2
	v_and_b32_e32 v5, 0x7f800000, v8
	v_cmp_ne_u32_e32 vcc_lo, 0x7f800000, v5
                                        ; implicit-def: $vgpr5
	s_and_saveexec_b32 s15, vcc_lo
	s_xor_b32 s15, exec_lo, s15
; %bb.71:                               ;   in Loop: Header=BB598_35 Depth=1
	v_bfe_u32 v5, v8, 16, 1
	v_add3_u32 v5, v8, v5, 0x7fff
                                        ; implicit-def: $vgpr8
; %bb.72:                               ;   in Loop: Header=BB598_35 Depth=1
	s_andn2_saveexec_b32 s15, s15
	s_cbranch_execz .LBB598_33
; %bb.73:                               ;   in Loop: Header=BB598_35 Depth=1
	v_or_b32_e32 v5, 0x10000, v8
	v_cmp_eq_u32_sdwa vcc_lo, v8, v7 src0_sel:WORD_0 src1_sel:DWORD
	v_cndmask_b32_e32 v5, v5, v8, vcc_lo
	s_branch .LBB598_33
.LBB598_74:
	s_endpgm
	.section	.rodata,"a",@progbits
	.p2align	6, 0x0
	.amdhsa_kernel _ZL22rocblas_gemvtsm_kernelILb0ELi256EPK16rocblas_bfloat16PKfKPS0_EviiT2_lPKT1_lilSA_lilS7_lPT3_lil
		.amdhsa_group_segment_fixed_size 256
		.amdhsa_private_segment_fixed_size 0
		.amdhsa_kernarg_size 136
		.amdhsa_user_sgpr_count 6
		.amdhsa_user_sgpr_private_segment_buffer 1
		.amdhsa_user_sgpr_dispatch_ptr 0
		.amdhsa_user_sgpr_queue_ptr 0
		.amdhsa_user_sgpr_kernarg_segment_ptr 1
		.amdhsa_user_sgpr_dispatch_id 0
		.amdhsa_user_sgpr_flat_scratch_init 0
		.amdhsa_user_sgpr_private_segment_size 0
		.amdhsa_wavefront_size32 1
		.amdhsa_uses_dynamic_stack 0
		.amdhsa_system_sgpr_private_segment_wavefront_offset 0
		.amdhsa_system_sgpr_workgroup_id_x 1
		.amdhsa_system_sgpr_workgroup_id_y 0
		.amdhsa_system_sgpr_workgroup_id_z 0
		.amdhsa_system_sgpr_workgroup_info 0
		.amdhsa_system_vgpr_workitem_id 0
		.amdhsa_next_free_vgpr 14
		.amdhsa_next_free_sgpr 24
		.amdhsa_reserve_vcc 1
		.amdhsa_reserve_flat_scratch 0
		.amdhsa_float_round_mode_32 0
		.amdhsa_float_round_mode_16_64 0
		.amdhsa_float_denorm_mode_32 3
		.amdhsa_float_denorm_mode_16_64 3
		.amdhsa_dx10_clamp 1
		.amdhsa_ieee_mode 1
		.amdhsa_fp16_overflow 0
		.amdhsa_workgroup_processor_mode 1
		.amdhsa_memory_ordered 1
		.amdhsa_forward_progress 1
		.amdhsa_shared_vgpr_count 0
		.amdhsa_exception_fp_ieee_invalid_op 0
		.amdhsa_exception_fp_denorm_src 0
		.amdhsa_exception_fp_ieee_div_zero 0
		.amdhsa_exception_fp_ieee_overflow 0
		.amdhsa_exception_fp_ieee_underflow 0
		.amdhsa_exception_fp_ieee_inexact 0
		.amdhsa_exception_int_div_zero 0
	.end_amdhsa_kernel
	.section	.text._ZL22rocblas_gemvtsm_kernelILb0ELi256EPK16rocblas_bfloat16PKfKPS0_EviiT2_lPKT1_lilSA_lilS7_lPT3_lil,"axG",@progbits,_ZL22rocblas_gemvtsm_kernelILb0ELi256EPK16rocblas_bfloat16PKfKPS0_EviiT2_lPKT1_lilSA_lilS7_lPT3_lil,comdat
.Lfunc_end598:
	.size	_ZL22rocblas_gemvtsm_kernelILb0ELi256EPK16rocblas_bfloat16PKfKPS0_EviiT2_lPKT1_lilSA_lilS7_lPT3_lil, .Lfunc_end598-_ZL22rocblas_gemvtsm_kernelILb0ELi256EPK16rocblas_bfloat16PKfKPS0_EviiT2_lPKT1_lilSA_lilS7_lPT3_lil
                                        ; -- End function
	.set _ZL22rocblas_gemvtsm_kernelILb0ELi256EPK16rocblas_bfloat16PKfKPS0_EviiT2_lPKT1_lilSA_lilS7_lPT3_lil.num_vgpr, 14
	.set _ZL22rocblas_gemvtsm_kernelILb0ELi256EPK16rocblas_bfloat16PKfKPS0_EviiT2_lPKT1_lilSA_lilS7_lPT3_lil.num_agpr, 0
	.set _ZL22rocblas_gemvtsm_kernelILb0ELi256EPK16rocblas_bfloat16PKfKPS0_EviiT2_lPKT1_lilSA_lilS7_lPT3_lil.numbered_sgpr, 24
	.set _ZL22rocblas_gemvtsm_kernelILb0ELi256EPK16rocblas_bfloat16PKfKPS0_EviiT2_lPKT1_lilSA_lilS7_lPT3_lil.num_named_barrier, 0
	.set _ZL22rocblas_gemvtsm_kernelILb0ELi256EPK16rocblas_bfloat16PKfKPS0_EviiT2_lPKT1_lilSA_lilS7_lPT3_lil.private_seg_size, 0
	.set _ZL22rocblas_gemvtsm_kernelILb0ELi256EPK16rocblas_bfloat16PKfKPS0_EviiT2_lPKT1_lilSA_lilS7_lPT3_lil.uses_vcc, 1
	.set _ZL22rocblas_gemvtsm_kernelILb0ELi256EPK16rocblas_bfloat16PKfKPS0_EviiT2_lPKT1_lilSA_lilS7_lPT3_lil.uses_flat_scratch, 0
	.set _ZL22rocblas_gemvtsm_kernelILb0ELi256EPK16rocblas_bfloat16PKfKPS0_EviiT2_lPKT1_lilSA_lilS7_lPT3_lil.has_dyn_sized_stack, 0
	.set _ZL22rocblas_gemvtsm_kernelILb0ELi256EPK16rocblas_bfloat16PKfKPS0_EviiT2_lPKT1_lilSA_lilS7_lPT3_lil.has_recursion, 0
	.set _ZL22rocblas_gemvtsm_kernelILb0ELi256EPK16rocblas_bfloat16PKfKPS0_EviiT2_lPKT1_lilSA_lilS7_lPT3_lil.has_indirect_call, 0
	.section	.AMDGPU.csdata,"",@progbits
; Kernel info:
; codeLenInByte = 2228
; TotalNumSgprs: 26
; NumVgprs: 14
; ScratchSize: 0
; MemoryBound: 0
; FloatMode: 240
; IeeeMode: 1
; LDSByteSize: 256 bytes/workgroup (compile time only)
; SGPRBlocks: 0
; VGPRBlocks: 1
; NumSGPRsForWavesPerEU: 26
; NumVGPRsForWavesPerEU: 14
; Occupancy: 16
; WaveLimiterHint : 1
; COMPUTE_PGM_RSRC2:SCRATCH_EN: 0
; COMPUTE_PGM_RSRC2:USER_SGPR: 6
; COMPUTE_PGM_RSRC2:TRAP_HANDLER: 0
; COMPUTE_PGM_RSRC2:TGID_X_EN: 1
; COMPUTE_PGM_RSRC2:TGID_Y_EN: 0
; COMPUTE_PGM_RSRC2:TGID_Z_EN: 0
; COMPUTE_PGM_RSRC2:TIDIG_COMP_CNT: 0
	.section	.text._ZL22rocblas_gemvtsm_kernelILb0ELi256EPK16rocblas_bfloat16fKPS0_EviiT2_lPKT1_lilS8_lilS5_lPT3_lil,"axG",@progbits,_ZL22rocblas_gemvtsm_kernelILb0ELi256EPK16rocblas_bfloat16fKPS0_EviiT2_lPKT1_lilS8_lilS5_lPT3_lil,comdat
	.globl	_ZL22rocblas_gemvtsm_kernelILb0ELi256EPK16rocblas_bfloat16fKPS0_EviiT2_lPKT1_lilS8_lilS5_lPT3_lil ; -- Begin function _ZL22rocblas_gemvtsm_kernelILb0ELi256EPK16rocblas_bfloat16fKPS0_EviiT2_lPKT1_lilS8_lilS5_lPT3_lil
	.p2align	8
	.type	_ZL22rocblas_gemvtsm_kernelILb0ELi256EPK16rocblas_bfloat16fKPS0_EviiT2_lPKT1_lilS8_lilS5_lPT3_lil,@function
_ZL22rocblas_gemvtsm_kernelILb0ELi256EPK16rocblas_bfloat16fKPS0_EviiT2_lPKT1_lilS8_lilS5_lPT3_lil: ; @_ZL22rocblas_gemvtsm_kernelILb0ELi256EPK16rocblas_bfloat16fKPS0_EviiT2_lPKT1_lilS8_lilS5_lPT3_lil
; %bb.0:
	s_load_dwordx4 s[8:11], s[4:5], 0x0
	s_waitcnt lgkmcnt(0)
	s_load_dword s11, s[4:5], 0x58
	s_mov_b32 s7, 0
	v_cmp_eq_f32_e64 s18, s10, 0
	s_waitcnt lgkmcnt(0)
	v_cmp_eq_f32_e64 s0, s11, 1.0
	s_and_b32 s0, s18, s0
	s_and_b32 vcc_lo, exec_lo, s0
	s_cbranch_vccnz .LBB599_76
; %bb.1:
	v_cmp_neq_f32_e64 s0, s10, 0
	s_and_b32 vcc_lo, exec_lo, s0
	s_cbranch_vccnz .LBB599_3
; %bb.2:
	s_mov_b32 s15, 0
	s_mov_b32 s14, s6
	;; [unrolled: 1-line block ×3, first 2 shown]
	s_mov_b64 s[16:17], 0
	s_andn2_b32 vcc_lo, exec_lo, s1
	s_mov_b64 s[12:13], 0
	s_cbranch_vccz .LBB599_4
	s_branch .LBB599_5
.LBB599_3:
	s_mov_b64 s[14:15], s[6:7]
	s_mov_b64 s[16:17], 0
	;; [unrolled: 1-line block ×3, first 2 shown]
.LBB599_4:
	s_load_dwordx4 s[20:23], s[4:5], 0x18
	s_lshl_b64 s[2:3], s[6:7], 3
	s_waitcnt lgkmcnt(0)
	s_add_u32 s2, s20, s2
	s_addc_u32 s3, s21, s3
	s_lshl_b64 s[6:7], s[22:23], 1
	s_load_dwordx2 s[2:3], s[2:3], 0x0
	s_waitcnt lgkmcnt(0)
	s_add_u32 s12, s2, s6
	s_addc_u32 s13, s3, s7
.LBB599_5:
	s_andn2_b32 vcc_lo, exec_lo, s0
	s_cbranch_vccnz .LBB599_7
; %bb.6:
	s_load_dwordx4 s[0:3], s[4:5], 0x38
	s_lshl_b64 s[6:7], s[14:15], 3
	s_waitcnt lgkmcnt(0)
	s_add_u32 s0, s0, s6
	s_addc_u32 s1, s1, s7
	s_lshl_b64 s[2:3], s[2:3], 1
	s_load_dwordx2 s[0:1], s[0:1], 0x0
	s_waitcnt lgkmcnt(0)
	s_add_u32 s16, s0, s2
	s_addc_u32 s17, s1, s3
.LBB599_7:
	s_clause 0x1
	s_load_dwordx4 s[0:3], s[4:5], 0x68
	s_load_dword s6, s[4:5], 0x78
	s_lshl_b64 s[14:15], s[14:15], 3
	s_waitcnt lgkmcnt(0)
	s_add_u32 s0, s0, s14
	s_addc_u32 s1, s1, s15
	s_andn2_b32 vcc_lo, exec_lo, s18
	s_load_dwordx2 s[14:15], s[0:1], 0x0
	s_mov_b32 s0, -1
	s_cbranch_vccnz .LBB599_26
; %bb.8:
	s_cmp_gt_i32 s9, 0
	v_cmp_neq_f32_e64 s0, s11, 0
	s_cselect_b32 s18, -1, 0
	v_cndmask_b32_e64 v1, 0, 1, s18
	s_and_b32 vcc_lo, exec_lo, s0
	v_cmp_ne_u32_e64 s0, 1, v1
	s_cbranch_vccnz .LBB599_15
; %bb.9:
	s_and_b32 vcc_lo, exec_lo, s0
	s_cbranch_vccnz .LBB599_14
; %bb.10:
	v_mad_i64_i32 v[1:2], null, s6, v0, 0
	s_lshl_b64 s[0:1], s[2:3], 1
	s_ashr_i32 s7, s6, 31
	s_waitcnt lgkmcnt(0)
	s_add_u32 s0, s14, s0
	s_addc_u32 s1, s15, s1
	v_mov_b32_e32 v3, 0
	v_lshlrev_b64 v[1:2], 1, v[1:2]
	v_add_co_u32 v1, vcc_lo, s0, v1
	v_add_co_ci_u32_e64 v2, null, s1, v2, vcc_lo
	s_lshl_b64 s[0:1], s[6:7], 9
	s_mov_b32 s7, 0
	s_branch .LBB599_12
.LBB599_11:                             ;   in Loop: Header=BB599_12 Depth=1
	s_or_b32 exec_lo, exec_lo, s19
	v_add_co_u32 v1, vcc_lo, v1, s0
	v_add_co_ci_u32_e64 v2, null, s1, v2, vcc_lo
	s_addk_i32 s7, 0x100
	s_cmp_ge_i32 s7, s9
	s_cbranch_scc1 .LBB599_14
.LBB599_12:                             ; =>This Inner Loop Header: Depth=1
	v_add_nc_u32_e32 v4, s7, v0
	s_mov_b32 s19, exec_lo
	v_cmpx_gt_i32_e64 s9, v4
	s_cbranch_execz .LBB599_11
; %bb.13:                               ;   in Loop: Header=BB599_12 Depth=1
	flat_store_short v[1:2], v3
	s_branch .LBB599_11
.LBB599_14:
	s_cbranch_execz .LBB599_16
	s_branch .LBB599_25
.LBB599_15:
.LBB599_16:
	s_andn2_b32 vcc_lo, exec_lo, s18
	s_cbranch_vccnz .LBB599_25
; %bb.17:
	v_mad_i64_i32 v[1:2], null, s6, v0, 0
	s_lshl_b64 s[0:1], s[2:3], 1
	s_ashr_i32 s7, s6, 31
	s_waitcnt lgkmcnt(0)
	s_add_u32 s0, s14, s0
	s_addc_u32 s1, s15, s1
	v_mov_b32_e32 v3, 0
	v_lshlrev_b64 v[1:2], 1, v[1:2]
	v_add_co_u32 v1, vcc_lo, s0, v1
	v_add_co_ci_u32_e64 v2, null, s1, v2, vcc_lo
	s_lshl_b64 s[0:1], s[6:7], 9
	s_mov_b32 s7, 0
	s_inst_prefetch 0x1
	s_branch .LBB599_20
	.p2align	6
.LBB599_18:                             ;   in Loop: Header=BB599_20 Depth=1
	s_or_b32 exec_lo, exec_lo, s19
	flat_store_short_d16_hi v[1:2], v5
.LBB599_19:                             ;   in Loop: Header=BB599_20 Depth=1
	s_or_b32 exec_lo, exec_lo, s18
	v_add_co_u32 v1, vcc_lo, v1, s0
	v_add_co_ci_u32_e64 v2, null, s1, v2, vcc_lo
	s_addk_i32 s7, 0x100
	s_cmp_ge_i32 s7, s9
	s_cbranch_scc1 .LBB599_25
.LBB599_20:                             ; =>This Inner Loop Header: Depth=1
	v_add_nc_u32_e32 v4, s7, v0
	s_mov_b32 s18, exec_lo
	v_cmpx_gt_i32_e64 s9, v4
	s_cbranch_execz .LBB599_19
; %bb.21:                               ;   in Loop: Header=BB599_20 Depth=1
	flat_load_ushort v4, v[1:2]
	s_waitcnt vmcnt(0) lgkmcnt(0)
	v_lshlrev_b32_e32 v4, 16, v4
	v_mul_f32_e32 v4, s11, v4
	v_and_b32_e32 v5, 0x7f800000, v4
	v_cmp_ne_u32_e32 vcc_lo, 0x7f800000, v5
                                        ; implicit-def: $vgpr5
	s_and_saveexec_b32 s19, vcc_lo
	s_xor_b32 s19, exec_lo, s19
; %bb.22:                               ;   in Loop: Header=BB599_20 Depth=1
	v_bfe_u32 v5, v4, 16, 1
	v_add3_u32 v5, v4, v5, 0x7fff
                                        ; implicit-def: $vgpr4
; %bb.23:                               ;   in Loop: Header=BB599_20 Depth=1
	s_andn2_saveexec_b32 s19, s19
	s_cbranch_execz .LBB599_18
; %bb.24:                               ;   in Loop: Header=BB599_20 Depth=1
	v_or_b32_e32 v5, 0x10000, v4
	v_cmp_eq_u32_sdwa vcc_lo, v4, v3 src0_sel:WORD_0 src1_sel:DWORD
	v_cndmask_b32_e32 v5, v5, v4, vcc_lo
	s_branch .LBB599_18
.LBB599_25:
	s_inst_prefetch 0x2
	s_mov_b32 s0, 0
.LBB599_26:
	s_andn2_b32 vcc_lo, exec_lo, s0
	s_cbranch_vccnz .LBB599_76
; %bb.27:
	s_mov_b32 s0, exec_lo
	v_cmpx_gt_i32_e64 s8, v0
	s_cbranch_execz .LBB599_33
; %bb.28:
	s_load_dword s1, s[4:5], 0x48
	s_waitcnt lgkmcnt(0)
	v_mad_i64_i32 v[1:2], null, s1, v0, 0
	v_lshlrev_b64 v[1:2], 1, v[1:2]
	v_add_co_u32 v1, vcc_lo, s16, v1
	v_add_co_ci_u32_e64 v2, null, s17, v2, vcc_lo
	flat_load_ushort v1, v[1:2]
	s_waitcnt vmcnt(0) lgkmcnt(0)
	v_lshlrev_b32_e32 v1, 16, v1
	v_mul_f32_e32 v1, s10, v1
	v_and_b32_e32 v2, 0x7f800000, v1
	v_cmp_ne_u32_e32 vcc_lo, 0x7f800000, v2
                                        ; implicit-def: $vgpr2
	s_and_saveexec_b32 s1, vcc_lo
	s_xor_b32 s1, exec_lo, s1
; %bb.29:
	v_bfe_u32 v2, v1, 16, 1
	v_add3_u32 v2, v1, v2, 0x7fff
                                        ; implicit-def: $vgpr1
; %bb.30:
	s_andn2_saveexec_b32 s1, s1
; %bb.31:
	v_mov_b32_e32 v2, 0
	v_or_b32_e32 v3, 0x10000, v1
	v_cmp_eq_u32_sdwa vcc_lo, v1, v2 src0_sel:WORD_0 src1_sel:DWORD
	v_cndmask_b32_e32 v2, v3, v1, vcc_lo
; %bb.32:
	s_or_b32 exec_lo, exec_lo, s1
	v_and_b32_e32 v1, 0xffff0000, v2
	v_lshlrev_b32_e32 v2, 2, v0
	ds_write_b32 v2, v1
.LBB599_33:
	s_or_b32 exec_lo, exec_lo, s0
	s_cmp_lt_i32 s9, 1
	s_waitcnt lgkmcnt(0)
	s_waitcnt_vscnt null, 0x0
	s_barrier
	buffer_gl0_inv
	s_cbranch_scc1 .LBB599_76
; %bb.34:
	s_load_dword s0, s[4:5], 0x28
	s_lshl_b64 s[2:3], s[2:3], 1
	v_cmp_neq_f32_e64 s5, s11, 0
	s_add_u32 s2, s14, s2
	s_addc_u32 s3, s15, s3
	s_ashr_i32 s4, s6, 31
	v_mov_b32_e32 v7, 0
	s_waitcnt lgkmcnt(0)
	v_mad_i64_i32 v[1:2], null, s0, v0, 0
	s_ashr_i32 s1, s0, 31
	s_cmp_gt_i32 s8, 0
	s_cselect_b32 s7, -1, 0
	s_and_b32 s10, s8, 3
	s_cmp_gt_u32 s8, 3
	v_lshlrev_b64 v[1:2], 1, v[1:2]
	s_cselect_b32 s14, -1, 0
	s_and_b32 s8, s8, 0x7ffffffc
	s_cmp_lg_u32 s10, 0
	s_cselect_b32 s15, -1, 0
	v_add_co_u32 v1, vcc_lo, s12, v1
	v_add_co_ci_u32_e64 v2, null, s13, v2, vcc_lo
	s_mov_b32 s12, 0
	s_lshl_b64 s[0:1], s[0:1], 9
	s_branch .LBB599_37
.LBB599_35:                             ;   in Loop: Header=BB599_37 Depth=1
	s_or_b32 exec_lo, exec_lo, s16
	v_add_co_u32 v3, vcc_lo, s2, v3
	v_add_co_ci_u32_e64 v4, null, s3, v4, vcc_lo
	flat_store_short_d16_hi v[3:4], v5
.LBB599_36:                             ;   in Loop: Header=BB599_37 Depth=1
	s_or_b32 exec_lo, exec_lo, s13
	v_add_co_u32 v1, vcc_lo, v1, s0
	v_add_co_ci_u32_e64 v2, null, s1, v2, vcc_lo
	s_addk_i32 s12, 0x100
	s_cmp_ge_i32 s12, s9
	s_cbranch_scc1 .LBB599_76
.LBB599_37:                             ; =>This Loop Header: Depth=1
                                        ;     Child Loop BB599_48 Depth 2
                                        ;     Child Loop BB599_68 Depth 2
	v_add_nc_u32_e32 v3, s12, v0
	s_mov_b32 s13, exec_lo
	v_cmpx_gt_i32_e64 s9, v3
	s_cbranch_execz .LBB599_36
; %bb.38:                               ;   in Loop: Header=BB599_37 Depth=1
	v_mad_u64_u32 v[4:5], null, v3, s6, 0
	s_andn2_b32 vcc_lo, exec_lo, s5
	v_mad_u64_u32 v[5:6], null, v3, s4, v[5:6]
	v_lshlrev_b64 v[3:4], 1, v[4:5]
	s_cbranch_vccnz .LBB599_44
; %bb.39:                               ;   in Loop: Header=BB599_37 Depth=1
	v_add_co_u32 v5, vcc_lo, s2, v3
	v_add_co_ci_u32_e64 v6, null, s3, v4, vcc_lo
	flat_load_ushort v5, v[5:6]
	s_waitcnt vmcnt(0) lgkmcnt(0)
	v_lshlrev_b32_e32 v5, 16, v5
	v_mul_f32_e32 v5, s11, v5
	v_and_b32_e32 v6, 0x7f800000, v5
	v_cmp_ne_u32_e32 vcc_lo, 0x7f800000, v6
                                        ; implicit-def: $vgpr6
	s_and_saveexec_b32 s16, vcc_lo
	s_xor_b32 s16, exec_lo, s16
; %bb.40:                               ;   in Loop: Header=BB599_37 Depth=1
	v_bfe_u32 v6, v5, 16, 1
	v_add3_u32 v6, v5, v6, 0x7fff
                                        ; implicit-def: $vgpr5
; %bb.41:                               ;   in Loop: Header=BB599_37 Depth=1
	s_andn2_saveexec_b32 s16, s16
; %bb.42:                               ;   in Loop: Header=BB599_37 Depth=1
	v_or_b32_e32 v6, 0x10000, v5
	v_cmp_eq_u32_sdwa vcc_lo, v5, v7 src0_sel:WORD_0 src1_sel:DWORD
	v_cndmask_b32_e32 v6, v6, v5, vcc_lo
; %bb.43:                               ;   in Loop: Header=BB599_37 Depth=1
	s_or_b32 exec_lo, exec_lo, s16
	v_and_b32_e32 v5, 0xffff0000, v6
	v_cvt_i32_f32_e32 v5, v5
	v_cvt_f32_i32_e32 v8, v5
	s_andn2_b32 vcc_lo, exec_lo, s7
	s_cbranch_vccz .LBB599_45
	s_branch .LBB599_72
.LBB599_44:                             ;   in Loop: Header=BB599_37 Depth=1
	v_mov_b32_e32 v8, 0
	s_andn2_b32 vcc_lo, exec_lo, s7
	s_cbranch_vccnz .LBB599_72
.LBB599_45:                             ;   in Loop: Header=BB599_37 Depth=1
	s_andn2_b32 vcc_lo, exec_lo, s14
	s_mov_b32 s16, 0
	s_cbranch_vccnz .LBB599_65
; %bb.46:                               ;   in Loop: Header=BB599_37 Depth=1
	v_mov_b32_e32 v6, v2
	v_mov_b32_e32 v5, v1
	s_mov_b32 s17, 0
	s_branch .LBB599_48
.LBB599_47:                             ;   in Loop: Header=BB599_48 Depth=2
	s_or_b32 exec_lo, exec_lo, s18
	v_and_b32_e32 v9, 0xffff0000, v9
	v_and_b32_e32 v10, 0xffff0000, v10
	v_add_co_u32 v5, vcc_lo, v5, 8
	v_add_co_ci_u32_e64 v6, null, 0, v6, vcc_lo
	v_add_f32_e32 v8, v8, v9
	v_and_b32_e32 v9, 0xffff0000, v11
	s_add_i32 s17, s17, 4
	s_add_i32 s16, s16, 16
	s_cmp_eq_u32 s8, s17
	v_add_f32_e32 v8, v8, v10
	v_and_b32_e32 v10, 0xffff0000, v12
	v_add_f32_e32 v8, v8, v9
	v_add_f32_e32 v8, v8, v10
	s_cbranch_scc1 .LBB599_64
.LBB599_48:                             ;   Parent Loop BB599_37 Depth=1
                                        ; =>  This Inner Loop Header: Depth=2
	flat_load_ushort v9, v[5:6]
	v_mov_b32_e32 v10, s16
	ds_read_b32 v10, v10
	s_waitcnt vmcnt(0) lgkmcnt(1)
	v_lshlrev_b32_e32 v9, 16, v9
	s_waitcnt lgkmcnt(0)
	v_mul_f32_e32 v10, v10, v9
	v_and_b32_e32 v9, 0x7f800000, v10
	v_cmp_ne_u32_e32 vcc_lo, 0x7f800000, v9
                                        ; implicit-def: $vgpr9
	s_and_saveexec_b32 s18, vcc_lo
	s_xor_b32 s18, exec_lo, s18
; %bb.49:                               ;   in Loop: Header=BB599_48 Depth=2
	v_bfe_u32 v9, v10, 16, 1
	v_add3_u32 v9, v10, v9, 0x7fff
                                        ; implicit-def: $vgpr10
; %bb.50:                               ;   in Loop: Header=BB599_48 Depth=2
	s_andn2_saveexec_b32 s18, s18
; %bb.51:                               ;   in Loop: Header=BB599_48 Depth=2
	v_or_b32_e32 v9, 0x10000, v10
	v_cmp_eq_u32_sdwa vcc_lo, v10, v7 src0_sel:WORD_0 src1_sel:DWORD
	v_cndmask_b32_e32 v9, v9, v10, vcc_lo
; %bb.52:                               ;   in Loop: Header=BB599_48 Depth=2
	s_or_b32 exec_lo, exec_lo, s18
	flat_load_ushort v10, v[5:6] offset:2
	v_mov_b32_e32 v11, s16
	ds_read_b32 v11, v11 offset:4
	s_waitcnt vmcnt(0) lgkmcnt(1)
	v_lshlrev_b32_e32 v10, 16, v10
	s_waitcnt lgkmcnt(0)
	v_mul_f32_e32 v11, v11, v10
	v_and_b32_e32 v10, 0x7f800000, v11
	v_cmp_ne_u32_e32 vcc_lo, 0x7f800000, v10
                                        ; implicit-def: $vgpr10
	s_and_saveexec_b32 s18, vcc_lo
	s_xor_b32 s18, exec_lo, s18
; %bb.53:                               ;   in Loop: Header=BB599_48 Depth=2
	v_bfe_u32 v10, v11, 16, 1
	v_add3_u32 v10, v11, v10, 0x7fff
                                        ; implicit-def: $vgpr11
; %bb.54:                               ;   in Loop: Header=BB599_48 Depth=2
	s_andn2_saveexec_b32 s18, s18
; %bb.55:                               ;   in Loop: Header=BB599_48 Depth=2
	v_or_b32_e32 v10, 0x10000, v11
	v_cmp_eq_u32_sdwa vcc_lo, v11, v7 src0_sel:WORD_0 src1_sel:DWORD
	v_cndmask_b32_e32 v10, v10, v11, vcc_lo
; %bb.56:                               ;   in Loop: Header=BB599_48 Depth=2
	s_or_b32 exec_lo, exec_lo, s18
	flat_load_ushort v11, v[5:6] offset:4
	v_mov_b32_e32 v12, s16
	ds_read_b32 v12, v12 offset:8
	s_waitcnt vmcnt(0) lgkmcnt(1)
	v_lshlrev_b32_e32 v11, 16, v11
	s_waitcnt lgkmcnt(0)
	v_mul_f32_e32 v12, v12, v11
	v_and_b32_e32 v11, 0x7f800000, v12
	v_cmp_ne_u32_e32 vcc_lo, 0x7f800000, v11
                                        ; implicit-def: $vgpr11
	s_and_saveexec_b32 s18, vcc_lo
	s_xor_b32 s18, exec_lo, s18
; %bb.57:                               ;   in Loop: Header=BB599_48 Depth=2
	v_bfe_u32 v11, v12, 16, 1
	v_add3_u32 v11, v12, v11, 0x7fff
                                        ; implicit-def: $vgpr12
; %bb.58:                               ;   in Loop: Header=BB599_48 Depth=2
	s_andn2_saveexec_b32 s18, s18
; %bb.59:                               ;   in Loop: Header=BB599_48 Depth=2
	v_or_b32_e32 v11, 0x10000, v12
	v_cmp_eq_u32_sdwa vcc_lo, v12, v7 src0_sel:WORD_0 src1_sel:DWORD
	v_cndmask_b32_e32 v11, v11, v12, vcc_lo
; %bb.60:                               ;   in Loop: Header=BB599_48 Depth=2
	s_or_b32 exec_lo, exec_lo, s18
	flat_load_ushort v12, v[5:6] offset:6
	v_mov_b32_e32 v13, s16
	ds_read_b32 v13, v13 offset:12
	s_waitcnt vmcnt(0) lgkmcnt(1)
	v_lshlrev_b32_e32 v12, 16, v12
	s_waitcnt lgkmcnt(0)
	v_mul_f32_e32 v13, v13, v12
	v_and_b32_e32 v12, 0x7f800000, v13
	v_cmp_ne_u32_e32 vcc_lo, 0x7f800000, v12
                                        ; implicit-def: $vgpr12
	s_and_saveexec_b32 s18, vcc_lo
	s_xor_b32 s18, exec_lo, s18
; %bb.61:                               ;   in Loop: Header=BB599_48 Depth=2
	v_bfe_u32 v12, v13, 16, 1
	v_add3_u32 v12, v13, v12, 0x7fff
                                        ; implicit-def: $vgpr13
; %bb.62:                               ;   in Loop: Header=BB599_48 Depth=2
	s_andn2_saveexec_b32 s18, s18
	s_cbranch_execz .LBB599_47
; %bb.63:                               ;   in Loop: Header=BB599_48 Depth=2
	v_or_b32_e32 v12, 0x10000, v13
	v_cmp_eq_u32_sdwa vcc_lo, v13, v7 src0_sel:WORD_0 src1_sel:DWORD
	v_cndmask_b32_e32 v12, v12, v13, vcc_lo
	s_branch .LBB599_47
.LBB599_64:                             ;   in Loop: Header=BB599_37 Depth=1
	s_mov_b32 s16, s8
.LBB599_65:                             ;   in Loop: Header=BB599_37 Depth=1
	s_andn2_b32 vcc_lo, exec_lo, s15
	s_cbranch_vccnz .LBB599_72
; %bb.66:                               ;   in Loop: Header=BB599_37 Depth=1
	s_lshl_b32 s17, s16, 1
	s_lshl_b32 s16, s16, 2
	v_add_co_u32 v5, vcc_lo, v1, s17
	v_add_co_ci_u32_e64 v6, null, 0, v2, vcc_lo
	s_mov_b32 s17, s10
	s_inst_prefetch 0x1
	s_branch .LBB599_68
	.p2align	6
.LBB599_67:                             ;   in Loop: Header=BB599_68 Depth=2
	s_or_b32 exec_lo, exec_lo, s18
	v_and_b32_e32 v9, 0xffff0000, v10
	v_add_co_u32 v5, vcc_lo, v5, 2
	v_add_co_ci_u32_e64 v6, null, 0, v6, vcc_lo
	v_add_f32_e32 v8, v8, v9
	s_add_i32 s17, s17, -1
	s_add_i32 s16, s16, 4
	s_cmp_lg_u32 s17, 0
	s_cbranch_scc0 .LBB599_72
.LBB599_68:                             ;   Parent Loop BB599_37 Depth=1
                                        ; =>  This Inner Loop Header: Depth=2
	flat_load_ushort v9, v[5:6]
	v_mov_b32_e32 v10, s16
	ds_read_b32 v10, v10
	s_waitcnt vmcnt(0) lgkmcnt(1)
	v_lshlrev_b32_e32 v9, 16, v9
	s_waitcnt lgkmcnt(0)
	v_mul_f32_e32 v9, v10, v9
	v_and_b32_e32 v10, 0x7f800000, v9
	v_cmp_ne_u32_e32 vcc_lo, 0x7f800000, v10
                                        ; implicit-def: $vgpr10
	s_and_saveexec_b32 s18, vcc_lo
	s_xor_b32 s18, exec_lo, s18
; %bb.69:                               ;   in Loop: Header=BB599_68 Depth=2
	v_bfe_u32 v10, v9, 16, 1
	v_add3_u32 v10, v9, v10, 0x7fff
                                        ; implicit-def: $vgpr9
; %bb.70:                               ;   in Loop: Header=BB599_68 Depth=2
	s_andn2_saveexec_b32 s18, s18
	s_cbranch_execz .LBB599_67
; %bb.71:                               ;   in Loop: Header=BB599_68 Depth=2
	v_or_b32_e32 v10, 0x10000, v9
	v_cmp_eq_u32_sdwa vcc_lo, v9, v7 src0_sel:WORD_0 src1_sel:DWORD
	v_cndmask_b32_e32 v10, v10, v9, vcc_lo
	s_branch .LBB599_67
.LBB599_72:                             ;   in Loop: Header=BB599_37 Depth=1
	s_inst_prefetch 0x2
	v_and_b32_e32 v5, 0x7f800000, v8
	v_cmp_ne_u32_e32 vcc_lo, 0x7f800000, v5
                                        ; implicit-def: $vgpr5
	s_and_saveexec_b32 s16, vcc_lo
	s_xor_b32 s16, exec_lo, s16
; %bb.73:                               ;   in Loop: Header=BB599_37 Depth=1
	v_bfe_u32 v5, v8, 16, 1
	v_add3_u32 v5, v8, v5, 0x7fff
                                        ; implicit-def: $vgpr8
; %bb.74:                               ;   in Loop: Header=BB599_37 Depth=1
	s_andn2_saveexec_b32 s16, s16
	s_cbranch_execz .LBB599_35
; %bb.75:                               ;   in Loop: Header=BB599_37 Depth=1
	v_or_b32_e32 v5, 0x10000, v8
	v_cmp_eq_u32_sdwa vcc_lo, v8, v7 src0_sel:WORD_0 src1_sel:DWORD
	v_cndmask_b32_e32 v5, v5, v8, vcc_lo
	s_branch .LBB599_35
.LBB599_76:
	s_endpgm
	.section	.rodata,"a",@progbits
	.p2align	6, 0x0
	.amdhsa_kernel _ZL22rocblas_gemvtsm_kernelILb0ELi256EPK16rocblas_bfloat16fKPS0_EviiT2_lPKT1_lilS8_lilS5_lPT3_lil
		.amdhsa_group_segment_fixed_size 256
		.amdhsa_private_segment_fixed_size 0
		.amdhsa_kernarg_size 136
		.amdhsa_user_sgpr_count 6
		.amdhsa_user_sgpr_private_segment_buffer 1
		.amdhsa_user_sgpr_dispatch_ptr 0
		.amdhsa_user_sgpr_queue_ptr 0
		.amdhsa_user_sgpr_kernarg_segment_ptr 1
		.amdhsa_user_sgpr_dispatch_id 0
		.amdhsa_user_sgpr_flat_scratch_init 0
		.amdhsa_user_sgpr_private_segment_size 0
		.amdhsa_wavefront_size32 1
		.amdhsa_uses_dynamic_stack 0
		.amdhsa_system_sgpr_private_segment_wavefront_offset 0
		.amdhsa_system_sgpr_workgroup_id_x 1
		.amdhsa_system_sgpr_workgroup_id_y 0
		.amdhsa_system_sgpr_workgroup_id_z 0
		.amdhsa_system_sgpr_workgroup_info 0
		.amdhsa_system_vgpr_workitem_id 0
		.amdhsa_next_free_vgpr 14
		.amdhsa_next_free_sgpr 24
		.amdhsa_reserve_vcc 1
		.amdhsa_reserve_flat_scratch 0
		.amdhsa_float_round_mode_32 0
		.amdhsa_float_round_mode_16_64 0
		.amdhsa_float_denorm_mode_32 3
		.amdhsa_float_denorm_mode_16_64 3
		.amdhsa_dx10_clamp 1
		.amdhsa_ieee_mode 1
		.amdhsa_fp16_overflow 0
		.amdhsa_workgroup_processor_mode 1
		.amdhsa_memory_ordered 1
		.amdhsa_forward_progress 1
		.amdhsa_shared_vgpr_count 0
		.amdhsa_exception_fp_ieee_invalid_op 0
		.amdhsa_exception_fp_denorm_src 0
		.amdhsa_exception_fp_ieee_div_zero 0
		.amdhsa_exception_fp_ieee_overflow 0
		.amdhsa_exception_fp_ieee_underflow 0
		.amdhsa_exception_fp_ieee_inexact 0
		.amdhsa_exception_int_div_zero 0
	.end_amdhsa_kernel
	.section	.text._ZL22rocblas_gemvtsm_kernelILb0ELi256EPK16rocblas_bfloat16fKPS0_EviiT2_lPKT1_lilS8_lilS5_lPT3_lil,"axG",@progbits,_ZL22rocblas_gemvtsm_kernelILb0ELi256EPK16rocblas_bfloat16fKPS0_EviiT2_lPKT1_lilS8_lilS5_lPT3_lil,comdat
.Lfunc_end599:
	.size	_ZL22rocblas_gemvtsm_kernelILb0ELi256EPK16rocblas_bfloat16fKPS0_EviiT2_lPKT1_lilS8_lilS5_lPT3_lil, .Lfunc_end599-_ZL22rocblas_gemvtsm_kernelILb0ELi256EPK16rocblas_bfloat16fKPS0_EviiT2_lPKT1_lilS8_lilS5_lPT3_lil
                                        ; -- End function
	.set _ZL22rocblas_gemvtsm_kernelILb0ELi256EPK16rocblas_bfloat16fKPS0_EviiT2_lPKT1_lilS8_lilS5_lPT3_lil.num_vgpr, 14
	.set _ZL22rocblas_gemvtsm_kernelILb0ELi256EPK16rocblas_bfloat16fKPS0_EviiT2_lPKT1_lilS8_lilS5_lPT3_lil.num_agpr, 0
	.set _ZL22rocblas_gemvtsm_kernelILb0ELi256EPK16rocblas_bfloat16fKPS0_EviiT2_lPKT1_lilS8_lilS5_lPT3_lil.numbered_sgpr, 24
	.set _ZL22rocblas_gemvtsm_kernelILb0ELi256EPK16rocblas_bfloat16fKPS0_EviiT2_lPKT1_lilS8_lilS5_lPT3_lil.num_named_barrier, 0
	.set _ZL22rocblas_gemvtsm_kernelILb0ELi256EPK16rocblas_bfloat16fKPS0_EviiT2_lPKT1_lilS8_lilS5_lPT3_lil.private_seg_size, 0
	.set _ZL22rocblas_gemvtsm_kernelILb0ELi256EPK16rocblas_bfloat16fKPS0_EviiT2_lPKT1_lilS8_lilS5_lPT3_lil.uses_vcc, 1
	.set _ZL22rocblas_gemvtsm_kernelILb0ELi256EPK16rocblas_bfloat16fKPS0_EviiT2_lPKT1_lilS8_lilS5_lPT3_lil.uses_flat_scratch, 0
	.set _ZL22rocblas_gemvtsm_kernelILb0ELi256EPK16rocblas_bfloat16fKPS0_EviiT2_lPKT1_lilS8_lilS5_lPT3_lil.has_dyn_sized_stack, 0
	.set _ZL22rocblas_gemvtsm_kernelILb0ELi256EPK16rocblas_bfloat16fKPS0_EviiT2_lPKT1_lilS8_lilS5_lPT3_lil.has_recursion, 0
	.set _ZL22rocblas_gemvtsm_kernelILb0ELi256EPK16rocblas_bfloat16fKPS0_EviiT2_lPKT1_lilS8_lilS5_lPT3_lil.has_indirect_call, 0
	.section	.AMDGPU.csdata,"",@progbits
; Kernel info:
; codeLenInByte = 2228
; TotalNumSgprs: 26
; NumVgprs: 14
; ScratchSize: 0
; MemoryBound: 0
; FloatMode: 240
; IeeeMode: 1
; LDSByteSize: 256 bytes/workgroup (compile time only)
; SGPRBlocks: 0
; VGPRBlocks: 1
; NumSGPRsForWavesPerEU: 26
; NumVGPRsForWavesPerEU: 14
; Occupancy: 16
; WaveLimiterHint : 1
; COMPUTE_PGM_RSRC2:SCRATCH_EN: 0
; COMPUTE_PGM_RSRC2:USER_SGPR: 6
; COMPUTE_PGM_RSRC2:TRAP_HANDLER: 0
; COMPUTE_PGM_RSRC2:TGID_X_EN: 1
; COMPUTE_PGM_RSRC2:TGID_Y_EN: 0
; COMPUTE_PGM_RSRC2:TGID_Z_EN: 0
; COMPUTE_PGM_RSRC2:TIDIG_COMP_CNT: 0
	.section	.text._ZL23rocblas_gemvt_sn_kernelILb0ELi256ELi4EiPK16rocblas_bfloat16PKffEviiT4_lPKT3_lilS8_lilPT5_i,"axG",@progbits,_ZL23rocblas_gemvt_sn_kernelILb0ELi256ELi4EiPK16rocblas_bfloat16PKffEviiT4_lPKT3_lilS8_lilPT5_i,comdat
	.globl	_ZL23rocblas_gemvt_sn_kernelILb0ELi256ELi4EiPK16rocblas_bfloat16PKffEviiT4_lPKT3_lilS8_lilPT5_i ; -- Begin function _ZL23rocblas_gemvt_sn_kernelILb0ELi256ELi4EiPK16rocblas_bfloat16PKffEviiT4_lPKT3_lilS8_lilPT5_i
	.p2align	8
	.type	_ZL23rocblas_gemvt_sn_kernelILb0ELi256ELi4EiPK16rocblas_bfloat16PKffEviiT4_lPKT3_lilS8_lilPT5_i,@function
_ZL23rocblas_gemvt_sn_kernelILb0ELi256ELi4EiPK16rocblas_bfloat16PKffEviiT4_lPKT3_lilS8_lilPT5_i: ; @_ZL23rocblas_gemvt_sn_kernelILb0ELi256ELi4EiPK16rocblas_bfloat16PKffEviiT4_lPKT3_lilS8_lilPT5_i
; %bb.0:
	s_load_dwordx8 s[8:15], s[4:5], 0x8
	s_mov_b32 s2, s7
	s_mov_b32 s3, 0
	s_waitcnt lgkmcnt(0)
	s_mul_i32 s0, s11, s7
	s_mul_hi_u32 s1, s10, s7
	s_add_i32 s1, s1, s0
	s_mul_i32 s0, s10, s7
	s_mov_b64 s[10:11], 0
	s_lshl_b64 s[0:1], s[0:1], 2
	s_add_u32 s0, s8, s0
	s_addc_u32 s1, s9, s1
	s_load_dword s26, s[0:1], 0x0
	s_mov_b64 s[0:1], 0
	s_waitcnt lgkmcnt(0)
	v_cmp_eq_f32_e64 s7, s26, 0
	v_cmp_neq_f32_e64 s8, s26, 0
	s_and_b32 vcc_lo, exec_lo, s7
	s_cbranch_vccnz .LBB600_2
; %bb.1:
	s_lshl_b64 s[0:1], s[2:3], 3
	s_add_u32 s0, s12, s0
	s_addc_u32 s1, s13, s1
	s_lshl_b64 s[12:13], s[14:15], 1
	s_load_dwordx2 s[0:1], s[0:1], 0x0
	s_waitcnt lgkmcnt(0)
	s_add_u32 s0, s0, s12
	s_addc_u32 s1, s1, s13
.LBB600_2:
	s_andn2_b32 vcc_lo, exec_lo, s8
	s_cbranch_vccnz .LBB600_4
; %bb.3:
	s_load_dwordx4 s[8:11], s[4:5], 0x38
	s_lshl_b64 s[12:13], s[2:3], 3
	s_waitcnt lgkmcnt(0)
	s_add_u32 s8, s8, s12
	s_addc_u32 s9, s9, s13
	s_lshl_b64 s[10:11], s[10:11], 1
	s_load_dwordx2 s[8:9], s[8:9], 0x0
	s_waitcnt lgkmcnt(0)
	s_add_u32 s10, s8, s10
	s_addc_u32 s11, s9, s11
.LBB600_4:
	s_clause 0x2
	s_load_dwordx2 s[12:13], s[4:5], 0x0
	s_load_dword s14, s[4:5], 0x68
	s_load_dwordx2 s[8:9], s[4:5], 0x58
	s_waitcnt lgkmcnt(0)
	s_ashr_i32 s17, s13, 31
	s_mul_hi_u32 s3, s13, s2
	s_mul_i32 s15, s17, s2
	s_mul_i32 s2, s13, s2
	s_add_i32 s3, s3, s15
	s_mul_hi_u32 s15, s2, s14
	s_mul_i32 s3, s3, s14
	s_mul_i32 s2, s2, s14
	s_add_i32 s3, s15, s3
	s_mov_b32 s15, 0
	s_lshl_b64 s[2:3], s[2:3], 2
	s_add_u32 s28, s8, s2
	s_addc_u32 s29, s9, s3
	s_andn2_b32 vcc_lo, exec_lo, s7
	s_mov_b32 s2, -1
	s_cbranch_vccnz .LBB600_9
; %bb.5:
	v_cmp_eq_u32_e32 vcc_lo, 0, v0
	s_cmp_gt_i32 s13, 0
	s_cselect_b32 s2, -1, 0
	s_and_b32 s2, vcc_lo, s2
	s_and_saveexec_b32 s16, s2
	s_cbranch_execz .LBB600_8
; %bb.6:
	s_mov_b32 s7, 0
	v_mov_b32_e32 v1, 0
	s_lshl_b64 s[2:3], s[6:7], 2
	s_mov_b32 s7, s13
	s_add_u32 s2, s28, s2
	s_addc_u32 s3, s29, s3
	s_lshl_b64 s[8:9], s[14:15], 2
.LBB600_7:                              ; =>This Inner Loop Header: Depth=1
	s_add_i32 s7, s7, -1
	global_store_dword v1, v1, s[2:3]
	s_add_u32 s2, s2, s8
	s_addc_u32 s3, s3, s9
	s_cmp_eq_u32 s7, 0
	s_cbranch_scc0 .LBB600_7
.LBB600_8:
	s_or_b32 exec_lo, exec_lo, s16
	s_mov_b32 s2, 0
.LBB600_9:
	s_andn2_b32 vcc_lo, exec_lo, s2
	s_cbranch_vccnz .LBB600_84
; %bb.10:
	s_clause 0x1
	s_load_dword s16, s[4:5], 0x28
	s_load_dword s15, s[4:5], 0x48
	s_lshl_b32 s2, s6, 10
	s_lshr_b32 s3, s17, 30
	v_lshl_or_b32 v1, v0, 2, s2
	s_ashr_i32 s2, s12, 31
	s_add_i32 s3, s13, s3
	s_lshr_b32 s2, s2, 30
	v_and_b32_e32 v21, 31, v0
	v_ashrrev_i32_e32 v2, 31, v1
	s_add_i32 s2, s12, s2
	v_add_nc_u32_e32 v24, 4, v1
	s_and_b32 s2, s2, -4
	v_mbcnt_lo_u32_b32 v23, -1, 0
	v_lshlrev_b64 v[2:3], 1, v[1:2]
	s_sub_i32 s27, s12, s2
	v_lshrrev_b32_e32 v22, 3, v0
	v_add_nc_u32_e32 v25, s27, v1
	v_cmp_eq_u32_e64 s2, 0, v0
	s_and_b32 s30, s3, -4
	v_add_co_u32 v19, vcc_lo, s0, v2
	s_waitcnt lgkmcnt(0)
	v_mul_lo_u32 v9, s15, v1
	v_add_co_ci_u32_e64 v20, null, s1, v3, vcc_lo
	v_cmp_gt_u32_e64 s0, 32, v0
	v_cmp_gt_u32_e64 s1, 8, v0
	s_cmp_lt_i32 s30, 1
	s_cbranch_scc1 .LBB600_59
; %bb.11:
	v_cmp_gt_u32_e32 vcc_lo, 24, v23
	v_mul_lo_u32 v10, s15, v1
	s_cmp_gt_i32 s27, 0
	s_mov_b32 s9, 0
	v_cmp_ge_i32_e64 s3, s12, v24
	v_cndmask_b32_e64 v2, 0, 8, vcc_lo
	v_cmp_gt_u32_e32 vcc_lo, 28, v23
	v_cmp_ge_i32_e64 s4, s12, v25
	v_lshl_or_b32 v26, v23, 2, 64
	v_add_nc_u32_e32 v1, s15, v10
	v_ashrrev_i32_e32 v11, 31, v10
	v_cndmask_b32_e64 v3, 0, 4, vcc_lo
	v_cmp_gt_u32_e32 vcc_lo, 30, v23
	v_add_lshl_u32 v27, v2, v23, 2
	v_ashrrev_i32_e32 v2, 31, v1
	v_cmp_eq_u32_e64 s5, 0, v21
	v_add_lshl_u32 v28, v3, v23, 2
	v_cndmask_b32_e64 v4, 0, 2, vcc_lo
	v_cmp_ne_u32_e32 vcc_lo, 31, v23
	v_add_nc_u32_e32 v3, s15, v1
	v_lshlrev_b64 v[1:2], 1, v[1:2]
	v_lshlrev_b32_e32 v31, 2, v21
	v_add_lshl_u32 v29, v4, v23, 2
	v_add_co_ci_u32_e64 v5, null, 0, v23, vcc_lo
	v_add_nc_u32_e32 v7, s15, v3
	v_ashrrev_i32_e32 v4, 31, v3
	v_and_b32_e32 v32, 28, v22
	v_lshlrev_b32_e32 v30, 2, v5
	v_lshlrev_b64 v[5:6], 1, v[10:11]
	v_ashrrev_i32_e32 v8, 31, v7
	v_lshlrev_b64 v[3:4], 1, v[3:4]
	s_cselect_b32 s31, -1, 0
	s_mov_b32 s17, s9
	s_lshl_b32 s8, s16, 1
	v_add_co_u32 v11, vcc_lo, s10, v5
	v_add_co_ci_u32_e64 v12, null, s11, v6, vcc_lo
	v_add_co_u32 v13, vcc_lo, s10, v1
	v_mov_b32_e32 v5, 0
	v_add_co_ci_u32_e64 v14, null, s11, v2, vcc_lo
	v_lshlrev_b64 v[1:2], 1, v[7:8]
	v_add_co_u32 v15, vcc_lo, s10, v3
	v_mov_b32_e32 v6, v5
	v_mov_b32_e32 v7, v5
	v_mov_b32_e32 v8, v5
	v_add_co_ci_u32_e64 v16, null, s11, v4, vcc_lo
	v_add_co_u32 v17, vcc_lo, s10, v1
	v_add_co_ci_u32_e64 v18, null, s11, v2, vcc_lo
	v_mov_b32_e32 v1, v5
	v_mov_b32_e32 v2, v6
	;; [unrolled: 1-line block ×4, first 2 shown]
	s_lshl_b32 s33, s16, 2
	s_mul_i32 s34, s16, 3
	s_mov_b32 s35, s9
	s_mov_b32 s18, s9
	s_mov_b64 s[20:21], s[8:9]
	s_mov_b64 s[22:23], s[16:17]
	s_mov_b32 s17, 0
	s_branch .LBB600_13
.LBB600_12:                             ;   in Loop: Header=BB600_13 Depth=1
	s_or_b32 exec_lo, exec_lo, s7
	s_add_i32 s17, s17, 4
	s_add_u32 s22, s22, s33
	s_addc_u32 s23, s23, 0
	s_add_u32 s20, s20, s33
	s_addc_u32 s21, s21, 0
	;; [unrolled: 2-line block ×3, first 2 shown]
	s_add_i32 s18, s18, s33
	s_cmp_ge_i32 s17, s30
	s_cbranch_scc1 .LBB600_60
.LBB600_13:                             ; =>This Loop Header: Depth=1
                                        ;     Child Loop BB600_44 Depth 2
                                        ;     Child Loop BB600_47 Depth 2
                                        ; implicit-def: $vgpr8
                                        ; implicit-def: $vgpr33
                                        ; implicit-def: $vgpr34
                                        ; implicit-def: $vgpr35
	s_and_saveexec_b32 s7, s3
	s_xor_b32 s7, exec_lo, s7
	s_cbranch_execnz .LBB600_40
; %bb.14:                               ;   in Loop: Header=BB600_13 Depth=1
	s_andn2_saveexec_b32 s36, s7
	s_cbranch_execnz .LBB600_41
.LBB600_15:                             ;   in Loop: Header=BB600_13 Depth=1
	s_or_b32 exec_lo, exec_lo, s36
	s_and_saveexec_b32 s7, s0
.LBB600_16:                             ;   in Loop: Header=BB600_13 Depth=1
	ds_write_b32 v31, v5
.LBB600_17:                             ;   in Loop: Header=BB600_13 Depth=1
	s_or_b32 exec_lo, exec_lo, s7
	ds_bpermute_b32 v6, v26, v35
	s_waitcnt lgkmcnt(0)
	s_waitcnt_vscnt null, 0x0
	s_barrier
	buffer_gl0_inv
	v_add_f32_e32 v6, v35, v6
	ds_bpermute_b32 v7, v27, v6
	s_waitcnt lgkmcnt(0)
	v_add_f32_e32 v6, v6, v7
	ds_bpermute_b32 v7, v28, v6
	s_waitcnt lgkmcnt(0)
	;; [unrolled: 3-line block ×3, first 2 shown]
	v_add_f32_e32 v6, v6, v7
	ds_bpermute_b32 v7, v30, v6
	s_and_saveexec_b32 s7, s5
	s_cbranch_execz .LBB600_19
; %bb.18:                               ;   in Loop: Header=BB600_13 Depth=1
	s_waitcnt lgkmcnt(0)
	v_add_f32_e32 v6, v6, v7
	ds_write_b32 v32, v6
.LBB600_19:                             ;   in Loop: Header=BB600_13 Depth=1
	s_or_b32 exec_lo, exec_lo, s7
	v_mov_b32_e32 v6, 0
	s_waitcnt lgkmcnt(0)
	s_barrier
	buffer_gl0_inv
	s_and_saveexec_b32 s7, s1
	s_cbranch_execnz .LBB600_48
; %bb.20:                               ;   in Loop: Header=BB600_13 Depth=1
	s_or_b32 exec_lo, exec_lo, s7
	s_and_saveexec_b32 s7, s0
	s_cbranch_execnz .LBB600_49
.LBB600_21:                             ;   in Loop: Header=BB600_13 Depth=1
	s_or_b32 exec_lo, exec_lo, s7
	s_and_saveexec_b32 s7, s0
.LBB600_22:                             ;   in Loop: Header=BB600_13 Depth=1
	ds_write_b32 v31, v5
.LBB600_23:                             ;   in Loop: Header=BB600_13 Depth=1
	s_or_b32 exec_lo, exec_lo, s7
	ds_bpermute_b32 v7, v26, v34
	s_waitcnt lgkmcnt(0)
	s_barrier
	buffer_gl0_inv
	v_add_f32_e32 v7, v34, v7
	ds_bpermute_b32 v34, v27, v7
	s_waitcnt lgkmcnt(0)
	v_add_f32_e32 v7, v7, v34
	ds_bpermute_b32 v34, v28, v7
	s_waitcnt lgkmcnt(0)
	;; [unrolled: 3-line block ×3, first 2 shown]
	v_add_f32_e32 v7, v7, v34
	ds_bpermute_b32 v34, v30, v7
	s_and_saveexec_b32 s7, s5
	s_cbranch_execz .LBB600_25
; %bb.24:                               ;   in Loop: Header=BB600_13 Depth=1
	s_waitcnt lgkmcnt(0)
	v_add_f32_e32 v7, v7, v34
	ds_write_b32 v32, v7
.LBB600_25:                             ;   in Loop: Header=BB600_13 Depth=1
	s_or_b32 exec_lo, exec_lo, s7
	v_mov_b32_e32 v7, 0
	s_waitcnt lgkmcnt(0)
	s_barrier
	buffer_gl0_inv
	s_and_saveexec_b32 s7, s1
	s_cbranch_execnz .LBB600_50
; %bb.26:                               ;   in Loop: Header=BB600_13 Depth=1
	s_or_b32 exec_lo, exec_lo, s7
	s_and_saveexec_b32 s7, s0
	s_cbranch_execnz .LBB600_51
.LBB600_27:                             ;   in Loop: Header=BB600_13 Depth=1
	s_or_b32 exec_lo, exec_lo, s7
	s_and_saveexec_b32 s7, s0
.LBB600_28:                             ;   in Loop: Header=BB600_13 Depth=1
	ds_write_b32 v31, v5
.LBB600_29:                             ;   in Loop: Header=BB600_13 Depth=1
	s_or_b32 exec_lo, exec_lo, s7
	ds_bpermute_b32 v34, v26, v33
	s_waitcnt lgkmcnt(0)
	s_barrier
	buffer_gl0_inv
	v_add_f32_e32 v33, v33, v34
	ds_bpermute_b32 v34, v27, v33
	s_waitcnt lgkmcnt(0)
	v_add_f32_e32 v33, v33, v34
	ds_bpermute_b32 v34, v28, v33
	s_waitcnt lgkmcnt(0)
	;; [unrolled: 3-line block ×3, first 2 shown]
	v_add_f32_e32 v33, v33, v34
	ds_bpermute_b32 v34, v30, v33
	s_and_saveexec_b32 s7, s5
	s_cbranch_execz .LBB600_31
; %bb.30:                               ;   in Loop: Header=BB600_13 Depth=1
	s_waitcnt lgkmcnt(0)
	v_add_f32_e32 v33, v33, v34
	ds_write_b32 v32, v33
.LBB600_31:                             ;   in Loop: Header=BB600_13 Depth=1
	s_or_b32 exec_lo, exec_lo, s7
	v_mov_b32_e32 v33, 0
	s_waitcnt lgkmcnt(0)
	s_barrier
	buffer_gl0_inv
	s_and_saveexec_b32 s7, s1
	s_cbranch_execnz .LBB600_52
; %bb.32:                               ;   in Loop: Header=BB600_13 Depth=1
	s_or_b32 exec_lo, exec_lo, s7
	s_and_saveexec_b32 s7, s0
	s_cbranch_execnz .LBB600_53
.LBB600_33:                             ;   in Loop: Header=BB600_13 Depth=1
	s_or_b32 exec_lo, exec_lo, s7
	s_and_saveexec_b32 s7, s0
.LBB600_34:                             ;   in Loop: Header=BB600_13 Depth=1
	ds_write_b32 v31, v5
.LBB600_35:                             ;   in Loop: Header=BB600_13 Depth=1
	s_or_b32 exec_lo, exec_lo, s7
	ds_bpermute_b32 v34, v26, v8
	s_waitcnt lgkmcnt(0)
	s_barrier
	buffer_gl0_inv
	v_add_f32_e32 v8, v8, v34
	ds_bpermute_b32 v34, v27, v8
	s_waitcnt lgkmcnt(0)
	v_add_f32_e32 v8, v8, v34
	ds_bpermute_b32 v34, v28, v8
	s_waitcnt lgkmcnt(0)
	;; [unrolled: 3-line block ×3, first 2 shown]
	v_add_f32_e32 v8, v8, v34
	ds_bpermute_b32 v34, v30, v8
	s_and_saveexec_b32 s7, s5
	s_cbranch_execz .LBB600_37
; %bb.36:                               ;   in Loop: Header=BB600_13 Depth=1
	s_waitcnt lgkmcnt(0)
	v_add_f32_e32 v8, v8, v34
	ds_write_b32 v32, v8
.LBB600_37:                             ;   in Loop: Header=BB600_13 Depth=1
	s_or_b32 exec_lo, exec_lo, s7
	v_mov_b32_e32 v8, 0
	s_waitcnt lgkmcnt(0)
	s_barrier
	buffer_gl0_inv
	s_and_saveexec_b32 s7, s1
	s_cbranch_execnz .LBB600_54
; %bb.38:                               ;   in Loop: Header=BB600_13 Depth=1
	s_or_b32 exec_lo, exec_lo, s7
	s_and_saveexec_b32 s7, s0
	s_cbranch_execnz .LBB600_55
.LBB600_39:                             ;   in Loop: Header=BB600_13 Depth=1
	s_or_b32 exec_lo, exec_lo, s7
	s_and_saveexec_b32 s7, s2
	s_cbranch_execz .LBB600_12
	s_branch .LBB600_56
.LBB600_40:                             ;   in Loop: Header=BB600_13 Depth=1
	s_mul_i32 s24, s17, s16
	s_ashr_i32 s25, s24, 31
	s_add_i32 s36, s24, s16
	s_lshl_b64 s[24:25], s[24:25], 1
	s_ashr_i32 s37, s36, 31
	v_add_co_u32 v1, vcc_lo, v19, s24
	v_add_co_ci_u32_e64 v2, null, s25, v20, vcc_lo
	s_lshl_b64 s[24:25], s[36:37], 1
	v_add_co_u32 v3, vcc_lo, v19, s24
	s_add_i32 s24, s36, s16
	v_add_co_ci_u32_e64 v4, null, s25, v20, vcc_lo
	s_ashr_i32 s25, s24, 31
	s_add_i32 s36, s24, s16
	s_lshl_b64 s[24:25], s[24:25], 1
	s_clause 0x1
	flat_load_dwordx2 v[6:7], v[1:2]
	flat_load_dwordx2 v[33:34], v[3:4]
	s_ashr_i32 s37, s36, 31
	v_add_co_u32 v1, vcc_lo, v19, s24
	v_add_co_ci_u32_e64 v2, null, s25, v20, vcc_lo
	s_lshl_b64 s[24:25], s[36:37], 1
	s_waitcnt lgkmcnt(2)
	s_clause 0x2
	flat_load_ushort v8, v[11:12]
	flat_load_ushort v39, v[13:14]
	;; [unrolled: 1-line block ×3, first 2 shown]
	v_add_co_u32 v3, vcc_lo, v19, s24
	v_add_co_ci_u32_e64 v4, null, s25, v20, vcc_lo
	s_clause 0x1
	flat_load_dwordx2 v[35:36], v[1:2]
	flat_load_dwordx2 v[37:38], v[3:4]
	flat_load_ushort v4, v[17:18]
	s_waitcnt vmcnt(6) lgkmcnt(6)
	v_and_b32_e32 v41, 0xffff0000, v33
	v_lshlrev_b32_e32 v42, 16, v34
	v_and_b32_e32 v43, 0xffff0000, v34
	s_waitcnt vmcnt(5) lgkmcnt(5)
	v_lshlrev_b32_e32 v1, 16, v8
	v_lshlrev_b32_e32 v8, 16, v6
	s_waitcnt vmcnt(3) lgkmcnt(3)
	v_lshlrev_b32_e32 v3, 16, v40
	v_lshlrev_b32_e32 v40, 16, v33
	;; [unrolled: 1-line block ×3, first 2 shown]
	v_and_b32_e32 v6, 0xffff0000, v6
	v_lshlrev_b32_e32 v39, 16, v7
	s_waitcnt vmcnt(2) lgkmcnt(2)
	v_lshlrev_b32_e32 v33, 16, v35
	s_waitcnt vmcnt(1) lgkmcnt(1)
	v_lshlrev_b32_e32 v46, 16, v37
	v_and_b32_e32 v44, 0xffff0000, v35
	v_fma_f32 v35, v1, v8, 0
	v_and_b32_e32 v37, 0xffff0000, v37
	v_fma_f32 v34, v1, v40, 0
	v_fma_f32 v33, v1, v33, 0
	v_fma_f32 v8, v46, v1, 0
	v_lshlrev_b32_e32 v45, 16, v36
	v_fmac_f32_e32 v35, v2, v6
	v_fmac_f32_e32 v34, v2, v41
	;; [unrolled: 1-line block ×4, first 2 shown]
	v_lshlrev_b32_e32 v6, 16, v38
	v_and_b32_e32 v7, 0xffff0000, v7
	v_and_b32_e32 v36, 0xffff0000, v36
	;; [unrolled: 1-line block ×3, first 2 shown]
	s_waitcnt vmcnt(0) lgkmcnt(0)
	v_lshlrev_b32_e32 v4, 16, v4
	v_fmac_f32_e32 v35, v3, v39
	v_fmac_f32_e32 v34, v3, v42
	;; [unrolled: 1-line block ×8, first 2 shown]
	s_andn2_saveexec_b32 s36, s7
	s_cbranch_execz .LBB600_15
.LBB600_41:                             ;   in Loop: Header=BB600_13 Depth=1
	s_waitcnt lgkmcnt(0)
	v_mov_b32_e32 v8, 0
	v_mov_b32_e32 v33, 0
	;; [unrolled: 1-line block ×4, first 2 shown]
	s_and_saveexec_b32 s37, s4
	s_cbranch_execz .LBB600_58
; %bb.42:                               ;   in Loop: Header=BB600_13 Depth=1
	s_andn2_b32 vcc_lo, exec_lo, s31
	s_cbranch_vccnz .LBB600_45
; %bb.43:                               ;   in Loop: Header=BB600_13 Depth=1
	v_mov_b32_e32 v6, v10
	s_mov_b64 s[24:25], 0
	.p2align	6
.LBB600_44:                             ;   Parent Loop BB600_13 Depth=1
                                        ; =>  This Inner Loop Header: Depth=2
	v_ashrrev_i32_e32 v7, 31, v6
	s_cmp_eq_u32 s24, 3
	v_lshlrev_b64 v[7:8], 1, v[6:7]
	v_add_nc_u32_e32 v6, s15, v6
	v_add_co_u32 v7, vcc_lo, s10, v7
	v_add_co_ci_u32_e64 v8, null, s11, v8, vcc_lo
	s_cselect_b32 vcc_lo, -1, 0
	s_cmp_eq_u32 s24, 2
	s_cselect_b32 s7, -1, 0
	flat_load_ushort v7, v[7:8]
	s_cmp_eq_u32 s24, 1
	s_cselect_b32 s8, -1, 0
	s_cmp_eq_u32 s24, 0
	s_waitcnt vmcnt(0) lgkmcnt(0)
	v_lshlrev_b32_e32 v7, 16, v7
	v_cndmask_b32_e32 v4, v4, v7, vcc_lo
	s_cselect_b32 vcc_lo, -1, 0
	v_cndmask_b32_e64 v3, v3, v7, s7
	v_cndmask_b32_e64 v2, v2, v7, s8
	v_cndmask_b32_e32 v1, v1, v7, vcc_lo
	s_add_u32 s24, s24, 1
	s_addc_u32 s25, s25, 0
	s_cmp_eq_u32 s27, s24
	s_cbranch_scc0 .LBB600_44
.LBB600_45:                             ;   in Loop: Header=BB600_13 Depth=1
	s_andn2_b32 vcc_lo, exec_lo, s31
	s_cbranch_vccnz .LBB600_57
; %bb.46:                               ;   in Loop: Header=BB600_13 Depth=1
	s_ashr_i32 s19, s18, 31
	v_mov_b32_e32 v35, 0
	s_lshl_b64 s[24:25], s[18:19], 1
	v_mov_b32_e32 v34, 0
	v_add_co_u32 v6, vcc_lo, v19, s24
	v_add_co_ci_u32_e64 v7, null, s25, v20, vcc_lo
	v_mov_b32_e32 v33, 0
	v_mov_b32_e32 v8, 0
	s_mov_b64 s[24:25], 0
.LBB600_47:                             ;   Parent Loop BB600_13 Depth=1
                                        ; =>  This Inner Loop Header: Depth=2
	s_cmp_eq_u32 s24, 1
	s_cselect_b32 vcc_lo, -1, 0
	s_cmp_eq_u32 s24, 2
	v_cndmask_b32_e32 v36, v1, v2, vcc_lo
	s_cselect_b32 vcc_lo, -1, 0
	s_cmp_eq_u32 s24, 3
	v_cndmask_b32_e32 v42, v36, v3, vcc_lo
	s_cselect_b32 vcc_lo, -1, 0
	s_add_i32 s38, s22, s24
	s_add_i32 s40, s20, s24
	s_ashr_i32 s39, s38, 31
	s_add_i32 s42, s34, s24
	s_ashr_i32 s41, s40, 31
	s_lshl_b64 s[38:39], s[38:39], 1
	s_ashr_i32 s43, s42, 31
	s_lshl_b64 s[40:41], s[40:41], 1
	v_add_co_u32 v36, s7, v19, s38
	s_lshl_b64 s[42:43], s[42:43], 1
	v_add_co_ci_u32_e64 v37, null, s39, v20, s7
	v_add_co_u32 v38, s7, v19, s40
	v_add_co_ci_u32_e64 v39, null, s41, v20, s7
	v_add_co_u32 v40, s7, v19, s42
	v_add_co_ci_u32_e64 v41, null, s43, v20, s7
	flat_load_ushort v43, v[6:7]
	s_clause 0x2
	flat_load_ushort v36, v[36:37]
	flat_load_ushort v37, v[38:39]
	;; [unrolled: 1-line block ×3, first 2 shown]
	v_cndmask_b32_e32 v39, v42, v4, vcc_lo
	v_add_co_u32 v6, s7, v6, 2
	v_add_co_ci_u32_e64 v7, null, 0, v7, s7
	s_add_u32 s24, s24, 1
	s_addc_u32 s25, s25, 0
	s_cmp_lg_u32 s27, s24
	s_waitcnt vmcnt(3) lgkmcnt(3)
	v_lshlrev_b32_e32 v40, 16, v43
	s_waitcnt vmcnt(2) lgkmcnt(2)
	v_lshlrev_b32_e32 v36, 16, v36
	s_waitcnt vmcnt(1) lgkmcnt(1)
	v_lshlrev_b32_e32 v37, 16, v37
	s_waitcnt vmcnt(0) lgkmcnt(0)
	v_lshlrev_b32_e32 v38, 16, v38
	v_fmac_f32_e32 v35, v39, v40
	v_fmac_f32_e32 v34, v39, v36
	;; [unrolled: 1-line block ×4, first 2 shown]
	s_cbranch_scc1 .LBB600_47
	s_branch .LBB600_58
.LBB600_48:                             ;   in Loop: Header=BB600_13 Depth=1
	ds_read_b32 v6, v31
	s_or_b32 exec_lo, exec_lo, s7
	s_and_saveexec_b32 s7, s0
	s_cbranch_execz .LBB600_21
.LBB600_49:                             ;   in Loop: Header=BB600_13 Depth=1
	s_waitcnt lgkmcnt(0)
	ds_bpermute_b32 v7, v28, v6
	s_waitcnt lgkmcnt(0)
	v_add_f32_e32 v6, v6, v7
	ds_bpermute_b32 v7, v29, v6
	s_waitcnt lgkmcnt(0)
	v_add_f32_e32 v6, v6, v7
	;; [unrolled: 3-line block ×3, first 2 shown]
	s_or_b32 exec_lo, exec_lo, s7
	s_and_saveexec_b32 s7, s0
	s_cbranch_execnz .LBB600_22
	s_branch .LBB600_23
.LBB600_50:                             ;   in Loop: Header=BB600_13 Depth=1
	ds_read_b32 v7, v31
	s_or_b32 exec_lo, exec_lo, s7
	s_and_saveexec_b32 s7, s0
	s_cbranch_execz .LBB600_27
.LBB600_51:                             ;   in Loop: Header=BB600_13 Depth=1
	s_waitcnt lgkmcnt(0)
	ds_bpermute_b32 v34, v28, v7
	s_waitcnt lgkmcnt(0)
	v_add_f32_e32 v7, v7, v34
	ds_bpermute_b32 v34, v29, v7
	s_waitcnt lgkmcnt(0)
	v_add_f32_e32 v7, v7, v34
	;; [unrolled: 3-line block ×3, first 2 shown]
	s_or_b32 exec_lo, exec_lo, s7
	s_and_saveexec_b32 s7, s0
	s_cbranch_execnz .LBB600_28
	s_branch .LBB600_29
.LBB600_52:                             ;   in Loop: Header=BB600_13 Depth=1
	ds_read_b32 v33, v31
	s_or_b32 exec_lo, exec_lo, s7
	s_and_saveexec_b32 s7, s0
	s_cbranch_execz .LBB600_33
.LBB600_53:                             ;   in Loop: Header=BB600_13 Depth=1
	s_waitcnt lgkmcnt(0)
	ds_bpermute_b32 v34, v28, v33
	s_waitcnt lgkmcnt(0)
	v_add_f32_e32 v33, v33, v34
	ds_bpermute_b32 v34, v29, v33
	s_waitcnt lgkmcnt(0)
	v_add_f32_e32 v33, v33, v34
	;; [unrolled: 3-line block ×3, first 2 shown]
	s_or_b32 exec_lo, exec_lo, s7
	s_and_saveexec_b32 s7, s0
	s_cbranch_execnz .LBB600_34
	s_branch .LBB600_35
.LBB600_54:                             ;   in Loop: Header=BB600_13 Depth=1
	ds_read_b32 v8, v31
	s_or_b32 exec_lo, exec_lo, s7
	s_and_saveexec_b32 s7, s0
	s_cbranch_execz .LBB600_39
.LBB600_55:                             ;   in Loop: Header=BB600_13 Depth=1
	s_waitcnt lgkmcnt(0)
	ds_bpermute_b32 v34, v28, v8
	s_waitcnt lgkmcnt(0)
	v_add_f32_e32 v8, v8, v34
	ds_bpermute_b32 v34, v29, v8
	s_waitcnt lgkmcnt(0)
	v_add_f32_e32 v8, v8, v34
	;; [unrolled: 3-line block ×3, first 2 shown]
	s_or_b32 exec_lo, exec_lo, s7
	s_and_saveexec_b32 s7, s2
	s_cbranch_execz .LBB600_12
.LBB600_56:                             ;   in Loop: Header=BB600_13 Depth=1
	s_mul_i32 s8, s17, s14
	v_mul_f32_e32 v6, s26, v6
	s_add_i32 s8, s8, s6
	v_mul_f32_e32 v7, s26, v7
	s_lshl_b64 s[24:25], s[8:9], 2
	v_mul_f32_e32 v33, s26, v33
	s_add_u32 s24, s28, s24
	s_addc_u32 s25, s29, s25
	s_add_i32 s8, s8, s14
	global_store_dword v5, v6, s[24:25]
	s_lshl_b64 s[36:37], s[8:9], 2
	s_waitcnt lgkmcnt(0)
	v_mul_f32_e32 v6, s26, v8
	s_add_u32 s36, s28, s36
	s_addc_u32 s37, s29, s37
	s_add_i32 s8, s8, s14
	global_store_dword v5, v7, s[36:37]
	s_lshl_b64 s[38:39], s[8:9], 2
	s_add_u32 s24, s28, s38
	s_addc_u32 s25, s29, s39
	s_add_i32 s8, s8, s14
	s_lshl_b64 s[38:39], s[8:9], 2
	s_add_u32 s36, s28, s38
	s_addc_u32 s37, s29, s39
	global_store_dword v5, v33, s[24:25]
	global_store_dword v5, v6, s[36:37]
	s_branch .LBB600_12
.LBB600_57:                             ;   in Loop: Header=BB600_13 Depth=1
	v_mov_b32_e32 v8, 0
	v_mov_b32_e32 v33, 0
	;; [unrolled: 1-line block ×4, first 2 shown]
.LBB600_58:                             ;   in Loop: Header=BB600_13 Depth=1
	s_or_b32 exec_lo, exec_lo, s37
	s_or_b32 exec_lo, exec_lo, s36
	s_and_saveexec_b32 s7, s0
	s_cbranch_execnz .LBB600_16
	s_branch .LBB600_17
.LBB600_59:
	v_mov_b32_e32 v1, 0
	s_mov_b32 s17, 0
	v_mov_b32_e32 v2, v1
	v_mov_b32_e32 v3, v1
	;; [unrolled: 1-line block ×3, first 2 shown]
.LBB600_60:
	s_cmp_ge_i32 s17, s13
	s_cbranch_scc1 .LBB600_84
; %bb.61:
	v_cmp_gt_u32_e32 vcc_lo, 24, v23
	v_cmp_ge_i32_e64 s0, s12, v24
	v_lshl_or_b32 v17, v23, 2, 64
	v_ashrrev_i32_e32 v10, 31, v9
	v_cmp_ge_i32_e64 s1, s12, v25
	v_cndmask_b32_e64 v5, 0, 8, vcc_lo
	v_cmp_gt_u32_e32 vcc_lo, 28, v23
	s_cmp_gt_i32 s27, 0
	v_lshlrev_b64 v[10:11], 1, v[9:10]
	s_mov_b32 s7, 0
	v_add_lshl_u32 v18, v5, v23, 2
	v_cndmask_b32_e64 v6, 0, 4, vcc_lo
	v_cmp_gt_u32_e32 vcc_lo, 30, v23
	v_add_nc_u32_e32 v5, s15, v9
	s_cselect_b32 s12, -1, 0
	v_cmp_gt_u32_e64 s2, 32, v0
	v_add_lshl_u32 v24, v6, v23, 2
	v_cndmask_b32_e64 v7, 0, 2, vcc_lo
	v_cmp_ne_u32_e32 vcc_lo, 31, v23
	v_ashrrev_i32_e32 v6, 31, v5
	v_lshlrev_b32_e32 v16, 2, v21
	v_cmp_eq_u32_e64 s3, 0, v21
	v_and_b32_e32 v21, 28, v22
	s_waitcnt lgkmcnt(0)
	v_add_co_ci_u32_e64 v8, null, 0, v23, vcc_lo
	v_add_lshl_u32 v23, v7, v23, 2
	v_add_nc_u32_e32 v7, s15, v5
	v_lshlrev_b64 v[12:13], 1, v[5:6]
	v_lshlrev_b32_e32 v25, 2, v8
	v_add_co_u32 v5, vcc_lo, s10, v10
	v_add_nc_u32_e32 v14, s15, v7
	v_ashrrev_i32_e32 v8, 31, v7
	v_add_co_ci_u32_e64 v6, null, s11, v11, vcc_lo
	v_cmp_gt_u32_e64 s4, 8, v0
	v_ashrrev_i32_e32 v15, 31, v14
	v_lshlrev_b64 v[10:11], 1, v[7:8]
	v_add_co_u32 v7, vcc_lo, s10, v12
	v_add_co_ci_u32_e64 v8, null, s11, v13, vcc_lo
	v_lshlrev_b64 v[12:13], 1, v[14:15]
	v_add_co_u32 v10, vcc_lo, s10, v10
	v_add_co_ci_u32_e64 v11, null, s11, v11, vcc_lo
	v_cmp_eq_u32_e64 s5, 0, v0
	v_add_co_u32 v12, vcc_lo, s10, v12
	s_lshl_b64 s[8:9], s[6:7], 2
	v_add_co_ci_u32_e64 v13, null, s11, v13, vcc_lo
	v_mov_b32_e32 v0, 0
	s_add_u32 s22, s28, s8
	s_addc_u32 s23, s29, s9
	s_mul_i32 s18, s17, s16
	s_branch .LBB600_63
.LBB600_62:                             ;   in Loop: Header=BB600_63 Depth=1
	s_or_b32 exec_lo, exec_lo, s6
	s_add_i32 s17, s17, 1
	s_add_i32 s18, s18, s16
	s_cmp_ge_i32 s17, s13
	s_cbranch_scc1 .LBB600_84
.LBB600_63:                             ; =>This Loop Header: Depth=1
                                        ;     Child Loop BB600_76 Depth 2
                                        ;     Child Loop BB600_79 Depth 2
	v_mov_b32_e32 v22, s7
	s_and_saveexec_b32 s6, s0
	s_xor_b32 s6, exec_lo, s6
	s_cbranch_execnz .LBB600_72
; %bb.64:                               ;   in Loop: Header=BB600_63 Depth=1
	s_andn2_saveexec_b32 s24, s6
	s_cbranch_execnz .LBB600_73
.LBB600_65:                             ;   in Loop: Header=BB600_63 Depth=1
	s_or_b32 exec_lo, exec_lo, s24
	s_and_saveexec_b32 s6, s2
.LBB600_66:                             ;   in Loop: Header=BB600_63 Depth=1
	ds_write_b32 v16, v0
.LBB600_67:                             ;   in Loop: Header=BB600_63 Depth=1
	s_or_b32 exec_lo, exec_lo, s6
	s_waitcnt lgkmcnt(0)
	ds_bpermute_b32 v14, v17, v22
	s_waitcnt lgkmcnt(0)
	s_waitcnt_vscnt null, 0x0
	s_barrier
	buffer_gl0_inv
	v_add_f32_e32 v14, v22, v14
	ds_bpermute_b32 v15, v18, v14
	s_waitcnt lgkmcnt(0)
	v_add_f32_e32 v14, v14, v15
	ds_bpermute_b32 v15, v24, v14
	s_waitcnt lgkmcnt(0)
	;; [unrolled: 3-line block ×3, first 2 shown]
	v_add_f32_e32 v14, v14, v15
	ds_bpermute_b32 v15, v25, v14
	s_and_saveexec_b32 s6, s3
	s_cbranch_execz .LBB600_69
; %bb.68:                               ;   in Loop: Header=BB600_63 Depth=1
	s_waitcnt lgkmcnt(0)
	v_add_f32_e32 v14, v14, v15
	ds_write_b32 v21, v14
.LBB600_69:                             ;   in Loop: Header=BB600_63 Depth=1
	s_or_b32 exec_lo, exec_lo, s6
	v_mov_b32_e32 v14, 0
	s_waitcnt lgkmcnt(0)
	s_barrier
	buffer_gl0_inv
	s_and_saveexec_b32 s6, s4
	s_cbranch_execnz .LBB600_81
; %bb.70:                               ;   in Loop: Header=BB600_63 Depth=1
	s_or_b32 exec_lo, exec_lo, s6
	s_and_saveexec_b32 s6, s2
	s_cbranch_execnz .LBB600_82
.LBB600_71:                             ;   in Loop: Header=BB600_63 Depth=1
	s_or_b32 exec_lo, exec_lo, s6
	s_and_saveexec_b32 s6, s5
	s_cbranch_execz .LBB600_62
	s_branch .LBB600_83
.LBB600_72:                             ;   in Loop: Header=BB600_63 Depth=1
	s_mul_i32 s8, s17, s16
	s_ashr_i32 s9, s8, 31
	s_lshl_b64 s[8:9], s[8:9], 1
	v_add_co_u32 v1, vcc_lo, v19, s8
	v_add_co_ci_u32_e64 v2, null, s9, v20, vcc_lo
	flat_load_ushort v3, v[5:6]
	s_waitcnt lgkmcnt(1)
	flat_load_dwordx2 v[14:15], v[1:2]
	s_clause 0x2
	flat_load_ushort v2, v[7:8]
	flat_load_ushort v4, v[10:11]
	;; [unrolled: 1-line block ×3, first 2 shown]
	s_waitcnt vmcnt(4) lgkmcnt(4)
	v_lshlrev_b32_e32 v1, 16, v3
	s_waitcnt vmcnt(3) lgkmcnt(3)
	v_lshlrev_b32_e32 v3, 16, v14
	;; [unrolled: 2-line block ×3, first 2 shown]
	v_and_b32_e32 v14, 0xffff0000, v14
	v_fma_f32 v22, v1, v3, 0
	s_waitcnt vmcnt(1) lgkmcnt(1)
	v_lshlrev_b32_e32 v3, 16, v4
	s_waitcnt vmcnt(0) lgkmcnt(0)
	v_lshlrev_b32_e32 v4, 16, v26
	v_fmac_f32_e32 v22, v2, v14
	v_lshlrev_b32_e32 v14, 16, v15
	v_and_b32_e32 v15, 0xffff0000, v15
	v_fmac_f32_e32 v22, v3, v14
	v_fmac_f32_e32 v22, v4, v15
	s_andn2_saveexec_b32 s24, s6
	s_cbranch_execz .LBB600_65
.LBB600_73:                             ;   in Loop: Header=BB600_63 Depth=1
	s_and_saveexec_b32 s25, s1
	s_cbranch_execz .LBB600_80
; %bb.74:                               ;   in Loop: Header=BB600_63 Depth=1
	s_andn2_b32 vcc_lo, exec_lo, s12
	s_cbranch_vccnz .LBB600_77
; %bb.75:                               ;   in Loop: Header=BB600_63 Depth=1
	s_waitcnt lgkmcnt(0)
	v_mov_b32_e32 v14, v9
	s_mov_b64 s[20:21], 0
	.p2align	6
.LBB600_76:                             ;   Parent Loop BB600_63 Depth=1
                                        ; =>  This Inner Loop Header: Depth=2
	v_ashrrev_i32_e32 v15, 31, v14
	s_cmp_eq_u32 s20, 3
	v_lshlrev_b64 v[26:27], 1, v[14:15]
	v_add_nc_u32_e32 v14, s15, v14
	v_add_co_u32 v26, vcc_lo, s10, v26
	v_add_co_ci_u32_e64 v27, null, s11, v27, vcc_lo
	s_cselect_b32 vcc_lo, -1, 0
	s_cmp_eq_u32 s20, 2
	s_cselect_b32 s6, -1, 0
	flat_load_ushort v15, v[26:27]
	s_cmp_eq_u32 s20, 1
	s_cselect_b32 s8, -1, 0
	s_cmp_eq_u32 s20, 0
	s_waitcnt vmcnt(0) lgkmcnt(0)
	v_lshlrev_b32_e32 v15, 16, v15
	v_cndmask_b32_e32 v4, v4, v15, vcc_lo
	s_cselect_b32 vcc_lo, -1, 0
	v_cndmask_b32_e64 v3, v3, v15, s6
	v_cndmask_b32_e64 v2, v2, v15, s8
	v_cndmask_b32_e32 v1, v1, v15, vcc_lo
	s_add_u32 s20, s20, 1
	s_addc_u32 s21, s21, 0
	s_cmp_eq_u32 s27, s20
	s_cbranch_scc0 .LBB600_76
.LBB600_77:                             ;   in Loop: Header=BB600_63 Depth=1
	s_andn2_b32 vcc_lo, exec_lo, s12
	s_cbranch_vccnz .LBB600_80
; %bb.78:                               ;   in Loop: Header=BB600_63 Depth=1
	s_ashr_i32 s19, s18, 31
	s_lshl_b64 s[8:9], s[18:19], 1
	s_waitcnt lgkmcnt(0)
	v_add_co_u32 v14, vcc_lo, v19, s8
	v_add_co_ci_u32_e64 v15, null, s9, v20, vcc_lo
	s_mov_b64 s[8:9], 0
	.p2align	6
.LBB600_79:                             ;   Parent Loop BB600_63 Depth=1
                                        ; =>  This Inner Loop Header: Depth=2
	flat_load_ushort v26, v[14:15]
	s_cmp_eq_u32 s8, 1
	s_cselect_b32 vcc_lo, -1, 0
	s_cmp_eq_u32 s8, 2
	v_cndmask_b32_e32 v27, v1, v2, vcc_lo
	s_cselect_b32 vcc_lo, -1, 0
	s_cmp_eq_u32 s8, 3
	v_cndmask_b32_e32 v27, v27, v3, vcc_lo
	s_cselect_b32 vcc_lo, -1, 0
	s_add_u32 s8, s8, 1
	s_addc_u32 s9, s9, 0
	s_cmp_lg_u32 s27, s8
	v_cndmask_b32_e32 v27, v27, v4, vcc_lo
	v_add_co_u32 v14, vcc_lo, v14, 2
	v_add_co_ci_u32_e64 v15, null, 0, v15, vcc_lo
	s_waitcnt vmcnt(0) lgkmcnt(0)
	v_lshlrev_b32_e32 v26, 16, v26
	v_fmac_f32_e32 v22, v27, v26
	s_cbranch_scc1 .LBB600_79
.LBB600_80:                             ;   in Loop: Header=BB600_63 Depth=1
	s_or_b32 exec_lo, exec_lo, s25
	s_or_b32 exec_lo, exec_lo, s24
	s_and_saveexec_b32 s6, s2
	s_cbranch_execnz .LBB600_66
	s_branch .LBB600_67
.LBB600_81:                             ;   in Loop: Header=BB600_63 Depth=1
	ds_read_b32 v14, v16
	s_or_b32 exec_lo, exec_lo, s6
	s_and_saveexec_b32 s6, s2
	s_cbranch_execz .LBB600_71
.LBB600_82:                             ;   in Loop: Header=BB600_63 Depth=1
	s_waitcnt lgkmcnt(0)
	ds_bpermute_b32 v15, v24, v14
	s_waitcnt lgkmcnt(0)
	v_add_f32_e32 v14, v14, v15
	ds_bpermute_b32 v15, v23, v14
	s_waitcnt lgkmcnt(0)
	v_add_f32_e32 v14, v14, v15
	;; [unrolled: 3-line block ×3, first 2 shown]
	s_or_b32 exec_lo, exec_lo, s6
	s_and_saveexec_b32 s6, s5
	s_cbranch_execz .LBB600_62
.LBB600_83:                             ;   in Loop: Header=BB600_63 Depth=1
	s_mul_hi_u32 s9, s17, s14
	s_mul_i32 s8, s17, s14
	s_waitcnt lgkmcnt(0)
	v_mul_f32_e32 v14, s26, v14
	s_lshl_b64 s[8:9], s[8:9], 2
	s_add_u32 s8, s22, s8
	s_addc_u32 s9, s23, s9
	global_store_dword v0, v14, s[8:9]
	s_branch .LBB600_62
.LBB600_84:
	s_endpgm
	.section	.rodata,"a",@progbits
	.p2align	6, 0x0
	.amdhsa_kernel _ZL23rocblas_gemvt_sn_kernelILb0ELi256ELi4EiPK16rocblas_bfloat16PKffEviiT4_lPKT3_lilS8_lilPT5_i
		.amdhsa_group_segment_fixed_size 128
		.amdhsa_private_segment_fixed_size 0
		.amdhsa_kernarg_size 360
		.amdhsa_user_sgpr_count 6
		.amdhsa_user_sgpr_private_segment_buffer 1
		.amdhsa_user_sgpr_dispatch_ptr 0
		.amdhsa_user_sgpr_queue_ptr 0
		.amdhsa_user_sgpr_kernarg_segment_ptr 1
		.amdhsa_user_sgpr_dispatch_id 0
		.amdhsa_user_sgpr_flat_scratch_init 0
		.amdhsa_user_sgpr_private_segment_size 0
		.amdhsa_wavefront_size32 1
		.amdhsa_uses_dynamic_stack 0
		.amdhsa_system_sgpr_private_segment_wavefront_offset 0
		.amdhsa_system_sgpr_workgroup_id_x 1
		.amdhsa_system_sgpr_workgroup_id_y 0
		.amdhsa_system_sgpr_workgroup_id_z 1
		.amdhsa_system_sgpr_workgroup_info 0
		.amdhsa_system_vgpr_workitem_id 0
		.amdhsa_next_free_vgpr 47
		.amdhsa_next_free_sgpr 44
		.amdhsa_reserve_vcc 1
		.amdhsa_reserve_flat_scratch 1
		.amdhsa_float_round_mode_32 0
		.amdhsa_float_round_mode_16_64 0
		.amdhsa_float_denorm_mode_32 3
		.amdhsa_float_denorm_mode_16_64 3
		.amdhsa_dx10_clamp 1
		.amdhsa_ieee_mode 1
		.amdhsa_fp16_overflow 0
		.amdhsa_workgroup_processor_mode 1
		.amdhsa_memory_ordered 1
		.amdhsa_forward_progress 1
		.amdhsa_shared_vgpr_count 0
		.amdhsa_exception_fp_ieee_invalid_op 0
		.amdhsa_exception_fp_denorm_src 0
		.amdhsa_exception_fp_ieee_div_zero 0
		.amdhsa_exception_fp_ieee_overflow 0
		.amdhsa_exception_fp_ieee_underflow 0
		.amdhsa_exception_fp_ieee_inexact 0
		.amdhsa_exception_int_div_zero 0
	.end_amdhsa_kernel
	.section	.text._ZL23rocblas_gemvt_sn_kernelILb0ELi256ELi4EiPK16rocblas_bfloat16PKffEviiT4_lPKT3_lilS8_lilPT5_i,"axG",@progbits,_ZL23rocblas_gemvt_sn_kernelILb0ELi256ELi4EiPK16rocblas_bfloat16PKffEviiT4_lPKT3_lilS8_lilPT5_i,comdat
.Lfunc_end600:
	.size	_ZL23rocblas_gemvt_sn_kernelILb0ELi256ELi4EiPK16rocblas_bfloat16PKffEviiT4_lPKT3_lilS8_lilPT5_i, .Lfunc_end600-_ZL23rocblas_gemvt_sn_kernelILb0ELi256ELi4EiPK16rocblas_bfloat16PKffEviiT4_lPKT3_lilS8_lilPT5_i
                                        ; -- End function
	.set _ZL23rocblas_gemvt_sn_kernelILb0ELi256ELi4EiPK16rocblas_bfloat16PKffEviiT4_lPKT3_lilS8_lilPT5_i.num_vgpr, 47
	.set _ZL23rocblas_gemvt_sn_kernelILb0ELi256ELi4EiPK16rocblas_bfloat16PKffEviiT4_lPKT3_lilS8_lilPT5_i.num_agpr, 0
	.set _ZL23rocblas_gemvt_sn_kernelILb0ELi256ELi4EiPK16rocblas_bfloat16PKffEviiT4_lPKT3_lilS8_lilPT5_i.numbered_sgpr, 44
	.set _ZL23rocblas_gemvt_sn_kernelILb0ELi256ELi4EiPK16rocblas_bfloat16PKffEviiT4_lPKT3_lilS8_lilPT5_i.num_named_barrier, 0
	.set _ZL23rocblas_gemvt_sn_kernelILb0ELi256ELi4EiPK16rocblas_bfloat16PKffEviiT4_lPKT3_lilS8_lilPT5_i.private_seg_size, 0
	.set _ZL23rocblas_gemvt_sn_kernelILb0ELi256ELi4EiPK16rocblas_bfloat16PKffEviiT4_lPKT3_lilS8_lilPT5_i.uses_vcc, 1
	.set _ZL23rocblas_gemvt_sn_kernelILb0ELi256ELi4EiPK16rocblas_bfloat16PKffEviiT4_lPKT3_lilS8_lilPT5_i.uses_flat_scratch, 1
	.set _ZL23rocblas_gemvt_sn_kernelILb0ELi256ELi4EiPK16rocblas_bfloat16PKffEviiT4_lPKT3_lilS8_lilPT5_i.has_dyn_sized_stack, 0
	.set _ZL23rocblas_gemvt_sn_kernelILb0ELi256ELi4EiPK16rocblas_bfloat16PKffEviiT4_lPKT3_lilS8_lilPT5_i.has_recursion, 0
	.set _ZL23rocblas_gemvt_sn_kernelILb0ELi256ELi4EiPK16rocblas_bfloat16PKffEviiT4_lPKT3_lilS8_lilPT5_i.has_indirect_call, 0
	.section	.AMDGPU.csdata,"",@progbits
; Kernel info:
; codeLenInByte = 4268
; TotalNumSgprs: 46
; NumVgprs: 47
; ScratchSize: 0
; MemoryBound: 0
; FloatMode: 240
; IeeeMode: 1
; LDSByteSize: 128 bytes/workgroup (compile time only)
; SGPRBlocks: 0
; VGPRBlocks: 5
; NumSGPRsForWavesPerEU: 46
; NumVGPRsForWavesPerEU: 47
; Occupancy: 16
; WaveLimiterHint : 0
; COMPUTE_PGM_RSRC2:SCRATCH_EN: 0
; COMPUTE_PGM_RSRC2:USER_SGPR: 6
; COMPUTE_PGM_RSRC2:TRAP_HANDLER: 0
; COMPUTE_PGM_RSRC2:TGID_X_EN: 1
; COMPUTE_PGM_RSRC2:TGID_Y_EN: 0
; COMPUTE_PGM_RSRC2:TGID_Z_EN: 1
; COMPUTE_PGM_RSRC2:TIDIG_COMP_CNT: 0
	.section	.text._ZL23rocblas_gemvt_sn_kernelILb0ELi256ELi4ElPK16rocblas_bfloat16PKffEviiT4_lPKT3_lilS8_lilPT5_i,"axG",@progbits,_ZL23rocblas_gemvt_sn_kernelILb0ELi256ELi4ElPK16rocblas_bfloat16PKffEviiT4_lPKT3_lilS8_lilPT5_i,comdat
	.globl	_ZL23rocblas_gemvt_sn_kernelILb0ELi256ELi4ElPK16rocblas_bfloat16PKffEviiT4_lPKT3_lilS8_lilPT5_i ; -- Begin function _ZL23rocblas_gemvt_sn_kernelILb0ELi256ELi4ElPK16rocblas_bfloat16PKffEviiT4_lPKT3_lilS8_lilPT5_i
	.p2align	8
	.type	_ZL23rocblas_gemvt_sn_kernelILb0ELi256ELi4ElPK16rocblas_bfloat16PKffEviiT4_lPKT3_lilS8_lilPT5_i,@function
_ZL23rocblas_gemvt_sn_kernelILb0ELi256ELi4ElPK16rocblas_bfloat16PKffEviiT4_lPKT3_lilS8_lilPT5_i: ; @_ZL23rocblas_gemvt_sn_kernelILb0ELi256ELi4ElPK16rocblas_bfloat16PKffEviiT4_lPKT3_lilS8_lilPT5_i
; %bb.0:
	s_load_dwordx8 s[8:15], s[4:5], 0x8
	s_mov_b32 s0, s7
	s_mov_b64 s[18:19], 0
	s_mov_b64 s[16:17], 0
	s_waitcnt lgkmcnt(0)
	s_mul_i32 s1, s11, s7
	s_mul_hi_u32 s2, s10, s7
	s_add_i32 s3, s2, s1
	s_mul_i32 s2, s10, s7
	s_mov_b32 s1, 0
	s_lshl_b64 s[2:3], s[2:3], 2
	s_add_u32 s2, s8, s2
	s_addc_u32 s3, s9, s3
	s_load_dword s33, s[2:3], 0x0
	s_waitcnt lgkmcnt(0)
	v_cmp_eq_f32_e64 s2, s33, 0
	v_cmp_neq_f32_e64 s3, s33, 0
	s_and_b32 vcc_lo, exec_lo, s2
	s_cbranch_vccnz .LBB601_2
; %bb.1:
	s_lshl_b64 s[8:9], s[0:1], 3
	s_add_u32 s8, s12, s8
	s_addc_u32 s9, s13, s9
	s_lshl_b64 s[10:11], s[14:15], 1
	s_load_dwordx2 s[8:9], s[8:9], 0x0
	s_waitcnt lgkmcnt(0)
	s_add_u32 s16, s8, s10
	s_addc_u32 s17, s9, s11
.LBB601_2:
	s_andn2_b32 vcc_lo, exec_lo, s3
	s_cbranch_vccnz .LBB601_4
; %bb.3:
	s_load_dwordx4 s[8:11], s[4:5], 0x38
	s_lshl_b64 s[12:13], s[0:1], 3
	s_waitcnt lgkmcnt(0)
	s_add_u32 s8, s8, s12
	s_addc_u32 s9, s9, s13
	s_lshl_b64 s[10:11], s[10:11], 1
	s_load_dwordx2 s[8:9], s[8:9], 0x0
	s_waitcnt lgkmcnt(0)
	s_add_u32 s18, s8, s10
	s_addc_u32 s19, s9, s11
.LBB601_4:
	s_clause 0x2
	s_load_dwordx2 s[10:11], s[4:5], 0x0
	s_load_dword s12, s[4:5], 0x68
	s_load_dwordx2 s[14:15], s[4:5], 0x58
	s_mov_b32 s13, 0
	s_waitcnt lgkmcnt(0)
	s_ashr_i32 s8, s11, 31
	s_mul_hi_u32 s1, s11, s0
	s_mul_i32 s3, s8, s0
	s_mul_i32 s0, s11, s0
	s_add_i32 s1, s1, s3
	s_mul_hi_u32 s3, s0, s12
	s_mul_i32 s1, s1, s12
	s_mul_i32 s0, s0, s12
	s_add_i32 s1, s3, s1
	s_lshl_b64 s[0:1], s[0:1], 2
	s_add_u32 s34, s14, s0
	s_addc_u32 s35, s15, s1
	s_andn2_b32 vcc_lo, exec_lo, s2
	s_mov_b32 s0, -1
	s_cbranch_vccnz .LBB601_9
; %bb.5:
	v_cmp_eq_u32_e32 vcc_lo, 0, v0
	s_cmp_gt_i32 s11, 0
	s_cselect_b32 s0, -1, 0
	s_and_b32 s0, vcc_lo, s0
	s_and_saveexec_b32 s9, s0
	s_cbranch_execz .LBB601_8
; %bb.6:
	s_mov_b32 s7, 0
	v_mov_b32_e32 v1, 0
	s_lshl_b64 s[0:1], s[6:7], 2
	s_mov_b32 s7, s11
	s_add_u32 s0, s34, s0
	s_addc_u32 s1, s35, s1
	s_lshl_b64 s[2:3], s[12:13], 2
.LBB601_7:                              ; =>This Inner Loop Header: Depth=1
	s_add_i32 s7, s7, -1
	global_store_dword v1, v1, s[0:1]
	s_add_u32 s0, s0, s2
	s_addc_u32 s1, s1, s3
	s_cmp_eq_u32 s7, 0
	s_cbranch_scc0 .LBB601_7
.LBB601_8:
	s_or_b32 exec_lo, exec_lo, s9
	s_mov_b32 s0, 0
.LBB601_9:
	s_andn2_b32 vcc_lo, exec_lo, s0
	s_cbranch_vccnz .LBB601_84
; %bb.10:
	s_lshl_b32 s0, s6, 10
	s_clause 0x1
	s_load_dword s14, s[4:5], 0x28
	s_load_dword s20, s[4:5], 0x48
	v_lshl_or_b32 v13, v0, 2, s0
	s_ashr_i32 s0, s10, 31
	s_lshr_b32 s1, s8, 30
	s_lshr_b32 s0, s0, 30
	s_add_i32 s1, s11, s1
	v_ashrrev_i32_e32 v14, 31, v13
	s_add_i32 s0, s10, s0
	s_and_b32 s36, s1, -4
	s_and_b32 s0, s0, -4
	v_add_nc_u32_e32 v30, 4, v13
	v_lshlrev_b64 v[11:12], 1, v[13:14]
	s_sub_i32 s13, s10, s0
	v_and_b32_e32 v27, 31, v0
	v_add_nc_u32_e32 v31, s13, v13
	v_cmp_gt_u32_e64 s0, 32, v0
	v_mbcnt_lo_u32_b32 v29, -1, 0
	v_add_co_u32 v9, vcc_lo, s16, v11
	v_add_co_ci_u32_e64 v10, null, s17, v12, vcc_lo
	v_cmp_gt_u32_e64 s1, 8, v0
	v_lshrrev_b32_e32 v28, 3, v0
	v_cmp_eq_u32_e64 s2, 0, v0
	v_or_b32_e32 v26, 1, v13
	v_or_b32_e32 v25, 2, v13
	;; [unrolled: 1-line block ×3, first 2 shown]
	s_waitcnt lgkmcnt(0)
	s_ashr_i32 s15, s14, 31
	s_ashr_i32 s21, s20, 31
	s_cmp_lt_i32 s36, 1
	s_cbranch_scc1 .LBB601_59
; %bb.11:
	v_cmp_gt_u32_e32 vcc_lo, 24, v29
	v_mad_i64_i32 v[5:6], null, s20, v25, 0
	v_mad_i64_i32 v[7:8], null, s20, v24, 0
	v_cndmask_b32_e64 v1, 0, 8, vcc_lo
	v_cmp_gt_u32_e32 vcc_lo, 28, v29
	s_cmp_gt_i32 s13, 0
	s_mov_b32 s7, 0
	v_mov_b32_e32 v23, v10
	v_add_lshl_u32 v33, v1, v29, 2
	v_cndmask_b32_e64 v2, 0, 4, vcc_lo
	v_cmp_gt_u32_e32 vcc_lo, 30, v29
	v_cmp_ge_i32_e64 s3, s10, v30
	v_cmp_ge_i32_e64 s4, s10, v31
	s_cselect_b32 s37, -1, 0
	v_add_lshl_u32 v34, v2, v29, 2
	v_cndmask_b32_e64 v3, 0, 2, vcc_lo
	v_cmp_ne_u32_e32 vcc_lo, 31, v29
	v_mad_i64_i32 v[1:2], null, s20, v13, 0
	v_lshl_or_b32 v32, v29, 2, 64
	v_add_lshl_u32 v35, v3, v29, 2
	v_add_co_ci_u32_e64 v4, null, 0, v29, vcc_lo
	v_cmp_eq_u32_e64 s5, 0, v27
	v_lshlrev_b32_e32 v37, 2, v27
	v_lshlrev_b64 v[1:2], 1, v[1:2]
	v_lshlrev_b32_e32 v36, 2, v4
	v_mad_i64_i32 v[3:4], null, s20, v26, 0
	s_lshl_b64 s[8:9], s[6:7], 2
	v_and_b32_e32 v38, 28, v28
	v_add_co_u32 v14, vcc_lo, s18, v1
	v_add_co_ci_u32_e64 v15, null, s19, v2, vcc_lo
	v_lshlrev_b64 v[3:4], 1, v[3:4]
	v_lshlrev_b64 v[1:2], 1, v[5:6]
	v_mov_b32_e32 v5, 0
	v_mov_b32_e32 v22, v9
	s_add_u32 s38, s34, s8
	s_addc_u32 s39, s35, s9
	v_add_co_u32 v16, vcc_lo, s18, v3
	v_add_co_ci_u32_e64 v17, null, s19, v4, vcc_lo
	v_lshlrev_b64 v[3:4], 1, v[7:8]
	v_add_co_u32 v18, vcc_lo, s18, v1
	v_mov_b32_e32 v6, v5
	v_mov_b32_e32 v7, v5
	;; [unrolled: 1-line block ×3, first 2 shown]
	v_add_co_ci_u32_e64 v19, null, s19, v2, vcc_lo
	v_add_co_u32 v20, vcc_lo, s18, v3
	v_add_co_ci_u32_e64 v21, null, s19, v4, vcc_lo
	v_mov_b32_e32 v1, v5
	v_mov_b32_e32 v2, v6
	v_mov_b32_e32 v3, v7
	v_mov_b32_e32 v4, v8
	s_lshl_b64 s[22:23], s[20:21], 1
	s_mul_hi_i32 s40, s14, 6
	s_mul_i32 s41, s14, 6
	s_lshl_b64 s[24:25], s[14:15], 3
	s_lshl_b64 s[26:27], s[14:15], 2
	s_lshl_b64 s[28:29], s[14:15], 1
	s_branch .LBB601_13
.LBB601_12:                             ;   in Loop: Header=BB601_13 Depth=1
	s_or_b32 exec_lo, exec_lo, s8
	v_add_co_u32 v22, vcc_lo, v22, s24
	v_add_co_ci_u32_e64 v23, null, s25, v23, vcc_lo
	s_add_i32 s7, s7, 4
	s_cmp_ge_i32 s7, s36
	s_cbranch_scc1 .LBB601_60
.LBB601_13:                             ; =>This Loop Header: Depth=1
                                        ;     Child Loop BB601_44 Depth 2
                                        ;     Child Loop BB601_47 Depth 2
                                        ; implicit-def: $vgpr8
                                        ; implicit-def: $vgpr39
                                        ; implicit-def: $vgpr40
                                        ; implicit-def: $vgpr41
	s_and_saveexec_b32 s8, s3
	s_xor_b32 s8, exec_lo, s8
	s_cbranch_execnz .LBB601_40
; %bb.14:                               ;   in Loop: Header=BB601_13 Depth=1
	s_andn2_saveexec_b32 s42, s8
	s_cbranch_execnz .LBB601_41
.LBB601_15:                             ;   in Loop: Header=BB601_13 Depth=1
	s_or_b32 exec_lo, exec_lo, s42
	s_and_saveexec_b32 s8, s0
.LBB601_16:                             ;   in Loop: Header=BB601_13 Depth=1
	ds_write_b32 v37, v5
.LBB601_17:                             ;   in Loop: Header=BB601_13 Depth=1
	s_or_b32 exec_lo, exec_lo, s8
	ds_bpermute_b32 v6, v32, v41
	s_waitcnt lgkmcnt(0)
	s_waitcnt_vscnt null, 0x0
	s_barrier
	buffer_gl0_inv
	v_add_f32_e32 v6, v41, v6
	ds_bpermute_b32 v7, v33, v6
	s_waitcnt lgkmcnt(0)
	v_add_f32_e32 v6, v6, v7
	ds_bpermute_b32 v7, v34, v6
	s_waitcnt lgkmcnt(0)
	;; [unrolled: 3-line block ×3, first 2 shown]
	v_add_f32_e32 v6, v6, v7
	ds_bpermute_b32 v7, v36, v6
	s_and_saveexec_b32 s8, s5
	s_cbranch_execz .LBB601_19
; %bb.18:                               ;   in Loop: Header=BB601_13 Depth=1
	s_waitcnt lgkmcnt(0)
	v_add_f32_e32 v6, v6, v7
	ds_write_b32 v38, v6
.LBB601_19:                             ;   in Loop: Header=BB601_13 Depth=1
	s_or_b32 exec_lo, exec_lo, s8
	v_mov_b32_e32 v6, 0
	s_waitcnt lgkmcnt(0)
	s_barrier
	buffer_gl0_inv
	s_and_saveexec_b32 s8, s1
	s_cbranch_execnz .LBB601_48
; %bb.20:                               ;   in Loop: Header=BB601_13 Depth=1
	s_or_b32 exec_lo, exec_lo, s8
	s_and_saveexec_b32 s8, s0
	s_cbranch_execnz .LBB601_49
.LBB601_21:                             ;   in Loop: Header=BB601_13 Depth=1
	s_or_b32 exec_lo, exec_lo, s8
	s_and_saveexec_b32 s8, s0
.LBB601_22:                             ;   in Loop: Header=BB601_13 Depth=1
	ds_write_b32 v37, v5
.LBB601_23:                             ;   in Loop: Header=BB601_13 Depth=1
	s_or_b32 exec_lo, exec_lo, s8
	ds_bpermute_b32 v7, v32, v40
	s_waitcnt lgkmcnt(0)
	s_barrier
	buffer_gl0_inv
	v_add_f32_e32 v7, v40, v7
	ds_bpermute_b32 v40, v33, v7
	s_waitcnt lgkmcnt(0)
	v_add_f32_e32 v7, v7, v40
	ds_bpermute_b32 v40, v34, v7
	s_waitcnt lgkmcnt(0)
	;; [unrolled: 3-line block ×3, first 2 shown]
	v_add_f32_e32 v7, v7, v40
	ds_bpermute_b32 v40, v36, v7
	s_and_saveexec_b32 s8, s5
	s_cbranch_execz .LBB601_25
; %bb.24:                               ;   in Loop: Header=BB601_13 Depth=1
	s_waitcnt lgkmcnt(0)
	v_add_f32_e32 v7, v7, v40
	ds_write_b32 v38, v7
.LBB601_25:                             ;   in Loop: Header=BB601_13 Depth=1
	s_or_b32 exec_lo, exec_lo, s8
	v_mov_b32_e32 v7, 0
	s_waitcnt lgkmcnt(0)
	s_barrier
	buffer_gl0_inv
	s_and_saveexec_b32 s8, s1
	s_cbranch_execnz .LBB601_50
; %bb.26:                               ;   in Loop: Header=BB601_13 Depth=1
	s_or_b32 exec_lo, exec_lo, s8
	s_and_saveexec_b32 s8, s0
	s_cbranch_execnz .LBB601_51
.LBB601_27:                             ;   in Loop: Header=BB601_13 Depth=1
	s_or_b32 exec_lo, exec_lo, s8
	s_and_saveexec_b32 s8, s0
.LBB601_28:                             ;   in Loop: Header=BB601_13 Depth=1
	ds_write_b32 v37, v5
.LBB601_29:                             ;   in Loop: Header=BB601_13 Depth=1
	s_or_b32 exec_lo, exec_lo, s8
	ds_bpermute_b32 v40, v32, v39
	s_waitcnt lgkmcnt(0)
	s_barrier
	buffer_gl0_inv
	v_add_f32_e32 v39, v39, v40
	ds_bpermute_b32 v40, v33, v39
	s_waitcnt lgkmcnt(0)
	v_add_f32_e32 v39, v39, v40
	ds_bpermute_b32 v40, v34, v39
	s_waitcnt lgkmcnt(0)
	;; [unrolled: 3-line block ×3, first 2 shown]
	v_add_f32_e32 v39, v39, v40
	ds_bpermute_b32 v40, v36, v39
	s_and_saveexec_b32 s8, s5
	s_cbranch_execz .LBB601_31
; %bb.30:                               ;   in Loop: Header=BB601_13 Depth=1
	s_waitcnt lgkmcnt(0)
	v_add_f32_e32 v39, v39, v40
	ds_write_b32 v38, v39
.LBB601_31:                             ;   in Loop: Header=BB601_13 Depth=1
	s_or_b32 exec_lo, exec_lo, s8
	v_mov_b32_e32 v39, 0
	s_waitcnt lgkmcnt(0)
	s_barrier
	buffer_gl0_inv
	s_and_saveexec_b32 s8, s1
	s_cbranch_execnz .LBB601_52
; %bb.32:                               ;   in Loop: Header=BB601_13 Depth=1
	s_or_b32 exec_lo, exec_lo, s8
	s_and_saveexec_b32 s8, s0
	s_cbranch_execnz .LBB601_53
.LBB601_33:                             ;   in Loop: Header=BB601_13 Depth=1
	s_or_b32 exec_lo, exec_lo, s8
	s_and_saveexec_b32 s8, s0
.LBB601_34:                             ;   in Loop: Header=BB601_13 Depth=1
	ds_write_b32 v37, v5
.LBB601_35:                             ;   in Loop: Header=BB601_13 Depth=1
	s_or_b32 exec_lo, exec_lo, s8
	ds_bpermute_b32 v40, v32, v8
	s_waitcnt lgkmcnt(0)
	s_barrier
	buffer_gl0_inv
	v_add_f32_e32 v8, v8, v40
	ds_bpermute_b32 v40, v33, v8
	s_waitcnt lgkmcnt(0)
	v_add_f32_e32 v8, v8, v40
	ds_bpermute_b32 v40, v34, v8
	s_waitcnt lgkmcnt(0)
	;; [unrolled: 3-line block ×3, first 2 shown]
	v_add_f32_e32 v8, v8, v40
	ds_bpermute_b32 v40, v36, v8
	s_and_saveexec_b32 s8, s5
	s_cbranch_execz .LBB601_37
; %bb.36:                               ;   in Loop: Header=BB601_13 Depth=1
	s_waitcnt lgkmcnt(0)
	v_add_f32_e32 v8, v8, v40
	ds_write_b32 v38, v8
.LBB601_37:                             ;   in Loop: Header=BB601_13 Depth=1
	s_or_b32 exec_lo, exec_lo, s8
	v_mov_b32_e32 v8, 0
	s_waitcnt lgkmcnt(0)
	s_barrier
	buffer_gl0_inv
	s_and_saveexec_b32 s8, s1
	s_cbranch_execnz .LBB601_54
; %bb.38:                               ;   in Loop: Header=BB601_13 Depth=1
	s_or_b32 exec_lo, exec_lo, s8
	s_and_saveexec_b32 s8, s0
	s_cbranch_execnz .LBB601_55
.LBB601_39:                             ;   in Loop: Header=BB601_13 Depth=1
	s_or_b32 exec_lo, exec_lo, s8
	s_and_saveexec_b32 s8, s2
	s_cbranch_execz .LBB601_12
	s_branch .LBB601_56
.LBB601_40:                             ;   in Loop: Header=BB601_13 Depth=1
	s_mul_i32 s9, s7, s15
	s_mul_hi_u32 s31, s7, s14
	s_mul_i32 s30, s7, s14
	s_add_i32 s31, s31, s9
	s_or_b32 s9, s7, 1
	s_lshl_b64 s[30:31], s[30:31], 1
	v_add_co_u32 v1, vcc_lo, v9, s30
	v_add_co_ci_u32_e64 v2, null, s31, v10, vcc_lo
	s_mul_i32 s30, s9, s15
	s_mul_hi_u32 s31, s9, s14
	s_add_i32 s31, s31, s30
	s_mul_i32 s30, s9, s14
	s_or_b32 s9, s7, 2
	s_lshl_b64 s[30:31], s[30:31], 1
	flat_load_dwordx2 v[6:7], v[1:2]
	s_mul_i32 s42, s9, s15
	s_mul_hi_u32 s43, s9, s14
	v_add_co_u32 v1, vcc_lo, v9, s30
	v_add_co_ci_u32_e64 v2, null, s31, v10, vcc_lo
	s_add_i32 s31, s43, s42
	s_or_b32 s42, s7, 3
	s_mul_i32 s30, s9, s14
	s_mul_i32 s9, s42, s15
	s_mul_hi_u32 s43, s42, s14
	s_lshl_b64 s[30:31], s[30:31], 1
	s_add_i32 s43, s43, s9
	s_mul_i32 s42, s42, s14
	v_add_co_u32 v3, vcc_lo, v9, s30
	v_add_co_ci_u32_e64 v4, null, s31, v10, vcc_lo
	s_lshl_b64 s[30:31], s[42:43], 1
	s_waitcnt lgkmcnt(1)
	s_clause 0x3
	flat_load_ushort v8, v[14:15]
	flat_load_ushort v47, v[16:17]
	;; [unrolled: 1-line block ×4, first 2 shown]
	v_add_co_u32 v39, vcc_lo, v9, s30
	v_add_co_ci_u32_e64 v40, null, s31, v10, vcc_lo
	s_clause 0x2
	flat_load_dwordx2 v[41:42], v[1:2]
	flat_load_dwordx2 v[43:44], v[3:4]
	;; [unrolled: 1-line block ×3, first 2 shown]
	s_waitcnt vmcnt(6) lgkmcnt(6)
	v_lshlrev_b32_e32 v1, 16, v8
	v_lshlrev_b32_e32 v8, 16, v6
	s_waitcnt vmcnt(4) lgkmcnt(4)
	v_lshlrev_b32_e32 v3, 16, v48
	v_lshlrev_b32_e32 v2, 16, v47
	s_waitcnt vmcnt(3) lgkmcnt(3)
	v_lshlrev_b32_e32 v4, 16, v49
	v_and_b32_e32 v6, 0xffff0000, v6
	v_lshlrev_b32_e32 v47, 16, v7
	s_waitcnt vmcnt(2) lgkmcnt(2)
	v_lshlrev_b32_e32 v39, 16, v41
	s_waitcnt vmcnt(1) lgkmcnt(1)
	;; [unrolled: 2-line block ×3, first 2 shown]
	v_and_b32_e32 v50, 0xffff0000, v45
	v_lshlrev_b32_e32 v45, 16, v45
	v_and_b32_e32 v49, 0xffff0000, v41
	v_and_b32_e32 v43, 0xffff0000, v43
	v_fma_f32 v41, v1, v8, 0
	v_fma_f32 v40, v1, v39, 0
	;; [unrolled: 1-line block ×4, first 2 shown]
	v_lshlrev_b32_e32 v51, 16, v42
	v_lshlrev_b32_e32 v52, 16, v44
	;; [unrolled: 1-line block ×3, first 2 shown]
	v_fmac_f32_e32 v41, v2, v6
	v_fmac_f32_e32 v40, v2, v49
	;; [unrolled: 1-line block ×4, first 2 shown]
	v_and_b32_e32 v7, 0xffff0000, v7
	v_and_b32_e32 v42, 0xffff0000, v42
	;; [unrolled: 1-line block ×4, first 2 shown]
	v_fmac_f32_e32 v41, v3, v47
	v_fmac_f32_e32 v40, v3, v51
	v_fmac_f32_e32 v39, v3, v52
	v_fmac_f32_e32 v8, v45, v3
	v_fmac_f32_e32 v41, v4, v7
	v_fmac_f32_e32 v40, v4, v42
	v_fmac_f32_e32 v39, v4, v44
	v_fmac_f32_e32 v8, v4, v6
	s_andn2_saveexec_b32 s42, s8
	s_cbranch_execz .LBB601_15
.LBB601_41:                             ;   in Loop: Header=BB601_13 Depth=1
	s_waitcnt lgkmcnt(0)
	v_mov_b32_e32 v8, 0
	v_mov_b32_e32 v39, 0
	;; [unrolled: 1-line block ×4, first 2 shown]
	s_and_saveexec_b32 s43, s4
	s_cbranch_execz .LBB601_58
; %bb.42:                               ;   in Loop: Header=BB601_13 Depth=1
	s_andn2_b32 vcc_lo, exec_lo, s37
	s_cbranch_vccnz .LBB601_45
; %bb.43:                               ;   in Loop: Header=BB601_13 Depth=1
	v_mov_b32_e32 v6, v14
	v_mov_b32_e32 v7, v15
	s_mov_b64 s[30:31], 0
	.p2align	6
.LBB601_44:                             ;   Parent Loop BB601_13 Depth=1
                                        ; =>  This Inner Loop Header: Depth=2
	flat_load_ushort v8, v[6:7]
	s_cmp_eq_u32 s30, 3
	v_add_co_u32 v6, vcc_lo, v6, s22
	v_add_co_ci_u32_e64 v7, null, s23, v7, vcc_lo
	s_cselect_b32 vcc_lo, -1, 0
	s_cmp_eq_u32 s30, 2
	s_cselect_b32 s8, -1, 0
	s_cmp_eq_u32 s30, 1
	s_cselect_b32 s9, -1, 0
	s_cmp_eq_u32 s30, 0
	s_waitcnt vmcnt(0) lgkmcnt(0)
	v_lshlrev_b32_e32 v8, 16, v8
	v_cndmask_b32_e32 v4, v4, v8, vcc_lo
	s_cselect_b32 vcc_lo, -1, 0
	v_cndmask_b32_e64 v3, v3, v8, s8
	v_cndmask_b32_e64 v2, v2, v8, s9
	v_cndmask_b32_e32 v1, v1, v8, vcc_lo
	s_add_u32 s30, s30, 1
	s_addc_u32 s31, s31, 0
	s_cmp_eq_u32 s13, s30
	s_cbranch_scc0 .LBB601_44
.LBB601_45:                             ;   in Loop: Header=BB601_13 Depth=1
	s_andn2_b32 vcc_lo, exec_lo, s37
	s_cbranch_vccnz .LBB601_57
; %bb.46:                               ;   in Loop: Header=BB601_13 Depth=1
	v_mov_b32_e32 v6, v22
	v_mov_b32_e32 v41, 0
	;; [unrolled: 1-line block ×6, first 2 shown]
	s_mov_b64 s[30:31], 0
	s_inst_prefetch 0x1
	.p2align	6
.LBB601_47:                             ;   Parent Loop BB601_13 Depth=1
                                        ; =>  This Inner Loop Header: Depth=2
	v_add_co_u32 v42, vcc_lo, v6, s28
	v_add_co_ci_u32_e64 v43, null, s29, v7, vcc_lo
	v_add_co_u32 v44, vcc_lo, v6, s26
	v_add_co_ci_u32_e64 v45, null, s27, v7, vcc_lo
	;; [unrolled: 2-line block ×3, first 2 shown]
	s_clause 0x3
	flat_load_ushort v48, v[6:7]
	flat_load_ushort v42, v[42:43]
	;; [unrolled: 1-line block ×4, first 2 shown]
	s_cmp_eq_u32 s30, 1
	v_add_co_u32 v6, s8, v6, 2
	s_cselect_b32 vcc_lo, -1, 0
	s_cmp_eq_u32 s30, 2
	v_cndmask_b32_e32 v45, v1, v2, vcc_lo
	s_cselect_b32 vcc_lo, -1, 0
	s_cmp_eq_u32 s30, 3
	v_add_co_ci_u32_e64 v7, null, 0, v7, s8
	v_cndmask_b32_e32 v45, v45, v3, vcc_lo
	s_cselect_b32 vcc_lo, -1, 0
	s_add_u32 s30, s30, 1
	s_addc_u32 s31, s31, 0
	s_cmp_lg_u32 s13, s30
	v_cndmask_b32_e32 v45, v45, v4, vcc_lo
	s_waitcnt vmcnt(3) lgkmcnt(3)
	v_lshlrev_b32_e32 v46, 16, v48
	s_waitcnt vmcnt(2) lgkmcnt(2)
	v_lshlrev_b32_e32 v42, 16, v42
	;; [unrolled: 2-line block ×4, first 2 shown]
	v_fmac_f32_e32 v41, v45, v46
	v_fmac_f32_e32 v40, v45, v42
	;; [unrolled: 1-line block ×4, first 2 shown]
	s_cbranch_scc1 .LBB601_47
	s_branch .LBB601_58
.LBB601_48:                             ;   in Loop: Header=BB601_13 Depth=1
	ds_read_b32 v6, v37
	s_or_b32 exec_lo, exec_lo, s8
	s_and_saveexec_b32 s8, s0
	s_cbranch_execz .LBB601_21
.LBB601_49:                             ;   in Loop: Header=BB601_13 Depth=1
	s_waitcnt lgkmcnt(0)
	ds_bpermute_b32 v7, v34, v6
	s_waitcnt lgkmcnt(0)
	v_add_f32_e32 v6, v6, v7
	ds_bpermute_b32 v7, v35, v6
	s_waitcnt lgkmcnt(0)
	v_add_f32_e32 v6, v6, v7
	;; [unrolled: 3-line block ×3, first 2 shown]
	s_or_b32 exec_lo, exec_lo, s8
	s_and_saveexec_b32 s8, s0
	s_cbranch_execnz .LBB601_22
	s_branch .LBB601_23
.LBB601_50:                             ;   in Loop: Header=BB601_13 Depth=1
	ds_read_b32 v7, v37
	s_or_b32 exec_lo, exec_lo, s8
	s_and_saveexec_b32 s8, s0
	s_cbranch_execz .LBB601_27
.LBB601_51:                             ;   in Loop: Header=BB601_13 Depth=1
	s_waitcnt lgkmcnt(0)
	ds_bpermute_b32 v40, v34, v7
	s_waitcnt lgkmcnt(0)
	v_add_f32_e32 v7, v7, v40
	ds_bpermute_b32 v40, v35, v7
	s_waitcnt lgkmcnt(0)
	v_add_f32_e32 v7, v7, v40
	;; [unrolled: 3-line block ×3, first 2 shown]
	s_or_b32 exec_lo, exec_lo, s8
	s_and_saveexec_b32 s8, s0
	s_cbranch_execnz .LBB601_28
	s_branch .LBB601_29
.LBB601_52:                             ;   in Loop: Header=BB601_13 Depth=1
	ds_read_b32 v39, v37
	s_or_b32 exec_lo, exec_lo, s8
	s_and_saveexec_b32 s8, s0
	s_cbranch_execz .LBB601_33
.LBB601_53:                             ;   in Loop: Header=BB601_13 Depth=1
	s_waitcnt lgkmcnt(0)
	ds_bpermute_b32 v40, v34, v39
	s_waitcnt lgkmcnt(0)
	v_add_f32_e32 v39, v39, v40
	ds_bpermute_b32 v40, v35, v39
	s_waitcnt lgkmcnt(0)
	v_add_f32_e32 v39, v39, v40
	ds_bpermute_b32 v40, v36, v39
	s_waitcnt lgkmcnt(0)
	v_add_f32_e32 v39, v39, v40
	s_or_b32 exec_lo, exec_lo, s8
	s_and_saveexec_b32 s8, s0
	s_cbranch_execnz .LBB601_34
	s_branch .LBB601_35
.LBB601_54:                             ;   in Loop: Header=BB601_13 Depth=1
	ds_read_b32 v8, v37
	s_or_b32 exec_lo, exec_lo, s8
	s_and_saveexec_b32 s8, s0
	s_cbranch_execz .LBB601_39
.LBB601_55:                             ;   in Loop: Header=BB601_13 Depth=1
	s_waitcnt lgkmcnt(0)
	ds_bpermute_b32 v40, v34, v8
	s_waitcnt lgkmcnt(0)
	v_add_f32_e32 v8, v8, v40
	ds_bpermute_b32 v40, v35, v8
	s_waitcnt lgkmcnt(0)
	v_add_f32_e32 v8, v8, v40
	;; [unrolled: 3-line block ×3, first 2 shown]
	s_or_b32 exec_lo, exec_lo, s8
	s_and_saveexec_b32 s8, s2
	s_cbranch_execz .LBB601_12
.LBB601_56:                             ;   in Loop: Header=BB601_13 Depth=1
	s_mul_hi_u32 s31, s7, s12
	s_mul_i32 s30, s7, s12
	v_mul_f32_e32 v6, s33, v6
	s_lshl_b64 s[30:31], s[30:31], 2
	v_mul_f32_e32 v7, s33, v7
	s_add_u32 s30, s38, s30
	s_addc_u32 s31, s39, s31
	s_or_b32 s9, s7, 1
	global_store_dword v5, v6, s[30:31]
	s_mul_hi_u32 s43, s9, s12
	s_mul_i32 s42, s9, s12
	v_mul_f32_e32 v6, s33, v39
	s_lshl_b64 s[42:43], s[42:43], 2
	s_waitcnt lgkmcnt(0)
	v_mul_f32_e32 v8, s33, v8
	s_add_u32 s42, s38, s42
	s_addc_u32 s43, s39, s43
	s_or_b32 s9, s7, 2
	global_store_dword v5, v7, s[42:43]
	s_mul_hi_u32 s45, s9, s12
	s_mul_i32 s44, s9, s12
	s_lshl_b64 s[44:45], s[44:45], 2
	s_add_u32 s30, s38, s44
	s_addc_u32 s31, s39, s45
	s_or_b32 s9, s7, 3
	s_mul_hi_u32 s45, s9, s12
	s_mul_i32 s44, s9, s12
	s_lshl_b64 s[44:45], s[44:45], 2
	s_add_u32 s42, s38, s44
	s_addc_u32 s43, s39, s45
	global_store_dword v5, v6, s[30:31]
	global_store_dword v5, v8, s[42:43]
	s_branch .LBB601_12
.LBB601_57:                             ;   in Loop: Header=BB601_13 Depth=1
	v_mov_b32_e32 v8, 0
	v_mov_b32_e32 v39, 0
	;; [unrolled: 1-line block ×4, first 2 shown]
.LBB601_58:                             ;   in Loop: Header=BB601_13 Depth=1
	s_inst_prefetch 0x2
	s_or_b32 exec_lo, exec_lo, s43
	s_or_b32 exec_lo, exec_lo, s42
	s_and_saveexec_b32 s8, s0
	s_cbranch_execnz .LBB601_16
	s_branch .LBB601_17
.LBB601_59:
	v_mov_b32_e32 v1, 0
	s_mov_b32 s7, 0
	v_mov_b32_e32 v2, v1
	v_mov_b32_e32 v3, v1
	;; [unrolled: 1-line block ×3, first 2 shown]
.LBB601_60:
	s_cmp_ge_i32 s7, s11
	s_cbranch_scc1 .LBB601_84
; %bb.61:
	v_cmp_gt_u32_e32 vcc_lo, 24, v29
	v_lshl_or_b32 v20, v29, 2, 64
	v_mad_i64_i32 v[15:16], null, s20, v24, 0
	s_cmp_gt_i32 s13, 0
	v_cndmask_b32_e64 v5, 0, 8, vcc_lo
	v_cmp_gt_u32_e32 vcc_lo, 28, v29
	s_mov_b32 s9, 0
	s_mov_b32 s8, s6
	v_cmp_ge_i32_e64 s0, s10, v30
	v_add_lshl_u32 v21, v5, v29, 2
	v_cndmask_b32_e64 v6, 0, 4, vcc_lo
	v_cmp_gt_u32_e32 vcc_lo, 30, v29
	v_lshlrev_b64 v[15:16], 1, v[15:16]
	v_cmp_ge_i32_e64 s1, s10, v31
	s_cselect_b32 s10, -1, 0
	v_add_lshl_u32 v22, v6, v29, 2
	v_cndmask_b32_e64 v7, 0, 2, vcc_lo
	v_cmp_ne_u32_e32 vcc_lo, 31, v29
	v_mad_i64_i32 v[5:6], null, s20, v13, 0
	v_mad_i64_i32 v[13:14], null, s20, v25, 0
	s_waitcnt lgkmcnt(0)
	v_add_co_ci_u32_e64 v8, null, 0, v29, vcc_lo
	v_add_lshl_u32 v23, v7, v29, 2
	s_lshl_b64 s[22:23], s[8:9], 2
	v_lshlrev_b64 v[5:6], 1, v[5:6]
	v_lshlrev_b32_e32 v29, 2, v8
	v_mad_i64_i32 v[7:8], null, s20, v26, 0
	v_lshlrev_b64 v[13:14], 1, v[13:14]
	s_mul_i32 s6, s15, s7
	v_add_co_u32 v5, vcc_lo, s18, v5
	v_add_co_ci_u32_e64 v6, null, s19, v6, vcc_lo
	v_lshlrev_b64 v[7:8], 1, v[7:8]
	s_mul_hi_u32 s8, s14, s7
	s_add_u32 s22, s34, s22
	s_addc_u32 s23, s35, s23
	s_add_i32 s25, s8, s6
	s_mul_i32 s24, s14, s7
	v_add_co_u32 v7, vcc_lo, s18, v7
	v_add_co_ci_u32_e64 v8, null, s19, v8, vcc_lo
	v_add_co_u32 v13, vcc_lo, s18, v13
	v_add_co_ci_u32_e64 v14, null, s19, v14, vcc_lo
	v_add_co_u32 v15, vcc_lo, s18, v15
	s_lshl_b64 s[24:25], s[24:25], 1
	v_add_co_ci_u32_e64 v16, null, s19, v16, vcc_lo
	s_lshl_b64 s[18:19], s[20:21], 1
	s_add_u32 s6, s16, s24
	s_addc_u32 s8, s17, s25
	v_add_co_u32 v11, vcc_lo, s6, v11
	v_cmp_gt_u32_e64 s2, 32, v0
	v_lshlrev_b32_e32 v19, 2, v27
	v_cmp_eq_u32_e64 s3, 0, v27
	v_and_b32_e32 v27, 28, v28
	v_cmp_gt_u32_e64 s4, 8, v0
	v_cmp_eq_u32_e64 s5, 0, v0
	v_add_co_ci_u32_e64 v12, null, s8, v12, vcc_lo
	v_mov_b32_e32 v0, 0
	s_lshl_b64 s[16:17], s[14:15], 1
	s_branch .LBB601_63
.LBB601_62:                             ;   in Loop: Header=BB601_63 Depth=1
	s_or_b32 exec_lo, exec_lo, s6
	v_add_co_u32 v11, vcc_lo, v11, s16
	v_add_co_ci_u32_e64 v12, null, s17, v12, vcc_lo
	s_add_i32 s7, s7, 1
	s_cmp_ge_i32 s7, s11
	s_cbranch_scc1 .LBB601_84
.LBB601_63:                             ; =>This Loop Header: Depth=1
                                        ;     Child Loop BB601_76 Depth 2
                                        ;     Child Loop BB601_79 Depth 2
	v_mov_b32_e32 v24, s9
	s_and_saveexec_b32 s6, s0
	s_xor_b32 s6, exec_lo, s6
	s_cbranch_execnz .LBB601_72
; %bb.64:                               ;   in Loop: Header=BB601_63 Depth=1
	s_andn2_saveexec_b32 s24, s6
	s_cbranch_execnz .LBB601_73
.LBB601_65:                             ;   in Loop: Header=BB601_63 Depth=1
	s_or_b32 exec_lo, exec_lo, s24
	s_and_saveexec_b32 s6, s2
.LBB601_66:                             ;   in Loop: Header=BB601_63 Depth=1
	ds_write_b32 v19, v0
.LBB601_67:                             ;   in Loop: Header=BB601_63 Depth=1
	s_or_b32 exec_lo, exec_lo, s6
	s_waitcnt lgkmcnt(0)
	ds_bpermute_b32 v17, v20, v24
	s_waitcnt lgkmcnt(0)
	s_waitcnt_vscnt null, 0x0
	s_barrier
	buffer_gl0_inv
	v_add_f32_e32 v17, v24, v17
	ds_bpermute_b32 v18, v21, v17
	s_waitcnt lgkmcnt(0)
	v_add_f32_e32 v17, v17, v18
	ds_bpermute_b32 v18, v22, v17
	s_waitcnt lgkmcnt(0)
	;; [unrolled: 3-line block ×3, first 2 shown]
	v_add_f32_e32 v17, v17, v18
	ds_bpermute_b32 v18, v29, v17
	s_and_saveexec_b32 s6, s3
	s_cbranch_execz .LBB601_69
; %bb.68:                               ;   in Loop: Header=BB601_63 Depth=1
	s_waitcnt lgkmcnt(0)
	v_add_f32_e32 v17, v17, v18
	ds_write_b32 v27, v17
.LBB601_69:                             ;   in Loop: Header=BB601_63 Depth=1
	s_or_b32 exec_lo, exec_lo, s6
	v_mov_b32_e32 v17, 0
	s_waitcnt lgkmcnt(0)
	s_barrier
	buffer_gl0_inv
	s_and_saveexec_b32 s6, s4
	s_cbranch_execnz .LBB601_81
; %bb.70:                               ;   in Loop: Header=BB601_63 Depth=1
	s_or_b32 exec_lo, exec_lo, s6
	s_and_saveexec_b32 s6, s2
	s_cbranch_execnz .LBB601_82
.LBB601_71:                             ;   in Loop: Header=BB601_63 Depth=1
	s_or_b32 exec_lo, exec_lo, s6
	s_and_saveexec_b32 s6, s5
	s_cbranch_execz .LBB601_62
	s_branch .LBB601_83
.LBB601_72:                             ;   in Loop: Header=BB601_63 Depth=1
	s_mul_i32 s8, s7, s15
	s_mul_hi_u32 s21, s7, s14
	s_mul_i32 s20, s7, s14
	s_add_i32 s21, s21, s8
	s_lshl_b64 s[20:21], s[20:21], 1
	v_add_co_u32 v1, vcc_lo, v9, s20
	v_add_co_ci_u32_e64 v2, null, s21, v10, vcc_lo
	flat_load_ushort v3, v[5:6]
	s_waitcnt lgkmcnt(1)
	flat_load_dwordx2 v[17:18], v[1:2]
	s_clause 0x2
	flat_load_ushort v2, v[7:8]
	flat_load_ushort v4, v[13:14]
	flat_load_ushort v25, v[15:16]
	s_waitcnt vmcnt(4) lgkmcnt(4)
	v_lshlrev_b32_e32 v1, 16, v3
	s_waitcnt vmcnt(3) lgkmcnt(3)
	v_lshlrev_b32_e32 v3, 16, v17
	;; [unrolled: 2-line block ×3, first 2 shown]
	v_and_b32_e32 v17, 0xffff0000, v17
	v_fma_f32 v24, v1, v3, 0
	s_waitcnt vmcnt(1) lgkmcnt(1)
	v_lshlrev_b32_e32 v3, 16, v4
	s_waitcnt vmcnt(0) lgkmcnt(0)
	v_lshlrev_b32_e32 v4, 16, v25
	v_fmac_f32_e32 v24, v2, v17
	v_lshlrev_b32_e32 v17, 16, v18
	v_and_b32_e32 v18, 0xffff0000, v18
	v_fmac_f32_e32 v24, v3, v17
	v_fmac_f32_e32 v24, v4, v18
	s_andn2_saveexec_b32 s24, s6
	s_cbranch_execz .LBB601_65
.LBB601_73:                             ;   in Loop: Header=BB601_63 Depth=1
	s_and_saveexec_b32 s25, s1
	s_cbranch_execz .LBB601_80
; %bb.74:                               ;   in Loop: Header=BB601_63 Depth=1
	s_andn2_b32 vcc_lo, exec_lo, s10
	s_cbranch_vccnz .LBB601_77
; %bb.75:                               ;   in Loop: Header=BB601_63 Depth=1
	s_waitcnt lgkmcnt(0)
	v_mov_b32_e32 v18, v6
	v_mov_b32_e32 v17, v5
	s_mov_b64 s[20:21], 0
	.p2align	6
.LBB601_76:                             ;   Parent Loop BB601_63 Depth=1
                                        ; =>  This Inner Loop Header: Depth=2
	flat_load_ushort v25, v[17:18]
	s_cmp_eq_u32 s20, 3
	v_add_co_u32 v17, vcc_lo, v17, s18
	v_add_co_ci_u32_e64 v18, null, s19, v18, vcc_lo
	s_cselect_b32 vcc_lo, -1, 0
	s_cmp_eq_u32 s20, 2
	s_cselect_b32 s6, -1, 0
	s_cmp_eq_u32 s20, 1
	s_cselect_b32 s8, -1, 0
	s_cmp_eq_u32 s20, 0
	s_waitcnt vmcnt(0) lgkmcnt(0)
	v_lshlrev_b32_e32 v25, 16, v25
	v_cndmask_b32_e32 v4, v4, v25, vcc_lo
	s_cselect_b32 vcc_lo, -1, 0
	v_cndmask_b32_e64 v3, v3, v25, s6
	v_cndmask_b32_e64 v2, v2, v25, s8
	v_cndmask_b32_e32 v1, v1, v25, vcc_lo
	s_add_u32 s20, s20, 1
	s_addc_u32 s21, s21, 0
	s_cmp_eq_u32 s13, s20
	s_cbranch_scc0 .LBB601_76
.LBB601_77:                             ;   in Loop: Header=BB601_63 Depth=1
	s_andn2_b32 vcc_lo, exec_lo, s10
	s_cbranch_vccnz .LBB601_80
; %bb.78:                               ;   in Loop: Header=BB601_63 Depth=1
	s_waitcnt lgkmcnt(0)
	v_mov_b32_e32 v18, v12
	v_mov_b32_e32 v17, v11
	s_mov_b64 s[20:21], 0
	.p2align	6
.LBB601_79:                             ;   Parent Loop BB601_63 Depth=1
                                        ; =>  This Inner Loop Header: Depth=2
	flat_load_ushort v25, v[17:18]
	s_cmp_eq_u32 s20, 1
	s_cselect_b32 vcc_lo, -1, 0
	s_cmp_eq_u32 s20, 2
	v_cndmask_b32_e32 v26, v1, v2, vcc_lo
	s_cselect_b32 vcc_lo, -1, 0
	s_cmp_eq_u32 s20, 3
	v_cndmask_b32_e32 v26, v26, v3, vcc_lo
	s_cselect_b32 vcc_lo, -1, 0
	s_add_u32 s20, s20, 1
	s_addc_u32 s21, s21, 0
	s_cmp_lg_u32 s13, s20
	v_cndmask_b32_e32 v26, v26, v4, vcc_lo
	v_add_co_u32 v17, vcc_lo, v17, 2
	v_add_co_ci_u32_e64 v18, null, 0, v18, vcc_lo
	s_waitcnt vmcnt(0) lgkmcnt(0)
	v_lshlrev_b32_e32 v25, 16, v25
	v_fmac_f32_e32 v24, v26, v25
	s_cbranch_scc1 .LBB601_79
.LBB601_80:                             ;   in Loop: Header=BB601_63 Depth=1
	s_or_b32 exec_lo, exec_lo, s25
	s_or_b32 exec_lo, exec_lo, s24
	s_and_saveexec_b32 s6, s2
	s_cbranch_execnz .LBB601_66
	s_branch .LBB601_67
.LBB601_81:                             ;   in Loop: Header=BB601_63 Depth=1
	ds_read_b32 v17, v19
	s_or_b32 exec_lo, exec_lo, s6
	s_and_saveexec_b32 s6, s2
	s_cbranch_execz .LBB601_71
.LBB601_82:                             ;   in Loop: Header=BB601_63 Depth=1
	s_waitcnt lgkmcnt(0)
	ds_bpermute_b32 v18, v22, v17
	s_waitcnt lgkmcnt(0)
	v_add_f32_e32 v17, v17, v18
	ds_bpermute_b32 v18, v23, v17
	s_waitcnt lgkmcnt(0)
	v_add_f32_e32 v17, v17, v18
	;; [unrolled: 3-line block ×3, first 2 shown]
	s_or_b32 exec_lo, exec_lo, s6
	s_and_saveexec_b32 s6, s5
	s_cbranch_execz .LBB601_62
.LBB601_83:                             ;   in Loop: Header=BB601_63 Depth=1
	s_mul_hi_u32 s21, s7, s12
	s_mul_i32 s20, s7, s12
	s_waitcnt lgkmcnt(0)
	v_mul_f32_e32 v17, s33, v17
	s_lshl_b64 s[20:21], s[20:21], 2
	s_add_u32 s20, s22, s20
	s_addc_u32 s21, s23, s21
	global_store_dword v0, v17, s[20:21]
	s_branch .LBB601_62
.LBB601_84:
	s_endpgm
	.section	.rodata,"a",@progbits
	.p2align	6, 0x0
	.amdhsa_kernel _ZL23rocblas_gemvt_sn_kernelILb0ELi256ELi4ElPK16rocblas_bfloat16PKffEviiT4_lPKT3_lilS8_lilPT5_i
		.amdhsa_group_segment_fixed_size 128
		.amdhsa_private_segment_fixed_size 0
		.amdhsa_kernarg_size 360
		.amdhsa_user_sgpr_count 6
		.amdhsa_user_sgpr_private_segment_buffer 1
		.amdhsa_user_sgpr_dispatch_ptr 0
		.amdhsa_user_sgpr_queue_ptr 0
		.amdhsa_user_sgpr_kernarg_segment_ptr 1
		.amdhsa_user_sgpr_dispatch_id 0
		.amdhsa_user_sgpr_flat_scratch_init 0
		.amdhsa_user_sgpr_private_segment_size 0
		.amdhsa_wavefront_size32 1
		.amdhsa_uses_dynamic_stack 0
		.amdhsa_system_sgpr_private_segment_wavefront_offset 0
		.amdhsa_system_sgpr_workgroup_id_x 1
		.amdhsa_system_sgpr_workgroup_id_y 0
		.amdhsa_system_sgpr_workgroup_id_z 1
		.amdhsa_system_sgpr_workgroup_info 0
		.amdhsa_system_vgpr_workitem_id 0
		.amdhsa_next_free_vgpr 53
		.amdhsa_next_free_sgpr 46
		.amdhsa_reserve_vcc 1
		.amdhsa_reserve_flat_scratch 1
		.amdhsa_float_round_mode_32 0
		.amdhsa_float_round_mode_16_64 0
		.amdhsa_float_denorm_mode_32 3
		.amdhsa_float_denorm_mode_16_64 3
		.amdhsa_dx10_clamp 1
		.amdhsa_ieee_mode 1
		.amdhsa_fp16_overflow 0
		.amdhsa_workgroup_processor_mode 1
		.amdhsa_memory_ordered 1
		.amdhsa_forward_progress 1
		.amdhsa_shared_vgpr_count 0
		.amdhsa_exception_fp_ieee_invalid_op 0
		.amdhsa_exception_fp_denorm_src 0
		.amdhsa_exception_fp_ieee_div_zero 0
		.amdhsa_exception_fp_ieee_overflow 0
		.amdhsa_exception_fp_ieee_underflow 0
		.amdhsa_exception_fp_ieee_inexact 0
		.amdhsa_exception_int_div_zero 0
	.end_amdhsa_kernel
	.section	.text._ZL23rocblas_gemvt_sn_kernelILb0ELi256ELi4ElPK16rocblas_bfloat16PKffEviiT4_lPKT3_lilS8_lilPT5_i,"axG",@progbits,_ZL23rocblas_gemvt_sn_kernelILb0ELi256ELi4ElPK16rocblas_bfloat16PKffEviiT4_lPKT3_lilS8_lilPT5_i,comdat
.Lfunc_end601:
	.size	_ZL23rocblas_gemvt_sn_kernelILb0ELi256ELi4ElPK16rocblas_bfloat16PKffEviiT4_lPKT3_lilS8_lilPT5_i, .Lfunc_end601-_ZL23rocblas_gemvt_sn_kernelILb0ELi256ELi4ElPK16rocblas_bfloat16PKffEviiT4_lPKT3_lilS8_lilPT5_i
                                        ; -- End function
	.set _ZL23rocblas_gemvt_sn_kernelILb0ELi256ELi4ElPK16rocblas_bfloat16PKffEviiT4_lPKT3_lilS8_lilPT5_i.num_vgpr, 53
	.set _ZL23rocblas_gemvt_sn_kernelILb0ELi256ELi4ElPK16rocblas_bfloat16PKffEviiT4_lPKT3_lilS8_lilPT5_i.num_agpr, 0
	.set _ZL23rocblas_gemvt_sn_kernelILb0ELi256ELi4ElPK16rocblas_bfloat16PKffEviiT4_lPKT3_lilS8_lilPT5_i.numbered_sgpr, 46
	.set _ZL23rocblas_gemvt_sn_kernelILb0ELi256ELi4ElPK16rocblas_bfloat16PKffEviiT4_lPKT3_lilS8_lilPT5_i.num_named_barrier, 0
	.set _ZL23rocblas_gemvt_sn_kernelILb0ELi256ELi4ElPK16rocblas_bfloat16PKffEviiT4_lPKT3_lilS8_lilPT5_i.private_seg_size, 0
	.set _ZL23rocblas_gemvt_sn_kernelILb0ELi256ELi4ElPK16rocblas_bfloat16PKffEviiT4_lPKT3_lilS8_lilPT5_i.uses_vcc, 1
	.set _ZL23rocblas_gemvt_sn_kernelILb0ELi256ELi4ElPK16rocblas_bfloat16PKffEviiT4_lPKT3_lilS8_lilPT5_i.uses_flat_scratch, 1
	.set _ZL23rocblas_gemvt_sn_kernelILb0ELi256ELi4ElPK16rocblas_bfloat16PKffEviiT4_lPKT3_lilS8_lilPT5_i.has_dyn_sized_stack, 0
	.set _ZL23rocblas_gemvt_sn_kernelILb0ELi256ELi4ElPK16rocblas_bfloat16PKffEviiT4_lPKT3_lilS8_lilPT5_i.has_recursion, 0
	.set _ZL23rocblas_gemvt_sn_kernelILb0ELi256ELi4ElPK16rocblas_bfloat16PKffEviiT4_lPKT3_lilS8_lilPT5_i.has_indirect_call, 0
	.section	.AMDGPU.csdata,"",@progbits
; Kernel info:
; codeLenInByte = 4332
; TotalNumSgprs: 48
; NumVgprs: 53
; ScratchSize: 0
; MemoryBound: 0
; FloatMode: 240
; IeeeMode: 1
; LDSByteSize: 128 bytes/workgroup (compile time only)
; SGPRBlocks: 0
; VGPRBlocks: 6
; NumSGPRsForWavesPerEU: 48
; NumVGPRsForWavesPerEU: 53
; Occupancy: 16
; WaveLimiterHint : 0
; COMPUTE_PGM_RSRC2:SCRATCH_EN: 0
; COMPUTE_PGM_RSRC2:USER_SGPR: 6
; COMPUTE_PGM_RSRC2:TRAP_HANDLER: 0
; COMPUTE_PGM_RSRC2:TGID_X_EN: 1
; COMPUTE_PGM_RSRC2:TGID_Y_EN: 0
; COMPUTE_PGM_RSRC2:TGID_Z_EN: 1
; COMPUTE_PGM_RSRC2:TIDIG_COMP_CNT: 0
	.section	.text._ZL23rocblas_gemvt_sn_reduceILi256ELi8EfPKfKP16rocblas_bfloat16EviT2_lPT3_lilPT1_i,"axG",@progbits,_ZL23rocblas_gemvt_sn_reduceILi256ELi8EfPKfKP16rocblas_bfloat16EviT2_lPT3_lilPT1_i,comdat
	.globl	_ZL23rocblas_gemvt_sn_reduceILi256ELi8EfPKfKP16rocblas_bfloat16EviT2_lPT3_lilPT1_i ; -- Begin function _ZL23rocblas_gemvt_sn_reduceILi256ELi8EfPKfKP16rocblas_bfloat16EviT2_lPT3_lilPT1_i
	.p2align	8
	.type	_ZL23rocblas_gemvt_sn_reduceILi256ELi8EfPKfKP16rocblas_bfloat16EviT2_lPT3_lilPT1_i,@function
_ZL23rocblas_gemvt_sn_reduceILi256ELi8EfPKfKP16rocblas_bfloat16EviT2_lPT3_lilPT1_i: ; @_ZL23rocblas_gemvt_sn_reduceILi256ELi8EfPKfKP16rocblas_bfloat16EviT2_lPT3_lilPT1_i
; %bb.0:
	s_clause 0x1
	s_load_dword s20, s[4:5], 0x0
	s_load_dwordx8 s[12:19], s[4:5], 0x8
	s_mov_b32 s9, 0
	s_clause 0x1
	s_load_dword s21, s[4:5], 0x4c
	s_load_dwordx2 s[10:11], s[4:5], 0x38
	s_lshl_b64 s[0:1], s[8:9], 3
	v_lshlrev_b32_e32 v4, 3, v0
	v_mov_b32_e32 v3, 0
	s_waitcnt lgkmcnt(0)
	s_ashr_i32 s22, s20, 31
	s_mul_i32 s2, s15, s8
	s_mul_hi_u32 s3, s14, s8
	s_add_u32 s0, s16, s0
	s_addc_u32 s1, s17, s1
	s_add_i32 s3, s3, s2
	s_mul_i32 s2, s14, s8
	s_mul_i32 s8, s21, s8
	s_lshl_b64 s[2:3], s[2:3], 2
	s_add_u32 s12, s12, s2
	s_addc_u32 s13, s13, s3
	s_load_dwordx2 s[2:3], s[0:1], 0x0
	s_load_dword s6, s[12:13], 0x0
	s_add_u32 s0, s4, 0x48
	s_addc_u32 s1, s5, 0
	s_add_i32 s12, s8, s7
	s_lshr_b32 s8, s22, 29
	s_mul_i32 s13, s12, s22
	s_add_i32 s8, s20, s8
	s_mul_hi_u32 s14, s12, s20
	s_and_b32 s8, s8, -8
	s_add_i32 s13, s14, s13
	s_mul_i32 s12, s12, s20
	s_mov_b32 s14, exec_lo
	v_cmpx_gt_i32_e64 s8, v4
	s_cbranch_execz .LBB602_4
; %bb.1:
	s_load_dword s0, s[0:1], 0xc
	v_lshlrev_b32_e32 v1, 5, v0
	s_lshl_b64 s[16:17], s[12:13], 2
	v_mov_b32_e32 v3, 0
	s_waitcnt lgkmcnt(0)
	s_and_b32 s0, s0, 0xffff
	s_lshl_b32 s1, s0, 3
	s_add_u32 s15, s10, s16
	s_addc_u32 s16, s11, s17
	v_add_co_u32 v1, s15, s15, v1
	v_add_co_ci_u32_e64 v2, null, s16, 0, s15
	s_lshl_b32 s15, s0, 5
	v_add_co_u32 v1, vcc_lo, v1, 28
	v_add_co_ci_u32_e64 v2, null, 0, v2, vcc_lo
	.p2align	6
.LBB602_2:                              ; =>This Inner Loop Header: Depth=1
	s_clause 0x1
	global_load_dwordx4 v[5:8], v[1:2], off offset:-28
	global_load_dwordx4 v[9:12], v[1:2], off offset:-12
	v_add_nc_u32_e32 v4, s1, v4
	v_add_co_u32 v1, vcc_lo, v1, s15
	v_add_co_ci_u32_e64 v2, null, 0, v2, vcc_lo
	v_cmp_le_i32_e64 s0, s8, v4
	s_or_b32 s9, s0, s9
	s_waitcnt vmcnt(1)
	v_add_f32_e32 v3, v3, v5
	v_add_f32_e32 v3, v3, v6
	;; [unrolled: 1-line block ×4, first 2 shown]
	s_waitcnt vmcnt(0)
	v_add_f32_e32 v3, v3, v9
	v_add_f32_e32 v3, v3, v10
	;; [unrolled: 1-line block ×4, first 2 shown]
	s_andn2_b32 exec_lo, exec_lo, s9
	s_cbranch_execnz .LBB602_2
; %bb.3:
	s_or_b32 exec_lo, exec_lo, s9
.LBB602_4:
	s_or_b32 exec_lo, exec_lo, s14
	s_sub_i32 s0, s20, s8
	v_cmp_gt_u32_e32 vcc_lo, s0, v0
	s_and_saveexec_b32 s0, vcc_lo
	s_cbranch_execz .LBB602_6
; %bb.5:
	v_xad_u32 v1, v0, -1, s20
	v_mov_b32_e32 v2, 0
	s_lshl_b64 s[8:9], s[12:13], 2
	s_add_u32 s1, s10, s8
	s_addc_u32 s8, s11, s9
	v_lshlrev_b64 v[1:2], 2, v[1:2]
	v_add_co_u32 v1, vcc_lo, s1, v1
	v_add_co_ci_u32_e64 v2, null, s8, v2, vcc_lo
	global_load_dword v1, v[1:2], off
	s_waitcnt vmcnt(0)
	v_add_f32_e32 v3, v3, v1
.LBB602_6:
	s_or_b32 exec_lo, exec_lo, s0
	v_and_b32_e32 v1, 31, v0
	v_cmp_gt_u32_e32 vcc_lo, 32, v0
	v_lshlrev_b32_e32 v2, 2, v1
	s_and_saveexec_b32 s0, vcc_lo
; %bb.7:
	v_mov_b32_e32 v4, 0
	ds_write_b32 v2, v4
; %bb.8:
	s_or_b32 exec_lo, exec_lo, s0
	v_mbcnt_lo_u32_b32 v5, -1, 0
	s_mov_b32 s1, exec_lo
	s_waitcnt lgkmcnt(0)
	s_barrier
	buffer_gl0_inv
	v_lshl_or_b32 v4, v5, 2, 64
	v_cmp_gt_u32_e64 s0, 24, v5
	ds_bpermute_b32 v4, v4, v3
	v_cndmask_b32_e64 v6, 0, 8, s0
	v_cmp_gt_u32_e64 s0, 28, v5
	v_add_lshl_u32 v6, v6, v5, 2
	s_waitcnt lgkmcnt(0)
	v_add_f32_e32 v4, v3, v4
	v_cndmask_b32_e64 v3, 0, 4, s0
	v_cmp_gt_u32_e64 s0, 30, v5
	ds_bpermute_b32 v6, v6, v4
	v_add_lshl_u32 v3, v3, v5, 2
	s_waitcnt lgkmcnt(0)
	v_add_f32_e32 v6, v4, v6
	v_cndmask_b32_e64 v4, 0, 2, s0
	v_cmp_ne_u32_e64 s0, 31, v5
	ds_bpermute_b32 v7, v3, v6
	v_add_lshl_u32 v4, v4, v5, 2
	v_add_co_ci_u32_e64 v5, null, 0, v5, s0
	v_lshlrev_b32_e32 v5, 2, v5
	s_waitcnt lgkmcnt(0)
	v_add_f32_e32 v6, v6, v7
	ds_bpermute_b32 v7, v4, v6
	s_waitcnt lgkmcnt(0)
	v_add_f32_e32 v6, v6, v7
	ds_bpermute_b32 v7, v5, v6
	v_cmpx_eq_u32_e32 0, v1
	s_cbranch_execz .LBB602_10
; %bb.9:
	v_lshrrev_b32_e32 v1, 3, v0
	s_waitcnt lgkmcnt(0)
	v_add_f32_e32 v6, v6, v7
	v_and_b32_e32 v1, 28, v1
	ds_write_b32 v1, v6
.LBB602_10:
	s_or_b32 exec_lo, exec_lo, s1
	v_mov_b32_e32 v1, 0
	s_mov_b32 s1, exec_lo
	s_waitcnt lgkmcnt(0)
	s_barrier
	buffer_gl0_inv
	v_cmpx_gt_u32_e32 8, v0
; %bb.11:
	ds_read_b32 v1, v2
; %bb.12:
	s_or_b32 exec_lo, exec_lo, s1
	s_and_saveexec_b32 s0, vcc_lo
	s_cbranch_execz .LBB602_14
; %bb.13:
	s_waitcnt lgkmcnt(0)
	ds_bpermute_b32 v2, v3, v1
	s_waitcnt lgkmcnt(0)
	v_add_f32_e32 v1, v1, v2
	ds_bpermute_b32 v2, v4, v1
	s_waitcnt lgkmcnt(0)
	v_add_f32_e32 v1, v1, v2
	ds_bpermute_b32 v2, v5, v1
	s_waitcnt lgkmcnt(0)
	v_add_f32_e32 v1, v1, v2
.LBB602_14:
	s_or_b32 exec_lo, exec_lo, s0
	s_mov_b32 s0, exec_lo
	v_cmpx_eq_u32_e32 0, v0
	s_cbranch_execz .LBB602_28
; %bb.15:
	s_load_dword s4, s[4:5], 0x28
	v_cmp_eq_f32_e64 s5, s6, 0
	s_lshl_b64 s[0:1], s[18:19], 1
	s_add_u32 s2, s2, s0
	s_addc_u32 s3, s3, s1
	s_and_b32 vcc_lo, exec_lo, s5
	s_cbranch_vccz .LBB602_21
; %bb.16:
	s_waitcnt lgkmcnt(0)
	v_and_b32_e32 v0, 0x7f800000, v1
	v_cmp_ne_u32_e32 vcc_lo, 0x7f800000, v0
                                        ; implicit-def: $vgpr0
	s_and_saveexec_b32 s0, vcc_lo
	s_xor_b32 s0, exec_lo, s0
; %bb.17:
	v_bfe_u32 v0, v1, 16, 1
	v_add3_u32 v0, v1, v0, 0x7fff
; %bb.18:
	s_andn2_saveexec_b32 s0, s0
; %bb.19:
	v_mov_b32_e32 v0, 0
	v_or_b32_e32 v2, 0x10000, v1
	v_cmp_eq_u32_sdwa vcc_lo, v1, v0 src0_sel:WORD_0 src1_sel:DWORD
	v_cndmask_b32_e32 v0, v2, v1, vcc_lo
; %bb.20:
	s_or_b32 exec_lo, exec_lo, s0
	s_mul_hi_u32 s5, s4, s7
	s_mul_i32 s0, s4, s7
	s_cbranch_execz .LBB602_22
	s_branch .LBB602_27
.LBB602_21:
                                        ; implicit-def: $vgpr0
	s_waitcnt lgkmcnt(0)
	s_mul_hi_u32 s5, s4, s7
	s_mul_i32 s0, s4, s7
.LBB602_22:
	s_ashr_i32 s1, s4, 31
	s_mul_i32 s1, s1, s7
	s_add_i32 s1, s5, s1
	s_lshl_b64 s[8:9], s[0:1], 1
	s_add_u32 s8, s2, s8
	s_addc_u32 s9, s3, s9
	v_mov_b32_e32 v2, s8
	v_mov_b32_e32 v3, s9
	flat_load_ushort v0, v[2:3]
	s_waitcnt vmcnt(0) lgkmcnt(0)
	v_lshlrev_b32_e32 v0, 16, v0
	v_fmac_f32_e32 v1, s6, v0
	v_and_b32_e32 v0, 0x7f800000, v1
	v_cmp_ne_u32_e32 vcc_lo, 0x7f800000, v0
                                        ; implicit-def: $vgpr0
	s_and_saveexec_b32 s1, vcc_lo
	s_xor_b32 s1, exec_lo, s1
; %bb.23:
	v_bfe_u32 v0, v1, 16, 1
	v_add3_u32 v0, v1, v0, 0x7fff
                                        ; implicit-def: $vgpr1
; %bb.24:
	s_andn2_saveexec_b32 s1, s1
; %bb.25:
	v_mov_b32_e32 v0, 0
	v_or_b32_e32 v2, 0x10000, v1
	v_cmp_eq_u32_sdwa vcc_lo, v1, v0 src0_sel:WORD_0 src1_sel:DWORD
	v_cndmask_b32_e32 v0, v2, v1, vcc_lo
; %bb.26:
	s_or_b32 exec_lo, exec_lo, s1
.LBB602_27:
	s_ashr_i32 s1, s4, 31
	s_mul_i32 s1, s1, s7
	s_add_i32 s1, s5, s1
	s_lshl_b64 s[0:1], s[0:1], 1
	s_add_u32 s0, s2, s0
	s_addc_u32 s1, s3, s1
	v_mov_b32_e32 v2, s1
	v_mov_b32_e32 v1, s0
	flat_store_short_d16_hi v[1:2], v0
.LBB602_28:
	s_endpgm
	.section	.rodata,"a",@progbits
	.p2align	6, 0x0
	.amdhsa_kernel _ZL23rocblas_gemvt_sn_reduceILi256ELi8EfPKfKP16rocblas_bfloat16EviT2_lPT3_lilPT1_i
		.amdhsa_group_segment_fixed_size 128
		.amdhsa_private_segment_fixed_size 0
		.amdhsa_kernarg_size 328
		.amdhsa_user_sgpr_count 6
		.amdhsa_user_sgpr_private_segment_buffer 1
		.amdhsa_user_sgpr_dispatch_ptr 0
		.amdhsa_user_sgpr_queue_ptr 0
		.amdhsa_user_sgpr_kernarg_segment_ptr 1
		.amdhsa_user_sgpr_dispatch_id 0
		.amdhsa_user_sgpr_flat_scratch_init 0
		.amdhsa_user_sgpr_private_segment_size 0
		.amdhsa_wavefront_size32 1
		.amdhsa_uses_dynamic_stack 0
		.amdhsa_system_sgpr_private_segment_wavefront_offset 0
		.amdhsa_system_sgpr_workgroup_id_x 1
		.amdhsa_system_sgpr_workgroup_id_y 1
		.amdhsa_system_sgpr_workgroup_id_z 1
		.amdhsa_system_sgpr_workgroup_info 0
		.amdhsa_system_vgpr_workitem_id 0
		.amdhsa_next_free_vgpr 13
		.amdhsa_next_free_sgpr 23
		.amdhsa_reserve_vcc 1
		.amdhsa_reserve_flat_scratch 0
		.amdhsa_float_round_mode_32 0
		.amdhsa_float_round_mode_16_64 0
		.amdhsa_float_denorm_mode_32 3
		.amdhsa_float_denorm_mode_16_64 3
		.amdhsa_dx10_clamp 1
		.amdhsa_ieee_mode 1
		.amdhsa_fp16_overflow 0
		.amdhsa_workgroup_processor_mode 1
		.amdhsa_memory_ordered 1
		.amdhsa_forward_progress 1
		.amdhsa_shared_vgpr_count 0
		.amdhsa_exception_fp_ieee_invalid_op 0
		.amdhsa_exception_fp_denorm_src 0
		.amdhsa_exception_fp_ieee_div_zero 0
		.amdhsa_exception_fp_ieee_overflow 0
		.amdhsa_exception_fp_ieee_underflow 0
		.amdhsa_exception_fp_ieee_inexact 0
		.amdhsa_exception_int_div_zero 0
	.end_amdhsa_kernel
	.section	.text._ZL23rocblas_gemvt_sn_reduceILi256ELi8EfPKfKP16rocblas_bfloat16EviT2_lPT3_lilPT1_i,"axG",@progbits,_ZL23rocblas_gemvt_sn_reduceILi256ELi8EfPKfKP16rocblas_bfloat16EviT2_lPT3_lilPT1_i,comdat
.Lfunc_end602:
	.size	_ZL23rocblas_gemvt_sn_reduceILi256ELi8EfPKfKP16rocblas_bfloat16EviT2_lPT3_lilPT1_i, .Lfunc_end602-_ZL23rocblas_gemvt_sn_reduceILi256ELi8EfPKfKP16rocblas_bfloat16EviT2_lPT3_lilPT1_i
                                        ; -- End function
	.set _ZL23rocblas_gemvt_sn_reduceILi256ELi8EfPKfKP16rocblas_bfloat16EviT2_lPT3_lilPT1_i.num_vgpr, 13
	.set _ZL23rocblas_gemvt_sn_reduceILi256ELi8EfPKfKP16rocblas_bfloat16EviT2_lPT3_lilPT1_i.num_agpr, 0
	.set _ZL23rocblas_gemvt_sn_reduceILi256ELi8EfPKfKP16rocblas_bfloat16EviT2_lPT3_lilPT1_i.numbered_sgpr, 23
	.set _ZL23rocblas_gemvt_sn_reduceILi256ELi8EfPKfKP16rocblas_bfloat16EviT2_lPT3_lilPT1_i.num_named_barrier, 0
	.set _ZL23rocblas_gemvt_sn_reduceILi256ELi8EfPKfKP16rocblas_bfloat16EviT2_lPT3_lilPT1_i.private_seg_size, 0
	.set _ZL23rocblas_gemvt_sn_reduceILi256ELi8EfPKfKP16rocblas_bfloat16EviT2_lPT3_lilPT1_i.uses_vcc, 1
	.set _ZL23rocblas_gemvt_sn_reduceILi256ELi8EfPKfKP16rocblas_bfloat16EviT2_lPT3_lilPT1_i.uses_flat_scratch, 0
	.set _ZL23rocblas_gemvt_sn_reduceILi256ELi8EfPKfKP16rocblas_bfloat16EviT2_lPT3_lilPT1_i.has_dyn_sized_stack, 0
	.set _ZL23rocblas_gemvt_sn_reduceILi256ELi8EfPKfKP16rocblas_bfloat16EviT2_lPT3_lilPT1_i.has_recursion, 0
	.set _ZL23rocblas_gemvt_sn_reduceILi256ELi8EfPKfKP16rocblas_bfloat16EviT2_lPT3_lilPT1_i.has_indirect_call, 0
	.section	.AMDGPU.csdata,"",@progbits
; Kernel info:
; codeLenInByte = 1212
; TotalNumSgprs: 25
; NumVgprs: 13
; ScratchSize: 0
; MemoryBound: 0
; FloatMode: 240
; IeeeMode: 1
; LDSByteSize: 128 bytes/workgroup (compile time only)
; SGPRBlocks: 0
; VGPRBlocks: 1
; NumSGPRsForWavesPerEU: 25
; NumVGPRsForWavesPerEU: 13
; Occupancy: 16
; WaveLimiterHint : 1
; COMPUTE_PGM_RSRC2:SCRATCH_EN: 0
; COMPUTE_PGM_RSRC2:USER_SGPR: 6
; COMPUTE_PGM_RSRC2:TRAP_HANDLER: 0
; COMPUTE_PGM_RSRC2:TGID_X_EN: 1
; COMPUTE_PGM_RSRC2:TGID_Y_EN: 1
; COMPUTE_PGM_RSRC2:TGID_Z_EN: 1
; COMPUTE_PGM_RSRC2:TIDIG_COMP_CNT: 0
	.section	.text._ZL23rocblas_gemvt_sn_kernelILb0ELi256ELi4EiPK16rocblas_bfloat16ffEviiT4_lPKT3_lilS6_lilPT5_i,"axG",@progbits,_ZL23rocblas_gemvt_sn_kernelILb0ELi256ELi4EiPK16rocblas_bfloat16ffEviiT4_lPKT3_lilS6_lilPT5_i,comdat
	.globl	_ZL23rocblas_gemvt_sn_kernelILb0ELi256ELi4EiPK16rocblas_bfloat16ffEviiT4_lPKT3_lilS6_lilPT5_i ; -- Begin function _ZL23rocblas_gemvt_sn_kernelILb0ELi256ELi4EiPK16rocblas_bfloat16ffEviiT4_lPKT3_lilS6_lilPT5_i
	.p2align	8
	.type	_ZL23rocblas_gemvt_sn_kernelILb0ELi256ELi4EiPK16rocblas_bfloat16ffEviiT4_lPKT3_lilS6_lilPT5_i,@function
_ZL23rocblas_gemvt_sn_kernelILb0ELi256ELi4EiPK16rocblas_bfloat16ffEviiT4_lPKT3_lilS6_lilPT5_i: ; @_ZL23rocblas_gemvt_sn_kernelILb0ELi256ELi4EiPK16rocblas_bfloat16ffEviiT4_lPKT3_lilS6_lilPT5_i
; %bb.0:
	s_load_dwordx4 s[12:15], s[4:5], 0x0
	s_mov_b32 s2, s7
	s_mov_b32 s3, 0
	s_waitcnt lgkmcnt(0)
	v_cmp_neq_f32_e64 s8, s14, 0
	v_cmp_eq_f32_e64 s7, s14, 0
	s_and_b32 vcc_lo, exec_lo, s8
	s_cbranch_vccnz .LBB603_2
; %bb.1:
	s_mov_b32 s0, s3
	s_mov_b64 s[10:11], 0
	s_andn2_b32 vcc_lo, exec_lo, s0
	s_mov_b64 s[0:1], 0
	s_cbranch_vccz .LBB603_3
	s_branch .LBB603_4
.LBB603_2:
	s_mov_b64 s[10:11], 0
	s_mov_b64 s[0:1], 0
.LBB603_3:
	s_load_dwordx4 s[16:19], s[4:5], 0x18
	s_lshl_b64 s[0:1], s[2:3], 3
	s_waitcnt lgkmcnt(0)
	s_add_u32 s0, s16, s0
	s_addc_u32 s1, s17, s1
	s_lshl_b64 s[16:17], s[18:19], 1
	s_load_dwordx2 s[0:1], s[0:1], 0x0
	s_waitcnt lgkmcnt(0)
	s_add_u32 s0, s0, s16
	s_addc_u32 s1, s1, s17
.LBB603_4:
	s_andn2_b32 vcc_lo, exec_lo, s8
	s_cbranch_vccnz .LBB603_6
; %bb.5:
	s_load_dwordx4 s[8:11], s[4:5], 0x38
	s_lshl_b64 s[16:17], s[2:3], 3
	s_waitcnt lgkmcnt(0)
	s_add_u32 s8, s8, s16
	s_addc_u32 s9, s9, s17
	s_lshl_b64 s[10:11], s[10:11], 1
	s_load_dwordx2 s[8:9], s[8:9], 0x0
	s_waitcnt lgkmcnt(0)
	s_add_u32 s10, s8, s10
	s_addc_u32 s11, s9, s11
.LBB603_6:
	s_clause 0x1
	s_load_dword s16, s[4:5], 0x68
	s_load_dwordx2 s[8:9], s[4:5], 0x58
	s_ashr_i32 s19, s13, 31
	s_mul_hi_u32 s3, s2, s13
	s_mul_i32 s15, s2, s19
	s_mul_i32 s2, s2, s13
	s_add_i32 s3, s3, s15
	s_mov_b32 s17, 0
	s_waitcnt lgkmcnt(0)
	s_mul_i32 s3, s3, s16
	s_mul_hi_u32 s15, s2, s16
	s_mul_i32 s2, s2, s16
	s_add_i32 s3, s15, s3
	s_lshl_b64 s[2:3], s[2:3], 2
	s_add_u32 s28, s8, s2
	s_addc_u32 s29, s9, s3
	s_andn2_b32 vcc_lo, exec_lo, s7
	s_mov_b32 s2, -1
	s_cbranch_vccnz .LBB603_11
; %bb.7:
	v_cmp_eq_u32_e32 vcc_lo, 0, v0
	s_cmp_gt_i32 s13, 0
	s_cselect_b32 s2, -1, 0
	s_and_b32 s2, vcc_lo, s2
	s_and_saveexec_b32 s15, s2
	s_cbranch_execz .LBB603_10
; %bb.8:
	s_mov_b32 s7, 0
	v_mov_b32_e32 v1, 0
	s_lshl_b64 s[2:3], s[6:7], 2
	s_mov_b32 s7, s13
	s_add_u32 s2, s28, s2
	s_addc_u32 s3, s29, s3
	s_lshl_b64 s[8:9], s[16:17], 2
.LBB603_9:                              ; =>This Inner Loop Header: Depth=1
	s_add_i32 s7, s7, -1
	global_store_dword v1, v1, s[2:3]
	s_add_u32 s2, s2, s8
	s_addc_u32 s3, s3, s9
	s_cmp_eq_u32 s7, 0
	s_cbranch_scc0 .LBB603_9
.LBB603_10:
	s_or_b32 exec_lo, exec_lo, s15
	s_mov_b32 s2, 0
.LBB603_11:
	s_andn2_b32 vcc_lo, exec_lo, s2
	s_cbranch_vccnz .LBB603_86
; %bb.12:
	s_clause 0x1
	s_load_dword s18, s[4:5], 0x28
	s_load_dword s15, s[4:5], 0x48
	s_lshl_b32 s2, s6, 10
	s_lshr_b32 s3, s19, 30
	v_lshl_or_b32 v1, v0, 2, s2
	s_ashr_i32 s2, s12, 31
	s_add_i32 s3, s13, s3
	s_lshr_b32 s2, s2, 30
	v_and_b32_e32 v21, 31, v0
	v_ashrrev_i32_e32 v2, 31, v1
	s_add_i32 s2, s12, s2
	v_add_nc_u32_e32 v24, 4, v1
	s_and_b32 s2, s2, -4
	v_mbcnt_lo_u32_b32 v23, -1, 0
	v_lshlrev_b64 v[2:3], 1, v[1:2]
	s_sub_i32 s17, s12, s2
	v_lshrrev_b32_e32 v22, 3, v0
	v_add_nc_u32_e32 v25, s17, v1
	v_cmp_eq_u32_e64 s2, 0, v0
	s_and_b32 s30, s3, -4
	v_add_co_u32 v19, vcc_lo, s0, v2
	s_waitcnt lgkmcnt(0)
	v_mul_lo_u32 v9, s15, v1
	v_add_co_ci_u32_e64 v20, null, s1, v3, vcc_lo
	v_cmp_gt_u32_e64 s0, 32, v0
	v_cmp_gt_u32_e64 s1, 8, v0
	s_cmp_lt_i32 s30, 1
	s_cbranch_scc1 .LBB603_61
; %bb.13:
	v_cmp_gt_u32_e32 vcc_lo, 24, v23
	v_mul_lo_u32 v10, s15, v1
	s_cmp_gt_i32 s17, 0
	s_mov_b32 s9, 0
	v_cmp_ge_i32_e64 s3, s12, v24
	v_cndmask_b32_e64 v2, 0, 8, vcc_lo
	v_cmp_gt_u32_e32 vcc_lo, 28, v23
	v_cmp_ge_i32_e64 s4, s12, v25
	v_lshl_or_b32 v26, v23, 2, 64
	v_add_nc_u32_e32 v1, s15, v10
	v_ashrrev_i32_e32 v11, 31, v10
	v_cndmask_b32_e64 v3, 0, 4, vcc_lo
	v_cmp_gt_u32_e32 vcc_lo, 30, v23
	v_add_lshl_u32 v27, v2, v23, 2
	v_ashrrev_i32_e32 v2, 31, v1
	v_cmp_eq_u32_e64 s5, 0, v21
	v_add_lshl_u32 v28, v3, v23, 2
	v_cndmask_b32_e64 v4, 0, 2, vcc_lo
	v_cmp_ne_u32_e32 vcc_lo, 31, v23
	v_add_nc_u32_e32 v3, s15, v1
	v_lshlrev_b64 v[1:2], 1, v[1:2]
	v_lshlrev_b32_e32 v31, 2, v21
	v_add_lshl_u32 v29, v4, v23, 2
	v_add_co_ci_u32_e64 v5, null, 0, v23, vcc_lo
	v_add_nc_u32_e32 v7, s15, v3
	v_ashrrev_i32_e32 v4, 31, v3
	v_and_b32_e32 v32, 28, v22
	v_lshlrev_b32_e32 v30, 2, v5
	v_lshlrev_b64 v[5:6], 1, v[10:11]
	v_ashrrev_i32_e32 v8, 31, v7
	v_lshlrev_b64 v[3:4], 1, v[3:4]
	s_cselect_b32 s31, -1, 0
	s_mov_b32 s19, s9
	s_lshl_b32 s8, s18, 1
	v_add_co_u32 v11, vcc_lo, s10, v5
	v_add_co_ci_u32_e64 v12, null, s11, v6, vcc_lo
	v_add_co_u32 v13, vcc_lo, s10, v1
	v_mov_b32_e32 v5, 0
	v_add_co_ci_u32_e64 v14, null, s11, v2, vcc_lo
	v_lshlrev_b64 v[1:2], 1, v[7:8]
	v_add_co_u32 v15, vcc_lo, s10, v3
	v_mov_b32_e32 v6, v5
	v_mov_b32_e32 v7, v5
	;; [unrolled: 1-line block ×3, first 2 shown]
	v_add_co_ci_u32_e64 v16, null, s11, v4, vcc_lo
	v_add_co_u32 v17, vcc_lo, s10, v1
	v_add_co_ci_u32_e64 v18, null, s11, v2, vcc_lo
	v_mov_b32_e32 v1, v5
	v_mov_b32_e32 v2, v6
	;; [unrolled: 1-line block ×4, first 2 shown]
	s_lshl_b32 s33, s18, 2
	s_mul_i32 s34, s18, 3
	s_mov_b32 s35, s9
	s_mov_b32 s20, s9
	s_mov_b64 s[22:23], s[8:9]
	s_mov_b64 s[24:25], s[18:19]
	s_mov_b32 s19, 0
	s_branch .LBB603_15
.LBB603_14:                             ;   in Loop: Header=BB603_15 Depth=1
	s_or_b32 exec_lo, exec_lo, s7
	s_add_i32 s19, s19, 4
	s_add_u32 s24, s24, s33
	s_addc_u32 s25, s25, 0
	s_add_u32 s22, s22, s33
	s_addc_u32 s23, s23, 0
	;; [unrolled: 2-line block ×3, first 2 shown]
	s_add_i32 s20, s20, s33
	s_cmp_ge_i32 s19, s30
	s_cbranch_scc1 .LBB603_62
.LBB603_15:                             ; =>This Loop Header: Depth=1
                                        ;     Child Loop BB603_46 Depth 2
                                        ;     Child Loop BB603_49 Depth 2
                                        ; implicit-def: $vgpr8
                                        ; implicit-def: $vgpr33
                                        ; implicit-def: $vgpr34
                                        ; implicit-def: $vgpr35
	s_and_saveexec_b32 s7, s3
	s_xor_b32 s7, exec_lo, s7
	s_cbranch_execnz .LBB603_42
; %bb.16:                               ;   in Loop: Header=BB603_15 Depth=1
	s_andn2_saveexec_b32 s36, s7
	s_cbranch_execnz .LBB603_43
.LBB603_17:                             ;   in Loop: Header=BB603_15 Depth=1
	s_or_b32 exec_lo, exec_lo, s36
	s_and_saveexec_b32 s7, s0
.LBB603_18:                             ;   in Loop: Header=BB603_15 Depth=1
	ds_write_b32 v31, v5
.LBB603_19:                             ;   in Loop: Header=BB603_15 Depth=1
	s_or_b32 exec_lo, exec_lo, s7
	ds_bpermute_b32 v6, v26, v35
	s_waitcnt lgkmcnt(0)
	s_waitcnt_vscnt null, 0x0
	s_barrier
	buffer_gl0_inv
	v_add_f32_e32 v6, v35, v6
	ds_bpermute_b32 v7, v27, v6
	s_waitcnt lgkmcnt(0)
	v_add_f32_e32 v6, v6, v7
	ds_bpermute_b32 v7, v28, v6
	s_waitcnt lgkmcnt(0)
	;; [unrolled: 3-line block ×3, first 2 shown]
	v_add_f32_e32 v6, v6, v7
	ds_bpermute_b32 v7, v30, v6
	s_and_saveexec_b32 s7, s5
	s_cbranch_execz .LBB603_21
; %bb.20:                               ;   in Loop: Header=BB603_15 Depth=1
	s_waitcnt lgkmcnt(0)
	v_add_f32_e32 v6, v6, v7
	ds_write_b32 v32, v6
.LBB603_21:                             ;   in Loop: Header=BB603_15 Depth=1
	s_or_b32 exec_lo, exec_lo, s7
	v_mov_b32_e32 v6, 0
	s_waitcnt lgkmcnt(0)
	s_barrier
	buffer_gl0_inv
	s_and_saveexec_b32 s7, s1
	s_cbranch_execnz .LBB603_50
; %bb.22:                               ;   in Loop: Header=BB603_15 Depth=1
	s_or_b32 exec_lo, exec_lo, s7
	s_and_saveexec_b32 s7, s0
	s_cbranch_execnz .LBB603_51
.LBB603_23:                             ;   in Loop: Header=BB603_15 Depth=1
	s_or_b32 exec_lo, exec_lo, s7
	s_and_saveexec_b32 s7, s0
.LBB603_24:                             ;   in Loop: Header=BB603_15 Depth=1
	ds_write_b32 v31, v5
.LBB603_25:                             ;   in Loop: Header=BB603_15 Depth=1
	s_or_b32 exec_lo, exec_lo, s7
	ds_bpermute_b32 v7, v26, v34
	s_waitcnt lgkmcnt(0)
	s_barrier
	buffer_gl0_inv
	v_add_f32_e32 v7, v34, v7
	ds_bpermute_b32 v34, v27, v7
	s_waitcnt lgkmcnt(0)
	v_add_f32_e32 v7, v7, v34
	ds_bpermute_b32 v34, v28, v7
	s_waitcnt lgkmcnt(0)
	;; [unrolled: 3-line block ×3, first 2 shown]
	v_add_f32_e32 v7, v7, v34
	ds_bpermute_b32 v34, v30, v7
	s_and_saveexec_b32 s7, s5
	s_cbranch_execz .LBB603_27
; %bb.26:                               ;   in Loop: Header=BB603_15 Depth=1
	s_waitcnt lgkmcnt(0)
	v_add_f32_e32 v7, v7, v34
	ds_write_b32 v32, v7
.LBB603_27:                             ;   in Loop: Header=BB603_15 Depth=1
	s_or_b32 exec_lo, exec_lo, s7
	v_mov_b32_e32 v7, 0
	s_waitcnt lgkmcnt(0)
	s_barrier
	buffer_gl0_inv
	s_and_saveexec_b32 s7, s1
	s_cbranch_execnz .LBB603_52
; %bb.28:                               ;   in Loop: Header=BB603_15 Depth=1
	s_or_b32 exec_lo, exec_lo, s7
	s_and_saveexec_b32 s7, s0
	s_cbranch_execnz .LBB603_53
.LBB603_29:                             ;   in Loop: Header=BB603_15 Depth=1
	s_or_b32 exec_lo, exec_lo, s7
	s_and_saveexec_b32 s7, s0
.LBB603_30:                             ;   in Loop: Header=BB603_15 Depth=1
	ds_write_b32 v31, v5
.LBB603_31:                             ;   in Loop: Header=BB603_15 Depth=1
	s_or_b32 exec_lo, exec_lo, s7
	ds_bpermute_b32 v34, v26, v33
	s_waitcnt lgkmcnt(0)
	s_barrier
	buffer_gl0_inv
	v_add_f32_e32 v33, v33, v34
	ds_bpermute_b32 v34, v27, v33
	s_waitcnt lgkmcnt(0)
	v_add_f32_e32 v33, v33, v34
	ds_bpermute_b32 v34, v28, v33
	s_waitcnt lgkmcnt(0)
	v_add_f32_e32 v33, v33, v34
	ds_bpermute_b32 v34, v29, v33
	s_waitcnt lgkmcnt(0)
	v_add_f32_e32 v33, v33, v34
	ds_bpermute_b32 v34, v30, v33
	s_and_saveexec_b32 s7, s5
	s_cbranch_execz .LBB603_33
; %bb.32:                               ;   in Loop: Header=BB603_15 Depth=1
	s_waitcnt lgkmcnt(0)
	v_add_f32_e32 v33, v33, v34
	ds_write_b32 v32, v33
.LBB603_33:                             ;   in Loop: Header=BB603_15 Depth=1
	s_or_b32 exec_lo, exec_lo, s7
	v_mov_b32_e32 v33, 0
	s_waitcnt lgkmcnt(0)
	s_barrier
	buffer_gl0_inv
	s_and_saveexec_b32 s7, s1
	s_cbranch_execnz .LBB603_54
; %bb.34:                               ;   in Loop: Header=BB603_15 Depth=1
	s_or_b32 exec_lo, exec_lo, s7
	s_and_saveexec_b32 s7, s0
	s_cbranch_execnz .LBB603_55
.LBB603_35:                             ;   in Loop: Header=BB603_15 Depth=1
	s_or_b32 exec_lo, exec_lo, s7
	s_and_saveexec_b32 s7, s0
.LBB603_36:                             ;   in Loop: Header=BB603_15 Depth=1
	ds_write_b32 v31, v5
.LBB603_37:                             ;   in Loop: Header=BB603_15 Depth=1
	s_or_b32 exec_lo, exec_lo, s7
	ds_bpermute_b32 v34, v26, v8
	s_waitcnt lgkmcnt(0)
	s_barrier
	buffer_gl0_inv
	v_add_f32_e32 v8, v8, v34
	ds_bpermute_b32 v34, v27, v8
	s_waitcnt lgkmcnt(0)
	v_add_f32_e32 v8, v8, v34
	ds_bpermute_b32 v34, v28, v8
	s_waitcnt lgkmcnt(0)
	;; [unrolled: 3-line block ×3, first 2 shown]
	v_add_f32_e32 v8, v8, v34
	ds_bpermute_b32 v34, v30, v8
	s_and_saveexec_b32 s7, s5
	s_cbranch_execz .LBB603_39
; %bb.38:                               ;   in Loop: Header=BB603_15 Depth=1
	s_waitcnt lgkmcnt(0)
	v_add_f32_e32 v8, v8, v34
	ds_write_b32 v32, v8
.LBB603_39:                             ;   in Loop: Header=BB603_15 Depth=1
	s_or_b32 exec_lo, exec_lo, s7
	v_mov_b32_e32 v8, 0
	s_waitcnt lgkmcnt(0)
	s_barrier
	buffer_gl0_inv
	s_and_saveexec_b32 s7, s1
	s_cbranch_execnz .LBB603_56
; %bb.40:                               ;   in Loop: Header=BB603_15 Depth=1
	s_or_b32 exec_lo, exec_lo, s7
	s_and_saveexec_b32 s7, s0
	s_cbranch_execnz .LBB603_57
.LBB603_41:                             ;   in Loop: Header=BB603_15 Depth=1
	s_or_b32 exec_lo, exec_lo, s7
	s_and_saveexec_b32 s7, s2
	s_cbranch_execz .LBB603_14
	s_branch .LBB603_58
.LBB603_42:                             ;   in Loop: Header=BB603_15 Depth=1
	s_mul_i32 s26, s19, s18
	s_ashr_i32 s27, s26, 31
	s_add_i32 s36, s26, s18
	s_lshl_b64 s[26:27], s[26:27], 1
	s_ashr_i32 s37, s36, 31
	v_add_co_u32 v1, vcc_lo, v19, s26
	v_add_co_ci_u32_e64 v2, null, s27, v20, vcc_lo
	s_lshl_b64 s[26:27], s[36:37], 1
	v_add_co_u32 v3, vcc_lo, v19, s26
	s_add_i32 s26, s36, s18
	v_add_co_ci_u32_e64 v4, null, s27, v20, vcc_lo
	s_ashr_i32 s27, s26, 31
	s_add_i32 s36, s26, s18
	s_lshl_b64 s[26:27], s[26:27], 1
	s_clause 0x1
	flat_load_dwordx2 v[6:7], v[1:2]
	flat_load_dwordx2 v[33:34], v[3:4]
	s_ashr_i32 s37, s36, 31
	v_add_co_u32 v1, vcc_lo, v19, s26
	v_add_co_ci_u32_e64 v2, null, s27, v20, vcc_lo
	s_lshl_b64 s[26:27], s[36:37], 1
	s_waitcnt lgkmcnt(2)
	s_clause 0x2
	flat_load_ushort v8, v[11:12]
	flat_load_ushort v39, v[13:14]
	;; [unrolled: 1-line block ×3, first 2 shown]
	v_add_co_u32 v3, vcc_lo, v19, s26
	v_add_co_ci_u32_e64 v4, null, s27, v20, vcc_lo
	s_clause 0x1
	flat_load_dwordx2 v[35:36], v[1:2]
	flat_load_dwordx2 v[37:38], v[3:4]
	flat_load_ushort v4, v[17:18]
	s_waitcnt vmcnt(6) lgkmcnt(6)
	v_and_b32_e32 v41, 0xffff0000, v33
	v_lshlrev_b32_e32 v42, 16, v34
	v_and_b32_e32 v43, 0xffff0000, v34
	s_waitcnt vmcnt(5) lgkmcnt(5)
	v_lshlrev_b32_e32 v1, 16, v8
	v_lshlrev_b32_e32 v8, 16, v6
	s_waitcnt vmcnt(3) lgkmcnt(3)
	v_lshlrev_b32_e32 v3, 16, v40
	v_lshlrev_b32_e32 v40, 16, v33
	;; [unrolled: 1-line block ×3, first 2 shown]
	v_and_b32_e32 v6, 0xffff0000, v6
	v_lshlrev_b32_e32 v39, 16, v7
	s_waitcnt vmcnt(2) lgkmcnt(2)
	v_lshlrev_b32_e32 v33, 16, v35
	s_waitcnt vmcnt(1) lgkmcnt(1)
	v_lshlrev_b32_e32 v46, 16, v37
	v_and_b32_e32 v44, 0xffff0000, v35
	v_fma_f32 v35, v1, v8, 0
	v_and_b32_e32 v37, 0xffff0000, v37
	v_fma_f32 v34, v1, v40, 0
	v_fma_f32 v33, v1, v33, 0
	;; [unrolled: 1-line block ×3, first 2 shown]
	v_lshlrev_b32_e32 v45, 16, v36
	v_fmac_f32_e32 v35, v2, v6
	v_fmac_f32_e32 v34, v2, v41
	;; [unrolled: 1-line block ×4, first 2 shown]
	v_lshlrev_b32_e32 v6, 16, v38
	v_and_b32_e32 v7, 0xffff0000, v7
	v_and_b32_e32 v36, 0xffff0000, v36
	v_and_b32_e32 v40, 0xffff0000, v38
	s_waitcnt vmcnt(0) lgkmcnt(0)
	v_lshlrev_b32_e32 v4, 16, v4
	v_fmac_f32_e32 v35, v3, v39
	v_fmac_f32_e32 v34, v3, v42
	;; [unrolled: 1-line block ×8, first 2 shown]
	s_andn2_saveexec_b32 s36, s7
	s_cbranch_execz .LBB603_17
.LBB603_43:                             ;   in Loop: Header=BB603_15 Depth=1
	s_waitcnt lgkmcnt(0)
	v_mov_b32_e32 v8, 0
	v_mov_b32_e32 v33, 0
	;; [unrolled: 1-line block ×4, first 2 shown]
	s_and_saveexec_b32 s37, s4
	s_cbranch_execz .LBB603_60
; %bb.44:                               ;   in Loop: Header=BB603_15 Depth=1
	s_andn2_b32 vcc_lo, exec_lo, s31
	s_cbranch_vccnz .LBB603_47
; %bb.45:                               ;   in Loop: Header=BB603_15 Depth=1
	v_mov_b32_e32 v6, v10
	s_mov_b64 s[26:27], 0
	.p2align	6
.LBB603_46:                             ;   Parent Loop BB603_15 Depth=1
                                        ; =>  This Inner Loop Header: Depth=2
	v_ashrrev_i32_e32 v7, 31, v6
	s_cmp_eq_u32 s26, 3
	v_lshlrev_b64 v[7:8], 1, v[6:7]
	v_add_nc_u32_e32 v6, s15, v6
	v_add_co_u32 v7, vcc_lo, s10, v7
	v_add_co_ci_u32_e64 v8, null, s11, v8, vcc_lo
	s_cselect_b32 vcc_lo, -1, 0
	s_cmp_eq_u32 s26, 2
	s_cselect_b32 s7, -1, 0
	flat_load_ushort v7, v[7:8]
	s_cmp_eq_u32 s26, 1
	s_cselect_b32 s8, -1, 0
	s_cmp_eq_u32 s26, 0
	s_waitcnt vmcnt(0) lgkmcnt(0)
	v_lshlrev_b32_e32 v7, 16, v7
	v_cndmask_b32_e32 v4, v4, v7, vcc_lo
	s_cselect_b32 vcc_lo, -1, 0
	v_cndmask_b32_e64 v3, v3, v7, s7
	v_cndmask_b32_e64 v2, v2, v7, s8
	v_cndmask_b32_e32 v1, v1, v7, vcc_lo
	s_add_u32 s26, s26, 1
	s_addc_u32 s27, s27, 0
	s_cmp_eq_u32 s17, s26
	s_cbranch_scc0 .LBB603_46
.LBB603_47:                             ;   in Loop: Header=BB603_15 Depth=1
	s_andn2_b32 vcc_lo, exec_lo, s31
	s_cbranch_vccnz .LBB603_59
; %bb.48:                               ;   in Loop: Header=BB603_15 Depth=1
	s_ashr_i32 s21, s20, 31
	v_mov_b32_e32 v35, 0
	s_lshl_b64 s[26:27], s[20:21], 1
	v_mov_b32_e32 v34, 0
	v_add_co_u32 v6, vcc_lo, v19, s26
	v_add_co_ci_u32_e64 v7, null, s27, v20, vcc_lo
	v_mov_b32_e32 v33, 0
	v_mov_b32_e32 v8, 0
	s_mov_b64 s[26:27], 0
.LBB603_49:                             ;   Parent Loop BB603_15 Depth=1
                                        ; =>  This Inner Loop Header: Depth=2
	s_cmp_eq_u32 s26, 1
	s_cselect_b32 vcc_lo, -1, 0
	s_cmp_eq_u32 s26, 2
	v_cndmask_b32_e32 v36, v1, v2, vcc_lo
	s_cselect_b32 vcc_lo, -1, 0
	s_cmp_eq_u32 s26, 3
	v_cndmask_b32_e32 v42, v36, v3, vcc_lo
	s_cselect_b32 vcc_lo, -1, 0
	s_add_i32 s38, s24, s26
	s_add_i32 s40, s22, s26
	s_ashr_i32 s39, s38, 31
	s_add_i32 s42, s34, s26
	s_ashr_i32 s41, s40, 31
	s_lshl_b64 s[38:39], s[38:39], 1
	s_ashr_i32 s43, s42, 31
	s_lshl_b64 s[40:41], s[40:41], 1
	v_add_co_u32 v36, s7, v19, s38
	s_lshl_b64 s[42:43], s[42:43], 1
	v_add_co_ci_u32_e64 v37, null, s39, v20, s7
	v_add_co_u32 v38, s7, v19, s40
	v_add_co_ci_u32_e64 v39, null, s41, v20, s7
	v_add_co_u32 v40, s7, v19, s42
	v_add_co_ci_u32_e64 v41, null, s43, v20, s7
	flat_load_ushort v43, v[6:7]
	s_clause 0x2
	flat_load_ushort v36, v[36:37]
	flat_load_ushort v37, v[38:39]
	;; [unrolled: 1-line block ×3, first 2 shown]
	v_cndmask_b32_e32 v39, v42, v4, vcc_lo
	v_add_co_u32 v6, s7, v6, 2
	v_add_co_ci_u32_e64 v7, null, 0, v7, s7
	s_add_u32 s26, s26, 1
	s_addc_u32 s27, s27, 0
	s_cmp_lg_u32 s17, s26
	s_waitcnt vmcnt(3) lgkmcnt(3)
	v_lshlrev_b32_e32 v40, 16, v43
	s_waitcnt vmcnt(2) lgkmcnt(2)
	v_lshlrev_b32_e32 v36, 16, v36
	;; [unrolled: 2-line block ×4, first 2 shown]
	v_fmac_f32_e32 v35, v39, v40
	v_fmac_f32_e32 v34, v39, v36
	;; [unrolled: 1-line block ×4, first 2 shown]
	s_cbranch_scc1 .LBB603_49
	s_branch .LBB603_60
.LBB603_50:                             ;   in Loop: Header=BB603_15 Depth=1
	ds_read_b32 v6, v31
	s_or_b32 exec_lo, exec_lo, s7
	s_and_saveexec_b32 s7, s0
	s_cbranch_execz .LBB603_23
.LBB603_51:                             ;   in Loop: Header=BB603_15 Depth=1
	s_waitcnt lgkmcnt(0)
	ds_bpermute_b32 v7, v28, v6
	s_waitcnt lgkmcnt(0)
	v_add_f32_e32 v6, v6, v7
	ds_bpermute_b32 v7, v29, v6
	s_waitcnt lgkmcnt(0)
	v_add_f32_e32 v6, v6, v7
	ds_bpermute_b32 v7, v30, v6
	s_waitcnt lgkmcnt(0)
	v_add_f32_e32 v6, v6, v7
	s_or_b32 exec_lo, exec_lo, s7
	s_and_saveexec_b32 s7, s0
	s_cbranch_execnz .LBB603_24
	s_branch .LBB603_25
.LBB603_52:                             ;   in Loop: Header=BB603_15 Depth=1
	ds_read_b32 v7, v31
	s_or_b32 exec_lo, exec_lo, s7
	s_and_saveexec_b32 s7, s0
	s_cbranch_execz .LBB603_29
.LBB603_53:                             ;   in Loop: Header=BB603_15 Depth=1
	s_waitcnt lgkmcnt(0)
	ds_bpermute_b32 v34, v28, v7
	s_waitcnt lgkmcnt(0)
	v_add_f32_e32 v7, v7, v34
	ds_bpermute_b32 v34, v29, v7
	s_waitcnt lgkmcnt(0)
	v_add_f32_e32 v7, v7, v34
	;; [unrolled: 3-line block ×3, first 2 shown]
	s_or_b32 exec_lo, exec_lo, s7
	s_and_saveexec_b32 s7, s0
	s_cbranch_execnz .LBB603_30
	s_branch .LBB603_31
.LBB603_54:                             ;   in Loop: Header=BB603_15 Depth=1
	ds_read_b32 v33, v31
	s_or_b32 exec_lo, exec_lo, s7
	s_and_saveexec_b32 s7, s0
	s_cbranch_execz .LBB603_35
.LBB603_55:                             ;   in Loop: Header=BB603_15 Depth=1
	s_waitcnt lgkmcnt(0)
	ds_bpermute_b32 v34, v28, v33
	s_waitcnt lgkmcnt(0)
	v_add_f32_e32 v33, v33, v34
	ds_bpermute_b32 v34, v29, v33
	s_waitcnt lgkmcnt(0)
	v_add_f32_e32 v33, v33, v34
	;; [unrolled: 3-line block ×3, first 2 shown]
	s_or_b32 exec_lo, exec_lo, s7
	s_and_saveexec_b32 s7, s0
	s_cbranch_execnz .LBB603_36
	s_branch .LBB603_37
.LBB603_56:                             ;   in Loop: Header=BB603_15 Depth=1
	ds_read_b32 v8, v31
	s_or_b32 exec_lo, exec_lo, s7
	s_and_saveexec_b32 s7, s0
	s_cbranch_execz .LBB603_41
.LBB603_57:                             ;   in Loop: Header=BB603_15 Depth=1
	s_waitcnt lgkmcnt(0)
	ds_bpermute_b32 v34, v28, v8
	s_waitcnt lgkmcnt(0)
	v_add_f32_e32 v8, v8, v34
	ds_bpermute_b32 v34, v29, v8
	s_waitcnt lgkmcnt(0)
	v_add_f32_e32 v8, v8, v34
	;; [unrolled: 3-line block ×3, first 2 shown]
	s_or_b32 exec_lo, exec_lo, s7
	s_and_saveexec_b32 s7, s2
	s_cbranch_execz .LBB603_14
.LBB603_58:                             ;   in Loop: Header=BB603_15 Depth=1
	s_mul_i32 s8, s19, s16
	v_mul_f32_e32 v6, s14, v6
	s_add_i32 s8, s8, s6
	v_mul_f32_e32 v7, s14, v7
	s_lshl_b64 s[26:27], s[8:9], 2
	v_mul_f32_e32 v33, s14, v33
	s_add_u32 s26, s28, s26
	s_addc_u32 s27, s29, s27
	s_add_i32 s8, s8, s16
	global_store_dword v5, v6, s[26:27]
	s_lshl_b64 s[36:37], s[8:9], 2
	s_waitcnt lgkmcnt(0)
	v_mul_f32_e32 v6, s14, v8
	s_add_u32 s36, s28, s36
	s_addc_u32 s37, s29, s37
	s_add_i32 s8, s8, s16
	global_store_dword v5, v7, s[36:37]
	s_lshl_b64 s[38:39], s[8:9], 2
	s_add_u32 s26, s28, s38
	s_addc_u32 s27, s29, s39
	s_add_i32 s8, s8, s16
	s_lshl_b64 s[38:39], s[8:9], 2
	s_add_u32 s36, s28, s38
	s_addc_u32 s37, s29, s39
	global_store_dword v5, v33, s[26:27]
	global_store_dword v5, v6, s[36:37]
	s_branch .LBB603_14
.LBB603_59:                             ;   in Loop: Header=BB603_15 Depth=1
	v_mov_b32_e32 v8, 0
	v_mov_b32_e32 v33, 0
	;; [unrolled: 1-line block ×4, first 2 shown]
.LBB603_60:                             ;   in Loop: Header=BB603_15 Depth=1
	s_or_b32 exec_lo, exec_lo, s37
	s_or_b32 exec_lo, exec_lo, s36
	s_and_saveexec_b32 s7, s0
	s_cbranch_execnz .LBB603_18
	s_branch .LBB603_19
.LBB603_61:
	v_mov_b32_e32 v1, 0
	s_mov_b32 s19, 0
	v_mov_b32_e32 v2, v1
	v_mov_b32_e32 v3, v1
	v_mov_b32_e32 v4, v1
.LBB603_62:
	s_cmp_ge_i32 s19, s13
	s_cbranch_scc1 .LBB603_86
; %bb.63:
	v_cmp_gt_u32_e32 vcc_lo, 24, v23
	v_cmp_ge_i32_e64 s0, s12, v24
	v_lshl_or_b32 v17, v23, 2, 64
	v_ashrrev_i32_e32 v10, 31, v9
	v_cmp_ge_i32_e64 s1, s12, v25
	v_cndmask_b32_e64 v5, 0, 8, vcc_lo
	v_cmp_gt_u32_e32 vcc_lo, 28, v23
	s_cmp_gt_i32 s17, 0
	v_lshlrev_b64 v[10:11], 1, v[9:10]
	s_mov_b32 s7, 0
	v_add_lshl_u32 v18, v5, v23, 2
	v_cndmask_b32_e64 v6, 0, 4, vcc_lo
	v_cmp_gt_u32_e32 vcc_lo, 30, v23
	v_add_nc_u32_e32 v5, s15, v9
	s_cselect_b32 s12, -1, 0
	v_cmp_gt_u32_e64 s2, 32, v0
	v_add_lshl_u32 v24, v6, v23, 2
	v_cndmask_b32_e64 v7, 0, 2, vcc_lo
	v_cmp_ne_u32_e32 vcc_lo, 31, v23
	v_ashrrev_i32_e32 v6, 31, v5
	v_lshlrev_b32_e32 v16, 2, v21
	v_cmp_eq_u32_e64 s3, 0, v21
	v_and_b32_e32 v21, 28, v22
	s_waitcnt lgkmcnt(0)
	v_add_co_ci_u32_e64 v8, null, 0, v23, vcc_lo
	v_add_lshl_u32 v23, v7, v23, 2
	v_add_nc_u32_e32 v7, s15, v5
	v_lshlrev_b64 v[12:13], 1, v[5:6]
	v_lshlrev_b32_e32 v25, 2, v8
	v_add_co_u32 v5, vcc_lo, s10, v10
	v_add_nc_u32_e32 v14, s15, v7
	v_ashrrev_i32_e32 v8, 31, v7
	v_add_co_ci_u32_e64 v6, null, s11, v11, vcc_lo
	v_cmp_gt_u32_e64 s4, 8, v0
	v_ashrrev_i32_e32 v15, 31, v14
	v_lshlrev_b64 v[10:11], 1, v[7:8]
	v_add_co_u32 v7, vcc_lo, s10, v12
	v_add_co_ci_u32_e64 v8, null, s11, v13, vcc_lo
	v_lshlrev_b64 v[12:13], 1, v[14:15]
	v_add_co_u32 v10, vcc_lo, s10, v10
	v_add_co_ci_u32_e64 v11, null, s11, v11, vcc_lo
	v_cmp_eq_u32_e64 s5, 0, v0
	v_add_co_u32 v12, vcc_lo, s10, v12
	s_lshl_b64 s[8:9], s[6:7], 2
	v_add_co_ci_u32_e64 v13, null, s11, v13, vcc_lo
	v_mov_b32_e32 v0, 0
	s_add_u32 s24, s28, s8
	s_addc_u32 s25, s29, s9
	s_mul_i32 s20, s19, s18
	s_branch .LBB603_65
.LBB603_64:                             ;   in Loop: Header=BB603_65 Depth=1
	s_or_b32 exec_lo, exec_lo, s6
	s_add_i32 s19, s19, 1
	s_add_i32 s20, s20, s18
	s_cmp_ge_i32 s19, s13
	s_cbranch_scc1 .LBB603_86
.LBB603_65:                             ; =>This Loop Header: Depth=1
                                        ;     Child Loop BB603_78 Depth 2
                                        ;     Child Loop BB603_81 Depth 2
	v_mov_b32_e32 v22, s7
	s_and_saveexec_b32 s6, s0
	s_xor_b32 s6, exec_lo, s6
	s_cbranch_execnz .LBB603_74
; %bb.66:                               ;   in Loop: Header=BB603_65 Depth=1
	s_andn2_saveexec_b32 s26, s6
	s_cbranch_execnz .LBB603_75
.LBB603_67:                             ;   in Loop: Header=BB603_65 Depth=1
	s_or_b32 exec_lo, exec_lo, s26
	s_and_saveexec_b32 s6, s2
.LBB603_68:                             ;   in Loop: Header=BB603_65 Depth=1
	ds_write_b32 v16, v0
.LBB603_69:                             ;   in Loop: Header=BB603_65 Depth=1
	s_or_b32 exec_lo, exec_lo, s6
	s_waitcnt lgkmcnt(0)
	ds_bpermute_b32 v14, v17, v22
	s_waitcnt lgkmcnt(0)
	s_waitcnt_vscnt null, 0x0
	s_barrier
	buffer_gl0_inv
	v_add_f32_e32 v14, v22, v14
	ds_bpermute_b32 v15, v18, v14
	s_waitcnt lgkmcnt(0)
	v_add_f32_e32 v14, v14, v15
	ds_bpermute_b32 v15, v24, v14
	s_waitcnt lgkmcnt(0)
	;; [unrolled: 3-line block ×3, first 2 shown]
	v_add_f32_e32 v14, v14, v15
	ds_bpermute_b32 v15, v25, v14
	s_and_saveexec_b32 s6, s3
	s_cbranch_execz .LBB603_71
; %bb.70:                               ;   in Loop: Header=BB603_65 Depth=1
	s_waitcnt lgkmcnt(0)
	v_add_f32_e32 v14, v14, v15
	ds_write_b32 v21, v14
.LBB603_71:                             ;   in Loop: Header=BB603_65 Depth=1
	s_or_b32 exec_lo, exec_lo, s6
	v_mov_b32_e32 v14, 0
	s_waitcnt lgkmcnt(0)
	s_barrier
	buffer_gl0_inv
	s_and_saveexec_b32 s6, s4
	s_cbranch_execnz .LBB603_83
; %bb.72:                               ;   in Loop: Header=BB603_65 Depth=1
	s_or_b32 exec_lo, exec_lo, s6
	s_and_saveexec_b32 s6, s2
	s_cbranch_execnz .LBB603_84
.LBB603_73:                             ;   in Loop: Header=BB603_65 Depth=1
	s_or_b32 exec_lo, exec_lo, s6
	s_and_saveexec_b32 s6, s5
	s_cbranch_execz .LBB603_64
	s_branch .LBB603_85
.LBB603_74:                             ;   in Loop: Header=BB603_65 Depth=1
	s_mul_i32 s8, s19, s18
	s_ashr_i32 s9, s8, 31
	s_lshl_b64 s[8:9], s[8:9], 1
	v_add_co_u32 v1, vcc_lo, v19, s8
	v_add_co_ci_u32_e64 v2, null, s9, v20, vcc_lo
	flat_load_ushort v3, v[5:6]
	s_waitcnt lgkmcnt(1)
	flat_load_dwordx2 v[14:15], v[1:2]
	s_clause 0x2
	flat_load_ushort v2, v[7:8]
	flat_load_ushort v4, v[10:11]
	;; [unrolled: 1-line block ×3, first 2 shown]
	s_waitcnt vmcnt(4) lgkmcnt(4)
	v_lshlrev_b32_e32 v1, 16, v3
	s_waitcnt vmcnt(3) lgkmcnt(3)
	v_lshlrev_b32_e32 v3, 16, v14
	;; [unrolled: 2-line block ×3, first 2 shown]
	v_and_b32_e32 v14, 0xffff0000, v14
	v_fma_f32 v22, v1, v3, 0
	s_waitcnt vmcnt(1) lgkmcnt(1)
	v_lshlrev_b32_e32 v3, 16, v4
	s_waitcnt vmcnt(0) lgkmcnt(0)
	v_lshlrev_b32_e32 v4, 16, v26
	v_fmac_f32_e32 v22, v2, v14
	v_lshlrev_b32_e32 v14, 16, v15
	v_and_b32_e32 v15, 0xffff0000, v15
	v_fmac_f32_e32 v22, v3, v14
	v_fmac_f32_e32 v22, v4, v15
	s_andn2_saveexec_b32 s26, s6
	s_cbranch_execz .LBB603_67
.LBB603_75:                             ;   in Loop: Header=BB603_65 Depth=1
	s_and_saveexec_b32 s27, s1
	s_cbranch_execz .LBB603_82
; %bb.76:                               ;   in Loop: Header=BB603_65 Depth=1
	s_andn2_b32 vcc_lo, exec_lo, s12
	s_cbranch_vccnz .LBB603_79
; %bb.77:                               ;   in Loop: Header=BB603_65 Depth=1
	s_waitcnt lgkmcnt(0)
	v_mov_b32_e32 v14, v9
	s_mov_b64 s[22:23], 0
	.p2align	6
.LBB603_78:                             ;   Parent Loop BB603_65 Depth=1
                                        ; =>  This Inner Loop Header: Depth=2
	v_ashrrev_i32_e32 v15, 31, v14
	s_cmp_eq_u32 s22, 3
	v_lshlrev_b64 v[26:27], 1, v[14:15]
	v_add_nc_u32_e32 v14, s15, v14
	v_add_co_u32 v26, vcc_lo, s10, v26
	v_add_co_ci_u32_e64 v27, null, s11, v27, vcc_lo
	s_cselect_b32 vcc_lo, -1, 0
	s_cmp_eq_u32 s22, 2
	s_cselect_b32 s6, -1, 0
	flat_load_ushort v15, v[26:27]
	s_cmp_eq_u32 s22, 1
	s_cselect_b32 s8, -1, 0
	s_cmp_eq_u32 s22, 0
	s_waitcnt vmcnt(0) lgkmcnt(0)
	v_lshlrev_b32_e32 v15, 16, v15
	v_cndmask_b32_e32 v4, v4, v15, vcc_lo
	s_cselect_b32 vcc_lo, -1, 0
	v_cndmask_b32_e64 v3, v3, v15, s6
	v_cndmask_b32_e64 v2, v2, v15, s8
	v_cndmask_b32_e32 v1, v1, v15, vcc_lo
	s_add_u32 s22, s22, 1
	s_addc_u32 s23, s23, 0
	s_cmp_eq_u32 s17, s22
	s_cbranch_scc0 .LBB603_78
.LBB603_79:                             ;   in Loop: Header=BB603_65 Depth=1
	s_andn2_b32 vcc_lo, exec_lo, s12
	s_cbranch_vccnz .LBB603_82
; %bb.80:                               ;   in Loop: Header=BB603_65 Depth=1
	s_ashr_i32 s21, s20, 31
	s_lshl_b64 s[8:9], s[20:21], 1
	s_waitcnt lgkmcnt(0)
	v_add_co_u32 v14, vcc_lo, v19, s8
	v_add_co_ci_u32_e64 v15, null, s9, v20, vcc_lo
	s_mov_b64 s[8:9], 0
	.p2align	6
.LBB603_81:                             ;   Parent Loop BB603_65 Depth=1
                                        ; =>  This Inner Loop Header: Depth=2
	flat_load_ushort v26, v[14:15]
	s_cmp_eq_u32 s8, 1
	s_cselect_b32 vcc_lo, -1, 0
	s_cmp_eq_u32 s8, 2
	v_cndmask_b32_e32 v27, v1, v2, vcc_lo
	s_cselect_b32 vcc_lo, -1, 0
	s_cmp_eq_u32 s8, 3
	v_cndmask_b32_e32 v27, v27, v3, vcc_lo
	s_cselect_b32 vcc_lo, -1, 0
	s_add_u32 s8, s8, 1
	s_addc_u32 s9, s9, 0
	s_cmp_lg_u32 s17, s8
	v_cndmask_b32_e32 v27, v27, v4, vcc_lo
	v_add_co_u32 v14, vcc_lo, v14, 2
	v_add_co_ci_u32_e64 v15, null, 0, v15, vcc_lo
	s_waitcnt vmcnt(0) lgkmcnt(0)
	v_lshlrev_b32_e32 v26, 16, v26
	v_fmac_f32_e32 v22, v27, v26
	s_cbranch_scc1 .LBB603_81
.LBB603_82:                             ;   in Loop: Header=BB603_65 Depth=1
	s_or_b32 exec_lo, exec_lo, s27
	s_or_b32 exec_lo, exec_lo, s26
	s_and_saveexec_b32 s6, s2
	s_cbranch_execnz .LBB603_68
	s_branch .LBB603_69
.LBB603_83:                             ;   in Loop: Header=BB603_65 Depth=1
	ds_read_b32 v14, v16
	s_or_b32 exec_lo, exec_lo, s6
	s_and_saveexec_b32 s6, s2
	s_cbranch_execz .LBB603_73
.LBB603_84:                             ;   in Loop: Header=BB603_65 Depth=1
	s_waitcnt lgkmcnt(0)
	ds_bpermute_b32 v15, v24, v14
	s_waitcnt lgkmcnt(0)
	v_add_f32_e32 v14, v14, v15
	ds_bpermute_b32 v15, v23, v14
	s_waitcnt lgkmcnt(0)
	v_add_f32_e32 v14, v14, v15
	ds_bpermute_b32 v15, v25, v14
	s_waitcnt lgkmcnt(0)
	v_add_f32_e32 v14, v14, v15
	s_or_b32 exec_lo, exec_lo, s6
	s_and_saveexec_b32 s6, s5
	s_cbranch_execz .LBB603_64
.LBB603_85:                             ;   in Loop: Header=BB603_65 Depth=1
	s_mul_hi_u32 s9, s19, s16
	s_mul_i32 s8, s19, s16
	s_waitcnt lgkmcnt(0)
	v_mul_f32_e32 v14, s14, v14
	s_lshl_b64 s[8:9], s[8:9], 2
	s_add_u32 s8, s24, s8
	s_addc_u32 s9, s25, s9
	global_store_dword v0, v14, s[8:9]
	s_branch .LBB603_64
.LBB603_86:
	s_endpgm
	.section	.rodata,"a",@progbits
	.p2align	6, 0x0
	.amdhsa_kernel _ZL23rocblas_gemvt_sn_kernelILb0ELi256ELi4EiPK16rocblas_bfloat16ffEviiT4_lPKT3_lilS6_lilPT5_i
		.amdhsa_group_segment_fixed_size 128
		.amdhsa_private_segment_fixed_size 0
		.amdhsa_kernarg_size 360
		.amdhsa_user_sgpr_count 6
		.amdhsa_user_sgpr_private_segment_buffer 1
		.amdhsa_user_sgpr_dispatch_ptr 0
		.amdhsa_user_sgpr_queue_ptr 0
		.amdhsa_user_sgpr_kernarg_segment_ptr 1
		.amdhsa_user_sgpr_dispatch_id 0
		.amdhsa_user_sgpr_flat_scratch_init 0
		.amdhsa_user_sgpr_private_segment_size 0
		.amdhsa_wavefront_size32 1
		.amdhsa_uses_dynamic_stack 0
		.amdhsa_system_sgpr_private_segment_wavefront_offset 0
		.amdhsa_system_sgpr_workgroup_id_x 1
		.amdhsa_system_sgpr_workgroup_id_y 0
		.amdhsa_system_sgpr_workgroup_id_z 1
		.amdhsa_system_sgpr_workgroup_info 0
		.amdhsa_system_vgpr_workitem_id 0
		.amdhsa_next_free_vgpr 47
		.amdhsa_next_free_sgpr 44
		.amdhsa_reserve_vcc 1
		.amdhsa_reserve_flat_scratch 1
		.amdhsa_float_round_mode_32 0
		.amdhsa_float_round_mode_16_64 0
		.amdhsa_float_denorm_mode_32 3
		.amdhsa_float_denorm_mode_16_64 3
		.amdhsa_dx10_clamp 1
		.amdhsa_ieee_mode 1
		.amdhsa_fp16_overflow 0
		.amdhsa_workgroup_processor_mode 1
		.amdhsa_memory_ordered 1
		.amdhsa_forward_progress 1
		.amdhsa_shared_vgpr_count 0
		.amdhsa_exception_fp_ieee_invalid_op 0
		.amdhsa_exception_fp_denorm_src 0
		.amdhsa_exception_fp_ieee_div_zero 0
		.amdhsa_exception_fp_ieee_overflow 0
		.amdhsa_exception_fp_ieee_underflow 0
		.amdhsa_exception_fp_ieee_inexact 0
		.amdhsa_exception_int_div_zero 0
	.end_amdhsa_kernel
	.section	.text._ZL23rocblas_gemvt_sn_kernelILb0ELi256ELi4EiPK16rocblas_bfloat16ffEviiT4_lPKT3_lilS6_lilPT5_i,"axG",@progbits,_ZL23rocblas_gemvt_sn_kernelILb0ELi256ELi4EiPK16rocblas_bfloat16ffEviiT4_lPKT3_lilS6_lilPT5_i,comdat
.Lfunc_end603:
	.size	_ZL23rocblas_gemvt_sn_kernelILb0ELi256ELi4EiPK16rocblas_bfloat16ffEviiT4_lPKT3_lilS6_lilPT5_i, .Lfunc_end603-_ZL23rocblas_gemvt_sn_kernelILb0ELi256ELi4EiPK16rocblas_bfloat16ffEviiT4_lPKT3_lilS6_lilPT5_i
                                        ; -- End function
	.set _ZL23rocblas_gemvt_sn_kernelILb0ELi256ELi4EiPK16rocblas_bfloat16ffEviiT4_lPKT3_lilS6_lilPT5_i.num_vgpr, 47
	.set _ZL23rocblas_gemvt_sn_kernelILb0ELi256ELi4EiPK16rocblas_bfloat16ffEviiT4_lPKT3_lilS6_lilPT5_i.num_agpr, 0
	.set _ZL23rocblas_gemvt_sn_kernelILb0ELi256ELi4EiPK16rocblas_bfloat16ffEviiT4_lPKT3_lilS6_lilPT5_i.numbered_sgpr, 44
	.set _ZL23rocblas_gemvt_sn_kernelILb0ELi256ELi4EiPK16rocblas_bfloat16ffEviiT4_lPKT3_lilS6_lilPT5_i.num_named_barrier, 0
	.set _ZL23rocblas_gemvt_sn_kernelILb0ELi256ELi4EiPK16rocblas_bfloat16ffEviiT4_lPKT3_lilS6_lilPT5_i.private_seg_size, 0
	.set _ZL23rocblas_gemvt_sn_kernelILb0ELi256ELi4EiPK16rocblas_bfloat16ffEviiT4_lPKT3_lilS6_lilPT5_i.uses_vcc, 1
	.set _ZL23rocblas_gemvt_sn_kernelILb0ELi256ELi4EiPK16rocblas_bfloat16ffEviiT4_lPKT3_lilS6_lilPT5_i.uses_flat_scratch, 1
	.set _ZL23rocblas_gemvt_sn_kernelILb0ELi256ELi4EiPK16rocblas_bfloat16ffEviiT4_lPKT3_lilS6_lilPT5_i.has_dyn_sized_stack, 0
	.set _ZL23rocblas_gemvt_sn_kernelILb0ELi256ELi4EiPK16rocblas_bfloat16ffEviiT4_lPKT3_lilS6_lilPT5_i.has_recursion, 0
	.set _ZL23rocblas_gemvt_sn_kernelILb0ELi256ELi4EiPK16rocblas_bfloat16ffEviiT4_lPKT3_lilS6_lilPT5_i.has_indirect_call, 0
	.section	.AMDGPU.csdata,"",@progbits
; Kernel info:
; codeLenInByte = 4268
; TotalNumSgprs: 46
; NumVgprs: 47
; ScratchSize: 0
; MemoryBound: 0
; FloatMode: 240
; IeeeMode: 1
; LDSByteSize: 128 bytes/workgroup (compile time only)
; SGPRBlocks: 0
; VGPRBlocks: 5
; NumSGPRsForWavesPerEU: 46
; NumVGPRsForWavesPerEU: 47
; Occupancy: 16
; WaveLimiterHint : 0
; COMPUTE_PGM_RSRC2:SCRATCH_EN: 0
; COMPUTE_PGM_RSRC2:USER_SGPR: 6
; COMPUTE_PGM_RSRC2:TRAP_HANDLER: 0
; COMPUTE_PGM_RSRC2:TGID_X_EN: 1
; COMPUTE_PGM_RSRC2:TGID_Y_EN: 0
; COMPUTE_PGM_RSRC2:TGID_Z_EN: 1
; COMPUTE_PGM_RSRC2:TIDIG_COMP_CNT: 0
	.section	.text._ZL23rocblas_gemvt_sn_kernelILb0ELi256ELi4ElPK16rocblas_bfloat16ffEviiT4_lPKT3_lilS6_lilPT5_i,"axG",@progbits,_ZL23rocblas_gemvt_sn_kernelILb0ELi256ELi4ElPK16rocblas_bfloat16ffEviiT4_lPKT3_lilS6_lilPT5_i,comdat
	.globl	_ZL23rocblas_gemvt_sn_kernelILb0ELi256ELi4ElPK16rocblas_bfloat16ffEviiT4_lPKT3_lilS6_lilPT5_i ; -- Begin function _ZL23rocblas_gemvt_sn_kernelILb0ELi256ELi4ElPK16rocblas_bfloat16ffEviiT4_lPKT3_lilS6_lilPT5_i
	.p2align	8
	.type	_ZL23rocblas_gemvt_sn_kernelILb0ELi256ELi4ElPK16rocblas_bfloat16ffEviiT4_lPKT3_lilS6_lilPT5_i,@function
_ZL23rocblas_gemvt_sn_kernelILb0ELi256ELi4ElPK16rocblas_bfloat16ffEviiT4_lPKT3_lilS6_lilPT5_i: ; @_ZL23rocblas_gemvt_sn_kernelILb0ELi256ELi4ElPK16rocblas_bfloat16ffEviiT4_lPKT3_lilS6_lilPT5_i
; %bb.0:
	s_load_dwordx4 s[12:15], s[4:5], 0x0
	s_mov_b32 s0, s7
	s_mov_b32 s1, 0
	s_waitcnt lgkmcnt(0)
	v_cmp_neq_f32_e64 s3, s14, 0
	v_cmp_eq_f32_e64 s2, s14, 0
	s_and_b32 vcc_lo, exec_lo, s3
	s_cbranch_vccnz .LBB604_2
; %bb.1:
	s_mov_b32 s7, s1
	s_mov_b64 s[20:21], 0
	s_andn2_b32 vcc_lo, exec_lo, s7
	s_mov_b64 s[18:19], 0
	s_cbranch_vccz .LBB604_3
	s_branch .LBB604_4
.LBB604_2:
	s_mov_b64 s[20:21], 0
	s_mov_b64 s[18:19], 0
.LBB604_3:
	s_load_dwordx4 s[8:11], s[4:5], 0x18
	s_lshl_b64 s[16:17], s[0:1], 3
	s_waitcnt lgkmcnt(0)
	s_add_u32 s8, s8, s16
	s_addc_u32 s9, s9, s17
	s_lshl_b64 s[10:11], s[10:11], 1
	s_load_dwordx2 s[8:9], s[8:9], 0x0
	s_waitcnt lgkmcnt(0)
	s_add_u32 s18, s8, s10
	s_addc_u32 s19, s9, s11
.LBB604_4:
	s_andn2_b32 vcc_lo, exec_lo, s3
	s_cbranch_vccnz .LBB604_6
; %bb.5:
	s_load_dwordx4 s[8:11], s[4:5], 0x38
	s_lshl_b64 s[16:17], s[0:1], 3
	s_waitcnt lgkmcnt(0)
	s_add_u32 s8, s8, s16
	s_addc_u32 s9, s9, s17
	s_lshl_b64 s[10:11], s[10:11], 1
	s_load_dwordx2 s[8:9], s[8:9], 0x0
	s_waitcnt lgkmcnt(0)
	s_add_u32 s20, s8, s10
	s_addc_u32 s21, s9, s11
.LBB604_6:
	s_clause 0x1
	s_load_dword s10, s[4:5], 0x68
	s_load_dwordx2 s[16:17], s[4:5], 0x58
	s_ashr_i32 s8, s13, 31
	s_mul_hi_u32 s1, s0, s13
	s_mul_i32 s3, s0, s8
	s_mul_i32 s0, s0, s13
	s_add_i32 s1, s1, s3
	s_mov_b32 s11, 0
	s_waitcnt lgkmcnt(0)
	s_mul_i32 s1, s1, s10
	s_mul_hi_u32 s3, s0, s10
	s_mul_i32 s0, s0, s10
	s_add_i32 s1, s3, s1
	s_lshl_b64 s[0:1], s[0:1], 2
	s_add_u32 s15, s16, s0
	s_addc_u32 s33, s17, s1
	s_andn2_b32 vcc_lo, exec_lo, s2
	s_mov_b32 s0, -1
	s_cbranch_vccnz .LBB604_11
; %bb.7:
	v_cmp_eq_u32_e32 vcc_lo, 0, v0
	s_cmp_gt_i32 s13, 0
	s_cselect_b32 s0, -1, 0
	s_and_b32 s0, vcc_lo, s0
	s_and_saveexec_b32 s9, s0
	s_cbranch_execz .LBB604_10
; %bb.8:
	s_mov_b32 s7, 0
	v_mov_b32_e32 v1, 0
	s_lshl_b64 s[0:1], s[6:7], 2
	s_mov_b32 s7, s13
	s_add_u32 s0, s15, s0
	s_addc_u32 s1, s33, s1
	s_lshl_b64 s[2:3], s[10:11], 2
.LBB604_9:                              ; =>This Inner Loop Header: Depth=1
	s_add_i32 s7, s7, -1
	global_store_dword v1, v1, s[0:1]
	s_add_u32 s0, s0, s2
	s_addc_u32 s1, s1, s3
	s_cmp_eq_u32 s7, 0
	s_cbranch_scc0 .LBB604_9
.LBB604_10:
	s_or_b32 exec_lo, exec_lo, s9
	s_mov_b32 s0, 0
.LBB604_11:
	s_andn2_b32 vcc_lo, exec_lo, s0
	s_cbranch_vccnz .LBB604_86
; %bb.12:
	s_lshl_b32 s0, s6, 10
	s_clause 0x1
	s_load_dword s16, s[4:5], 0x28
	s_load_dword s22, s[4:5], 0x48
	v_lshl_or_b32 v13, v0, 2, s0
	s_ashr_i32 s0, s12, 31
	s_lshr_b32 s1, s8, 30
	s_lshr_b32 s0, s0, 30
	s_add_i32 s1, s13, s1
	v_ashrrev_i32_e32 v14, 31, v13
	s_add_i32 s0, s12, s0
	s_and_b32 s36, s1, -4
	s_and_b32 s0, s0, -4
	v_add_nc_u32_e32 v30, 4, v13
	v_lshlrev_b64 v[11:12], 1, v[13:14]
	s_sub_i32 s11, s12, s0
	v_and_b32_e32 v27, 31, v0
	v_add_nc_u32_e32 v31, s11, v13
	v_cmp_gt_u32_e64 s0, 32, v0
	v_mbcnt_lo_u32_b32 v29, -1, 0
	v_add_co_u32 v9, vcc_lo, s18, v11
	v_add_co_ci_u32_e64 v10, null, s19, v12, vcc_lo
	v_cmp_gt_u32_e64 s1, 8, v0
	v_lshrrev_b32_e32 v28, 3, v0
	v_cmp_eq_u32_e64 s2, 0, v0
	v_or_b32_e32 v26, 1, v13
	v_or_b32_e32 v25, 2, v13
	;; [unrolled: 1-line block ×3, first 2 shown]
	s_waitcnt lgkmcnt(0)
	s_ashr_i32 s17, s16, 31
	s_ashr_i32 s23, s22, 31
	s_cmp_lt_i32 s36, 1
	s_cbranch_scc1 .LBB604_61
; %bb.13:
	v_cmp_gt_u32_e32 vcc_lo, 24, v29
	v_mad_i64_i32 v[5:6], null, s22, v25, 0
	v_mad_i64_i32 v[7:8], null, s22, v24, 0
	v_cndmask_b32_e64 v1, 0, 8, vcc_lo
	v_cmp_gt_u32_e32 vcc_lo, 28, v29
	s_cmp_gt_i32 s11, 0
	s_mov_b32 s7, 0
	v_mov_b32_e32 v23, v10
	v_add_lshl_u32 v33, v1, v29, 2
	v_cndmask_b32_e64 v2, 0, 4, vcc_lo
	v_cmp_gt_u32_e32 vcc_lo, 30, v29
	v_cmp_ge_i32_e64 s3, s12, v30
	v_cmp_ge_i32_e64 s4, s12, v31
	s_cselect_b32 s37, -1, 0
	v_add_lshl_u32 v34, v2, v29, 2
	v_cndmask_b32_e64 v3, 0, 2, vcc_lo
	v_cmp_ne_u32_e32 vcc_lo, 31, v29
	v_mad_i64_i32 v[1:2], null, s22, v13, 0
	v_lshl_or_b32 v32, v29, 2, 64
	v_add_lshl_u32 v35, v3, v29, 2
	v_add_co_ci_u32_e64 v4, null, 0, v29, vcc_lo
	v_cmp_eq_u32_e64 s5, 0, v27
	v_lshlrev_b32_e32 v37, 2, v27
	v_lshlrev_b64 v[1:2], 1, v[1:2]
	v_lshlrev_b32_e32 v36, 2, v4
	v_mad_i64_i32 v[3:4], null, s22, v26, 0
	s_lshl_b64 s[8:9], s[6:7], 2
	v_and_b32_e32 v38, 28, v28
	v_add_co_u32 v14, vcc_lo, s20, v1
	v_add_co_ci_u32_e64 v15, null, s21, v2, vcc_lo
	v_lshlrev_b64 v[3:4], 1, v[3:4]
	v_lshlrev_b64 v[1:2], 1, v[5:6]
	v_mov_b32_e32 v5, 0
	v_mov_b32_e32 v22, v9
	s_add_u32 s38, s15, s8
	s_addc_u32 s39, s33, s9
	v_add_co_u32 v16, vcc_lo, s20, v3
	v_add_co_ci_u32_e64 v17, null, s21, v4, vcc_lo
	v_lshlrev_b64 v[3:4], 1, v[7:8]
	v_add_co_u32 v18, vcc_lo, s20, v1
	v_mov_b32_e32 v6, v5
	v_mov_b32_e32 v7, v5
	;; [unrolled: 1-line block ×3, first 2 shown]
	v_add_co_ci_u32_e64 v19, null, s21, v2, vcc_lo
	v_add_co_u32 v20, vcc_lo, s20, v3
	v_add_co_ci_u32_e64 v21, null, s21, v4, vcc_lo
	v_mov_b32_e32 v1, v5
	v_mov_b32_e32 v2, v6
	;; [unrolled: 1-line block ×4, first 2 shown]
	s_lshl_b64 s[24:25], s[22:23], 1
	s_mul_hi_i32 s40, s16, 6
	s_mul_i32 s41, s16, 6
	s_lshl_b64 s[26:27], s[16:17], 3
	s_lshl_b64 s[28:29], s[16:17], 2
	;; [unrolled: 1-line block ×3, first 2 shown]
	s_branch .LBB604_15
.LBB604_14:                             ;   in Loop: Header=BB604_15 Depth=1
	s_or_b32 exec_lo, exec_lo, s8
	v_add_co_u32 v22, vcc_lo, v22, s26
	v_add_co_ci_u32_e64 v23, null, s27, v23, vcc_lo
	s_add_i32 s7, s7, 4
	s_cmp_ge_i32 s7, s36
	s_cbranch_scc1 .LBB604_62
.LBB604_15:                             ; =>This Loop Header: Depth=1
                                        ;     Child Loop BB604_46 Depth 2
                                        ;     Child Loop BB604_49 Depth 2
                                        ; implicit-def: $vgpr8
                                        ; implicit-def: $vgpr39
                                        ; implicit-def: $vgpr40
                                        ; implicit-def: $vgpr41
	s_and_saveexec_b32 s8, s3
	s_xor_b32 s8, exec_lo, s8
	s_cbranch_execnz .LBB604_42
; %bb.16:                               ;   in Loop: Header=BB604_15 Depth=1
	s_andn2_saveexec_b32 s42, s8
	s_cbranch_execnz .LBB604_43
.LBB604_17:                             ;   in Loop: Header=BB604_15 Depth=1
	s_or_b32 exec_lo, exec_lo, s42
	s_and_saveexec_b32 s8, s0
.LBB604_18:                             ;   in Loop: Header=BB604_15 Depth=1
	ds_write_b32 v37, v5
.LBB604_19:                             ;   in Loop: Header=BB604_15 Depth=1
	s_or_b32 exec_lo, exec_lo, s8
	ds_bpermute_b32 v6, v32, v41
	s_waitcnt lgkmcnt(0)
	s_waitcnt_vscnt null, 0x0
	s_barrier
	buffer_gl0_inv
	v_add_f32_e32 v6, v41, v6
	ds_bpermute_b32 v7, v33, v6
	s_waitcnt lgkmcnt(0)
	v_add_f32_e32 v6, v6, v7
	ds_bpermute_b32 v7, v34, v6
	s_waitcnt lgkmcnt(0)
	;; [unrolled: 3-line block ×3, first 2 shown]
	v_add_f32_e32 v6, v6, v7
	ds_bpermute_b32 v7, v36, v6
	s_and_saveexec_b32 s8, s5
	s_cbranch_execz .LBB604_21
; %bb.20:                               ;   in Loop: Header=BB604_15 Depth=1
	s_waitcnt lgkmcnt(0)
	v_add_f32_e32 v6, v6, v7
	ds_write_b32 v38, v6
.LBB604_21:                             ;   in Loop: Header=BB604_15 Depth=1
	s_or_b32 exec_lo, exec_lo, s8
	v_mov_b32_e32 v6, 0
	s_waitcnt lgkmcnt(0)
	s_barrier
	buffer_gl0_inv
	s_and_saveexec_b32 s8, s1
	s_cbranch_execnz .LBB604_50
; %bb.22:                               ;   in Loop: Header=BB604_15 Depth=1
	s_or_b32 exec_lo, exec_lo, s8
	s_and_saveexec_b32 s8, s0
	s_cbranch_execnz .LBB604_51
.LBB604_23:                             ;   in Loop: Header=BB604_15 Depth=1
	s_or_b32 exec_lo, exec_lo, s8
	s_and_saveexec_b32 s8, s0
.LBB604_24:                             ;   in Loop: Header=BB604_15 Depth=1
	ds_write_b32 v37, v5
.LBB604_25:                             ;   in Loop: Header=BB604_15 Depth=1
	s_or_b32 exec_lo, exec_lo, s8
	ds_bpermute_b32 v7, v32, v40
	s_waitcnt lgkmcnt(0)
	s_barrier
	buffer_gl0_inv
	v_add_f32_e32 v7, v40, v7
	ds_bpermute_b32 v40, v33, v7
	s_waitcnt lgkmcnt(0)
	v_add_f32_e32 v7, v7, v40
	ds_bpermute_b32 v40, v34, v7
	s_waitcnt lgkmcnt(0)
	;; [unrolled: 3-line block ×3, first 2 shown]
	v_add_f32_e32 v7, v7, v40
	ds_bpermute_b32 v40, v36, v7
	s_and_saveexec_b32 s8, s5
	s_cbranch_execz .LBB604_27
; %bb.26:                               ;   in Loop: Header=BB604_15 Depth=1
	s_waitcnt lgkmcnt(0)
	v_add_f32_e32 v7, v7, v40
	ds_write_b32 v38, v7
.LBB604_27:                             ;   in Loop: Header=BB604_15 Depth=1
	s_or_b32 exec_lo, exec_lo, s8
	v_mov_b32_e32 v7, 0
	s_waitcnt lgkmcnt(0)
	s_barrier
	buffer_gl0_inv
	s_and_saveexec_b32 s8, s1
	s_cbranch_execnz .LBB604_52
; %bb.28:                               ;   in Loop: Header=BB604_15 Depth=1
	s_or_b32 exec_lo, exec_lo, s8
	s_and_saveexec_b32 s8, s0
	s_cbranch_execnz .LBB604_53
.LBB604_29:                             ;   in Loop: Header=BB604_15 Depth=1
	s_or_b32 exec_lo, exec_lo, s8
	s_and_saveexec_b32 s8, s0
.LBB604_30:                             ;   in Loop: Header=BB604_15 Depth=1
	ds_write_b32 v37, v5
.LBB604_31:                             ;   in Loop: Header=BB604_15 Depth=1
	s_or_b32 exec_lo, exec_lo, s8
	ds_bpermute_b32 v40, v32, v39
	s_waitcnt lgkmcnt(0)
	s_barrier
	buffer_gl0_inv
	v_add_f32_e32 v39, v39, v40
	ds_bpermute_b32 v40, v33, v39
	s_waitcnt lgkmcnt(0)
	v_add_f32_e32 v39, v39, v40
	ds_bpermute_b32 v40, v34, v39
	s_waitcnt lgkmcnt(0)
	;; [unrolled: 3-line block ×3, first 2 shown]
	v_add_f32_e32 v39, v39, v40
	ds_bpermute_b32 v40, v36, v39
	s_and_saveexec_b32 s8, s5
	s_cbranch_execz .LBB604_33
; %bb.32:                               ;   in Loop: Header=BB604_15 Depth=1
	s_waitcnt lgkmcnt(0)
	v_add_f32_e32 v39, v39, v40
	ds_write_b32 v38, v39
.LBB604_33:                             ;   in Loop: Header=BB604_15 Depth=1
	s_or_b32 exec_lo, exec_lo, s8
	v_mov_b32_e32 v39, 0
	s_waitcnt lgkmcnt(0)
	s_barrier
	buffer_gl0_inv
	s_and_saveexec_b32 s8, s1
	s_cbranch_execnz .LBB604_54
; %bb.34:                               ;   in Loop: Header=BB604_15 Depth=1
	s_or_b32 exec_lo, exec_lo, s8
	s_and_saveexec_b32 s8, s0
	s_cbranch_execnz .LBB604_55
.LBB604_35:                             ;   in Loop: Header=BB604_15 Depth=1
	s_or_b32 exec_lo, exec_lo, s8
	s_and_saveexec_b32 s8, s0
.LBB604_36:                             ;   in Loop: Header=BB604_15 Depth=1
	ds_write_b32 v37, v5
.LBB604_37:                             ;   in Loop: Header=BB604_15 Depth=1
	s_or_b32 exec_lo, exec_lo, s8
	ds_bpermute_b32 v40, v32, v8
	s_waitcnt lgkmcnt(0)
	s_barrier
	buffer_gl0_inv
	v_add_f32_e32 v8, v8, v40
	ds_bpermute_b32 v40, v33, v8
	s_waitcnt lgkmcnt(0)
	v_add_f32_e32 v8, v8, v40
	ds_bpermute_b32 v40, v34, v8
	s_waitcnt lgkmcnt(0)
	;; [unrolled: 3-line block ×3, first 2 shown]
	v_add_f32_e32 v8, v8, v40
	ds_bpermute_b32 v40, v36, v8
	s_and_saveexec_b32 s8, s5
	s_cbranch_execz .LBB604_39
; %bb.38:                               ;   in Loop: Header=BB604_15 Depth=1
	s_waitcnt lgkmcnt(0)
	v_add_f32_e32 v8, v8, v40
	ds_write_b32 v38, v8
.LBB604_39:                             ;   in Loop: Header=BB604_15 Depth=1
	s_or_b32 exec_lo, exec_lo, s8
	v_mov_b32_e32 v8, 0
	s_waitcnt lgkmcnt(0)
	s_barrier
	buffer_gl0_inv
	s_and_saveexec_b32 s8, s1
	s_cbranch_execnz .LBB604_56
; %bb.40:                               ;   in Loop: Header=BB604_15 Depth=1
	s_or_b32 exec_lo, exec_lo, s8
	s_and_saveexec_b32 s8, s0
	s_cbranch_execnz .LBB604_57
.LBB604_41:                             ;   in Loop: Header=BB604_15 Depth=1
	s_or_b32 exec_lo, exec_lo, s8
	s_and_saveexec_b32 s8, s2
	s_cbranch_execz .LBB604_14
	s_branch .LBB604_58
.LBB604_42:                             ;   in Loop: Header=BB604_15 Depth=1
	s_mul_i32 s9, s7, s17
	s_mul_hi_u32 s35, s7, s16
	s_mul_i32 s34, s7, s16
	s_add_i32 s35, s35, s9
	s_or_b32 s9, s7, 1
	s_lshl_b64 s[34:35], s[34:35], 1
	v_add_co_u32 v1, vcc_lo, v9, s34
	v_add_co_ci_u32_e64 v2, null, s35, v10, vcc_lo
	s_mul_i32 s34, s9, s17
	s_mul_hi_u32 s35, s9, s16
	s_add_i32 s35, s35, s34
	s_mul_i32 s34, s9, s16
	s_or_b32 s9, s7, 2
	s_lshl_b64 s[34:35], s[34:35], 1
	flat_load_dwordx2 v[6:7], v[1:2]
	s_mul_i32 s42, s9, s17
	s_mul_hi_u32 s43, s9, s16
	v_add_co_u32 v1, vcc_lo, v9, s34
	v_add_co_ci_u32_e64 v2, null, s35, v10, vcc_lo
	s_add_i32 s35, s43, s42
	s_or_b32 s42, s7, 3
	s_mul_i32 s34, s9, s16
	s_mul_i32 s9, s42, s17
	s_mul_hi_u32 s43, s42, s16
	s_lshl_b64 s[34:35], s[34:35], 1
	s_add_i32 s43, s43, s9
	s_mul_i32 s42, s42, s16
	v_add_co_u32 v3, vcc_lo, v9, s34
	v_add_co_ci_u32_e64 v4, null, s35, v10, vcc_lo
	s_lshl_b64 s[34:35], s[42:43], 1
	s_waitcnt lgkmcnt(1)
	s_clause 0x3
	flat_load_ushort v8, v[14:15]
	flat_load_ushort v47, v[16:17]
	;; [unrolled: 1-line block ×4, first 2 shown]
	v_add_co_u32 v39, vcc_lo, v9, s34
	v_add_co_ci_u32_e64 v40, null, s35, v10, vcc_lo
	s_clause 0x2
	flat_load_dwordx2 v[41:42], v[1:2]
	flat_load_dwordx2 v[43:44], v[3:4]
	;; [unrolled: 1-line block ×3, first 2 shown]
	s_waitcnt vmcnt(6) lgkmcnt(6)
	v_lshlrev_b32_e32 v1, 16, v8
	v_lshlrev_b32_e32 v8, 16, v6
	s_waitcnt vmcnt(4) lgkmcnt(4)
	v_lshlrev_b32_e32 v3, 16, v48
	v_lshlrev_b32_e32 v2, 16, v47
	s_waitcnt vmcnt(3) lgkmcnt(3)
	v_lshlrev_b32_e32 v4, 16, v49
	v_and_b32_e32 v6, 0xffff0000, v6
	v_lshlrev_b32_e32 v47, 16, v7
	s_waitcnt vmcnt(2) lgkmcnt(2)
	v_lshlrev_b32_e32 v39, 16, v41
	s_waitcnt vmcnt(1) lgkmcnt(1)
	;; [unrolled: 2-line block ×3, first 2 shown]
	v_and_b32_e32 v50, 0xffff0000, v45
	v_lshlrev_b32_e32 v45, 16, v45
	v_and_b32_e32 v49, 0xffff0000, v41
	v_and_b32_e32 v43, 0xffff0000, v43
	v_fma_f32 v41, v1, v8, 0
	v_fma_f32 v40, v1, v39, 0
	;; [unrolled: 1-line block ×4, first 2 shown]
	v_lshlrev_b32_e32 v51, 16, v42
	v_lshlrev_b32_e32 v52, 16, v44
	;; [unrolled: 1-line block ×3, first 2 shown]
	v_fmac_f32_e32 v41, v2, v6
	v_fmac_f32_e32 v40, v2, v49
	;; [unrolled: 1-line block ×4, first 2 shown]
	v_and_b32_e32 v7, 0xffff0000, v7
	v_and_b32_e32 v42, 0xffff0000, v42
	;; [unrolled: 1-line block ×4, first 2 shown]
	v_fmac_f32_e32 v41, v3, v47
	v_fmac_f32_e32 v40, v3, v51
	v_fmac_f32_e32 v39, v3, v52
	v_fmac_f32_e32 v8, v45, v3
	v_fmac_f32_e32 v41, v4, v7
	v_fmac_f32_e32 v40, v4, v42
	v_fmac_f32_e32 v39, v4, v44
	v_fmac_f32_e32 v8, v4, v6
	s_andn2_saveexec_b32 s42, s8
	s_cbranch_execz .LBB604_17
.LBB604_43:                             ;   in Loop: Header=BB604_15 Depth=1
	s_waitcnt lgkmcnt(0)
	v_mov_b32_e32 v8, 0
	v_mov_b32_e32 v39, 0
	;; [unrolled: 1-line block ×4, first 2 shown]
	s_and_saveexec_b32 s43, s4
	s_cbranch_execz .LBB604_60
; %bb.44:                               ;   in Loop: Header=BB604_15 Depth=1
	s_andn2_b32 vcc_lo, exec_lo, s37
	s_cbranch_vccnz .LBB604_47
; %bb.45:                               ;   in Loop: Header=BB604_15 Depth=1
	v_mov_b32_e32 v6, v14
	v_mov_b32_e32 v7, v15
	s_mov_b64 s[34:35], 0
	.p2align	6
.LBB604_46:                             ;   Parent Loop BB604_15 Depth=1
                                        ; =>  This Inner Loop Header: Depth=2
	flat_load_ushort v8, v[6:7]
	s_cmp_eq_u32 s34, 3
	v_add_co_u32 v6, vcc_lo, v6, s24
	v_add_co_ci_u32_e64 v7, null, s25, v7, vcc_lo
	s_cselect_b32 vcc_lo, -1, 0
	s_cmp_eq_u32 s34, 2
	s_cselect_b32 s8, -1, 0
	s_cmp_eq_u32 s34, 1
	s_cselect_b32 s9, -1, 0
	s_cmp_eq_u32 s34, 0
	s_waitcnt vmcnt(0) lgkmcnt(0)
	v_lshlrev_b32_e32 v8, 16, v8
	v_cndmask_b32_e32 v4, v4, v8, vcc_lo
	s_cselect_b32 vcc_lo, -1, 0
	v_cndmask_b32_e64 v3, v3, v8, s8
	v_cndmask_b32_e64 v2, v2, v8, s9
	v_cndmask_b32_e32 v1, v1, v8, vcc_lo
	s_add_u32 s34, s34, 1
	s_addc_u32 s35, s35, 0
	s_cmp_eq_u32 s11, s34
	s_cbranch_scc0 .LBB604_46
.LBB604_47:                             ;   in Loop: Header=BB604_15 Depth=1
	s_andn2_b32 vcc_lo, exec_lo, s37
	s_cbranch_vccnz .LBB604_59
; %bb.48:                               ;   in Loop: Header=BB604_15 Depth=1
	v_mov_b32_e32 v6, v22
	v_mov_b32_e32 v41, 0
	;; [unrolled: 1-line block ×6, first 2 shown]
	s_mov_b64 s[34:35], 0
	s_inst_prefetch 0x1
	.p2align	6
.LBB604_49:                             ;   Parent Loop BB604_15 Depth=1
                                        ; =>  This Inner Loop Header: Depth=2
	v_add_co_u32 v42, vcc_lo, v6, s30
	v_add_co_ci_u32_e64 v43, null, s31, v7, vcc_lo
	v_add_co_u32 v44, vcc_lo, v6, s28
	v_add_co_ci_u32_e64 v45, null, s29, v7, vcc_lo
	v_add_co_u32 v46, vcc_lo, v6, s41
	v_add_co_ci_u32_e64 v47, null, s40, v7, vcc_lo
	s_clause 0x3
	flat_load_ushort v48, v[6:7]
	flat_load_ushort v42, v[42:43]
	;; [unrolled: 1-line block ×4, first 2 shown]
	s_cmp_eq_u32 s34, 1
	v_add_co_u32 v6, s8, v6, 2
	s_cselect_b32 vcc_lo, -1, 0
	s_cmp_eq_u32 s34, 2
	v_cndmask_b32_e32 v45, v1, v2, vcc_lo
	s_cselect_b32 vcc_lo, -1, 0
	s_cmp_eq_u32 s34, 3
	v_add_co_ci_u32_e64 v7, null, 0, v7, s8
	v_cndmask_b32_e32 v45, v45, v3, vcc_lo
	s_cselect_b32 vcc_lo, -1, 0
	s_add_u32 s34, s34, 1
	s_addc_u32 s35, s35, 0
	s_cmp_lg_u32 s11, s34
	v_cndmask_b32_e32 v45, v45, v4, vcc_lo
	s_waitcnt vmcnt(3) lgkmcnt(3)
	v_lshlrev_b32_e32 v46, 16, v48
	s_waitcnt vmcnt(2) lgkmcnt(2)
	v_lshlrev_b32_e32 v42, 16, v42
	;; [unrolled: 2-line block ×4, first 2 shown]
	v_fmac_f32_e32 v41, v45, v46
	v_fmac_f32_e32 v40, v45, v42
	;; [unrolled: 1-line block ×4, first 2 shown]
	s_cbranch_scc1 .LBB604_49
	s_branch .LBB604_60
.LBB604_50:                             ;   in Loop: Header=BB604_15 Depth=1
	ds_read_b32 v6, v37
	s_or_b32 exec_lo, exec_lo, s8
	s_and_saveexec_b32 s8, s0
	s_cbranch_execz .LBB604_23
.LBB604_51:                             ;   in Loop: Header=BB604_15 Depth=1
	s_waitcnt lgkmcnt(0)
	ds_bpermute_b32 v7, v34, v6
	s_waitcnt lgkmcnt(0)
	v_add_f32_e32 v6, v6, v7
	ds_bpermute_b32 v7, v35, v6
	s_waitcnt lgkmcnt(0)
	v_add_f32_e32 v6, v6, v7
	ds_bpermute_b32 v7, v36, v6
	s_waitcnt lgkmcnt(0)
	v_add_f32_e32 v6, v6, v7
	s_or_b32 exec_lo, exec_lo, s8
	s_and_saveexec_b32 s8, s0
	s_cbranch_execnz .LBB604_24
	s_branch .LBB604_25
.LBB604_52:                             ;   in Loop: Header=BB604_15 Depth=1
	ds_read_b32 v7, v37
	s_or_b32 exec_lo, exec_lo, s8
	s_and_saveexec_b32 s8, s0
	s_cbranch_execz .LBB604_29
.LBB604_53:                             ;   in Loop: Header=BB604_15 Depth=1
	s_waitcnt lgkmcnt(0)
	ds_bpermute_b32 v40, v34, v7
	s_waitcnt lgkmcnt(0)
	v_add_f32_e32 v7, v7, v40
	ds_bpermute_b32 v40, v35, v7
	s_waitcnt lgkmcnt(0)
	v_add_f32_e32 v7, v7, v40
	;; [unrolled: 3-line block ×3, first 2 shown]
	s_or_b32 exec_lo, exec_lo, s8
	s_and_saveexec_b32 s8, s0
	s_cbranch_execnz .LBB604_30
	s_branch .LBB604_31
.LBB604_54:                             ;   in Loop: Header=BB604_15 Depth=1
	ds_read_b32 v39, v37
	s_or_b32 exec_lo, exec_lo, s8
	s_and_saveexec_b32 s8, s0
	s_cbranch_execz .LBB604_35
.LBB604_55:                             ;   in Loop: Header=BB604_15 Depth=1
	s_waitcnt lgkmcnt(0)
	ds_bpermute_b32 v40, v34, v39
	s_waitcnt lgkmcnt(0)
	v_add_f32_e32 v39, v39, v40
	ds_bpermute_b32 v40, v35, v39
	s_waitcnt lgkmcnt(0)
	v_add_f32_e32 v39, v39, v40
	;; [unrolled: 3-line block ×3, first 2 shown]
	s_or_b32 exec_lo, exec_lo, s8
	s_and_saveexec_b32 s8, s0
	s_cbranch_execnz .LBB604_36
	s_branch .LBB604_37
.LBB604_56:                             ;   in Loop: Header=BB604_15 Depth=1
	ds_read_b32 v8, v37
	s_or_b32 exec_lo, exec_lo, s8
	s_and_saveexec_b32 s8, s0
	s_cbranch_execz .LBB604_41
.LBB604_57:                             ;   in Loop: Header=BB604_15 Depth=1
	s_waitcnt lgkmcnt(0)
	ds_bpermute_b32 v40, v34, v8
	s_waitcnt lgkmcnt(0)
	v_add_f32_e32 v8, v8, v40
	ds_bpermute_b32 v40, v35, v8
	s_waitcnt lgkmcnt(0)
	v_add_f32_e32 v8, v8, v40
	;; [unrolled: 3-line block ×3, first 2 shown]
	s_or_b32 exec_lo, exec_lo, s8
	s_and_saveexec_b32 s8, s2
	s_cbranch_execz .LBB604_14
.LBB604_58:                             ;   in Loop: Header=BB604_15 Depth=1
	s_mul_hi_u32 s35, s7, s10
	s_mul_i32 s34, s7, s10
	v_mul_f32_e32 v6, s14, v6
	s_lshl_b64 s[34:35], s[34:35], 2
	v_mul_f32_e32 v7, s14, v7
	s_add_u32 s34, s38, s34
	s_addc_u32 s35, s39, s35
	s_or_b32 s9, s7, 1
	global_store_dword v5, v6, s[34:35]
	s_mul_hi_u32 s43, s9, s10
	s_mul_i32 s42, s9, s10
	v_mul_f32_e32 v6, s14, v39
	s_lshl_b64 s[42:43], s[42:43], 2
	s_waitcnt lgkmcnt(0)
	v_mul_f32_e32 v8, s14, v8
	s_add_u32 s42, s38, s42
	s_addc_u32 s43, s39, s43
	s_or_b32 s9, s7, 2
	global_store_dword v5, v7, s[42:43]
	s_mul_hi_u32 s45, s9, s10
	s_mul_i32 s44, s9, s10
	s_lshl_b64 s[44:45], s[44:45], 2
	s_add_u32 s34, s38, s44
	s_addc_u32 s35, s39, s45
	s_or_b32 s9, s7, 3
	s_mul_hi_u32 s45, s9, s10
	s_mul_i32 s44, s9, s10
	s_lshl_b64 s[44:45], s[44:45], 2
	s_add_u32 s42, s38, s44
	s_addc_u32 s43, s39, s45
	global_store_dword v5, v6, s[34:35]
	global_store_dword v5, v8, s[42:43]
	s_branch .LBB604_14
.LBB604_59:                             ;   in Loop: Header=BB604_15 Depth=1
	v_mov_b32_e32 v8, 0
	v_mov_b32_e32 v39, 0
	;; [unrolled: 1-line block ×4, first 2 shown]
.LBB604_60:                             ;   in Loop: Header=BB604_15 Depth=1
	s_inst_prefetch 0x2
	s_or_b32 exec_lo, exec_lo, s43
	s_or_b32 exec_lo, exec_lo, s42
	s_and_saveexec_b32 s8, s0
	s_cbranch_execnz .LBB604_18
	s_branch .LBB604_19
.LBB604_61:
	v_mov_b32_e32 v1, 0
	s_mov_b32 s7, 0
	v_mov_b32_e32 v2, v1
	v_mov_b32_e32 v3, v1
	;; [unrolled: 1-line block ×3, first 2 shown]
.LBB604_62:
	s_cmp_ge_i32 s7, s13
	s_cbranch_scc1 .LBB604_86
; %bb.63:
	v_cmp_gt_u32_e32 vcc_lo, 24, v29
	v_lshl_or_b32 v20, v29, 2, 64
	v_mad_i64_i32 v[15:16], null, s22, v24, 0
	s_cmp_gt_i32 s11, 0
	v_cndmask_b32_e64 v5, 0, 8, vcc_lo
	v_cmp_gt_u32_e32 vcc_lo, 28, v29
	s_mov_b32 s9, 0
	s_mov_b32 s8, s6
	v_cmp_ge_i32_e64 s0, s12, v30
	v_add_lshl_u32 v21, v5, v29, 2
	v_cndmask_b32_e64 v6, 0, 4, vcc_lo
	v_cmp_gt_u32_e32 vcc_lo, 30, v29
	v_lshlrev_b64 v[15:16], 1, v[15:16]
	v_cmp_ge_i32_e64 s1, s12, v31
	s_cselect_b32 s12, -1, 0
	v_add_lshl_u32 v22, v6, v29, 2
	v_cndmask_b32_e64 v7, 0, 2, vcc_lo
	v_cmp_ne_u32_e32 vcc_lo, 31, v29
	v_mad_i64_i32 v[5:6], null, s22, v13, 0
	v_mad_i64_i32 v[13:14], null, s22, v25, 0
	s_waitcnt lgkmcnt(0)
	v_add_co_ci_u32_e64 v8, null, 0, v29, vcc_lo
	v_add_lshl_u32 v23, v7, v29, 2
	s_lshl_b64 s[24:25], s[8:9], 2
	v_lshlrev_b64 v[5:6], 1, v[5:6]
	v_lshlrev_b32_e32 v29, 2, v8
	v_mad_i64_i32 v[7:8], null, s22, v26, 0
	v_lshlrev_b64 v[13:14], 1, v[13:14]
	s_mul_i32 s6, s17, s7
	v_add_co_u32 v5, vcc_lo, s20, v5
	v_add_co_ci_u32_e64 v6, null, s21, v6, vcc_lo
	v_lshlrev_b64 v[7:8], 1, v[7:8]
	s_mul_hi_u32 s8, s16, s7
	s_add_u32 s15, s15, s24
	s_addc_u32 s24, s33, s25
	s_add_i32 s27, s8, s6
	s_mul_i32 s26, s16, s7
	v_add_co_u32 v7, vcc_lo, s20, v7
	v_add_co_ci_u32_e64 v8, null, s21, v8, vcc_lo
	v_add_co_u32 v13, vcc_lo, s20, v13
	v_add_co_ci_u32_e64 v14, null, s21, v14, vcc_lo
	v_add_co_u32 v15, vcc_lo, s20, v15
	s_lshl_b64 s[26:27], s[26:27], 1
	v_add_co_ci_u32_e64 v16, null, s21, v16, vcc_lo
	s_lshl_b64 s[20:21], s[22:23], 1
	s_add_u32 s6, s18, s26
	s_addc_u32 s8, s19, s27
	v_add_co_u32 v11, vcc_lo, s6, v11
	v_cmp_gt_u32_e64 s2, 32, v0
	v_lshlrev_b32_e32 v19, 2, v27
	v_cmp_eq_u32_e64 s3, 0, v27
	v_and_b32_e32 v27, 28, v28
	v_cmp_gt_u32_e64 s4, 8, v0
	v_cmp_eq_u32_e64 s5, 0, v0
	v_add_co_ci_u32_e64 v12, null, s8, v12, vcc_lo
	v_mov_b32_e32 v0, 0
	s_lshl_b64 s[18:19], s[16:17], 1
	s_branch .LBB604_65
.LBB604_64:                             ;   in Loop: Header=BB604_65 Depth=1
	s_or_b32 exec_lo, exec_lo, s6
	v_add_co_u32 v11, vcc_lo, v11, s18
	v_add_co_ci_u32_e64 v12, null, s19, v12, vcc_lo
	s_add_i32 s7, s7, 1
	s_cmp_ge_i32 s7, s13
	s_cbranch_scc1 .LBB604_86
.LBB604_65:                             ; =>This Loop Header: Depth=1
                                        ;     Child Loop BB604_78 Depth 2
                                        ;     Child Loop BB604_81 Depth 2
	v_mov_b32_e32 v24, s9
	s_and_saveexec_b32 s6, s0
	s_xor_b32 s6, exec_lo, s6
	s_cbranch_execnz .LBB604_74
; %bb.66:                               ;   in Loop: Header=BB604_65 Depth=1
	s_andn2_saveexec_b32 s25, s6
	s_cbranch_execnz .LBB604_75
.LBB604_67:                             ;   in Loop: Header=BB604_65 Depth=1
	s_or_b32 exec_lo, exec_lo, s25
	s_and_saveexec_b32 s6, s2
.LBB604_68:                             ;   in Loop: Header=BB604_65 Depth=1
	ds_write_b32 v19, v0
.LBB604_69:                             ;   in Loop: Header=BB604_65 Depth=1
	s_or_b32 exec_lo, exec_lo, s6
	s_waitcnt lgkmcnt(0)
	ds_bpermute_b32 v17, v20, v24
	s_waitcnt lgkmcnt(0)
	s_waitcnt_vscnt null, 0x0
	s_barrier
	buffer_gl0_inv
	v_add_f32_e32 v17, v24, v17
	ds_bpermute_b32 v18, v21, v17
	s_waitcnt lgkmcnt(0)
	v_add_f32_e32 v17, v17, v18
	ds_bpermute_b32 v18, v22, v17
	s_waitcnt lgkmcnt(0)
	;; [unrolled: 3-line block ×3, first 2 shown]
	v_add_f32_e32 v17, v17, v18
	ds_bpermute_b32 v18, v29, v17
	s_and_saveexec_b32 s6, s3
	s_cbranch_execz .LBB604_71
; %bb.70:                               ;   in Loop: Header=BB604_65 Depth=1
	s_waitcnt lgkmcnt(0)
	v_add_f32_e32 v17, v17, v18
	ds_write_b32 v27, v17
.LBB604_71:                             ;   in Loop: Header=BB604_65 Depth=1
	s_or_b32 exec_lo, exec_lo, s6
	v_mov_b32_e32 v17, 0
	s_waitcnt lgkmcnt(0)
	s_barrier
	buffer_gl0_inv
	s_and_saveexec_b32 s6, s4
	s_cbranch_execnz .LBB604_83
; %bb.72:                               ;   in Loop: Header=BB604_65 Depth=1
	s_or_b32 exec_lo, exec_lo, s6
	s_and_saveexec_b32 s6, s2
	s_cbranch_execnz .LBB604_84
.LBB604_73:                             ;   in Loop: Header=BB604_65 Depth=1
	s_or_b32 exec_lo, exec_lo, s6
	s_and_saveexec_b32 s6, s5
	s_cbranch_execz .LBB604_64
	s_branch .LBB604_85
.LBB604_74:                             ;   in Loop: Header=BB604_65 Depth=1
	s_mul_i32 s8, s7, s17
	s_mul_hi_u32 s23, s7, s16
	s_mul_i32 s22, s7, s16
	s_add_i32 s23, s23, s8
	s_lshl_b64 s[22:23], s[22:23], 1
	v_add_co_u32 v1, vcc_lo, v9, s22
	v_add_co_ci_u32_e64 v2, null, s23, v10, vcc_lo
	flat_load_ushort v3, v[5:6]
	s_waitcnt lgkmcnt(1)
	flat_load_dwordx2 v[17:18], v[1:2]
	s_clause 0x2
	flat_load_ushort v2, v[7:8]
	flat_load_ushort v4, v[13:14]
	;; [unrolled: 1-line block ×3, first 2 shown]
	s_waitcnt vmcnt(4) lgkmcnt(4)
	v_lshlrev_b32_e32 v1, 16, v3
	s_waitcnt vmcnt(3) lgkmcnt(3)
	v_lshlrev_b32_e32 v3, 16, v17
	;; [unrolled: 2-line block ×3, first 2 shown]
	v_and_b32_e32 v17, 0xffff0000, v17
	v_fma_f32 v24, v1, v3, 0
	s_waitcnt vmcnt(1) lgkmcnt(1)
	v_lshlrev_b32_e32 v3, 16, v4
	s_waitcnt vmcnt(0) lgkmcnt(0)
	v_lshlrev_b32_e32 v4, 16, v25
	v_fmac_f32_e32 v24, v2, v17
	v_lshlrev_b32_e32 v17, 16, v18
	v_and_b32_e32 v18, 0xffff0000, v18
	v_fmac_f32_e32 v24, v3, v17
	v_fmac_f32_e32 v24, v4, v18
	s_andn2_saveexec_b32 s25, s6
	s_cbranch_execz .LBB604_67
.LBB604_75:                             ;   in Loop: Header=BB604_65 Depth=1
	s_and_saveexec_b32 s26, s1
	s_cbranch_execz .LBB604_82
; %bb.76:                               ;   in Loop: Header=BB604_65 Depth=1
	s_andn2_b32 vcc_lo, exec_lo, s12
	s_cbranch_vccnz .LBB604_79
; %bb.77:                               ;   in Loop: Header=BB604_65 Depth=1
	s_waitcnt lgkmcnt(0)
	v_mov_b32_e32 v18, v6
	v_mov_b32_e32 v17, v5
	s_mov_b64 s[22:23], 0
	.p2align	6
.LBB604_78:                             ;   Parent Loop BB604_65 Depth=1
                                        ; =>  This Inner Loop Header: Depth=2
	flat_load_ushort v25, v[17:18]
	s_cmp_eq_u32 s22, 3
	v_add_co_u32 v17, vcc_lo, v17, s20
	v_add_co_ci_u32_e64 v18, null, s21, v18, vcc_lo
	s_cselect_b32 vcc_lo, -1, 0
	s_cmp_eq_u32 s22, 2
	s_cselect_b32 s6, -1, 0
	s_cmp_eq_u32 s22, 1
	s_cselect_b32 s8, -1, 0
	s_cmp_eq_u32 s22, 0
	s_waitcnt vmcnt(0) lgkmcnt(0)
	v_lshlrev_b32_e32 v25, 16, v25
	v_cndmask_b32_e32 v4, v4, v25, vcc_lo
	s_cselect_b32 vcc_lo, -1, 0
	v_cndmask_b32_e64 v3, v3, v25, s6
	v_cndmask_b32_e64 v2, v2, v25, s8
	v_cndmask_b32_e32 v1, v1, v25, vcc_lo
	s_add_u32 s22, s22, 1
	s_addc_u32 s23, s23, 0
	s_cmp_eq_u32 s11, s22
	s_cbranch_scc0 .LBB604_78
.LBB604_79:                             ;   in Loop: Header=BB604_65 Depth=1
	s_andn2_b32 vcc_lo, exec_lo, s12
	s_cbranch_vccnz .LBB604_82
; %bb.80:                               ;   in Loop: Header=BB604_65 Depth=1
	s_waitcnt lgkmcnt(0)
	v_mov_b32_e32 v18, v12
	v_mov_b32_e32 v17, v11
	s_mov_b64 s[22:23], 0
	.p2align	6
.LBB604_81:                             ;   Parent Loop BB604_65 Depth=1
                                        ; =>  This Inner Loop Header: Depth=2
	flat_load_ushort v25, v[17:18]
	s_cmp_eq_u32 s22, 1
	s_cselect_b32 vcc_lo, -1, 0
	s_cmp_eq_u32 s22, 2
	v_cndmask_b32_e32 v26, v1, v2, vcc_lo
	s_cselect_b32 vcc_lo, -1, 0
	s_cmp_eq_u32 s22, 3
	v_cndmask_b32_e32 v26, v26, v3, vcc_lo
	s_cselect_b32 vcc_lo, -1, 0
	s_add_u32 s22, s22, 1
	s_addc_u32 s23, s23, 0
	s_cmp_lg_u32 s11, s22
	v_cndmask_b32_e32 v26, v26, v4, vcc_lo
	v_add_co_u32 v17, vcc_lo, v17, 2
	v_add_co_ci_u32_e64 v18, null, 0, v18, vcc_lo
	s_waitcnt vmcnt(0) lgkmcnt(0)
	v_lshlrev_b32_e32 v25, 16, v25
	v_fmac_f32_e32 v24, v26, v25
	s_cbranch_scc1 .LBB604_81
.LBB604_82:                             ;   in Loop: Header=BB604_65 Depth=1
	s_or_b32 exec_lo, exec_lo, s26
	s_or_b32 exec_lo, exec_lo, s25
	s_and_saveexec_b32 s6, s2
	s_cbranch_execnz .LBB604_68
	s_branch .LBB604_69
.LBB604_83:                             ;   in Loop: Header=BB604_65 Depth=1
	ds_read_b32 v17, v19
	s_or_b32 exec_lo, exec_lo, s6
	s_and_saveexec_b32 s6, s2
	s_cbranch_execz .LBB604_73
.LBB604_84:                             ;   in Loop: Header=BB604_65 Depth=1
	s_waitcnt lgkmcnt(0)
	ds_bpermute_b32 v18, v22, v17
	s_waitcnt lgkmcnt(0)
	v_add_f32_e32 v17, v17, v18
	ds_bpermute_b32 v18, v23, v17
	s_waitcnt lgkmcnt(0)
	v_add_f32_e32 v17, v17, v18
	;; [unrolled: 3-line block ×3, first 2 shown]
	s_or_b32 exec_lo, exec_lo, s6
	s_and_saveexec_b32 s6, s5
	s_cbranch_execz .LBB604_64
.LBB604_85:                             ;   in Loop: Header=BB604_65 Depth=1
	s_mul_hi_u32 s23, s7, s10
	s_mul_i32 s22, s7, s10
	s_waitcnt lgkmcnt(0)
	v_mul_f32_e32 v17, s14, v17
	s_lshl_b64 s[22:23], s[22:23], 2
	s_add_u32 s22, s15, s22
	s_addc_u32 s23, s24, s23
	global_store_dword v0, v17, s[22:23]
	s_branch .LBB604_64
.LBB604_86:
	s_endpgm
	.section	.rodata,"a",@progbits
	.p2align	6, 0x0
	.amdhsa_kernel _ZL23rocblas_gemvt_sn_kernelILb0ELi256ELi4ElPK16rocblas_bfloat16ffEviiT4_lPKT3_lilS6_lilPT5_i
		.amdhsa_group_segment_fixed_size 128
		.amdhsa_private_segment_fixed_size 0
		.amdhsa_kernarg_size 360
		.amdhsa_user_sgpr_count 6
		.amdhsa_user_sgpr_private_segment_buffer 1
		.amdhsa_user_sgpr_dispatch_ptr 0
		.amdhsa_user_sgpr_queue_ptr 0
		.amdhsa_user_sgpr_kernarg_segment_ptr 1
		.amdhsa_user_sgpr_dispatch_id 0
		.amdhsa_user_sgpr_flat_scratch_init 0
		.amdhsa_user_sgpr_private_segment_size 0
		.amdhsa_wavefront_size32 1
		.amdhsa_uses_dynamic_stack 0
		.amdhsa_system_sgpr_private_segment_wavefront_offset 0
		.amdhsa_system_sgpr_workgroup_id_x 1
		.amdhsa_system_sgpr_workgroup_id_y 0
		.amdhsa_system_sgpr_workgroup_id_z 1
		.amdhsa_system_sgpr_workgroup_info 0
		.amdhsa_system_vgpr_workitem_id 0
		.amdhsa_next_free_vgpr 53
		.amdhsa_next_free_sgpr 46
		.amdhsa_reserve_vcc 1
		.amdhsa_reserve_flat_scratch 1
		.amdhsa_float_round_mode_32 0
		.amdhsa_float_round_mode_16_64 0
		.amdhsa_float_denorm_mode_32 3
		.amdhsa_float_denorm_mode_16_64 3
		.amdhsa_dx10_clamp 1
		.amdhsa_ieee_mode 1
		.amdhsa_fp16_overflow 0
		.amdhsa_workgroup_processor_mode 1
		.amdhsa_memory_ordered 1
		.amdhsa_forward_progress 1
		.amdhsa_shared_vgpr_count 0
		.amdhsa_exception_fp_ieee_invalid_op 0
		.amdhsa_exception_fp_denorm_src 0
		.amdhsa_exception_fp_ieee_div_zero 0
		.amdhsa_exception_fp_ieee_overflow 0
		.amdhsa_exception_fp_ieee_underflow 0
		.amdhsa_exception_fp_ieee_inexact 0
		.amdhsa_exception_int_div_zero 0
	.end_amdhsa_kernel
	.section	.text._ZL23rocblas_gemvt_sn_kernelILb0ELi256ELi4ElPK16rocblas_bfloat16ffEviiT4_lPKT3_lilS6_lilPT5_i,"axG",@progbits,_ZL23rocblas_gemvt_sn_kernelILb0ELi256ELi4ElPK16rocblas_bfloat16ffEviiT4_lPKT3_lilS6_lilPT5_i,comdat
.Lfunc_end604:
	.size	_ZL23rocblas_gemvt_sn_kernelILb0ELi256ELi4ElPK16rocblas_bfloat16ffEviiT4_lPKT3_lilS6_lilPT5_i, .Lfunc_end604-_ZL23rocblas_gemvt_sn_kernelILb0ELi256ELi4ElPK16rocblas_bfloat16ffEviiT4_lPKT3_lilS6_lilPT5_i
                                        ; -- End function
	.set _ZL23rocblas_gemvt_sn_kernelILb0ELi256ELi4ElPK16rocblas_bfloat16ffEviiT4_lPKT3_lilS6_lilPT5_i.num_vgpr, 53
	.set _ZL23rocblas_gemvt_sn_kernelILb0ELi256ELi4ElPK16rocblas_bfloat16ffEviiT4_lPKT3_lilS6_lilPT5_i.num_agpr, 0
	.set _ZL23rocblas_gemvt_sn_kernelILb0ELi256ELi4ElPK16rocblas_bfloat16ffEviiT4_lPKT3_lilS6_lilPT5_i.numbered_sgpr, 46
	.set _ZL23rocblas_gemvt_sn_kernelILb0ELi256ELi4ElPK16rocblas_bfloat16ffEviiT4_lPKT3_lilS6_lilPT5_i.num_named_barrier, 0
	.set _ZL23rocblas_gemvt_sn_kernelILb0ELi256ELi4ElPK16rocblas_bfloat16ffEviiT4_lPKT3_lilS6_lilPT5_i.private_seg_size, 0
	.set _ZL23rocblas_gemvt_sn_kernelILb0ELi256ELi4ElPK16rocblas_bfloat16ffEviiT4_lPKT3_lilS6_lilPT5_i.uses_vcc, 1
	.set _ZL23rocblas_gemvt_sn_kernelILb0ELi256ELi4ElPK16rocblas_bfloat16ffEviiT4_lPKT3_lilS6_lilPT5_i.uses_flat_scratch, 1
	.set _ZL23rocblas_gemvt_sn_kernelILb0ELi256ELi4ElPK16rocblas_bfloat16ffEviiT4_lPKT3_lilS6_lilPT5_i.has_dyn_sized_stack, 0
	.set _ZL23rocblas_gemvt_sn_kernelILb0ELi256ELi4ElPK16rocblas_bfloat16ffEviiT4_lPKT3_lilS6_lilPT5_i.has_recursion, 0
	.set _ZL23rocblas_gemvt_sn_kernelILb0ELi256ELi4ElPK16rocblas_bfloat16ffEviiT4_lPKT3_lilS6_lilPT5_i.has_indirect_call, 0
	.section	.AMDGPU.csdata,"",@progbits
; Kernel info:
; codeLenInByte = 4332
; TotalNumSgprs: 48
; NumVgprs: 53
; ScratchSize: 0
; MemoryBound: 0
; FloatMode: 240
; IeeeMode: 1
; LDSByteSize: 128 bytes/workgroup (compile time only)
; SGPRBlocks: 0
; VGPRBlocks: 6
; NumSGPRsForWavesPerEU: 48
; NumVGPRsForWavesPerEU: 53
; Occupancy: 16
; WaveLimiterHint : 0
; COMPUTE_PGM_RSRC2:SCRATCH_EN: 0
; COMPUTE_PGM_RSRC2:USER_SGPR: 6
; COMPUTE_PGM_RSRC2:TRAP_HANDLER: 0
; COMPUTE_PGM_RSRC2:TGID_X_EN: 1
; COMPUTE_PGM_RSRC2:TGID_Y_EN: 0
; COMPUTE_PGM_RSRC2:TGID_Z_EN: 1
; COMPUTE_PGM_RSRC2:TIDIG_COMP_CNT: 0
	.section	.text._ZL23rocblas_gemvt_sn_reduceILi256ELi8EffKP16rocblas_bfloat16EviT2_lPT3_lilPT1_i,"axG",@progbits,_ZL23rocblas_gemvt_sn_reduceILi256ELi8EffKP16rocblas_bfloat16EviT2_lPT3_lilPT1_i,comdat
	.globl	_ZL23rocblas_gemvt_sn_reduceILi256ELi8EffKP16rocblas_bfloat16EviT2_lPT3_lilPT1_i ; -- Begin function _ZL23rocblas_gemvt_sn_reduceILi256ELi8EffKP16rocblas_bfloat16EviT2_lPT3_lilPT1_i
	.p2align	8
	.type	_ZL23rocblas_gemvt_sn_reduceILi256ELi8EffKP16rocblas_bfloat16EviT2_lPT3_lilPT1_i,@function
_ZL23rocblas_gemvt_sn_reduceILi256ELi8EffKP16rocblas_bfloat16EviT2_lPT3_lilPT1_i: ; @_ZL23rocblas_gemvt_sn_reduceILi256ELi8EffKP16rocblas_bfloat16EviT2_lPT3_lilPT1_i
; %bb.0:
	s_clause 0x2
	s_load_dwordx4 s[0:3], s[4:5], 0x10
	s_load_dwordx2 s[10:11], s[4:5], 0x0
	s_load_dword s6, s[4:5], 0x44
	s_mov_b32 s9, 0
	v_lshlrev_b32_e32 v4, 3, v0
	s_lshl_b64 s[12:13], s[8:9], 3
	v_mov_b32_e32 v3, 0
	s_waitcnt lgkmcnt(0)
	s_add_u32 s0, s0, s12
	s_addc_u32 s1, s1, s13
	s_load_dwordx2 s[14:15], s[4:5], 0x30
	s_load_dwordx2 s[12:13], s[0:1], 0x0
	s_ashr_i32 s16, s10, 31
	s_mul_i32 s6, s6, s8
	s_add_u32 s0, s4, 64
	s_addc_u32 s1, s5, 0
	s_add_i32 s8, s6, s7
	s_lshr_b32 s6, s16, 29
	s_mul_i32 s16, s8, s16
	s_add_i32 s6, s10, s6
	s_mul_hi_u32 s17, s8, s10
	s_and_b32 s6, s6, -8
	s_add_i32 s17, s17, s16
	s_mul_i32 s16, s8, s10
	s_mov_b32 s8, exec_lo
	v_cmpx_gt_i32_e64 s6, v4
	s_cbranch_execz .LBB605_4
; %bb.1:
	s_load_dword s0, s[0:1], 0xc
	v_lshlrev_b32_e32 v1, 5, v0
	s_lshl_b64 s[18:19], s[16:17], 2
	v_mov_b32_e32 v3, 0
	s_waitcnt lgkmcnt(0)
	s_and_b32 s0, s0, 0xffff
	s_lshl_b32 s1, s0, 3
	s_add_u32 s18, s14, s18
	s_addc_u32 s19, s15, s19
	v_add_co_u32 v1, s18, s18, v1
	v_add_co_ci_u32_e64 v2, null, s19, 0, s18
	s_lshl_b32 s18, s0, 5
	v_add_co_u32 v1, vcc_lo, v1, 28
	v_add_co_ci_u32_e64 v2, null, 0, v2, vcc_lo
	.p2align	6
.LBB605_2:                              ; =>This Inner Loop Header: Depth=1
	s_clause 0x1
	global_load_dwordx4 v[5:8], v[1:2], off offset:-28
	global_load_dwordx4 v[9:12], v[1:2], off offset:-12
	v_add_nc_u32_e32 v4, s1, v4
	v_add_co_u32 v1, vcc_lo, v1, s18
	v_add_co_ci_u32_e64 v2, null, 0, v2, vcc_lo
	v_cmp_le_i32_e64 s0, s6, v4
	s_or_b32 s9, s0, s9
	s_waitcnt vmcnt(1)
	v_add_f32_e32 v3, v3, v5
	v_add_f32_e32 v3, v3, v6
	;; [unrolled: 1-line block ×4, first 2 shown]
	s_waitcnt vmcnt(0)
	v_add_f32_e32 v3, v3, v9
	v_add_f32_e32 v3, v3, v10
	;; [unrolled: 1-line block ×4, first 2 shown]
	s_andn2_b32 exec_lo, exec_lo, s9
	s_cbranch_execnz .LBB605_2
; %bb.3:
	s_or_b32 exec_lo, exec_lo, s9
.LBB605_4:
	s_or_b32 exec_lo, exec_lo, s8
	s_sub_i32 s0, s10, s6
	v_cmp_gt_u32_e32 vcc_lo, s0, v0
	s_and_saveexec_b32 s0, vcc_lo
	s_cbranch_execz .LBB605_6
; %bb.5:
	v_xad_u32 v1, v0, -1, s10
	v_mov_b32_e32 v2, 0
	s_lshl_b64 s[8:9], s[16:17], 2
	s_waitcnt lgkmcnt(0)
	s_add_u32 s1, s14, s8
	s_addc_u32 s6, s15, s9
	v_lshlrev_b64 v[1:2], 2, v[1:2]
	v_add_co_u32 v1, vcc_lo, s1, v1
	v_add_co_ci_u32_e64 v2, null, s6, v2, vcc_lo
	global_load_dword v1, v[1:2], off
	s_waitcnt vmcnt(0)
	v_add_f32_e32 v3, v3, v1
.LBB605_6:
	s_or_b32 exec_lo, exec_lo, s0
	v_and_b32_e32 v1, 31, v0
	v_cmp_gt_u32_e32 vcc_lo, 32, v0
	v_lshlrev_b32_e32 v2, 2, v1
	s_and_saveexec_b32 s0, vcc_lo
; %bb.7:
	v_mov_b32_e32 v4, 0
	ds_write_b32 v2, v4
; %bb.8:
	s_or_b32 exec_lo, exec_lo, s0
	v_mbcnt_lo_u32_b32 v5, -1, 0
	s_mov_b32 s1, exec_lo
	s_waitcnt lgkmcnt(0)
	s_barrier
	buffer_gl0_inv
	v_lshl_or_b32 v4, v5, 2, 64
	v_cmp_gt_u32_e64 s0, 24, v5
	ds_bpermute_b32 v4, v4, v3
	v_cndmask_b32_e64 v6, 0, 8, s0
	v_cmp_gt_u32_e64 s0, 28, v5
	v_add_lshl_u32 v6, v6, v5, 2
	s_waitcnt lgkmcnt(0)
	v_add_f32_e32 v4, v3, v4
	v_cndmask_b32_e64 v3, 0, 4, s0
	v_cmp_gt_u32_e64 s0, 30, v5
	ds_bpermute_b32 v6, v6, v4
	v_add_lshl_u32 v3, v3, v5, 2
	s_waitcnt lgkmcnt(0)
	v_add_f32_e32 v6, v4, v6
	v_cndmask_b32_e64 v4, 0, 2, s0
	v_cmp_ne_u32_e64 s0, 31, v5
	ds_bpermute_b32 v7, v3, v6
	v_add_lshl_u32 v4, v4, v5, 2
	v_add_co_ci_u32_e64 v5, null, 0, v5, s0
	v_lshlrev_b32_e32 v5, 2, v5
	s_waitcnt lgkmcnt(0)
	v_add_f32_e32 v6, v6, v7
	ds_bpermute_b32 v7, v4, v6
	s_waitcnt lgkmcnt(0)
	v_add_f32_e32 v6, v6, v7
	ds_bpermute_b32 v7, v5, v6
	v_cmpx_eq_u32_e32 0, v1
	s_cbranch_execz .LBB605_10
; %bb.9:
	v_lshrrev_b32_e32 v1, 3, v0
	s_waitcnt lgkmcnt(0)
	v_add_f32_e32 v6, v6, v7
	v_and_b32_e32 v1, 28, v1
	ds_write_b32 v1, v6
.LBB605_10:
	s_or_b32 exec_lo, exec_lo, s1
	v_mov_b32_e32 v1, 0
	s_mov_b32 s1, exec_lo
	s_waitcnt lgkmcnt(0)
	s_barrier
	buffer_gl0_inv
	v_cmpx_gt_u32_e32 8, v0
; %bb.11:
	ds_read_b32 v1, v2
; %bb.12:
	s_or_b32 exec_lo, exec_lo, s1
	s_and_saveexec_b32 s0, vcc_lo
	s_cbranch_execz .LBB605_14
; %bb.13:
	s_waitcnt lgkmcnt(0)
	ds_bpermute_b32 v2, v3, v1
	s_waitcnt lgkmcnt(0)
	v_add_f32_e32 v1, v1, v2
	ds_bpermute_b32 v2, v4, v1
	s_waitcnt lgkmcnt(0)
	v_add_f32_e32 v1, v1, v2
	;; [unrolled: 3-line block ×3, first 2 shown]
.LBB605_14:
	s_or_b32 exec_lo, exec_lo, s0
	s_mov_b32 s0, exec_lo
	v_cmpx_eq_u32_e32 0, v0
	s_cbranch_execz .LBB605_28
; %bb.15:
	s_load_dword s4, s[4:5], 0x20
	v_cmp_eq_f32_e64 s5, s11, 0
	s_lshl_b64 s[0:1], s[2:3], 1
	s_add_u32 s2, s12, s0
	s_addc_u32 s3, s13, s1
	s_and_b32 vcc_lo, exec_lo, s5
	s_cbranch_vccz .LBB605_21
; %bb.16:
	s_waitcnt lgkmcnt(0)
	v_and_b32_e32 v0, 0x7f800000, v1
	v_cmp_ne_u32_e32 vcc_lo, 0x7f800000, v0
                                        ; implicit-def: $vgpr0
	s_and_saveexec_b32 s0, vcc_lo
	s_xor_b32 s0, exec_lo, s0
; %bb.17:
	v_bfe_u32 v0, v1, 16, 1
	v_add3_u32 v0, v1, v0, 0x7fff
; %bb.18:
	s_andn2_saveexec_b32 s0, s0
; %bb.19:
	v_mov_b32_e32 v0, 0
	v_or_b32_e32 v2, 0x10000, v1
	v_cmp_eq_u32_sdwa vcc_lo, v1, v0 src0_sel:WORD_0 src1_sel:DWORD
	v_cndmask_b32_e32 v0, v2, v1, vcc_lo
; %bb.20:
	s_or_b32 exec_lo, exec_lo, s0
	s_mul_hi_u32 s5, s4, s7
	s_mul_i32 s0, s4, s7
	s_cbranch_execz .LBB605_22
	s_branch .LBB605_27
.LBB605_21:
                                        ; implicit-def: $vgpr0
	s_waitcnt lgkmcnt(0)
	s_mul_hi_u32 s5, s4, s7
	s_mul_i32 s0, s4, s7
.LBB605_22:
	s_ashr_i32 s1, s4, 31
	s_mul_i32 s1, s1, s7
	s_add_i32 s1, s5, s1
	s_lshl_b64 s[8:9], s[0:1], 1
	s_add_u32 s8, s2, s8
	s_addc_u32 s9, s3, s9
	v_mov_b32_e32 v2, s8
	v_mov_b32_e32 v3, s9
	flat_load_ushort v0, v[2:3]
	s_waitcnt vmcnt(0) lgkmcnt(0)
	v_lshlrev_b32_e32 v0, 16, v0
	v_fmac_f32_e32 v1, s11, v0
	v_and_b32_e32 v0, 0x7f800000, v1
	v_cmp_ne_u32_e32 vcc_lo, 0x7f800000, v0
                                        ; implicit-def: $vgpr0
	s_and_saveexec_b32 s1, vcc_lo
	s_xor_b32 s1, exec_lo, s1
; %bb.23:
	v_bfe_u32 v0, v1, 16, 1
	v_add3_u32 v0, v1, v0, 0x7fff
                                        ; implicit-def: $vgpr1
; %bb.24:
	s_andn2_saveexec_b32 s1, s1
; %bb.25:
	v_mov_b32_e32 v0, 0
	v_or_b32_e32 v2, 0x10000, v1
	v_cmp_eq_u32_sdwa vcc_lo, v1, v0 src0_sel:WORD_0 src1_sel:DWORD
	v_cndmask_b32_e32 v0, v2, v1, vcc_lo
; %bb.26:
	s_or_b32 exec_lo, exec_lo, s1
.LBB605_27:
	s_ashr_i32 s1, s4, 31
	s_mul_i32 s1, s1, s7
	s_add_i32 s1, s5, s1
	s_lshl_b64 s[0:1], s[0:1], 1
	s_add_u32 s0, s2, s0
	s_addc_u32 s1, s3, s1
	v_mov_b32_e32 v2, s1
	v_mov_b32_e32 v1, s0
	flat_store_short_d16_hi v[1:2], v0
.LBB605_28:
	s_endpgm
	.section	.rodata,"a",@progbits
	.p2align	6, 0x0
	.amdhsa_kernel _ZL23rocblas_gemvt_sn_reduceILi256ELi8EffKP16rocblas_bfloat16EviT2_lPT3_lilPT1_i
		.amdhsa_group_segment_fixed_size 128
		.amdhsa_private_segment_fixed_size 0
		.amdhsa_kernarg_size 320
		.amdhsa_user_sgpr_count 6
		.amdhsa_user_sgpr_private_segment_buffer 1
		.amdhsa_user_sgpr_dispatch_ptr 0
		.amdhsa_user_sgpr_queue_ptr 0
		.amdhsa_user_sgpr_kernarg_segment_ptr 1
		.amdhsa_user_sgpr_dispatch_id 0
		.amdhsa_user_sgpr_flat_scratch_init 0
		.amdhsa_user_sgpr_private_segment_size 0
		.amdhsa_wavefront_size32 1
		.amdhsa_uses_dynamic_stack 0
		.amdhsa_system_sgpr_private_segment_wavefront_offset 0
		.amdhsa_system_sgpr_workgroup_id_x 1
		.amdhsa_system_sgpr_workgroup_id_y 1
		.amdhsa_system_sgpr_workgroup_id_z 1
		.amdhsa_system_sgpr_workgroup_info 0
		.amdhsa_system_vgpr_workitem_id 0
		.amdhsa_next_free_vgpr 13
		.amdhsa_next_free_sgpr 20
		.amdhsa_reserve_vcc 1
		.amdhsa_reserve_flat_scratch 0
		.amdhsa_float_round_mode_32 0
		.amdhsa_float_round_mode_16_64 0
		.amdhsa_float_denorm_mode_32 3
		.amdhsa_float_denorm_mode_16_64 3
		.amdhsa_dx10_clamp 1
		.amdhsa_ieee_mode 1
		.amdhsa_fp16_overflow 0
		.amdhsa_workgroup_processor_mode 1
		.amdhsa_memory_ordered 1
		.amdhsa_forward_progress 1
		.amdhsa_shared_vgpr_count 0
		.amdhsa_exception_fp_ieee_invalid_op 0
		.amdhsa_exception_fp_denorm_src 0
		.amdhsa_exception_fp_ieee_div_zero 0
		.amdhsa_exception_fp_ieee_overflow 0
		.amdhsa_exception_fp_ieee_underflow 0
		.amdhsa_exception_fp_ieee_inexact 0
		.amdhsa_exception_int_div_zero 0
	.end_amdhsa_kernel
	.section	.text._ZL23rocblas_gemvt_sn_reduceILi256ELi8EffKP16rocblas_bfloat16EviT2_lPT3_lilPT1_i,"axG",@progbits,_ZL23rocblas_gemvt_sn_reduceILi256ELi8EffKP16rocblas_bfloat16EviT2_lPT3_lilPT1_i,comdat
.Lfunc_end605:
	.size	_ZL23rocblas_gemvt_sn_reduceILi256ELi8EffKP16rocblas_bfloat16EviT2_lPT3_lilPT1_i, .Lfunc_end605-_ZL23rocblas_gemvt_sn_reduceILi256ELi8EffKP16rocblas_bfloat16EviT2_lPT3_lilPT1_i
                                        ; -- End function
	.set _ZL23rocblas_gemvt_sn_reduceILi256ELi8EffKP16rocblas_bfloat16EviT2_lPT3_lilPT1_i.num_vgpr, 13
	.set _ZL23rocblas_gemvt_sn_reduceILi256ELi8EffKP16rocblas_bfloat16EviT2_lPT3_lilPT1_i.num_agpr, 0
	.set _ZL23rocblas_gemvt_sn_reduceILi256ELi8EffKP16rocblas_bfloat16EviT2_lPT3_lilPT1_i.numbered_sgpr, 20
	.set _ZL23rocblas_gemvt_sn_reduceILi256ELi8EffKP16rocblas_bfloat16EviT2_lPT3_lilPT1_i.num_named_barrier, 0
	.set _ZL23rocblas_gemvt_sn_reduceILi256ELi8EffKP16rocblas_bfloat16EviT2_lPT3_lilPT1_i.private_seg_size, 0
	.set _ZL23rocblas_gemvt_sn_reduceILi256ELi8EffKP16rocblas_bfloat16EviT2_lPT3_lilPT1_i.uses_vcc, 1
	.set _ZL23rocblas_gemvt_sn_reduceILi256ELi8EffKP16rocblas_bfloat16EviT2_lPT3_lilPT1_i.uses_flat_scratch, 0
	.set _ZL23rocblas_gemvt_sn_reduceILi256ELi8EffKP16rocblas_bfloat16EviT2_lPT3_lilPT1_i.has_dyn_sized_stack, 0
	.set _ZL23rocblas_gemvt_sn_reduceILi256ELi8EffKP16rocblas_bfloat16EviT2_lPT3_lilPT1_i.has_recursion, 0
	.set _ZL23rocblas_gemvt_sn_reduceILi256ELi8EffKP16rocblas_bfloat16EviT2_lPT3_lilPT1_i.has_indirect_call, 0
	.section	.AMDGPU.csdata,"",@progbits
; Kernel info:
; codeLenInByte = 1152
; TotalNumSgprs: 22
; NumVgprs: 13
; ScratchSize: 0
; MemoryBound: 0
; FloatMode: 240
; IeeeMode: 1
; LDSByteSize: 128 bytes/workgroup (compile time only)
; SGPRBlocks: 0
; VGPRBlocks: 1
; NumSGPRsForWavesPerEU: 22
; NumVGPRsForWavesPerEU: 13
; Occupancy: 16
; WaveLimiterHint : 1
; COMPUTE_PGM_RSRC2:SCRATCH_EN: 0
; COMPUTE_PGM_RSRC2:USER_SGPR: 6
; COMPUTE_PGM_RSRC2:TRAP_HANDLER: 0
; COMPUTE_PGM_RSRC2:TGID_X_EN: 1
; COMPUTE_PGM_RSRC2:TGID_Y_EN: 1
; COMPUTE_PGM_RSRC2:TGID_Z_EN: 1
; COMPUTE_PGM_RSRC2:TIDIG_COMP_CNT: 0
	.section	.text._ZL32rocblas_gemvt_warp_reduce_kernelILb0ELi256EiPK16rocblas_bfloat16PKfKPS0_EviiT3_lPKT2_lT1_lSA_lSB_lS7_lPT4_lSB_li,"axG",@progbits,_ZL32rocblas_gemvt_warp_reduce_kernelILb0ELi256EiPK16rocblas_bfloat16PKfKPS0_EviiT3_lPKT2_lT1_lSA_lSB_lS7_lPT4_lSB_li,comdat
	.globl	_ZL32rocblas_gemvt_warp_reduce_kernelILb0ELi256EiPK16rocblas_bfloat16PKfKPS0_EviiT3_lPKT2_lT1_lSA_lSB_lS7_lPT4_lSB_li ; -- Begin function _ZL32rocblas_gemvt_warp_reduce_kernelILb0ELi256EiPK16rocblas_bfloat16PKfKPS0_EviiT3_lPKT2_lT1_lSA_lSB_lS7_lPT4_lSB_li
	.p2align	8
	.type	_ZL32rocblas_gemvt_warp_reduce_kernelILb0ELi256EiPK16rocblas_bfloat16PKfKPS0_EviiT3_lPKT2_lT1_lSA_lSB_lS7_lPT4_lSB_li,@function
_ZL32rocblas_gemvt_warp_reduce_kernelILb0ELi256EiPK16rocblas_bfloat16PKfKPS0_EviiT3_lPKT2_lT1_lSA_lSB_lS7_lPT4_lSB_li: ; @_ZL32rocblas_gemvt_warp_reduce_kernelILb0ELi256EiPK16rocblas_bfloat16PKfKPS0_EviiT3_lPKT2_lT1_lSA_lSB_lS7_lPT4_lSB_li
; %bb.0:
	s_clause 0x1
	s_load_dwordx8 s[16:23], s[4:5], 0x8
	s_load_dwordx8 s[8:15], s[4:5], 0x58
	s_mov_b32 s0, s7
	s_waitcnt lgkmcnt(0)
	s_mul_i32 s1, s19, s7
	s_mul_hi_u32 s3, s18, s7
	s_mul_i32 s2, s18, s7
	s_add_i32 s3, s3, s1
	s_mul_i32 s1, s11, s7
	s_lshl_b64 s[2:3], s[2:3], 2
	s_mul_hi_u32 s7, s10, s7
	s_add_u32 s2, s16, s2
	s_addc_u32 s3, s17, s3
	s_add_i32 s11, s7, s1
	s_mul_i32 s10, s10, s0
	s_lshl_b64 s[10:11], s[10:11], 2
	s_add_u32 s8, s8, s10
	s_addc_u32 s9, s9, s11
	s_load_dword s17, s[2:3], 0x0
	s_load_dword s16, s[8:9], 0x0
	s_waitcnt lgkmcnt(0)
	v_cmp_eq_f32_e64 s8, s17, 0
	v_cmp_eq_f32_e64 s1, s16, 1.0
	s_and_b32 s1, s8, s1
	s_and_b32 vcc_lo, exec_lo, s1
	s_mov_b32 s1, 0
	s_cbranch_vccnz .LBB606_59
; %bb.1:
	v_cmp_neq_f32_e64 s7, s17, 0
	s_mov_b64 s[2:3], 0
	s_and_b32 vcc_lo, exec_lo, s8
	s_mov_b64 s[10:11], 0
	s_cbranch_vccnz .LBB606_3
; %bb.2:
	s_lshl_b64 s[10:11], s[0:1], 3
	s_add_u32 s10, s20, s10
	s_addc_u32 s11, s21, s11
	s_lshl_b64 s[18:19], s[22:23], 1
	s_load_dwordx2 s[10:11], s[10:11], 0x0
	s_waitcnt lgkmcnt(0)
	s_add_u32 s10, s10, s18
	s_addc_u32 s11, s11, s19
.LBB606_3:
	s_andn2_b32 vcc_lo, exec_lo, s7
	s_cbranch_vccnz .LBB606_5
; %bb.4:
	s_load_dwordx4 s[20:23], s[4:5], 0x38
	s_lshl_b64 s[2:3], s[0:1], 3
	s_waitcnt lgkmcnt(0)
	s_add_u32 s2, s20, s2
	s_addc_u32 s3, s21, s3
	s_lshl_b64 s[18:19], s[22:23], 1
	s_load_dwordx2 s[2:3], s[2:3], 0x0
	s_waitcnt lgkmcnt(0)
	s_add_u32 s2, s2, s18
	s_addc_u32 s3, s3, s19
.LBB606_5:
	s_lshl_b64 s[0:1], s[0:1], 3
	s_add_u32 s0, s12, s0
	s_addc_u32 s1, s13, s1
	s_lshl_b64 s[14:15], s[14:15], 1
	s_load_dwordx2 s[18:19], s[0:1], 0x0
	s_load_dword s13, s[4:5], 0x78
	v_cmp_eq_u32_e64 s0, 0, v0
	s_waitcnt lgkmcnt(0)
	s_add_u32 s1, s18, s14
	s_addc_u32 s7, s19, s15
	s_andn2_b32 vcc_lo, exec_lo, s8
	s_cbranch_vccnz .LBB606_13
; %bb.6:
	s_mov_b32 s14, 0
	s_mov_b32 s12, 0
                                        ; implicit-def: $vgpr1
                                        ; implicit-def: $sgpr8_sgpr9
	s_and_saveexec_b32 s15, s0
	s_cbranch_execz .LBB606_14
; %bb.7:
	v_cmp_eq_f32_e64 s0, s16, 0
	s_mul_i32 s8, s13, s6
	s_ashr_i32 s9, s8, 31
	s_and_b32 vcc_lo, exec_lo, s0
	s_cbranch_vccnz .LBB606_15
; %bb.8:
	s_lshl_b64 s[18:19], s[8:9], 1
	s_add_u32 s18, s1, s18
	s_addc_u32 s19, s7, s19
	v_mov_b32_e32 v1, s18
	v_mov_b32_e32 v2, s19
	flat_load_ushort v1, v[1:2]
	s_waitcnt vmcnt(0) lgkmcnt(0)
	v_lshlrev_b32_e32 v1, 16, v1
	v_mul_f32_e32 v1, s16, v1
	v_and_b32_e32 v2, 0x7f800000, v1
	v_cmp_ne_u32_e32 vcc_lo, 0x7f800000, v2
                                        ; implicit-def: $vgpr2
	s_and_saveexec_b32 s0, vcc_lo
	s_xor_b32 s0, exec_lo, s0
; %bb.9:
	v_bfe_u32 v2, v1, 16, 1
	v_add3_u32 v2, v1, v2, 0x7fff
                                        ; implicit-def: $vgpr1
; %bb.10:
	s_andn2_saveexec_b32 s0, s0
; %bb.11:
	v_mov_b32_e32 v2, 0
	v_or_b32_e32 v3, 0x10000, v1
	v_cmp_eq_u32_sdwa vcc_lo, v1, v2 src0_sel:WORD_0 src1_sel:DWORD
	v_cndmask_b32_e32 v2, v3, v1, vcc_lo
; %bb.12:
	s_or_b32 exec_lo, exec_lo, s0
	v_lshrrev_b32_e32 v1, 16, v2
	s_mov_b32 s12, exec_lo
	s_or_b32 exec_lo, exec_lo, s15
	s_and_b32 vcc_lo, exec_lo, s14
	s_cbranch_vccnz .LBB606_16
	s_branch .LBB606_57
.LBB606_13:
	s_mov_b32 s12, 0
                                        ; implicit-def: $vgpr1
                                        ; implicit-def: $sgpr8_sgpr9
	s_cbranch_execnz .LBB606_16
	s_branch .LBB606_57
.LBB606_14:
	s_or_b32 exec_lo, exec_lo, s15
	s_and_b32 vcc_lo, exec_lo, s14
	s_cbranch_vccnz .LBB606_16
	s_branch .LBB606_57
.LBB606_15:
	v_mov_b32_e32 v1, 0
	s_mov_b32 s12, exec_lo
	s_or_b32 exec_lo, exec_lo, s15
	s_and_b32 vcc_lo, exec_lo, s14
	s_cbranch_vccz .LBB606_57
.LBB606_16:
	s_clause 0x2
	s_load_dword s8, s[4:5], 0x0
	s_load_dword s0, s[4:5], 0x28
	;; [unrolled: 1-line block ×3, first 2 shown]
	v_mov_b32_e32 v7, 0
	s_mov_b32 s9, exec_lo
	s_waitcnt lgkmcnt(0)
	v_cmp_gt_i32_e32 vcc_lo, s8, v0
	s_mul_i32 s14, s0, s6
	s_ashr_i32 s0, s8, 31
	s_ashr_i32 s15, s14, 31
	s_lshr_b32 s0, s0, 24
	v_cndmask_b32_e32 v1, 0, v0, vcc_lo
	s_lshl_b64 s[14:15], s[14:15], 1
	s_add_i32 s0, s8, s0
	v_lshlrev_b32_e32 v1, 1, v1
	v_add_co_u32 v1, s4, s10, v1
	v_add_co_ci_u32_e64 v2, null, s11, 0, s4
	s_and_b32 s4, s0, 0xffffff00
	v_add_co_u32 v1, vcc_lo, v1, s14
	v_add_co_ci_u32_e64 v2, null, s15, v2, vcc_lo
	s_mov_b32 s10, 0
	v_cmpx_gt_i32_e64 s4, v0
	s_cbranch_execz .LBB606_24
; %bb.17:
	v_mul_lo_u32 v3, v0, s5
	v_mov_b32_e32 v6, v2
	v_mov_b32_e32 v8, 0
	;; [unrolled: 1-line block ×5, first 2 shown]
	s_lshl_b32 s11, s5, 8
	s_branch .LBB606_19
.LBB606_18:                             ;   in Loop: Header=BB606_19 Depth=1
	s_or_b32 exec_lo, exec_lo, s0
	v_add_nc_u32_e32 v9, 0x100, v9
	v_and_b32_e32 v4, 0xffff0000, v10
	v_add_co_u32 v5, s0, 0x200, v5
	v_add_co_ci_u32_e64 v6, null, 0, v6, s0
	v_cmp_le_i32_e32 vcc_lo, s4, v9
	v_add_f32_e32 v7, v7, v4
	v_add_nc_u32_e32 v3, s11, v3
	s_or_b32 s10, vcc_lo, s10
	s_andn2_b32 exec_lo, exec_lo, s10
	s_cbranch_execz .LBB606_23
.LBB606_19:                             ; =>This Inner Loop Header: Depth=1
	v_ashrrev_i32_e32 v4, 31, v3
	v_lshlrev_b64 v[10:11], 1, v[3:4]
	v_add_co_u32 v10, vcc_lo, s2, v10
	v_add_co_ci_u32_e64 v11, null, s3, v11, vcc_lo
	flat_load_ushort v4, v[5:6]
	flat_load_ushort v10, v[10:11]
	s_waitcnt vmcnt(1) lgkmcnt(1)
	v_lshlrev_b32_e32 v4, 16, v4
	s_waitcnt vmcnt(0) lgkmcnt(0)
	v_lshlrev_b32_e32 v10, 16, v10
	v_mul_f32_e32 v4, v4, v10
	v_and_b32_e32 v10, 0x7f800000, v4
	v_cmp_ne_u32_e32 vcc_lo, 0x7f800000, v10
                                        ; implicit-def: $vgpr10
	s_and_saveexec_b32 s0, vcc_lo
	s_xor_b32 s0, exec_lo, s0
; %bb.20:                               ;   in Loop: Header=BB606_19 Depth=1
	v_bfe_u32 v10, v4, 16, 1
	v_add3_u32 v10, v4, v10, 0x7fff
                                        ; implicit-def: $vgpr4
; %bb.21:                               ;   in Loop: Header=BB606_19 Depth=1
	s_andn2_saveexec_b32 s0, s0
	s_cbranch_execz .LBB606_18
; %bb.22:                               ;   in Loop: Header=BB606_19 Depth=1
	v_or_b32_e32 v10, 0x10000, v4
	v_cmp_eq_u32_sdwa vcc_lo, v4, v8 src0_sel:WORD_0 src1_sel:DWORD
	v_cndmask_b32_e32 v10, v10, v4, vcc_lo
	s_branch .LBB606_18
.LBB606_23:
	s_or_b32 exec_lo, exec_lo, s10
.LBB606_24:
	s_or_b32 exec_lo, exec_lo, s9
	v_add_nc_u32_e32 v3, s4, v0
	s_mov_b32 s0, exec_lo
	v_cmpx_gt_i32_e64 s8, v3
	s_cbranch_execz .LBB606_30
; %bb.25:
	v_mul_lo_u32 v3, s5, v3
	s_ashr_i32 s5, s4, 31
	s_lshl_b64 s[4:5], s[4:5], 1
	v_ashrrev_i32_e32 v4, 31, v3
	v_lshlrev_b64 v[3:4], 1, v[3:4]
	v_add_co_u32 v3, vcc_lo, s2, v3
	v_add_co_ci_u32_e64 v4, null, s3, v4, vcc_lo
	v_add_co_u32 v1, vcc_lo, v1, s4
	v_add_co_ci_u32_e64 v2, null, s5, v2, vcc_lo
	flat_load_ushort v3, v[3:4]
	flat_load_ushort v1, v[1:2]
	s_waitcnt vmcnt(1) lgkmcnt(1)
	v_lshlrev_b32_e32 v2, 16, v3
	s_waitcnt vmcnt(0) lgkmcnt(0)
	v_lshlrev_b32_e32 v1, 16, v1
	v_mul_f32_e32 v1, v1, v2
	v_and_b32_e32 v2, 0x7f800000, v1
	v_cmp_ne_u32_e32 vcc_lo, 0x7f800000, v2
                                        ; implicit-def: $vgpr2
	s_and_saveexec_b32 s2, vcc_lo
	s_xor_b32 s2, exec_lo, s2
; %bb.26:
	v_bfe_u32 v2, v1, 16, 1
	v_add3_u32 v2, v1, v2, 0x7fff
                                        ; implicit-def: $vgpr1
; %bb.27:
	s_andn2_saveexec_b32 s2, s2
; %bb.28:
	v_mov_b32_e32 v2, 0
	v_or_b32_e32 v3, 0x10000, v1
	v_cmp_eq_u32_sdwa vcc_lo, v1, v2 src0_sel:WORD_0 src1_sel:DWORD
	v_cndmask_b32_e32 v2, v3, v1, vcc_lo
; %bb.29:
	s_or_b32 exec_lo, exec_lo, s2
	v_and_b32_e32 v1, 0xffff0000, v2
	v_add_f32_e32 v7, v7, v1
.LBB606_30:
	s_or_b32 exec_lo, exec_lo, s0
	v_and_b32_e32 v5, 31, v0
	v_cmp_gt_u32_e32 vcc_lo, 32, v0
	v_lshlrev_b32_e32 v1, 2, v5
	s_and_saveexec_b32 s0, vcc_lo
; %bb.31:
	v_mov_b32_e32 v2, 0
	ds_write_b32 v1, v2
; %bb.32:
	s_or_b32 exec_lo, exec_lo, s0
	v_mbcnt_lo_u32_b32 v4, -1, 0
	s_mov_b32 s2, exec_lo
	s_waitcnt lgkmcnt(0)
	s_barrier
	buffer_gl0_inv
	v_lshl_or_b32 v2, v4, 2, 64
	v_cmp_gt_u32_e64 s0, 24, v4
	ds_bpermute_b32 v2, v2, v7
	v_cndmask_b32_e64 v3, 0, 8, s0
	v_cmp_gt_u32_e64 s0, 28, v4
	v_add_lshl_u32 v3, v3, v4, 2
	s_waitcnt lgkmcnt(0)
	v_add_f32_e32 v6, v7, v2
	v_cndmask_b32_e64 v2, 0, 4, s0
	v_cmp_gt_u32_e64 s0, 30, v4
	ds_bpermute_b32 v3, v3, v6
	v_add_lshl_u32 v2, v2, v4, 2
	s_waitcnt lgkmcnt(0)
	v_add_f32_e32 v6, v6, v3
	v_cndmask_b32_e64 v3, 0, 2, s0
	v_cmp_ne_u32_e64 s0, 31, v4
	ds_bpermute_b32 v7, v2, v6
	v_add_lshl_u32 v3, v3, v4, 2
	v_add_co_ci_u32_e64 v4, null, 0, v4, s0
	v_lshlrev_b32_e32 v4, 2, v4
	s_waitcnt lgkmcnt(0)
	v_add_f32_e32 v6, v6, v7
	ds_bpermute_b32 v7, v3, v6
	s_waitcnt lgkmcnt(0)
	v_add_f32_e32 v6, v6, v7
	ds_bpermute_b32 v7, v4, v6
	v_cmpx_eq_u32_e32 0, v5
	s_cbranch_execz .LBB606_34
; %bb.33:
	v_lshrrev_b32_e32 v5, 3, v0
	s_waitcnt lgkmcnt(0)
	v_add_f32_e32 v6, v6, v7
	v_and_b32_e32 v5, 28, v5
	ds_write_b32 v5, v6
.LBB606_34:
	s_or_b32 exec_lo, exec_lo, s2
	v_mov_b32_e32 v5, 0
	s_mov_b32 s2, exec_lo
	s_waitcnt lgkmcnt(0)
	s_barrier
	buffer_gl0_inv
	v_cmpx_gt_u32_e32 8, v0
; %bb.35:
	ds_read_b32 v5, v1
; %bb.36:
	s_or_b32 exec_lo, exec_lo, s2
	s_and_saveexec_b32 s0, vcc_lo
	s_cbranch_execz .LBB606_38
; %bb.37:
	s_waitcnt lgkmcnt(0)
	ds_bpermute_b32 v1, v2, v5
	s_waitcnt lgkmcnt(0)
	v_add_f32_e32 v1, v5, v1
	ds_bpermute_b32 v2, v3, v1
	s_waitcnt lgkmcnt(0)
	v_add_f32_e32 v1, v1, v2
	;; [unrolled: 3-line block ×3, first 2 shown]
.LBB606_38:
	s_or_b32 exec_lo, exec_lo, s0
	s_mov_b32 s0, exec_lo
                                        ; implicit-def: $vgpr1
                                        ; implicit-def: $sgpr8_sgpr9
	v_cmpx_eq_u32_e32 0, v0
	s_cbranch_execz .LBB606_56
; %bb.39:
	v_cmp_eq_f32_e64 s2, s16, 0
	s_waitcnt lgkmcnt(0)
	v_mul_f32_e32 v0, s17, v5
	s_and_b32 vcc_lo, exec_lo, s2
	s_cbranch_vccz .LBB606_45
; %bb.40:
	v_and_b32_e32 v1, 0x7f800000, v0
	v_cmp_ne_u32_e32 vcc_lo, 0x7f800000, v1
                                        ; implicit-def: $vgpr1
	s_and_saveexec_b32 s2, vcc_lo
	s_xor_b32 s2, exec_lo, s2
; %bb.41:
	v_bfe_u32 v1, v0, 16, 1
	v_add3_u32 v1, v0, v1, 0x7fff
; %bb.42:
	s_andn2_saveexec_b32 s2, s2
; %bb.43:
	v_mov_b32_e32 v1, 0
	v_or_b32_e32 v2, 0x10000, v0
	v_cmp_eq_u32_sdwa vcc_lo, v0, v1 src0_sel:WORD_0 src1_sel:DWORD
	v_cndmask_b32_e32 v1, v2, v0, vcc_lo
; %bb.44:
	s_or_b32 exec_lo, exec_lo, s2
	s_mul_i32 s8, s13, s6
	s_cbranch_execz .LBB606_46
	s_branch .LBB606_55
.LBB606_45:
                                        ; implicit-def: $vgpr1
	s_mul_i32 s8, s13, s6
.LBB606_46:
	s_ashr_i32 s9, s8, 31
	s_lshl_b64 s[2:3], s[8:9], 1
	s_add_u32 s2, s1, s2
	s_addc_u32 s3, s7, s3
	v_mov_b32_e32 v1, s2
	v_mov_b32_e32 v2, s3
	flat_load_ushort v1, v[1:2]
	s_waitcnt vmcnt(0) lgkmcnt(0)
	v_lshlrev_b32_e32 v1, 16, v1
	v_mul_f32_e32 v1, s16, v1
	v_and_b32_e32 v2, 0x7f800000, v1
	v_cmp_ne_u32_e32 vcc_lo, 0x7f800000, v2
                                        ; implicit-def: $vgpr2
	s_and_saveexec_b32 s2, vcc_lo
	s_xor_b32 s2, exec_lo, s2
; %bb.47:
	v_bfe_u32 v2, v1, 16, 1
	v_add3_u32 v2, v1, v2, 0x7fff
                                        ; implicit-def: $vgpr1
; %bb.48:
	s_andn2_saveexec_b32 s2, s2
; %bb.49:
	v_mov_b32_e32 v2, 0
	v_or_b32_e32 v3, 0x10000, v1
	v_cmp_eq_u32_sdwa vcc_lo, v1, v2 src0_sel:WORD_0 src1_sel:DWORD
	v_cndmask_b32_e32 v2, v3, v1, vcc_lo
; %bb.50:
	s_or_b32 exec_lo, exec_lo, s2
	v_and_b32_e32 v1, 0xffff0000, v2
	v_add_f32_e32 v0, v0, v1
	v_and_b32_e32 v1, 0x7f800000, v0
	v_cmp_ne_u32_e32 vcc_lo, 0x7f800000, v1
                                        ; implicit-def: $vgpr1
	s_and_saveexec_b32 s2, vcc_lo
	s_xor_b32 s2, exec_lo, s2
; %bb.51:
	v_bfe_u32 v1, v0, 16, 1
	v_add3_u32 v1, v0, v1, 0x7fff
                                        ; implicit-def: $vgpr0
; %bb.52:
	s_andn2_saveexec_b32 s2, s2
; %bb.53:
	v_mov_b32_e32 v1, 0
	v_or_b32_e32 v2, 0x10000, v0
	v_cmp_eq_u32_sdwa vcc_lo, v0, v1 src0_sel:WORD_0 src1_sel:DWORD
	v_cndmask_b32_e32 v1, v2, v0, vcc_lo
; %bb.54:
	s_or_b32 exec_lo, exec_lo, s2
.LBB606_55:
	v_lshrrev_b32_e32 v1, 16, v1
	s_ashr_i32 s9, s8, 31
	s_or_b32 s12, s12, exec_lo
.LBB606_56:
	s_or_b32 exec_lo, exec_lo, s0
.LBB606_57:
	s_and_saveexec_b32 s0, s12
	s_cbranch_execz .LBB606_59
; %bb.58:
	s_lshl_b64 s[2:3], s[8:9], 1
	s_add_u32 s0, s1, s2
	s_addc_u32 s1, s7, s3
	v_mov_b32_e32 v3, s1
	v_mov_b32_e32 v2, s0
	flat_store_short v[2:3], v1
.LBB606_59:
	s_endpgm
	.section	.rodata,"a",@progbits
	.p2align	6, 0x0
	.amdhsa_kernel _ZL32rocblas_gemvt_warp_reduce_kernelILb0ELi256EiPK16rocblas_bfloat16PKfKPS0_EviiT3_lPKT2_lT1_lSA_lSB_lS7_lPT4_lSB_li
		.amdhsa_group_segment_fixed_size 128
		.amdhsa_private_segment_fixed_size 0
		.amdhsa_kernarg_size 140
		.amdhsa_user_sgpr_count 6
		.amdhsa_user_sgpr_private_segment_buffer 1
		.amdhsa_user_sgpr_dispatch_ptr 0
		.amdhsa_user_sgpr_queue_ptr 0
		.amdhsa_user_sgpr_kernarg_segment_ptr 1
		.amdhsa_user_sgpr_dispatch_id 0
		.amdhsa_user_sgpr_flat_scratch_init 0
		.amdhsa_user_sgpr_private_segment_size 0
		.amdhsa_wavefront_size32 1
		.amdhsa_uses_dynamic_stack 0
		.amdhsa_system_sgpr_private_segment_wavefront_offset 0
		.amdhsa_system_sgpr_workgroup_id_x 1
		.amdhsa_system_sgpr_workgroup_id_y 0
		.amdhsa_system_sgpr_workgroup_id_z 1
		.amdhsa_system_sgpr_workgroup_info 0
		.amdhsa_system_vgpr_workitem_id 0
		.amdhsa_next_free_vgpr 12
		.amdhsa_next_free_sgpr 24
		.amdhsa_reserve_vcc 1
		.amdhsa_reserve_flat_scratch 0
		.amdhsa_float_round_mode_32 0
		.amdhsa_float_round_mode_16_64 0
		.amdhsa_float_denorm_mode_32 3
		.amdhsa_float_denorm_mode_16_64 3
		.amdhsa_dx10_clamp 1
		.amdhsa_ieee_mode 1
		.amdhsa_fp16_overflow 0
		.amdhsa_workgroup_processor_mode 1
		.amdhsa_memory_ordered 1
		.amdhsa_forward_progress 1
		.amdhsa_shared_vgpr_count 0
		.amdhsa_exception_fp_ieee_invalid_op 0
		.amdhsa_exception_fp_denorm_src 0
		.amdhsa_exception_fp_ieee_div_zero 0
		.amdhsa_exception_fp_ieee_overflow 0
		.amdhsa_exception_fp_ieee_underflow 0
		.amdhsa_exception_fp_ieee_inexact 0
		.amdhsa_exception_int_div_zero 0
	.end_amdhsa_kernel
	.section	.text._ZL32rocblas_gemvt_warp_reduce_kernelILb0ELi256EiPK16rocblas_bfloat16PKfKPS0_EviiT3_lPKT2_lT1_lSA_lSB_lS7_lPT4_lSB_li,"axG",@progbits,_ZL32rocblas_gemvt_warp_reduce_kernelILb0ELi256EiPK16rocblas_bfloat16PKfKPS0_EviiT3_lPKT2_lT1_lSA_lSB_lS7_lPT4_lSB_li,comdat
.Lfunc_end606:
	.size	_ZL32rocblas_gemvt_warp_reduce_kernelILb0ELi256EiPK16rocblas_bfloat16PKfKPS0_EviiT3_lPKT2_lT1_lSA_lSB_lS7_lPT4_lSB_li, .Lfunc_end606-_ZL32rocblas_gemvt_warp_reduce_kernelILb0ELi256EiPK16rocblas_bfloat16PKfKPS0_EviiT3_lPKT2_lT1_lSA_lSB_lS7_lPT4_lSB_li
                                        ; -- End function
	.set _ZL32rocblas_gemvt_warp_reduce_kernelILb0ELi256EiPK16rocblas_bfloat16PKfKPS0_EviiT3_lPKT2_lT1_lSA_lSB_lS7_lPT4_lSB_li.num_vgpr, 12
	.set _ZL32rocblas_gemvt_warp_reduce_kernelILb0ELi256EiPK16rocblas_bfloat16PKfKPS0_EviiT3_lPKT2_lT1_lSA_lSB_lS7_lPT4_lSB_li.num_agpr, 0
	.set _ZL32rocblas_gemvt_warp_reduce_kernelILb0ELi256EiPK16rocblas_bfloat16PKfKPS0_EviiT3_lPKT2_lT1_lSA_lSB_lS7_lPT4_lSB_li.numbered_sgpr, 24
	.set _ZL32rocblas_gemvt_warp_reduce_kernelILb0ELi256EiPK16rocblas_bfloat16PKfKPS0_EviiT3_lPKT2_lT1_lSA_lSB_lS7_lPT4_lSB_li.num_named_barrier, 0
	.set _ZL32rocblas_gemvt_warp_reduce_kernelILb0ELi256EiPK16rocblas_bfloat16PKfKPS0_EviiT3_lPKT2_lT1_lSA_lSB_lS7_lPT4_lSB_li.private_seg_size, 0
	.set _ZL32rocblas_gemvt_warp_reduce_kernelILb0ELi256EiPK16rocblas_bfloat16PKfKPS0_EviiT3_lPKT2_lT1_lSA_lSB_lS7_lPT4_lSB_li.uses_vcc, 1
	.set _ZL32rocblas_gemvt_warp_reduce_kernelILb0ELi256EiPK16rocblas_bfloat16PKfKPS0_EviiT3_lPKT2_lT1_lSA_lSB_lS7_lPT4_lSB_li.uses_flat_scratch, 0
	.set _ZL32rocblas_gemvt_warp_reduce_kernelILb0ELi256EiPK16rocblas_bfloat16PKfKPS0_EviiT3_lPKT2_lT1_lSA_lSB_lS7_lPT4_lSB_li.has_dyn_sized_stack, 0
	.set _ZL32rocblas_gemvt_warp_reduce_kernelILb0ELi256EiPK16rocblas_bfloat16PKfKPS0_EviiT3_lPKT2_lT1_lSA_lSB_lS7_lPT4_lSB_li.has_recursion, 0
	.set _ZL32rocblas_gemvt_warp_reduce_kernelILb0ELi256EiPK16rocblas_bfloat16PKfKPS0_EviiT3_lPKT2_lT1_lSA_lSB_lS7_lPT4_lSB_li.has_indirect_call, 0
	.section	.AMDGPU.csdata,"",@progbits
; Kernel info:
; codeLenInByte = 1892
; TotalNumSgprs: 26
; NumVgprs: 12
; ScratchSize: 0
; MemoryBound: 0
; FloatMode: 240
; IeeeMode: 1
; LDSByteSize: 128 bytes/workgroup (compile time only)
; SGPRBlocks: 0
; VGPRBlocks: 1
; NumSGPRsForWavesPerEU: 26
; NumVGPRsForWavesPerEU: 12
; Occupancy: 16
; WaveLimiterHint : 1
; COMPUTE_PGM_RSRC2:SCRATCH_EN: 0
; COMPUTE_PGM_RSRC2:USER_SGPR: 6
; COMPUTE_PGM_RSRC2:TRAP_HANDLER: 0
; COMPUTE_PGM_RSRC2:TGID_X_EN: 1
; COMPUTE_PGM_RSRC2:TGID_Y_EN: 0
; COMPUTE_PGM_RSRC2:TGID_Z_EN: 1
; COMPUTE_PGM_RSRC2:TIDIG_COMP_CNT: 0
	.section	.text._ZL32rocblas_gemvt_warp_reduce_kernelILb0ELi256ElPK16rocblas_bfloat16PKfKPS0_EviiT3_lPKT2_lT1_lSA_lSB_lS7_lPT4_lSB_li,"axG",@progbits,_ZL32rocblas_gemvt_warp_reduce_kernelILb0ELi256ElPK16rocblas_bfloat16PKfKPS0_EviiT3_lPKT2_lT1_lSA_lSB_lS7_lPT4_lSB_li,comdat
	.globl	_ZL32rocblas_gemvt_warp_reduce_kernelILb0ELi256ElPK16rocblas_bfloat16PKfKPS0_EviiT3_lPKT2_lT1_lSA_lSB_lS7_lPT4_lSB_li ; -- Begin function _ZL32rocblas_gemvt_warp_reduce_kernelILb0ELi256ElPK16rocblas_bfloat16PKfKPS0_EviiT3_lPKT2_lT1_lSA_lSB_lS7_lPT4_lSB_li
	.p2align	8
	.type	_ZL32rocblas_gemvt_warp_reduce_kernelILb0ELi256ElPK16rocblas_bfloat16PKfKPS0_EviiT3_lPKT2_lT1_lSA_lSB_lS7_lPT4_lSB_li,@function
_ZL32rocblas_gemvt_warp_reduce_kernelILb0ELi256ElPK16rocblas_bfloat16PKfKPS0_EviiT3_lPKT2_lT1_lSA_lSB_lS7_lPT4_lSB_li: ; @_ZL32rocblas_gemvt_warp_reduce_kernelILb0ELi256ElPK16rocblas_bfloat16PKfKPS0_EviiT3_lPKT2_lT1_lSA_lSB_lS7_lPT4_lSB_li
; %bb.0:
	s_clause 0x1
	s_load_dwordx8 s[16:23], s[4:5], 0x8
	s_load_dwordx8 s[8:15], s[4:5], 0x58
	s_mov_b32 s27, 0
	s_waitcnt lgkmcnt(0)
	s_mul_i32 s1, s19, s7
	s_mul_hi_u32 s2, s18, s7
	s_mul_i32 s0, s18, s7
	s_add_i32 s1, s2, s1
	s_mul_i32 s2, s11, s7
	s_lshl_b64 s[0:1], s[0:1], 2
	s_mul_hi_u32 s3, s10, s7
	s_add_u32 s0, s16, s0
	s_addc_u32 s1, s17, s1
	s_add_i32 s3, s3, s2
	s_mul_i32 s2, s10, s7
	s_lshl_b64 s[2:3], s[2:3], 2
	s_add_u32 s2, s8, s2
	s_addc_u32 s3, s9, s3
	s_load_dword s29, s[0:1], 0x0
	s_load_dword s28, s[2:3], 0x0
	s_waitcnt lgkmcnt(0)
	v_cmp_eq_f32_e64 s30, s29, 0
	v_cmp_eq_f32_e64 s0, s28, 1.0
	s_and_b32 s0, s30, s0
	s_and_b32 vcc_lo, exec_lo, s0
	s_cbranch_vccnz .LBB607_60
; %bb.1:
	s_clause 0x1
	s_load_dwordx2 s[18:19], s[4:5], 0x28
	s_load_dwordx2 s[8:9], s[4:5], 0x78
	s_mov_b32 s26, s7
	v_cmp_neq_f32_e64 s7, s29, 0
	s_mov_b64 s[10:11], 0
	s_and_b32 vcc_lo, exec_lo, s30
	s_mov_b64 s[24:25], 0
	s_cbranch_vccnz .LBB607_3
; %bb.2:
	s_lshl_b64 s[0:1], s[26:27], 3
	s_add_u32 s0, s20, s0
	s_addc_u32 s1, s21, s1
	s_lshl_b64 s[2:3], s[22:23], 1
	s_load_dwordx2 s[0:1], s[0:1], 0x0
	s_waitcnt lgkmcnt(0)
	s_add_u32 s24, s0, s2
	s_addc_u32 s25, s1, s3
.LBB607_3:
	s_clause 0x1
	s_load_dwordx4 s[0:3], s[4:5], 0x38
	s_load_dwordx2 s[16:17], s[4:5], 0x48
	s_andn2_b32 vcc_lo, exec_lo, s7
	s_cbranch_vccnz .LBB607_5
; %bb.4:
	s_lshl_b64 s[10:11], s[26:27], 3
	s_waitcnt lgkmcnt(0)
	s_add_u32 s0, s0, s10
	s_addc_u32 s1, s1, s11
	s_lshl_b64 s[2:3], s[2:3], 1
	s_load_dwordx2 s[0:1], s[0:1], 0x0
	s_waitcnt lgkmcnt(0)
	s_add_u32 s10, s0, s2
	s_addc_u32 s11, s1, s3
.LBB607_5:
	s_waitcnt lgkmcnt(0)
	s_lshl_b64 s[0:1], s[26:27], 3
	s_add_u32 s0, s12, s0
	s_addc_u32 s1, s13, s1
	s_lshl_b64 s[12:13], s[14:15], 1
	s_load_dwordx2 s[2:3], s[0:1], 0x0
	v_cmp_eq_u32_e64 s0, 0, v0
	s_waitcnt lgkmcnt(0)
	s_add_u32 s1, s2, s12
	s_addc_u32 s7, s3, s13
	s_andn2_b32 vcc_lo, exec_lo, s30
	s_cbranch_vccnz .LBB607_13
; %bb.6:
	s_mov_b32 s13, 0
	s_mov_b32 s12, 0
                                        ; implicit-def: $vgpr1
                                        ; implicit-def: $sgpr2_sgpr3
	s_and_saveexec_b32 s14, s0
	s_cbranch_execz .LBB607_14
; %bb.7:
	s_ashr_i32 s2, s6, 31
	v_cmp_eq_f32_e64 s0, s28, 0
	s_mul_hi_u32 s3, s8, s6
	s_mul_i32 s2, s8, s2
	s_mul_i32 s12, s9, s6
	s_add_i32 s2, s3, s2
	s_and_b32 vcc_lo, exec_lo, s0
	s_add_i32 s3, s2, s12
	s_mul_i32 s2, s8, s6
	s_cbranch_vccnz .LBB607_15
; %bb.8:
	s_lshl_b64 s[20:21], s[2:3], 1
	s_add_u32 s20, s1, s20
	s_addc_u32 s21, s7, s21
	v_mov_b32_e32 v1, s20
	v_mov_b32_e32 v2, s21
	flat_load_ushort v1, v[1:2]
	s_waitcnt vmcnt(0) lgkmcnt(0)
	v_lshlrev_b32_e32 v1, 16, v1
	v_mul_f32_e32 v1, s28, v1
	v_and_b32_e32 v2, 0x7f800000, v1
	v_cmp_ne_u32_e32 vcc_lo, 0x7f800000, v2
                                        ; implicit-def: $vgpr2
	s_and_saveexec_b32 s0, vcc_lo
	s_xor_b32 s0, exec_lo, s0
; %bb.9:
	v_bfe_u32 v2, v1, 16, 1
	v_add3_u32 v2, v1, v2, 0x7fff
                                        ; implicit-def: $vgpr1
; %bb.10:
	s_andn2_saveexec_b32 s0, s0
; %bb.11:
	v_mov_b32_e32 v2, 0
	v_or_b32_e32 v3, 0x10000, v1
	v_cmp_eq_u32_sdwa vcc_lo, v1, v2 src0_sel:WORD_0 src1_sel:DWORD
	v_cndmask_b32_e32 v2, v3, v1, vcc_lo
; %bb.12:
	s_or_b32 exec_lo, exec_lo, s0
	v_lshrrev_b32_e32 v1, 16, v2
	s_mov_b32 s12, exec_lo
	s_or_b32 exec_lo, exec_lo, s14
	s_and_b32 vcc_lo, exec_lo, s13
	s_cbranch_vccnz .LBB607_16
	s_branch .LBB607_58
.LBB607_13:
	s_mov_b32 s12, 0
                                        ; implicit-def: $vgpr1
                                        ; implicit-def: $sgpr2_sgpr3
	s_cbranch_execnz .LBB607_16
	s_branch .LBB607_58
.LBB607_14:
	s_or_b32 exec_lo, exec_lo, s14
	s_and_b32 vcc_lo, exec_lo, s13
	s_cbranch_vccnz .LBB607_16
	s_branch .LBB607_58
.LBB607_15:
	v_mov_b32_e32 v1, 0
	s_mov_b32 s12, exec_lo
	s_or_b32 exec_lo, exec_lo, s14
	s_and_b32 vcc_lo, exec_lo, s13
	s_cbranch_vccz .LBB607_58
.LBB607_16:
	s_load_dword s3, s[4:5], 0x0
	s_ashr_i32 s13, s6, 31
	s_mul_hi_u32 s0, s18, s6
	s_mul_i32 s4, s18, s13
	s_mul_i32 s2, s19, s6
	s_add_i32 s0, s0, s4
	s_mul_i32 s4, s18, s6
	s_add_i32 s5, s0, s2
	v_mov_b32_e32 v7, 0
	s_lshl_b64 s[4:5], s[4:5], 1
	s_mov_b32 s15, 0
	s_mov_b32 s14, exec_lo
	s_waitcnt lgkmcnt(0)
	v_cmp_gt_i32_e32 vcc_lo, s3, v0
	s_ashr_i32 s0, s3, 31
	s_lshr_b32 s0, s0, 24
	s_add_i32 s0, s3, s0
	v_cndmask_b32_e32 v1, 0, v0, vcc_lo
	v_lshlrev_b32_e32 v1, 1, v1
	v_add_co_u32 v1, s2, s24, v1
	v_add_co_ci_u32_e64 v2, null, s25, 0, s2
	s_and_b32 s2, s0, 0xffffff00
	v_add_co_u32 v1, vcc_lo, v1, s4
	v_add_co_ci_u32_e64 v2, null, s5, v2, vcc_lo
	v_cmpx_gt_i32_e64 s2, v0
	s_cbranch_execz .LBB607_24
; %bb.17:
	v_mad_u64_u32 v[3:4], null, s16, v0, 0
	v_mov_b32_e32 v8, 0
	v_mov_b32_e32 v9, v0
	;; [unrolled: 1-line block ×3, first 2 shown]
	s_lshl_b64 s[4:5], s[16:17], 9
	v_mad_u64_u32 v[4:5], null, s17, v0, v[4:5]
	v_lshlrev_b64 v[5:6], 1, v[3:4]
	v_mov_b32_e32 v4, v2
	v_mov_b32_e32 v3, v1
	v_add_co_u32 v5, vcc_lo, s10, v5
	v_add_co_ci_u32_e64 v6, null, s11, v6, vcc_lo
	s_inst_prefetch 0x1
	s_branch .LBB607_19
	.p2align	6
.LBB607_18:                             ;   in Loop: Header=BB607_19 Depth=1
	s_or_b32 exec_lo, exec_lo, s0
	v_add_nc_u32_e32 v9, 0x100, v9
	v_and_b32_e32 v10, 0xffff0000, v11
	v_add_co_u32 v3, vcc_lo, 0x200, v3
	v_add_co_ci_u32_e64 v4, null, 0, v4, vcc_lo
	v_cmp_le_i32_e32 vcc_lo, s2, v9
	v_add_co_u32 v5, s0, v5, s4
	v_add_f32_e32 v7, v7, v10
	v_add_co_ci_u32_e64 v6, null, s5, v6, s0
	s_or_b32 s15, vcc_lo, s15
	s_andn2_b32 exec_lo, exec_lo, s15
	s_cbranch_execz .LBB607_23
.LBB607_19:                             ; =>This Inner Loop Header: Depth=1
	flat_load_ushort v10, v[5:6]
	flat_load_ushort v11, v[3:4]
	s_waitcnt vmcnt(1) lgkmcnt(1)
	v_lshlrev_b32_e32 v10, 16, v10
	s_waitcnt vmcnt(0) lgkmcnt(0)
	v_lshlrev_b32_e32 v11, 16, v11
	v_mul_f32_e32 v10, v11, v10
	v_and_b32_e32 v11, 0x7f800000, v10
	v_cmp_ne_u32_e32 vcc_lo, 0x7f800000, v11
                                        ; implicit-def: $vgpr11
	s_and_saveexec_b32 s0, vcc_lo
	s_xor_b32 s0, exec_lo, s0
; %bb.20:                               ;   in Loop: Header=BB607_19 Depth=1
	v_bfe_u32 v11, v10, 16, 1
	v_add3_u32 v11, v10, v11, 0x7fff
                                        ; implicit-def: $vgpr10
; %bb.21:                               ;   in Loop: Header=BB607_19 Depth=1
	s_andn2_saveexec_b32 s0, s0
	s_cbranch_execz .LBB607_18
; %bb.22:                               ;   in Loop: Header=BB607_19 Depth=1
	v_or_b32_e32 v11, 0x10000, v10
	v_cmp_eq_u32_sdwa vcc_lo, v10, v8 src0_sel:WORD_0 src1_sel:DWORD
	v_cndmask_b32_e32 v11, v11, v10, vcc_lo
	s_branch .LBB607_18
.LBB607_23:
	s_inst_prefetch 0x2
	s_or_b32 exec_lo, exec_lo, s15
.LBB607_24:
	s_or_b32 exec_lo, exec_lo, s14
	v_add_nc_u32_e32 v3, s2, v0
	s_mov_b32 s0, exec_lo
	v_cmpx_gt_i32_e64 s3, v3
	s_cbranch_execz .LBB607_30
; %bb.25:
	v_ashrrev_i32_e32 v5, 31, v3
	v_mul_lo_u32 v6, s17, v3
	v_mad_u64_u32 v[3:4], null, s16, v3, 0
	s_ashr_i32 s3, s2, 31
	v_mul_lo_u32 v5, s16, v5
	s_lshl_b64 s[2:3], s[2:3], 1
	v_add3_u32 v4, v4, v5, v6
	v_lshlrev_b64 v[3:4], 1, v[3:4]
	v_add_co_u32 v3, vcc_lo, s10, v3
	v_add_co_ci_u32_e64 v4, null, s11, v4, vcc_lo
	v_add_co_u32 v1, vcc_lo, v1, s2
	v_add_co_ci_u32_e64 v2, null, s3, v2, vcc_lo
	flat_load_ushort v3, v[3:4]
	flat_load_ushort v1, v[1:2]
	s_waitcnt vmcnt(1) lgkmcnt(1)
	v_lshlrev_b32_e32 v2, 16, v3
	s_waitcnt vmcnt(0) lgkmcnt(0)
	v_lshlrev_b32_e32 v1, 16, v1
	v_mul_f32_e32 v1, v1, v2
	v_and_b32_e32 v2, 0x7f800000, v1
	v_cmp_ne_u32_e32 vcc_lo, 0x7f800000, v2
                                        ; implicit-def: $vgpr2
	s_and_saveexec_b32 s2, vcc_lo
	s_xor_b32 s2, exec_lo, s2
; %bb.26:
	v_bfe_u32 v2, v1, 16, 1
	v_add3_u32 v2, v1, v2, 0x7fff
                                        ; implicit-def: $vgpr1
; %bb.27:
	s_andn2_saveexec_b32 s2, s2
; %bb.28:
	v_mov_b32_e32 v2, 0
	v_or_b32_e32 v3, 0x10000, v1
	v_cmp_eq_u32_sdwa vcc_lo, v1, v2 src0_sel:WORD_0 src1_sel:DWORD
	v_cndmask_b32_e32 v2, v3, v1, vcc_lo
; %bb.29:
	s_or_b32 exec_lo, exec_lo, s2
	v_and_b32_e32 v1, 0xffff0000, v2
	v_add_f32_e32 v7, v7, v1
.LBB607_30:
	s_or_b32 exec_lo, exec_lo, s0
	v_and_b32_e32 v5, 31, v0
	v_cmp_gt_u32_e32 vcc_lo, 32, v0
	v_lshlrev_b32_e32 v1, 2, v5
	s_and_saveexec_b32 s0, vcc_lo
; %bb.31:
	v_mov_b32_e32 v2, 0
	ds_write_b32 v1, v2
; %bb.32:
	s_or_b32 exec_lo, exec_lo, s0
	v_mbcnt_lo_u32_b32 v4, -1, 0
	s_mov_b32 s2, exec_lo
	s_waitcnt lgkmcnt(0)
	s_barrier
	buffer_gl0_inv
	v_lshl_or_b32 v2, v4, 2, 64
	v_cmp_gt_u32_e64 s0, 24, v4
	ds_bpermute_b32 v2, v2, v7
	v_cndmask_b32_e64 v3, 0, 8, s0
	v_cmp_gt_u32_e64 s0, 28, v4
	v_add_lshl_u32 v3, v3, v4, 2
	s_waitcnt lgkmcnt(0)
	v_add_f32_e32 v6, v7, v2
	v_cndmask_b32_e64 v2, 0, 4, s0
	v_cmp_gt_u32_e64 s0, 30, v4
	ds_bpermute_b32 v3, v3, v6
	v_add_lshl_u32 v2, v2, v4, 2
	s_waitcnt lgkmcnt(0)
	v_add_f32_e32 v6, v6, v3
	v_cndmask_b32_e64 v3, 0, 2, s0
	v_cmp_ne_u32_e64 s0, 31, v4
	ds_bpermute_b32 v7, v2, v6
	v_add_lshl_u32 v3, v3, v4, 2
	v_add_co_ci_u32_e64 v4, null, 0, v4, s0
	v_lshlrev_b32_e32 v4, 2, v4
	s_waitcnt lgkmcnt(0)
	v_add_f32_e32 v6, v6, v7
	ds_bpermute_b32 v7, v3, v6
	s_waitcnt lgkmcnt(0)
	v_add_f32_e32 v6, v6, v7
	ds_bpermute_b32 v7, v4, v6
	v_cmpx_eq_u32_e32 0, v5
	s_cbranch_execz .LBB607_34
; %bb.33:
	v_lshrrev_b32_e32 v5, 3, v0
	s_waitcnt lgkmcnt(0)
	v_add_f32_e32 v6, v6, v7
	v_and_b32_e32 v5, 28, v5
	ds_write_b32 v5, v6
.LBB607_34:
	s_or_b32 exec_lo, exec_lo, s2
	v_mov_b32_e32 v5, 0
	s_mov_b32 s2, exec_lo
	s_waitcnt lgkmcnt(0)
	s_barrier
	buffer_gl0_inv
	v_cmpx_gt_u32_e32 8, v0
; %bb.35:
	ds_read_b32 v5, v1
; %bb.36:
	s_or_b32 exec_lo, exec_lo, s2
	s_and_saveexec_b32 s0, vcc_lo
	s_cbranch_execz .LBB607_38
; %bb.37:
	s_waitcnt lgkmcnt(0)
	ds_bpermute_b32 v1, v2, v5
	s_waitcnt lgkmcnt(0)
	v_add_f32_e32 v1, v5, v1
	ds_bpermute_b32 v2, v3, v1
	s_waitcnt lgkmcnt(0)
	v_add_f32_e32 v1, v1, v2
	;; [unrolled: 3-line block ×3, first 2 shown]
.LBB607_38:
	s_or_b32 exec_lo, exec_lo, s0
	s_mov_b32 s0, exec_lo
                                        ; implicit-def: $vgpr1
                                        ; implicit-def: $sgpr2_sgpr3
	v_cmpx_eq_u32_e32 0, v0
	s_cbranch_execz .LBB607_57
; %bb.39:
	v_cmp_eq_f32_e64 s2, s28, 0
	s_waitcnt lgkmcnt(0)
	v_mul_f32_e32 v0, s29, v5
	s_and_b32 vcc_lo, exec_lo, s2
	s_cbranch_vccz .LBB607_45
; %bb.40:
	v_and_b32_e32 v1, 0x7f800000, v0
	v_cmp_ne_u32_e32 vcc_lo, 0x7f800000, v1
                                        ; implicit-def: $vgpr1
	s_and_saveexec_b32 s2, vcc_lo
	s_xor_b32 s2, exec_lo, s2
; %bb.41:
	v_bfe_u32 v1, v0, 16, 1
	v_add3_u32 v1, v0, v1, 0x7fff
; %bb.42:
	s_andn2_saveexec_b32 s2, s2
; %bb.43:
	v_mov_b32_e32 v1, 0
	v_or_b32_e32 v2, 0x10000, v0
	v_cmp_eq_u32_sdwa vcc_lo, v0, v1 src0_sel:WORD_0 src1_sel:DWORD
	v_cndmask_b32_e32 v1, v2, v0, vcc_lo
; %bb.44:
	s_or_b32 exec_lo, exec_lo, s2
	s_mov_b32 s2, 0
	s_branch .LBB607_46
.LBB607_45:
	s_mov_b32 s2, -1
                                        ; implicit-def: $vgpr1
.LBB607_46:
	s_mul_i32 s4, s8, s13
	s_mul_hi_u32 s5, s8, s6
	s_andn2_b32 vcc_lo, exec_lo, s2
	s_mul_i32 s9, s9, s6
	s_mul_i32 s2, s8, s6
	s_cbranch_vccnz .LBB607_56
; %bb.47:
	s_add_i32 s3, s5, s4
	s_add_i32 s3, s3, s9
	s_lshl_b64 s[10:11], s[2:3], 1
	s_add_u32 s10, s1, s10
	s_addc_u32 s11, s7, s11
	v_mov_b32_e32 v1, s10
	v_mov_b32_e32 v2, s11
	flat_load_ushort v1, v[1:2]
	s_waitcnt vmcnt(0) lgkmcnt(0)
	v_lshlrev_b32_e32 v1, 16, v1
	v_mul_f32_e32 v1, s28, v1
	v_and_b32_e32 v2, 0x7f800000, v1
	v_cmp_ne_u32_e32 vcc_lo, 0x7f800000, v2
                                        ; implicit-def: $vgpr2
	s_and_saveexec_b32 s3, vcc_lo
	s_xor_b32 s3, exec_lo, s3
; %bb.48:
	v_bfe_u32 v2, v1, 16, 1
	v_add3_u32 v2, v1, v2, 0x7fff
                                        ; implicit-def: $vgpr1
; %bb.49:
	s_andn2_saveexec_b32 s3, s3
; %bb.50:
	v_mov_b32_e32 v2, 0
	v_or_b32_e32 v3, 0x10000, v1
	v_cmp_eq_u32_sdwa vcc_lo, v1, v2 src0_sel:WORD_0 src1_sel:DWORD
	v_cndmask_b32_e32 v2, v3, v1, vcc_lo
; %bb.51:
	s_or_b32 exec_lo, exec_lo, s3
	v_and_b32_e32 v1, 0xffff0000, v2
	v_add_f32_e32 v0, v0, v1
	v_and_b32_e32 v1, 0x7f800000, v0
	v_cmp_ne_u32_e32 vcc_lo, 0x7f800000, v1
                                        ; implicit-def: $vgpr1
	s_and_saveexec_b32 s3, vcc_lo
	s_xor_b32 s3, exec_lo, s3
; %bb.52:
	v_bfe_u32 v1, v0, 16, 1
	v_add3_u32 v1, v0, v1, 0x7fff
                                        ; implicit-def: $vgpr0
; %bb.53:
	s_andn2_saveexec_b32 s3, s3
; %bb.54:
	v_mov_b32_e32 v1, 0
	v_or_b32_e32 v2, 0x10000, v0
	v_cmp_eq_u32_sdwa vcc_lo, v0, v1 src0_sel:WORD_0 src1_sel:DWORD
	v_cndmask_b32_e32 v1, v2, v0, vcc_lo
; %bb.55:
	s_or_b32 exec_lo, exec_lo, s3
.LBB607_56:
	v_lshrrev_b32_e32 v1, 16, v1
	s_add_i32 s3, s5, s4
	s_or_b32 s12, s12, exec_lo
	s_add_i32 s3, s3, s9
.LBB607_57:
	s_or_b32 exec_lo, exec_lo, s0
.LBB607_58:
	s_and_saveexec_b32 s0, s12
	s_cbranch_execz .LBB607_60
; %bb.59:
	s_lshl_b64 s[2:3], s[2:3], 1
	s_add_u32 s0, s1, s2
	s_addc_u32 s1, s7, s3
	v_mov_b32_e32 v3, s1
	v_mov_b32_e32 v2, s0
	flat_store_short v[2:3], v1
.LBB607_60:
	s_endpgm
	.section	.rodata,"a",@progbits
	.p2align	6, 0x0
	.amdhsa_kernel _ZL32rocblas_gemvt_warp_reduce_kernelILb0ELi256ElPK16rocblas_bfloat16PKfKPS0_EviiT3_lPKT2_lT1_lSA_lSB_lS7_lPT4_lSB_li
		.amdhsa_group_segment_fixed_size 128
		.amdhsa_private_segment_fixed_size 0
		.amdhsa_kernarg_size 140
		.amdhsa_user_sgpr_count 6
		.amdhsa_user_sgpr_private_segment_buffer 1
		.amdhsa_user_sgpr_dispatch_ptr 0
		.amdhsa_user_sgpr_queue_ptr 0
		.amdhsa_user_sgpr_kernarg_segment_ptr 1
		.amdhsa_user_sgpr_dispatch_id 0
		.amdhsa_user_sgpr_flat_scratch_init 0
		.amdhsa_user_sgpr_private_segment_size 0
		.amdhsa_wavefront_size32 1
		.amdhsa_uses_dynamic_stack 0
		.amdhsa_system_sgpr_private_segment_wavefront_offset 0
		.amdhsa_system_sgpr_workgroup_id_x 1
		.amdhsa_system_sgpr_workgroup_id_y 0
		.amdhsa_system_sgpr_workgroup_id_z 1
		.amdhsa_system_sgpr_workgroup_info 0
		.amdhsa_system_vgpr_workitem_id 0
		.amdhsa_next_free_vgpr 12
		.amdhsa_next_free_sgpr 31
		.amdhsa_reserve_vcc 1
		.amdhsa_reserve_flat_scratch 0
		.amdhsa_float_round_mode_32 0
		.amdhsa_float_round_mode_16_64 0
		.amdhsa_float_denorm_mode_32 3
		.amdhsa_float_denorm_mode_16_64 3
		.amdhsa_dx10_clamp 1
		.amdhsa_ieee_mode 1
		.amdhsa_fp16_overflow 0
		.amdhsa_workgroup_processor_mode 1
		.amdhsa_memory_ordered 1
		.amdhsa_forward_progress 1
		.amdhsa_shared_vgpr_count 0
		.amdhsa_exception_fp_ieee_invalid_op 0
		.amdhsa_exception_fp_denorm_src 0
		.amdhsa_exception_fp_ieee_div_zero 0
		.amdhsa_exception_fp_ieee_overflow 0
		.amdhsa_exception_fp_ieee_underflow 0
		.amdhsa_exception_fp_ieee_inexact 0
		.amdhsa_exception_int_div_zero 0
	.end_amdhsa_kernel
	.section	.text._ZL32rocblas_gemvt_warp_reduce_kernelILb0ELi256ElPK16rocblas_bfloat16PKfKPS0_EviiT3_lPKT2_lT1_lSA_lSB_lS7_lPT4_lSB_li,"axG",@progbits,_ZL32rocblas_gemvt_warp_reduce_kernelILb0ELi256ElPK16rocblas_bfloat16PKfKPS0_EviiT3_lPKT2_lT1_lSA_lSB_lS7_lPT4_lSB_li,comdat
.Lfunc_end607:
	.size	_ZL32rocblas_gemvt_warp_reduce_kernelILb0ELi256ElPK16rocblas_bfloat16PKfKPS0_EviiT3_lPKT2_lT1_lSA_lSB_lS7_lPT4_lSB_li, .Lfunc_end607-_ZL32rocblas_gemvt_warp_reduce_kernelILb0ELi256ElPK16rocblas_bfloat16PKfKPS0_EviiT3_lPKT2_lT1_lSA_lSB_lS7_lPT4_lSB_li
                                        ; -- End function
	.set _ZL32rocblas_gemvt_warp_reduce_kernelILb0ELi256ElPK16rocblas_bfloat16PKfKPS0_EviiT3_lPKT2_lT1_lSA_lSB_lS7_lPT4_lSB_li.num_vgpr, 12
	.set _ZL32rocblas_gemvt_warp_reduce_kernelILb0ELi256ElPK16rocblas_bfloat16PKfKPS0_EviiT3_lPKT2_lT1_lSA_lSB_lS7_lPT4_lSB_li.num_agpr, 0
	.set _ZL32rocblas_gemvt_warp_reduce_kernelILb0ELi256ElPK16rocblas_bfloat16PKfKPS0_EviiT3_lPKT2_lT1_lSA_lSB_lS7_lPT4_lSB_li.numbered_sgpr, 31
	.set _ZL32rocblas_gemvt_warp_reduce_kernelILb0ELi256ElPK16rocblas_bfloat16PKfKPS0_EviiT3_lPKT2_lT1_lSA_lSB_lS7_lPT4_lSB_li.num_named_barrier, 0
	.set _ZL32rocblas_gemvt_warp_reduce_kernelILb0ELi256ElPK16rocblas_bfloat16PKfKPS0_EviiT3_lPKT2_lT1_lSA_lSB_lS7_lPT4_lSB_li.private_seg_size, 0
	.set _ZL32rocblas_gemvt_warp_reduce_kernelILb0ELi256ElPK16rocblas_bfloat16PKfKPS0_EviiT3_lPKT2_lT1_lSA_lSB_lS7_lPT4_lSB_li.uses_vcc, 1
	.set _ZL32rocblas_gemvt_warp_reduce_kernelILb0ELi256ElPK16rocblas_bfloat16PKfKPS0_EviiT3_lPKT2_lT1_lSA_lSB_lS7_lPT4_lSB_li.uses_flat_scratch, 0
	.set _ZL32rocblas_gemvt_warp_reduce_kernelILb0ELi256ElPK16rocblas_bfloat16PKfKPS0_EviiT3_lPKT2_lT1_lSA_lSB_lS7_lPT4_lSB_li.has_dyn_sized_stack, 0
	.set _ZL32rocblas_gemvt_warp_reduce_kernelILb0ELi256ElPK16rocblas_bfloat16PKfKPS0_EviiT3_lPKT2_lT1_lSA_lSB_lS7_lPT4_lSB_li.has_recursion, 0
	.set _ZL32rocblas_gemvt_warp_reduce_kernelILb0ELi256ElPK16rocblas_bfloat16PKfKPS0_EviiT3_lPKT2_lT1_lSA_lSB_lS7_lPT4_lSB_li.has_indirect_call, 0
	.section	.AMDGPU.csdata,"",@progbits
; Kernel info:
; codeLenInByte = 2056
; TotalNumSgprs: 33
; NumVgprs: 12
; ScratchSize: 0
; MemoryBound: 0
; FloatMode: 240
; IeeeMode: 1
; LDSByteSize: 128 bytes/workgroup (compile time only)
; SGPRBlocks: 0
; VGPRBlocks: 1
; NumSGPRsForWavesPerEU: 33
; NumVGPRsForWavesPerEU: 12
; Occupancy: 16
; WaveLimiterHint : 1
; COMPUTE_PGM_RSRC2:SCRATCH_EN: 0
; COMPUTE_PGM_RSRC2:USER_SGPR: 6
; COMPUTE_PGM_RSRC2:TRAP_HANDLER: 0
; COMPUTE_PGM_RSRC2:TGID_X_EN: 1
; COMPUTE_PGM_RSRC2:TGID_Y_EN: 0
; COMPUTE_PGM_RSRC2:TGID_Z_EN: 1
; COMPUTE_PGM_RSRC2:TIDIG_COMP_CNT: 0
	.section	.text._ZL32rocblas_gemvt_warp_reduce_kernelILb0ELi256EiPK16rocblas_bfloat16fKPS0_EviiT3_lPKT2_lT1_lS8_lS9_lS5_lPT4_lS9_li,"axG",@progbits,_ZL32rocblas_gemvt_warp_reduce_kernelILb0ELi256EiPK16rocblas_bfloat16fKPS0_EviiT3_lPKT2_lT1_lS8_lS9_lS5_lPT4_lS9_li,comdat
	.globl	_ZL32rocblas_gemvt_warp_reduce_kernelILb0ELi256EiPK16rocblas_bfloat16fKPS0_EviiT3_lPKT2_lT1_lS8_lS9_lS5_lPT4_lS9_li ; -- Begin function _ZL32rocblas_gemvt_warp_reduce_kernelILb0ELi256EiPK16rocblas_bfloat16fKPS0_EviiT3_lPKT2_lT1_lS8_lS9_lS5_lPT4_lS9_li
	.p2align	8
	.type	_ZL32rocblas_gemvt_warp_reduce_kernelILb0ELi256EiPK16rocblas_bfloat16fKPS0_EviiT3_lPKT2_lT1_lS8_lS9_lS5_lPT4_lS9_li,@function
_ZL32rocblas_gemvt_warp_reduce_kernelILb0ELi256EiPK16rocblas_bfloat16fKPS0_EviiT3_lPKT2_lT1_lS8_lS9_lS5_lPT4_lS9_li: ; @_ZL32rocblas_gemvt_warp_reduce_kernelILb0ELi256EiPK16rocblas_bfloat16fKPS0_EviiT3_lPKT2_lT1_lS8_lS9_lS5_lPT4_lS9_li
; %bb.0:
	s_clause 0x1
	s_load_dword s13, s[4:5], 0x8
	s_load_dword s12, s[4:5], 0x58
	s_mov_b32 s9, 0
	s_waitcnt lgkmcnt(0)
	v_cmp_eq_f32_e64 s14, s13, 0
	v_cmp_eq_f32_e64 s0, s12, 1.0
	s_and_b32 s0, s14, s0
	s_and_b32 vcc_lo, exec_lo, s0
	s_cbranch_vccnz .LBB608_61
; %bb.1:
	s_mov_b32 s8, s7
	v_cmp_neq_f32_e64 s7, s13, 0
	s_and_b32 vcc_lo, exec_lo, s7
	s_cbranch_vccnz .LBB608_3
; %bb.2:
	s_mov_b32 s1, 0
	s_mov_b32 s0, s8
	;; [unrolled: 1-line block ×3, first 2 shown]
	s_mov_b64 s[2:3], 0
	s_andn2_b32 vcc_lo, exec_lo, s10
	s_mov_b64 s[10:11], 0
	s_cbranch_vccz .LBB608_4
	s_branch .LBB608_5
.LBB608_3:
	s_mov_b64 s[0:1], s[8:9]
	s_mov_b64 s[2:3], 0
	;; [unrolled: 1-line block ×3, first 2 shown]
.LBB608_4:
	s_load_dwordx4 s[16:19], s[4:5], 0x18
	s_lshl_b64 s[8:9], s[8:9], 3
	s_waitcnt lgkmcnt(0)
	s_add_u32 s8, s16, s8
	s_addc_u32 s9, s17, s9
	s_lshl_b64 s[10:11], s[18:19], 1
	s_load_dwordx2 s[8:9], s[8:9], 0x0
	s_waitcnt lgkmcnt(0)
	s_add_u32 s10, s8, s10
	s_addc_u32 s11, s9, s11
.LBB608_5:
	s_andn2_b32 vcc_lo, exec_lo, s7
	s_cbranch_vccnz .LBB608_7
; %bb.6:
	s_load_dwordx4 s[16:19], s[4:5], 0x38
	s_lshl_b64 s[2:3], s[0:1], 3
	s_waitcnt lgkmcnt(0)
	s_add_u32 s2, s16, s2
	s_addc_u32 s3, s17, s3
	s_lshl_b64 s[8:9], s[18:19], 1
	s_load_dwordx2 s[2:3], s[2:3], 0x0
	s_waitcnt lgkmcnt(0)
	s_add_u32 s2, s2, s8
	s_addc_u32 s3, s3, s9
.LBB608_7:
	s_clause 0x1
	s_load_dwordx4 s[16:19], s[4:5], 0x68
	s_load_dword s15, s[4:5], 0x78
	s_lshl_b64 s[0:1], s[0:1], 3
	s_waitcnt lgkmcnt(0)
	s_add_u32 s0, s16, s0
	s_addc_u32 s1, s17, s1
	s_lshl_b64 s[16:17], s[18:19], 1
	s_load_dwordx2 s[8:9], s[0:1], 0x0
	v_cmp_eq_u32_e64 s0, 0, v0
	s_waitcnt lgkmcnt(0)
	s_add_u32 s1, s8, s16
	s_addc_u32 s7, s9, s17
	s_andn2_b32 vcc_lo, exec_lo, s14
	s_cbranch_vccnz .LBB608_15
; %bb.8:
	s_mov_b32 s16, 0
	s_mov_b32 s14, 0
                                        ; implicit-def: $vgpr1
                                        ; implicit-def: $sgpr8_sgpr9
	s_and_saveexec_b32 s17, s0
	s_cbranch_execz .LBB608_16
; %bb.9:
	v_cmp_eq_f32_e64 s0, s12, 0
	s_mul_i32 s8, s15, s6
	s_ashr_i32 s9, s8, 31
	s_and_b32 vcc_lo, exec_lo, s0
	s_cbranch_vccnz .LBB608_17
; %bb.10:
	s_lshl_b64 s[18:19], s[8:9], 1
	s_add_u32 s18, s1, s18
	s_addc_u32 s19, s7, s19
	v_mov_b32_e32 v1, s18
	v_mov_b32_e32 v2, s19
	flat_load_ushort v1, v[1:2]
	s_waitcnt vmcnt(0) lgkmcnt(0)
	v_lshlrev_b32_e32 v1, 16, v1
	v_mul_f32_e32 v1, s12, v1
	v_and_b32_e32 v2, 0x7f800000, v1
	v_cmp_ne_u32_e32 vcc_lo, 0x7f800000, v2
                                        ; implicit-def: $vgpr2
	s_and_saveexec_b32 s0, vcc_lo
	s_xor_b32 s0, exec_lo, s0
; %bb.11:
	v_bfe_u32 v2, v1, 16, 1
	v_add3_u32 v2, v1, v2, 0x7fff
                                        ; implicit-def: $vgpr1
; %bb.12:
	s_andn2_saveexec_b32 s0, s0
; %bb.13:
	v_mov_b32_e32 v2, 0
	v_or_b32_e32 v3, 0x10000, v1
	v_cmp_eq_u32_sdwa vcc_lo, v1, v2 src0_sel:WORD_0 src1_sel:DWORD
	v_cndmask_b32_e32 v2, v3, v1, vcc_lo
; %bb.14:
	s_or_b32 exec_lo, exec_lo, s0
	v_lshrrev_b32_e32 v1, 16, v2
	s_mov_b32 s14, exec_lo
	s_or_b32 exec_lo, exec_lo, s17
	s_and_b32 vcc_lo, exec_lo, s16
	s_cbranch_vccnz .LBB608_18
	s_branch .LBB608_59
.LBB608_15:
	s_mov_b32 s14, 0
                                        ; implicit-def: $vgpr1
                                        ; implicit-def: $sgpr8_sgpr9
	s_cbranch_execnz .LBB608_18
	s_branch .LBB608_59
.LBB608_16:
	s_or_b32 exec_lo, exec_lo, s17
	s_and_b32 vcc_lo, exec_lo, s16
	s_cbranch_vccnz .LBB608_18
	s_branch .LBB608_59
.LBB608_17:
	v_mov_b32_e32 v1, 0
	s_mov_b32 s14, exec_lo
	s_or_b32 exec_lo, exec_lo, s17
	s_and_b32 vcc_lo, exec_lo, s16
	s_cbranch_vccz .LBB608_59
.LBB608_18:
	s_clause 0x2
	s_load_dword s8, s[4:5], 0x0
	s_load_dword s0, s[4:5], 0x28
	;; [unrolled: 1-line block ×3, first 2 shown]
	v_mov_b32_e32 v7, 0
	s_mov_b32 s9, exec_lo
	s_waitcnt lgkmcnt(0)
	v_cmp_gt_i32_e32 vcc_lo, s8, v0
	s_mul_i32 s16, s0, s6
	s_ashr_i32 s0, s8, 31
	s_ashr_i32 s17, s16, 31
	s_lshr_b32 s0, s0, 24
	v_cndmask_b32_e32 v1, 0, v0, vcc_lo
	s_lshl_b64 s[16:17], s[16:17], 1
	s_add_i32 s0, s8, s0
	v_lshlrev_b32_e32 v1, 1, v1
	v_add_co_u32 v1, s4, s10, v1
	v_add_co_ci_u32_e64 v2, null, s11, 0, s4
	s_and_b32 s4, s0, 0xffffff00
	v_add_co_u32 v1, vcc_lo, v1, s16
	v_add_co_ci_u32_e64 v2, null, s17, v2, vcc_lo
	s_mov_b32 s10, 0
	v_cmpx_gt_i32_e64 s4, v0
	s_cbranch_execz .LBB608_26
; %bb.19:
	v_mul_lo_u32 v3, v0, s5
	v_mov_b32_e32 v6, v2
	v_mov_b32_e32 v8, 0
	;; [unrolled: 1-line block ×5, first 2 shown]
	s_lshl_b32 s11, s5, 8
	s_branch .LBB608_21
.LBB608_20:                             ;   in Loop: Header=BB608_21 Depth=1
	s_or_b32 exec_lo, exec_lo, s0
	v_add_nc_u32_e32 v9, 0x100, v9
	v_and_b32_e32 v4, 0xffff0000, v10
	v_add_co_u32 v5, s0, 0x200, v5
	v_add_co_ci_u32_e64 v6, null, 0, v6, s0
	v_cmp_le_i32_e32 vcc_lo, s4, v9
	v_add_f32_e32 v7, v7, v4
	v_add_nc_u32_e32 v3, s11, v3
	s_or_b32 s10, vcc_lo, s10
	s_andn2_b32 exec_lo, exec_lo, s10
	s_cbranch_execz .LBB608_25
.LBB608_21:                             ; =>This Inner Loop Header: Depth=1
	v_ashrrev_i32_e32 v4, 31, v3
	v_lshlrev_b64 v[10:11], 1, v[3:4]
	v_add_co_u32 v10, vcc_lo, s2, v10
	v_add_co_ci_u32_e64 v11, null, s3, v11, vcc_lo
	flat_load_ushort v4, v[5:6]
	flat_load_ushort v10, v[10:11]
	s_waitcnt vmcnt(1) lgkmcnt(1)
	v_lshlrev_b32_e32 v4, 16, v4
	s_waitcnt vmcnt(0) lgkmcnt(0)
	v_lshlrev_b32_e32 v10, 16, v10
	v_mul_f32_e32 v4, v4, v10
	v_and_b32_e32 v10, 0x7f800000, v4
	v_cmp_ne_u32_e32 vcc_lo, 0x7f800000, v10
                                        ; implicit-def: $vgpr10
	s_and_saveexec_b32 s0, vcc_lo
	s_xor_b32 s0, exec_lo, s0
; %bb.22:                               ;   in Loop: Header=BB608_21 Depth=1
	v_bfe_u32 v10, v4, 16, 1
	v_add3_u32 v10, v4, v10, 0x7fff
                                        ; implicit-def: $vgpr4
; %bb.23:                               ;   in Loop: Header=BB608_21 Depth=1
	s_andn2_saveexec_b32 s0, s0
	s_cbranch_execz .LBB608_20
; %bb.24:                               ;   in Loop: Header=BB608_21 Depth=1
	v_or_b32_e32 v10, 0x10000, v4
	v_cmp_eq_u32_sdwa vcc_lo, v4, v8 src0_sel:WORD_0 src1_sel:DWORD
	v_cndmask_b32_e32 v10, v10, v4, vcc_lo
	s_branch .LBB608_20
.LBB608_25:
	s_or_b32 exec_lo, exec_lo, s10
.LBB608_26:
	s_or_b32 exec_lo, exec_lo, s9
	v_add_nc_u32_e32 v3, s4, v0
	s_mov_b32 s0, exec_lo
	v_cmpx_gt_i32_e64 s8, v3
	s_cbranch_execz .LBB608_32
; %bb.27:
	v_mul_lo_u32 v3, s5, v3
	s_ashr_i32 s5, s4, 31
	s_lshl_b64 s[4:5], s[4:5], 1
	v_ashrrev_i32_e32 v4, 31, v3
	v_lshlrev_b64 v[3:4], 1, v[3:4]
	v_add_co_u32 v3, vcc_lo, s2, v3
	v_add_co_ci_u32_e64 v4, null, s3, v4, vcc_lo
	v_add_co_u32 v1, vcc_lo, v1, s4
	v_add_co_ci_u32_e64 v2, null, s5, v2, vcc_lo
	flat_load_ushort v3, v[3:4]
	flat_load_ushort v1, v[1:2]
	s_waitcnt vmcnt(1) lgkmcnt(1)
	v_lshlrev_b32_e32 v2, 16, v3
	s_waitcnt vmcnt(0) lgkmcnt(0)
	v_lshlrev_b32_e32 v1, 16, v1
	v_mul_f32_e32 v1, v1, v2
	v_and_b32_e32 v2, 0x7f800000, v1
	v_cmp_ne_u32_e32 vcc_lo, 0x7f800000, v2
                                        ; implicit-def: $vgpr2
	s_and_saveexec_b32 s2, vcc_lo
	s_xor_b32 s2, exec_lo, s2
; %bb.28:
	v_bfe_u32 v2, v1, 16, 1
	v_add3_u32 v2, v1, v2, 0x7fff
                                        ; implicit-def: $vgpr1
; %bb.29:
	s_andn2_saveexec_b32 s2, s2
; %bb.30:
	v_mov_b32_e32 v2, 0
	v_or_b32_e32 v3, 0x10000, v1
	v_cmp_eq_u32_sdwa vcc_lo, v1, v2 src0_sel:WORD_0 src1_sel:DWORD
	v_cndmask_b32_e32 v2, v3, v1, vcc_lo
; %bb.31:
	s_or_b32 exec_lo, exec_lo, s2
	v_and_b32_e32 v1, 0xffff0000, v2
	v_add_f32_e32 v7, v7, v1
.LBB608_32:
	s_or_b32 exec_lo, exec_lo, s0
	v_and_b32_e32 v5, 31, v0
	v_cmp_gt_u32_e32 vcc_lo, 32, v0
	v_lshlrev_b32_e32 v1, 2, v5
	s_and_saveexec_b32 s0, vcc_lo
; %bb.33:
	v_mov_b32_e32 v2, 0
	ds_write_b32 v1, v2
; %bb.34:
	s_or_b32 exec_lo, exec_lo, s0
	v_mbcnt_lo_u32_b32 v4, -1, 0
	s_mov_b32 s2, exec_lo
	s_waitcnt lgkmcnt(0)
	s_barrier
	buffer_gl0_inv
	v_lshl_or_b32 v2, v4, 2, 64
	v_cmp_gt_u32_e64 s0, 24, v4
	ds_bpermute_b32 v2, v2, v7
	v_cndmask_b32_e64 v3, 0, 8, s0
	v_cmp_gt_u32_e64 s0, 28, v4
	v_add_lshl_u32 v3, v3, v4, 2
	s_waitcnt lgkmcnt(0)
	v_add_f32_e32 v6, v7, v2
	v_cndmask_b32_e64 v2, 0, 4, s0
	v_cmp_gt_u32_e64 s0, 30, v4
	ds_bpermute_b32 v3, v3, v6
	v_add_lshl_u32 v2, v2, v4, 2
	s_waitcnt lgkmcnt(0)
	v_add_f32_e32 v6, v6, v3
	v_cndmask_b32_e64 v3, 0, 2, s0
	v_cmp_ne_u32_e64 s0, 31, v4
	ds_bpermute_b32 v7, v2, v6
	v_add_lshl_u32 v3, v3, v4, 2
	v_add_co_ci_u32_e64 v4, null, 0, v4, s0
	v_lshlrev_b32_e32 v4, 2, v4
	s_waitcnt lgkmcnt(0)
	v_add_f32_e32 v6, v6, v7
	ds_bpermute_b32 v7, v3, v6
	s_waitcnt lgkmcnt(0)
	v_add_f32_e32 v6, v6, v7
	ds_bpermute_b32 v7, v4, v6
	v_cmpx_eq_u32_e32 0, v5
	s_cbranch_execz .LBB608_36
; %bb.35:
	v_lshrrev_b32_e32 v5, 3, v0
	s_waitcnt lgkmcnt(0)
	v_add_f32_e32 v6, v6, v7
	v_and_b32_e32 v5, 28, v5
	ds_write_b32 v5, v6
.LBB608_36:
	s_or_b32 exec_lo, exec_lo, s2
	v_mov_b32_e32 v5, 0
	s_mov_b32 s2, exec_lo
	s_waitcnt lgkmcnt(0)
	s_barrier
	buffer_gl0_inv
	v_cmpx_gt_u32_e32 8, v0
; %bb.37:
	ds_read_b32 v5, v1
; %bb.38:
	s_or_b32 exec_lo, exec_lo, s2
	s_and_saveexec_b32 s0, vcc_lo
	s_cbranch_execz .LBB608_40
; %bb.39:
	s_waitcnt lgkmcnt(0)
	ds_bpermute_b32 v1, v2, v5
	s_waitcnt lgkmcnt(0)
	v_add_f32_e32 v1, v5, v1
	ds_bpermute_b32 v2, v3, v1
	s_waitcnt lgkmcnt(0)
	v_add_f32_e32 v1, v1, v2
	;; [unrolled: 3-line block ×3, first 2 shown]
.LBB608_40:
	s_or_b32 exec_lo, exec_lo, s0
	s_mov_b32 s0, exec_lo
                                        ; implicit-def: $vgpr1
                                        ; implicit-def: $sgpr8_sgpr9
	v_cmpx_eq_u32_e32 0, v0
	s_cbranch_execz .LBB608_58
; %bb.41:
	v_cmp_eq_f32_e64 s2, s12, 0
	s_waitcnt lgkmcnt(0)
	v_mul_f32_e32 v0, s13, v5
	s_and_b32 vcc_lo, exec_lo, s2
	s_cbranch_vccz .LBB608_47
; %bb.42:
	v_and_b32_e32 v1, 0x7f800000, v0
	v_cmp_ne_u32_e32 vcc_lo, 0x7f800000, v1
                                        ; implicit-def: $vgpr1
	s_and_saveexec_b32 s2, vcc_lo
	s_xor_b32 s2, exec_lo, s2
; %bb.43:
	v_bfe_u32 v1, v0, 16, 1
	v_add3_u32 v1, v0, v1, 0x7fff
; %bb.44:
	s_andn2_saveexec_b32 s2, s2
; %bb.45:
	v_mov_b32_e32 v1, 0
	v_or_b32_e32 v2, 0x10000, v0
	v_cmp_eq_u32_sdwa vcc_lo, v0, v1 src0_sel:WORD_0 src1_sel:DWORD
	v_cndmask_b32_e32 v1, v2, v0, vcc_lo
; %bb.46:
	s_or_b32 exec_lo, exec_lo, s2
	s_mul_i32 s8, s15, s6
	s_cbranch_execz .LBB608_48
	s_branch .LBB608_57
.LBB608_47:
                                        ; implicit-def: $vgpr1
	s_mul_i32 s8, s15, s6
.LBB608_48:
	s_ashr_i32 s9, s8, 31
	s_lshl_b64 s[2:3], s[8:9], 1
	s_add_u32 s2, s1, s2
	s_addc_u32 s3, s7, s3
	v_mov_b32_e32 v1, s2
	v_mov_b32_e32 v2, s3
	flat_load_ushort v1, v[1:2]
	s_waitcnt vmcnt(0) lgkmcnt(0)
	v_lshlrev_b32_e32 v1, 16, v1
	v_mul_f32_e32 v1, s12, v1
	v_and_b32_e32 v2, 0x7f800000, v1
	v_cmp_ne_u32_e32 vcc_lo, 0x7f800000, v2
                                        ; implicit-def: $vgpr2
	s_and_saveexec_b32 s2, vcc_lo
	s_xor_b32 s2, exec_lo, s2
; %bb.49:
	v_bfe_u32 v2, v1, 16, 1
	v_add3_u32 v2, v1, v2, 0x7fff
                                        ; implicit-def: $vgpr1
; %bb.50:
	s_andn2_saveexec_b32 s2, s2
; %bb.51:
	v_mov_b32_e32 v2, 0
	v_or_b32_e32 v3, 0x10000, v1
	v_cmp_eq_u32_sdwa vcc_lo, v1, v2 src0_sel:WORD_0 src1_sel:DWORD
	v_cndmask_b32_e32 v2, v3, v1, vcc_lo
; %bb.52:
	s_or_b32 exec_lo, exec_lo, s2
	v_and_b32_e32 v1, 0xffff0000, v2
	v_add_f32_e32 v0, v0, v1
	v_and_b32_e32 v1, 0x7f800000, v0
	v_cmp_ne_u32_e32 vcc_lo, 0x7f800000, v1
                                        ; implicit-def: $vgpr1
	s_and_saveexec_b32 s2, vcc_lo
	s_xor_b32 s2, exec_lo, s2
; %bb.53:
	v_bfe_u32 v1, v0, 16, 1
	v_add3_u32 v1, v0, v1, 0x7fff
                                        ; implicit-def: $vgpr0
; %bb.54:
	s_andn2_saveexec_b32 s2, s2
; %bb.55:
	v_mov_b32_e32 v1, 0
	v_or_b32_e32 v2, 0x10000, v0
	v_cmp_eq_u32_sdwa vcc_lo, v0, v1 src0_sel:WORD_0 src1_sel:DWORD
	v_cndmask_b32_e32 v1, v2, v0, vcc_lo
; %bb.56:
	s_or_b32 exec_lo, exec_lo, s2
.LBB608_57:
	v_lshrrev_b32_e32 v1, 16, v1
	s_ashr_i32 s9, s8, 31
	s_or_b32 s14, s14, exec_lo
.LBB608_58:
	s_or_b32 exec_lo, exec_lo, s0
.LBB608_59:
	s_and_saveexec_b32 s0, s14
	s_cbranch_execz .LBB608_61
; %bb.60:
	s_lshl_b64 s[2:3], s[8:9], 1
	s_add_u32 s0, s1, s2
	s_addc_u32 s1, s7, s3
	v_mov_b32_e32 v3, s1
	v_mov_b32_e32 v2, s0
	flat_store_short v[2:3], v1
.LBB608_61:
	s_endpgm
	.section	.rodata,"a",@progbits
	.p2align	6, 0x0
	.amdhsa_kernel _ZL32rocblas_gemvt_warp_reduce_kernelILb0ELi256EiPK16rocblas_bfloat16fKPS0_EviiT3_lPKT2_lT1_lS8_lS9_lS5_lPT4_lS9_li
		.amdhsa_group_segment_fixed_size 128
		.amdhsa_private_segment_fixed_size 0
		.amdhsa_kernarg_size 140
		.amdhsa_user_sgpr_count 6
		.amdhsa_user_sgpr_private_segment_buffer 1
		.amdhsa_user_sgpr_dispatch_ptr 0
		.amdhsa_user_sgpr_queue_ptr 0
		.amdhsa_user_sgpr_kernarg_segment_ptr 1
		.amdhsa_user_sgpr_dispatch_id 0
		.amdhsa_user_sgpr_flat_scratch_init 0
		.amdhsa_user_sgpr_private_segment_size 0
		.amdhsa_wavefront_size32 1
		.amdhsa_uses_dynamic_stack 0
		.amdhsa_system_sgpr_private_segment_wavefront_offset 0
		.amdhsa_system_sgpr_workgroup_id_x 1
		.amdhsa_system_sgpr_workgroup_id_y 0
		.amdhsa_system_sgpr_workgroup_id_z 1
		.amdhsa_system_sgpr_workgroup_info 0
		.amdhsa_system_vgpr_workitem_id 0
		.amdhsa_next_free_vgpr 12
		.amdhsa_next_free_sgpr 20
		.amdhsa_reserve_vcc 1
		.amdhsa_reserve_flat_scratch 0
		.amdhsa_float_round_mode_32 0
		.amdhsa_float_round_mode_16_64 0
		.amdhsa_float_denorm_mode_32 3
		.amdhsa_float_denorm_mode_16_64 3
		.amdhsa_dx10_clamp 1
		.amdhsa_ieee_mode 1
		.amdhsa_fp16_overflow 0
		.amdhsa_workgroup_processor_mode 1
		.amdhsa_memory_ordered 1
		.amdhsa_forward_progress 1
		.amdhsa_shared_vgpr_count 0
		.amdhsa_exception_fp_ieee_invalid_op 0
		.amdhsa_exception_fp_denorm_src 0
		.amdhsa_exception_fp_ieee_div_zero 0
		.amdhsa_exception_fp_ieee_overflow 0
		.amdhsa_exception_fp_ieee_underflow 0
		.amdhsa_exception_fp_ieee_inexact 0
		.amdhsa_exception_int_div_zero 0
	.end_amdhsa_kernel
	.section	.text._ZL32rocblas_gemvt_warp_reduce_kernelILb0ELi256EiPK16rocblas_bfloat16fKPS0_EviiT3_lPKT2_lT1_lS8_lS9_lS5_lPT4_lS9_li,"axG",@progbits,_ZL32rocblas_gemvt_warp_reduce_kernelILb0ELi256EiPK16rocblas_bfloat16fKPS0_EviiT3_lPKT2_lT1_lS8_lS9_lS5_lPT4_lS9_li,comdat
.Lfunc_end608:
	.size	_ZL32rocblas_gemvt_warp_reduce_kernelILb0ELi256EiPK16rocblas_bfloat16fKPS0_EviiT3_lPKT2_lT1_lS8_lS9_lS5_lPT4_lS9_li, .Lfunc_end608-_ZL32rocblas_gemvt_warp_reduce_kernelILb0ELi256EiPK16rocblas_bfloat16fKPS0_EviiT3_lPKT2_lT1_lS8_lS9_lS5_lPT4_lS9_li
                                        ; -- End function
	.set _ZL32rocblas_gemvt_warp_reduce_kernelILb0ELi256EiPK16rocblas_bfloat16fKPS0_EviiT3_lPKT2_lT1_lS8_lS9_lS5_lPT4_lS9_li.num_vgpr, 12
	.set _ZL32rocblas_gemvt_warp_reduce_kernelILb0ELi256EiPK16rocblas_bfloat16fKPS0_EviiT3_lPKT2_lT1_lS8_lS9_lS5_lPT4_lS9_li.num_agpr, 0
	.set _ZL32rocblas_gemvt_warp_reduce_kernelILb0ELi256EiPK16rocblas_bfloat16fKPS0_EviiT3_lPKT2_lT1_lS8_lS9_lS5_lPT4_lS9_li.numbered_sgpr, 20
	.set _ZL32rocblas_gemvt_warp_reduce_kernelILb0ELi256EiPK16rocblas_bfloat16fKPS0_EviiT3_lPKT2_lT1_lS8_lS9_lS5_lPT4_lS9_li.num_named_barrier, 0
	.set _ZL32rocblas_gemvt_warp_reduce_kernelILb0ELi256EiPK16rocblas_bfloat16fKPS0_EviiT3_lPKT2_lT1_lS8_lS9_lS5_lPT4_lS9_li.private_seg_size, 0
	.set _ZL32rocblas_gemvt_warp_reduce_kernelILb0ELi256EiPK16rocblas_bfloat16fKPS0_EviiT3_lPKT2_lT1_lS8_lS9_lS5_lPT4_lS9_li.uses_vcc, 1
	.set _ZL32rocblas_gemvt_warp_reduce_kernelILb0ELi256EiPK16rocblas_bfloat16fKPS0_EviiT3_lPKT2_lT1_lS8_lS9_lS5_lPT4_lS9_li.uses_flat_scratch, 0
	.set _ZL32rocblas_gemvt_warp_reduce_kernelILb0ELi256EiPK16rocblas_bfloat16fKPS0_EviiT3_lPKT2_lT1_lS8_lS9_lS5_lPT4_lS9_li.has_dyn_sized_stack, 0
	.set _ZL32rocblas_gemvt_warp_reduce_kernelILb0ELi256EiPK16rocblas_bfloat16fKPS0_EviiT3_lPKT2_lT1_lS8_lS9_lS5_lPT4_lS9_li.has_recursion, 0
	.set _ZL32rocblas_gemvt_warp_reduce_kernelILb0ELi256EiPK16rocblas_bfloat16fKPS0_EviiT3_lPKT2_lT1_lS8_lS9_lS5_lPT4_lS9_li.has_indirect_call, 0
	.section	.AMDGPU.csdata,"",@progbits
; Kernel info:
; codeLenInByte = 1880
; TotalNumSgprs: 22
; NumVgprs: 12
; ScratchSize: 0
; MemoryBound: 0
; FloatMode: 240
; IeeeMode: 1
; LDSByteSize: 128 bytes/workgroup (compile time only)
; SGPRBlocks: 0
; VGPRBlocks: 1
; NumSGPRsForWavesPerEU: 22
; NumVGPRsForWavesPerEU: 12
; Occupancy: 16
; WaveLimiterHint : 1
; COMPUTE_PGM_RSRC2:SCRATCH_EN: 0
; COMPUTE_PGM_RSRC2:USER_SGPR: 6
; COMPUTE_PGM_RSRC2:TRAP_HANDLER: 0
; COMPUTE_PGM_RSRC2:TGID_X_EN: 1
; COMPUTE_PGM_RSRC2:TGID_Y_EN: 0
; COMPUTE_PGM_RSRC2:TGID_Z_EN: 1
; COMPUTE_PGM_RSRC2:TIDIG_COMP_CNT: 0
	.section	.text._ZL32rocblas_gemvt_warp_reduce_kernelILb0ELi256ElPK16rocblas_bfloat16fKPS0_EviiT3_lPKT2_lT1_lS8_lS9_lS5_lPT4_lS9_li,"axG",@progbits,_ZL32rocblas_gemvt_warp_reduce_kernelILb0ELi256ElPK16rocblas_bfloat16fKPS0_EviiT3_lPKT2_lT1_lS8_lS9_lS5_lPT4_lS9_li,comdat
	.globl	_ZL32rocblas_gemvt_warp_reduce_kernelILb0ELi256ElPK16rocblas_bfloat16fKPS0_EviiT3_lPKT2_lT1_lS8_lS9_lS5_lPT4_lS9_li ; -- Begin function _ZL32rocblas_gemvt_warp_reduce_kernelILb0ELi256ElPK16rocblas_bfloat16fKPS0_EviiT3_lPKT2_lT1_lS8_lS9_lS5_lPT4_lS9_li
	.p2align	8
	.type	_ZL32rocblas_gemvt_warp_reduce_kernelILb0ELi256ElPK16rocblas_bfloat16fKPS0_EviiT3_lPKT2_lT1_lS8_lS9_lS5_lPT4_lS9_li,@function
_ZL32rocblas_gemvt_warp_reduce_kernelILb0ELi256ElPK16rocblas_bfloat16fKPS0_EviiT3_lPKT2_lT1_lS8_lS9_lS5_lPT4_lS9_li: ; @_ZL32rocblas_gemvt_warp_reduce_kernelILb0ELi256ElPK16rocblas_bfloat16fKPS0_EviiT3_lPKT2_lT1_lS8_lS9_lS5_lPT4_lS9_li
; %bb.0:
	s_clause 0x1
	s_load_dword s19, s[4:5], 0x8
	s_load_dword s18, s[4:5], 0x58
	s_mov_b32 s11, 0
	s_waitcnt lgkmcnt(0)
	v_cmp_eq_f32_e64 s20, s19, 0
	v_cmp_eq_f32_e64 s0, s18, 1.0
	s_and_b32 s0, s20, s0
	s_and_b32 vcc_lo, exec_lo, s0
	s_cbranch_vccnz .LBB609_62
; %bb.1:
	s_clause 0x1
	s_load_dwordx4 s[0:3], s[4:5], 0x18
	s_load_dwordx2 s[14:15], s[4:5], 0x28
	s_mov_b32 s10, s7
	v_cmp_neq_f32_e64 s7, s19, 0
	s_and_b32 vcc_lo, exec_lo, s7
	s_cbranch_vccnz .LBB609_3
; %bb.2:
	s_mov_b32 s13, 0
	s_mov_b32 s12, s10
	;; [unrolled: 1-line block ×3, first 2 shown]
	s_mov_b64 s[8:9], 0
	s_andn2_b32 vcc_lo, exec_lo, s16
	s_mov_b64 s[16:17], 0
	s_cbranch_vccz .LBB609_4
	s_branch .LBB609_5
.LBB609_3:
	s_mov_b64 s[12:13], s[10:11]
	s_mov_b64 s[8:9], 0
	;; [unrolled: 1-line block ×3, first 2 shown]
.LBB609_4:
	s_lshl_b64 s[10:11], s[10:11], 3
	s_waitcnt lgkmcnt(0)
	s_add_u32 s0, s0, s10
	s_addc_u32 s1, s1, s11
	s_lshl_b64 s[2:3], s[2:3], 1
	s_load_dwordx2 s[0:1], s[0:1], 0x0
	s_waitcnt lgkmcnt(0)
	s_add_u32 s16, s0, s2
	s_addc_u32 s17, s1, s3
.LBB609_5:
	s_waitcnt lgkmcnt(0)
	s_clause 0x1
	s_load_dwordx4 s[0:3], s[4:5], 0x38
	s_load_dwordx2 s[10:11], s[4:5], 0x48
	s_andn2_b32 vcc_lo, exec_lo, s7
	s_cbranch_vccnz .LBB609_7
; %bb.6:
	s_lshl_b64 s[8:9], s[12:13], 3
	s_waitcnt lgkmcnt(0)
	s_add_u32 s0, s0, s8
	s_addc_u32 s1, s1, s9
	s_lshl_b64 s[2:3], s[2:3], 1
	s_load_dwordx2 s[0:1], s[0:1], 0x0
	s_waitcnt lgkmcnt(0)
	s_add_u32 s8, s0, s2
	s_addc_u32 s9, s1, s3
.LBB609_7:
	s_load_dwordx4 s[24:27], s[4:5], 0x68
	s_waitcnt lgkmcnt(0)
	s_load_dwordx2 s[2:3], s[4:5], 0x78
	s_lshl_b64 s[0:1], s[12:13], 3
	s_add_u32 s0, s24, s0
	s_addc_u32 s1, s25, s1
	s_lshl_b64 s[22:23], s[26:27], 1
	s_load_dwordx2 s[12:13], s[0:1], 0x0
	v_cmp_eq_u32_e64 s0, 0, v0
	s_waitcnt lgkmcnt(0)
	s_add_u32 s1, s12, s22
	s_addc_u32 s7, s13, s23
	s_andn2_b32 vcc_lo, exec_lo, s20
	s_cbranch_vccnz .LBB609_15
; %bb.8:
	s_mov_b32 s21, 0
	s_mov_b32 s20, 0
                                        ; implicit-def: $vgpr1
                                        ; implicit-def: $sgpr12_sgpr13
	s_and_saveexec_b32 s22, s0
	s_cbranch_execz .LBB609_16
; %bb.9:
	s_ashr_i32 s12, s6, 31
	v_cmp_eq_f32_e64 s0, s18, 0
	s_mul_hi_u32 s13, s2, s6
	s_mul_i32 s12, s2, s12
	s_mul_i32 s20, s3, s6
	s_add_i32 s12, s13, s12
	s_and_b32 vcc_lo, exec_lo, s0
	s_add_i32 s13, s12, s20
	s_mul_i32 s12, s2, s6
	s_cbranch_vccnz .LBB609_17
; %bb.10:
	s_lshl_b64 s[24:25], s[12:13], 1
	s_add_u32 s24, s1, s24
	s_addc_u32 s25, s7, s25
	v_mov_b32_e32 v1, s24
	v_mov_b32_e32 v2, s25
	flat_load_ushort v1, v[1:2]
	s_waitcnt vmcnt(0) lgkmcnt(0)
	v_lshlrev_b32_e32 v1, 16, v1
	v_mul_f32_e32 v1, s18, v1
	v_and_b32_e32 v2, 0x7f800000, v1
	v_cmp_ne_u32_e32 vcc_lo, 0x7f800000, v2
                                        ; implicit-def: $vgpr2
	s_and_saveexec_b32 s0, vcc_lo
	s_xor_b32 s0, exec_lo, s0
; %bb.11:
	v_bfe_u32 v2, v1, 16, 1
	v_add3_u32 v2, v1, v2, 0x7fff
                                        ; implicit-def: $vgpr1
; %bb.12:
	s_andn2_saveexec_b32 s0, s0
; %bb.13:
	v_mov_b32_e32 v2, 0
	v_or_b32_e32 v3, 0x10000, v1
	v_cmp_eq_u32_sdwa vcc_lo, v1, v2 src0_sel:WORD_0 src1_sel:DWORD
	v_cndmask_b32_e32 v2, v3, v1, vcc_lo
; %bb.14:
	s_or_b32 exec_lo, exec_lo, s0
	v_lshrrev_b32_e32 v1, 16, v2
	s_mov_b32 s20, exec_lo
	s_or_b32 exec_lo, exec_lo, s22
	s_and_b32 vcc_lo, exec_lo, s21
	s_cbranch_vccnz .LBB609_18
	s_branch .LBB609_60
.LBB609_15:
	s_mov_b32 s20, 0
                                        ; implicit-def: $vgpr1
                                        ; implicit-def: $sgpr12_sgpr13
	s_cbranch_execnz .LBB609_18
	s_branch .LBB609_60
.LBB609_16:
	s_or_b32 exec_lo, exec_lo, s22
	s_and_b32 vcc_lo, exec_lo, s21
	s_cbranch_vccnz .LBB609_18
	s_branch .LBB609_60
.LBB609_17:
	v_mov_b32_e32 v1, 0
	s_mov_b32 s20, exec_lo
	s_or_b32 exec_lo, exec_lo, s22
	s_and_b32 vcc_lo, exec_lo, s21
	s_cbranch_vccz .LBB609_60
.LBB609_18:
	s_load_dword s5, s[4:5], 0x0
	s_ashr_i32 s21, s6, 31
	s_mul_hi_u32 s0, s14, s6
	s_mul_i32 s12, s14, s21
	s_mul_i32 s4, s15, s6
	s_add_i32 s0, s0, s12
	s_mul_i32 s12, s14, s6
	s_add_i32 s13, s0, s4
	v_mov_b32_e32 v7, 0
	s_lshl_b64 s[12:13], s[12:13], 1
	s_mov_b32 s15, 0
	s_mov_b32 s14, exec_lo
	s_waitcnt lgkmcnt(0)
	v_cmp_gt_i32_e32 vcc_lo, s5, v0
	s_ashr_i32 s0, s5, 31
	s_lshr_b32 s0, s0, 24
	s_add_i32 s0, s5, s0
	v_cndmask_b32_e32 v1, 0, v0, vcc_lo
	v_lshlrev_b32_e32 v1, 1, v1
	v_add_co_u32 v1, s4, s16, v1
	v_add_co_ci_u32_e64 v2, null, s17, 0, s4
	s_and_b32 s4, s0, 0xffffff00
	v_add_co_u32 v1, vcc_lo, v1, s12
	v_add_co_ci_u32_e64 v2, null, s13, v2, vcc_lo
	v_cmpx_gt_i32_e64 s4, v0
	s_cbranch_execz .LBB609_26
; %bb.19:
	v_mad_u64_u32 v[3:4], null, s10, v0, 0
	v_mov_b32_e32 v8, 0
	v_mov_b32_e32 v9, v0
	;; [unrolled: 1-line block ×3, first 2 shown]
	s_lshl_b64 s[12:13], s[10:11], 9
	v_mad_u64_u32 v[4:5], null, s11, v0, v[4:5]
	v_lshlrev_b64 v[5:6], 1, v[3:4]
	v_mov_b32_e32 v4, v2
	v_mov_b32_e32 v3, v1
	v_add_co_u32 v5, vcc_lo, s8, v5
	v_add_co_ci_u32_e64 v6, null, s9, v6, vcc_lo
	s_inst_prefetch 0x1
	s_branch .LBB609_21
	.p2align	6
.LBB609_20:                             ;   in Loop: Header=BB609_21 Depth=1
	s_or_b32 exec_lo, exec_lo, s0
	v_add_nc_u32_e32 v9, 0x100, v9
	v_and_b32_e32 v10, 0xffff0000, v11
	v_add_co_u32 v3, vcc_lo, 0x200, v3
	v_add_co_ci_u32_e64 v4, null, 0, v4, vcc_lo
	v_cmp_le_i32_e32 vcc_lo, s4, v9
	v_add_co_u32 v5, s0, v5, s12
	v_add_f32_e32 v7, v7, v10
	v_add_co_ci_u32_e64 v6, null, s13, v6, s0
	s_or_b32 s15, vcc_lo, s15
	s_andn2_b32 exec_lo, exec_lo, s15
	s_cbranch_execz .LBB609_25
.LBB609_21:                             ; =>This Inner Loop Header: Depth=1
	flat_load_ushort v10, v[5:6]
	flat_load_ushort v11, v[3:4]
	s_waitcnt vmcnt(1) lgkmcnt(1)
	v_lshlrev_b32_e32 v10, 16, v10
	s_waitcnt vmcnt(0) lgkmcnt(0)
	v_lshlrev_b32_e32 v11, 16, v11
	v_mul_f32_e32 v10, v11, v10
	v_and_b32_e32 v11, 0x7f800000, v10
	v_cmp_ne_u32_e32 vcc_lo, 0x7f800000, v11
                                        ; implicit-def: $vgpr11
	s_and_saveexec_b32 s0, vcc_lo
	s_xor_b32 s0, exec_lo, s0
; %bb.22:                               ;   in Loop: Header=BB609_21 Depth=1
	v_bfe_u32 v11, v10, 16, 1
	v_add3_u32 v11, v10, v11, 0x7fff
                                        ; implicit-def: $vgpr10
; %bb.23:                               ;   in Loop: Header=BB609_21 Depth=1
	s_andn2_saveexec_b32 s0, s0
	s_cbranch_execz .LBB609_20
; %bb.24:                               ;   in Loop: Header=BB609_21 Depth=1
	v_or_b32_e32 v11, 0x10000, v10
	v_cmp_eq_u32_sdwa vcc_lo, v10, v8 src0_sel:WORD_0 src1_sel:DWORD
	v_cndmask_b32_e32 v11, v11, v10, vcc_lo
	s_branch .LBB609_20
.LBB609_25:
	s_inst_prefetch 0x2
	s_or_b32 exec_lo, exec_lo, s15
.LBB609_26:
	s_or_b32 exec_lo, exec_lo, s14
	v_add_nc_u32_e32 v3, s4, v0
	s_mov_b32 s0, exec_lo
	v_cmpx_gt_i32_e64 s5, v3
	s_cbranch_execz .LBB609_32
; %bb.27:
	v_ashrrev_i32_e32 v5, 31, v3
	v_mul_lo_u32 v6, s11, v3
	v_mad_u64_u32 v[3:4], null, s10, v3, 0
	s_ashr_i32 s5, s4, 31
	v_mul_lo_u32 v5, s10, v5
	s_lshl_b64 s[4:5], s[4:5], 1
	v_add3_u32 v4, v4, v5, v6
	v_lshlrev_b64 v[3:4], 1, v[3:4]
	v_add_co_u32 v3, vcc_lo, s8, v3
	v_add_co_ci_u32_e64 v4, null, s9, v4, vcc_lo
	v_add_co_u32 v1, vcc_lo, v1, s4
	v_add_co_ci_u32_e64 v2, null, s5, v2, vcc_lo
	flat_load_ushort v3, v[3:4]
	flat_load_ushort v1, v[1:2]
	s_waitcnt vmcnt(1) lgkmcnt(1)
	v_lshlrev_b32_e32 v2, 16, v3
	s_waitcnt vmcnt(0) lgkmcnt(0)
	v_lshlrev_b32_e32 v1, 16, v1
	v_mul_f32_e32 v1, v1, v2
	v_and_b32_e32 v2, 0x7f800000, v1
	v_cmp_ne_u32_e32 vcc_lo, 0x7f800000, v2
                                        ; implicit-def: $vgpr2
	s_and_saveexec_b32 s4, vcc_lo
	s_xor_b32 s4, exec_lo, s4
; %bb.28:
	v_bfe_u32 v2, v1, 16, 1
	v_add3_u32 v2, v1, v2, 0x7fff
                                        ; implicit-def: $vgpr1
; %bb.29:
	s_andn2_saveexec_b32 s4, s4
; %bb.30:
	v_mov_b32_e32 v2, 0
	v_or_b32_e32 v3, 0x10000, v1
	v_cmp_eq_u32_sdwa vcc_lo, v1, v2 src0_sel:WORD_0 src1_sel:DWORD
	v_cndmask_b32_e32 v2, v3, v1, vcc_lo
; %bb.31:
	s_or_b32 exec_lo, exec_lo, s4
	v_and_b32_e32 v1, 0xffff0000, v2
	v_add_f32_e32 v7, v7, v1
.LBB609_32:
	s_or_b32 exec_lo, exec_lo, s0
	v_and_b32_e32 v5, 31, v0
	v_cmp_gt_u32_e32 vcc_lo, 32, v0
	v_lshlrev_b32_e32 v1, 2, v5
	s_and_saveexec_b32 s0, vcc_lo
; %bb.33:
	v_mov_b32_e32 v2, 0
	ds_write_b32 v1, v2
; %bb.34:
	s_or_b32 exec_lo, exec_lo, s0
	v_mbcnt_lo_u32_b32 v4, -1, 0
	s_mov_b32 s4, exec_lo
	s_waitcnt lgkmcnt(0)
	s_barrier
	buffer_gl0_inv
	v_lshl_or_b32 v2, v4, 2, 64
	v_cmp_gt_u32_e64 s0, 24, v4
	ds_bpermute_b32 v2, v2, v7
	v_cndmask_b32_e64 v3, 0, 8, s0
	v_cmp_gt_u32_e64 s0, 28, v4
	v_add_lshl_u32 v3, v3, v4, 2
	s_waitcnt lgkmcnt(0)
	v_add_f32_e32 v6, v7, v2
	v_cndmask_b32_e64 v2, 0, 4, s0
	v_cmp_gt_u32_e64 s0, 30, v4
	ds_bpermute_b32 v3, v3, v6
	v_add_lshl_u32 v2, v2, v4, 2
	s_waitcnt lgkmcnt(0)
	v_add_f32_e32 v6, v6, v3
	v_cndmask_b32_e64 v3, 0, 2, s0
	v_cmp_ne_u32_e64 s0, 31, v4
	ds_bpermute_b32 v7, v2, v6
	v_add_lshl_u32 v3, v3, v4, 2
	v_add_co_ci_u32_e64 v4, null, 0, v4, s0
	v_lshlrev_b32_e32 v4, 2, v4
	s_waitcnt lgkmcnt(0)
	v_add_f32_e32 v6, v6, v7
	ds_bpermute_b32 v7, v3, v6
	s_waitcnt lgkmcnt(0)
	v_add_f32_e32 v6, v6, v7
	ds_bpermute_b32 v7, v4, v6
	v_cmpx_eq_u32_e32 0, v5
	s_cbranch_execz .LBB609_36
; %bb.35:
	v_lshrrev_b32_e32 v5, 3, v0
	s_waitcnt lgkmcnt(0)
	v_add_f32_e32 v6, v6, v7
	v_and_b32_e32 v5, 28, v5
	ds_write_b32 v5, v6
.LBB609_36:
	s_or_b32 exec_lo, exec_lo, s4
	v_mov_b32_e32 v5, 0
	s_mov_b32 s4, exec_lo
	s_waitcnt lgkmcnt(0)
	s_barrier
	buffer_gl0_inv
	v_cmpx_gt_u32_e32 8, v0
; %bb.37:
	ds_read_b32 v5, v1
; %bb.38:
	s_or_b32 exec_lo, exec_lo, s4
	s_and_saveexec_b32 s0, vcc_lo
	s_cbranch_execz .LBB609_40
; %bb.39:
	s_waitcnt lgkmcnt(0)
	ds_bpermute_b32 v1, v2, v5
	s_waitcnt lgkmcnt(0)
	v_add_f32_e32 v1, v5, v1
	ds_bpermute_b32 v2, v3, v1
	s_waitcnt lgkmcnt(0)
	v_add_f32_e32 v1, v1, v2
	;; [unrolled: 3-line block ×3, first 2 shown]
.LBB609_40:
	s_or_b32 exec_lo, exec_lo, s0
	s_mov_b32 s0, exec_lo
                                        ; implicit-def: $vgpr1
                                        ; implicit-def: $sgpr12_sgpr13
	v_cmpx_eq_u32_e32 0, v0
	s_cbranch_execz .LBB609_59
; %bb.41:
	v_cmp_eq_f32_e64 s4, s18, 0
	s_waitcnt lgkmcnt(0)
	v_mul_f32_e32 v0, s19, v5
	s_and_b32 vcc_lo, exec_lo, s4
	s_cbranch_vccz .LBB609_47
; %bb.42:
	v_and_b32_e32 v1, 0x7f800000, v0
	v_cmp_ne_u32_e32 vcc_lo, 0x7f800000, v1
                                        ; implicit-def: $vgpr1
	s_and_saveexec_b32 s4, vcc_lo
	s_xor_b32 s4, exec_lo, s4
; %bb.43:
	v_bfe_u32 v1, v0, 16, 1
	v_add3_u32 v1, v0, v1, 0x7fff
; %bb.44:
	s_andn2_saveexec_b32 s4, s4
; %bb.45:
	v_mov_b32_e32 v1, 0
	v_or_b32_e32 v2, 0x10000, v0
	v_cmp_eq_u32_sdwa vcc_lo, v0, v1 src0_sel:WORD_0 src1_sel:DWORD
	v_cndmask_b32_e32 v1, v2, v0, vcc_lo
; %bb.46:
	s_or_b32 exec_lo, exec_lo, s4
	s_mov_b32 s8, 0
	s_branch .LBB609_48
.LBB609_47:
	s_mov_b32 s8, -1
                                        ; implicit-def: $vgpr1
.LBB609_48:
	s_mul_i32 s4, s2, s21
	s_mul_hi_u32 s5, s2, s6
	s_andn2_b32 vcc_lo, exec_lo, s8
	s_mul_i32 s3, s3, s6
	s_mul_i32 s12, s2, s6
	s_cbranch_vccnz .LBB609_58
; %bb.49:
	s_add_i32 s2, s5, s4
	s_add_i32 s13, s2, s3
	s_lshl_b64 s[8:9], s[12:13], 1
	s_add_u32 s8, s1, s8
	s_addc_u32 s9, s7, s9
	v_mov_b32_e32 v1, s8
	v_mov_b32_e32 v2, s9
	flat_load_ushort v1, v[1:2]
	s_waitcnt vmcnt(0) lgkmcnt(0)
	v_lshlrev_b32_e32 v1, 16, v1
	v_mul_f32_e32 v1, s18, v1
	v_and_b32_e32 v2, 0x7f800000, v1
	v_cmp_ne_u32_e32 vcc_lo, 0x7f800000, v2
                                        ; implicit-def: $vgpr2
	s_and_saveexec_b32 s2, vcc_lo
	s_xor_b32 s2, exec_lo, s2
; %bb.50:
	v_bfe_u32 v2, v1, 16, 1
	v_add3_u32 v2, v1, v2, 0x7fff
                                        ; implicit-def: $vgpr1
; %bb.51:
	s_andn2_saveexec_b32 s2, s2
; %bb.52:
	v_mov_b32_e32 v2, 0
	v_or_b32_e32 v3, 0x10000, v1
	v_cmp_eq_u32_sdwa vcc_lo, v1, v2 src0_sel:WORD_0 src1_sel:DWORD
	v_cndmask_b32_e32 v2, v3, v1, vcc_lo
; %bb.53:
	s_or_b32 exec_lo, exec_lo, s2
	v_and_b32_e32 v1, 0xffff0000, v2
	v_add_f32_e32 v0, v0, v1
	v_and_b32_e32 v1, 0x7f800000, v0
	v_cmp_ne_u32_e32 vcc_lo, 0x7f800000, v1
                                        ; implicit-def: $vgpr1
	s_and_saveexec_b32 s2, vcc_lo
	s_xor_b32 s2, exec_lo, s2
; %bb.54:
	v_bfe_u32 v1, v0, 16, 1
	v_add3_u32 v1, v0, v1, 0x7fff
                                        ; implicit-def: $vgpr0
; %bb.55:
	s_andn2_saveexec_b32 s2, s2
; %bb.56:
	v_mov_b32_e32 v1, 0
	v_or_b32_e32 v2, 0x10000, v0
	v_cmp_eq_u32_sdwa vcc_lo, v0, v1 src0_sel:WORD_0 src1_sel:DWORD
	v_cndmask_b32_e32 v1, v2, v0, vcc_lo
; %bb.57:
	s_or_b32 exec_lo, exec_lo, s2
.LBB609_58:
	v_lshrrev_b32_e32 v1, 16, v1
	s_add_i32 s2, s5, s4
	s_or_b32 s20, s20, exec_lo
	s_add_i32 s13, s2, s3
.LBB609_59:
	s_or_b32 exec_lo, exec_lo, s0
.LBB609_60:
	s_and_saveexec_b32 s0, s20
	s_cbranch_execz .LBB609_62
; %bb.61:
	s_lshl_b64 s[2:3], s[12:13], 1
	s_add_u32 s0, s1, s2
	s_addc_u32 s1, s7, s3
	v_mov_b32_e32 v3, s1
	v_mov_b32_e32 v2, s0
	flat_store_short v[2:3], v1
.LBB609_62:
	s_endpgm
	.section	.rodata,"a",@progbits
	.p2align	6, 0x0
	.amdhsa_kernel _ZL32rocblas_gemvt_warp_reduce_kernelILb0ELi256ElPK16rocblas_bfloat16fKPS0_EviiT3_lPKT2_lT1_lS8_lS9_lS5_lPT4_lS9_li
		.amdhsa_group_segment_fixed_size 128
		.amdhsa_private_segment_fixed_size 0
		.amdhsa_kernarg_size 140
		.amdhsa_user_sgpr_count 6
		.amdhsa_user_sgpr_private_segment_buffer 1
		.amdhsa_user_sgpr_dispatch_ptr 0
		.amdhsa_user_sgpr_queue_ptr 0
		.amdhsa_user_sgpr_kernarg_segment_ptr 1
		.amdhsa_user_sgpr_dispatch_id 0
		.amdhsa_user_sgpr_flat_scratch_init 0
		.amdhsa_user_sgpr_private_segment_size 0
		.amdhsa_wavefront_size32 1
		.amdhsa_uses_dynamic_stack 0
		.amdhsa_system_sgpr_private_segment_wavefront_offset 0
		.amdhsa_system_sgpr_workgroup_id_x 1
		.amdhsa_system_sgpr_workgroup_id_y 0
		.amdhsa_system_sgpr_workgroup_id_z 1
		.amdhsa_system_sgpr_workgroup_info 0
		.amdhsa_system_vgpr_workitem_id 0
		.amdhsa_next_free_vgpr 12
		.amdhsa_next_free_sgpr 28
		.amdhsa_reserve_vcc 1
		.amdhsa_reserve_flat_scratch 0
		.amdhsa_float_round_mode_32 0
		.amdhsa_float_round_mode_16_64 0
		.amdhsa_float_denorm_mode_32 3
		.amdhsa_float_denorm_mode_16_64 3
		.amdhsa_dx10_clamp 1
		.amdhsa_ieee_mode 1
		.amdhsa_fp16_overflow 0
		.amdhsa_workgroup_processor_mode 1
		.amdhsa_memory_ordered 1
		.amdhsa_forward_progress 1
		.amdhsa_shared_vgpr_count 0
		.amdhsa_exception_fp_ieee_invalid_op 0
		.amdhsa_exception_fp_denorm_src 0
		.amdhsa_exception_fp_ieee_div_zero 0
		.amdhsa_exception_fp_ieee_overflow 0
		.amdhsa_exception_fp_ieee_underflow 0
		.amdhsa_exception_fp_ieee_inexact 0
		.amdhsa_exception_int_div_zero 0
	.end_amdhsa_kernel
	.section	.text._ZL32rocblas_gemvt_warp_reduce_kernelILb0ELi256ElPK16rocblas_bfloat16fKPS0_EviiT3_lPKT2_lT1_lS8_lS9_lS5_lPT4_lS9_li,"axG",@progbits,_ZL32rocblas_gemvt_warp_reduce_kernelILb0ELi256ElPK16rocblas_bfloat16fKPS0_EviiT3_lPKT2_lT1_lS8_lS9_lS5_lPT4_lS9_li,comdat
.Lfunc_end609:
	.size	_ZL32rocblas_gemvt_warp_reduce_kernelILb0ELi256ElPK16rocblas_bfloat16fKPS0_EviiT3_lPKT2_lT1_lS8_lS9_lS5_lPT4_lS9_li, .Lfunc_end609-_ZL32rocblas_gemvt_warp_reduce_kernelILb0ELi256ElPK16rocblas_bfloat16fKPS0_EviiT3_lPKT2_lT1_lS8_lS9_lS5_lPT4_lS9_li
                                        ; -- End function
	.set _ZL32rocblas_gemvt_warp_reduce_kernelILb0ELi256ElPK16rocblas_bfloat16fKPS0_EviiT3_lPKT2_lT1_lS8_lS9_lS5_lPT4_lS9_li.num_vgpr, 12
	.set _ZL32rocblas_gemvt_warp_reduce_kernelILb0ELi256ElPK16rocblas_bfloat16fKPS0_EviiT3_lPKT2_lT1_lS8_lS9_lS5_lPT4_lS9_li.num_agpr, 0
	.set _ZL32rocblas_gemvt_warp_reduce_kernelILb0ELi256ElPK16rocblas_bfloat16fKPS0_EviiT3_lPKT2_lT1_lS8_lS9_lS5_lPT4_lS9_li.numbered_sgpr, 28
	.set _ZL32rocblas_gemvt_warp_reduce_kernelILb0ELi256ElPK16rocblas_bfloat16fKPS0_EviiT3_lPKT2_lT1_lS8_lS9_lS5_lPT4_lS9_li.num_named_barrier, 0
	.set _ZL32rocblas_gemvt_warp_reduce_kernelILb0ELi256ElPK16rocblas_bfloat16fKPS0_EviiT3_lPKT2_lT1_lS8_lS9_lS5_lPT4_lS9_li.private_seg_size, 0
	.set _ZL32rocblas_gemvt_warp_reduce_kernelILb0ELi256ElPK16rocblas_bfloat16fKPS0_EviiT3_lPKT2_lT1_lS8_lS9_lS5_lPT4_lS9_li.uses_vcc, 1
	.set _ZL32rocblas_gemvt_warp_reduce_kernelILb0ELi256ElPK16rocblas_bfloat16fKPS0_EviiT3_lPKT2_lT1_lS8_lS9_lS5_lPT4_lS9_li.uses_flat_scratch, 0
	.set _ZL32rocblas_gemvt_warp_reduce_kernelILb0ELi256ElPK16rocblas_bfloat16fKPS0_EviiT3_lPKT2_lT1_lS8_lS9_lS5_lPT4_lS9_li.has_dyn_sized_stack, 0
	.set _ZL32rocblas_gemvt_warp_reduce_kernelILb0ELi256ElPK16rocblas_bfloat16fKPS0_EviiT3_lPKT2_lT1_lS8_lS9_lS5_lPT4_lS9_li.has_recursion, 0
	.set _ZL32rocblas_gemvt_warp_reduce_kernelILb0ELi256ElPK16rocblas_bfloat16fKPS0_EviiT3_lPKT2_lT1_lS8_lS9_lS5_lPT4_lS9_li.has_indirect_call, 0
	.section	.AMDGPU.csdata,"",@progbits
; Kernel info:
; codeLenInByte = 2056
; TotalNumSgprs: 30
; NumVgprs: 12
; ScratchSize: 0
; MemoryBound: 0
; FloatMode: 240
; IeeeMode: 1
; LDSByteSize: 128 bytes/workgroup (compile time only)
; SGPRBlocks: 0
; VGPRBlocks: 1
; NumSGPRsForWavesPerEU: 30
; NumVGPRsForWavesPerEU: 12
; Occupancy: 16
; WaveLimiterHint : 1
; COMPUTE_PGM_RSRC2:SCRATCH_EN: 0
; COMPUTE_PGM_RSRC2:USER_SGPR: 6
; COMPUTE_PGM_RSRC2:TRAP_HANDLER: 0
; COMPUTE_PGM_RSRC2:TGID_X_EN: 1
; COMPUTE_PGM_RSRC2:TGID_Y_EN: 0
; COMPUTE_PGM_RSRC2:TGID_Z_EN: 1
; COMPUTE_PGM_RSRC2:TIDIG_COMP_CNT: 0
	.section	.text._ZL20rocblas_gemvt_kernelILb0ELi256EPK16rocblas_bfloat16PKfKPS0_EviiT2_lPKT1_lilSA_lilS7_lPT3_lili,"axG",@progbits,_ZL20rocblas_gemvt_kernelILb0ELi256EPK16rocblas_bfloat16PKfKPS0_EviiT2_lPKT1_lilSA_lilS7_lPT3_lili,comdat
	.globl	_ZL20rocblas_gemvt_kernelILb0ELi256EPK16rocblas_bfloat16PKfKPS0_EviiT2_lPKT1_lilSA_lilS7_lPT3_lili ; -- Begin function _ZL20rocblas_gemvt_kernelILb0ELi256EPK16rocblas_bfloat16PKfKPS0_EviiT2_lPKT1_lilSA_lilS7_lPT3_lili
	.p2align	8
	.type	_ZL20rocblas_gemvt_kernelILb0ELi256EPK16rocblas_bfloat16PKfKPS0_EviiT2_lPKT1_lilSA_lilS7_lPT3_lili,@function
_ZL20rocblas_gemvt_kernelILb0ELi256EPK16rocblas_bfloat16PKfKPS0_EviiT2_lPKT1_lilSA_lilS7_lPT3_lili: ; @_ZL20rocblas_gemvt_kernelILb0ELi256EPK16rocblas_bfloat16PKfKPS0_EviiT2_lPKT1_lilSA_lilS7_lPT3_lili
; %bb.0:
	s_clause 0x1
	s_load_dwordx8 s[16:23], s[4:5], 0x8
	s_load_dwordx8 s[8:15], s[4:5], 0x58
	s_mov_b32 s0, s7
	s_waitcnt lgkmcnt(0)
	s_mul_i32 s1, s19, s7
	s_mul_hi_u32 s3, s18, s7
	s_mul_i32 s2, s18, s7
	s_add_i32 s3, s3, s1
	s_mul_i32 s1, s11, s7
	s_lshl_b64 s[2:3], s[2:3], 2
	s_mul_hi_u32 s7, s10, s7
	s_add_u32 s2, s16, s2
	s_addc_u32 s3, s17, s3
	s_add_i32 s11, s7, s1
	s_mul_i32 s10, s10, s0
	s_lshl_b64 s[10:11], s[10:11], 2
	s_add_u32 s8, s8, s10
	s_addc_u32 s9, s9, s11
	s_load_dword s17, s[2:3], 0x0
	s_load_dword s16, s[8:9], 0x0
	s_waitcnt lgkmcnt(0)
	v_cmp_eq_f32_e64 s8, s17, 0
	v_cmp_eq_f32_e64 s1, s16, 1.0
	s_and_b32 s1, s8, s1
	s_and_b32 vcc_lo, exec_lo, s1
	s_mov_b32 s1, 0
	s_cbranch_vccnz .LBB610_68
; %bb.1:
	v_cmp_neq_f32_e64 s7, s17, 0
	s_mov_b64 s[2:3], 0
	s_and_b32 vcc_lo, exec_lo, s8
	s_mov_b64 s[10:11], 0
	s_cbranch_vccnz .LBB610_3
; %bb.2:
	s_lshl_b64 s[10:11], s[0:1], 3
	s_add_u32 s10, s20, s10
	s_addc_u32 s11, s21, s11
	s_lshl_b64 s[18:19], s[22:23], 1
	s_load_dwordx2 s[10:11], s[10:11], 0x0
	s_waitcnt lgkmcnt(0)
	s_add_u32 s10, s10, s18
	s_addc_u32 s11, s11, s19
.LBB610_3:
	s_andn2_b32 vcc_lo, exec_lo, s7
	s_cbranch_vccnz .LBB610_5
; %bb.4:
	s_load_dwordx4 s[20:23], s[4:5], 0x38
	s_lshl_b64 s[2:3], s[0:1], 3
	s_waitcnt lgkmcnt(0)
	s_add_u32 s2, s20, s2
	s_addc_u32 s3, s21, s3
	s_lshl_b64 s[18:19], s[22:23], 1
	s_load_dwordx2 s[2:3], s[2:3], 0x0
	s_waitcnt lgkmcnt(0)
	s_add_u32 s2, s2, s18
	s_addc_u32 s3, s3, s19
.LBB610_5:
	s_lshl_b64 s[0:1], s[0:1], 3
	s_add_u32 s0, s12, s0
	s_addc_u32 s1, s13, s1
	s_lshl_b64 s[14:15], s[14:15], 1
	s_load_dwordx2 s[12:13], s[0:1], 0x0
	s_load_dword s18, s[4:5], 0x78
	v_cmp_eq_u32_e64 s0, 0, v0
	s_waitcnt lgkmcnt(0)
	s_add_u32 s7, s12, s14
	s_addc_u32 s12, s13, s15
	s_andn2_b32 vcc_lo, exec_lo, s8
	s_cbranch_vccnz .LBB610_13
; %bb.6:
	s_mov_b32 s1, 0
	s_mov_b32 s13, 0
                                        ; implicit-def: $vgpr1
                                        ; implicit-def: $sgpr8_sgpr9
	s_and_saveexec_b32 s14, s0
	s_cbranch_execz .LBB610_14
; %bb.7:
	v_cmp_eq_f32_e64 s0, s16, 0
	s_mul_hi_i32 s9, s18, s6
	s_mul_i32 s8, s18, s6
	s_and_b32 vcc_lo, exec_lo, s0
	s_cbranch_vccnz .LBB610_15
; %bb.8:
	s_lshl_b64 s[20:21], s[8:9], 1
	s_add_u32 s20, s7, s20
	s_addc_u32 s21, s12, s21
	v_mov_b32_e32 v1, s20
	v_mov_b32_e32 v2, s21
	flat_load_ushort v1, v[1:2]
	s_waitcnt vmcnt(0) lgkmcnt(0)
	v_lshlrev_b32_e32 v1, 16, v1
	v_mul_f32_e32 v1, s16, v1
	v_and_b32_e32 v2, 0x7f800000, v1
	v_cmp_ne_u32_e32 vcc_lo, 0x7f800000, v2
                                        ; implicit-def: $vgpr2
	s_and_saveexec_b32 s0, vcc_lo
	s_xor_b32 s0, exec_lo, s0
; %bb.9:
	v_bfe_u32 v2, v1, 16, 1
	v_add3_u32 v2, v1, v2, 0x7fff
                                        ; implicit-def: $vgpr1
; %bb.10:
	s_andn2_saveexec_b32 s0, s0
; %bb.11:
	v_mov_b32_e32 v2, 0
	v_or_b32_e32 v3, 0x10000, v1
	v_cmp_eq_u32_sdwa vcc_lo, v1, v2 src0_sel:WORD_0 src1_sel:DWORD
	v_cndmask_b32_e32 v2, v3, v1, vcc_lo
; %bb.12:
	s_or_b32 exec_lo, exec_lo, s0
	v_lshrrev_b32_e32 v1, 16, v2
	s_mov_b32 s13, exec_lo
	s_or_b32 exec_lo, exec_lo, s14
	s_and_b32 vcc_lo, exec_lo, s1
	s_cbranch_vccnz .LBB610_16
	s_branch .LBB610_66
.LBB610_13:
	s_mov_b32 s13, 0
                                        ; implicit-def: $vgpr1
                                        ; implicit-def: $sgpr8_sgpr9
	s_cbranch_execnz .LBB610_16
	s_branch .LBB610_66
.LBB610_14:
	s_or_b32 exec_lo, exec_lo, s14
	s_and_b32 vcc_lo, exec_lo, s1
	s_cbranch_vccnz .LBB610_16
	s_branch .LBB610_66
.LBB610_15:
	v_mov_b32_e32 v1, 0
	s_mov_b32 s13, exec_lo
	s_or_b32 exec_lo, exec_lo, s14
	s_and_b32 vcc_lo, exec_lo, s1
	s_cbranch_vccz .LBB610_66
.LBB610_16:
	s_clause 0x2
	s_load_dword s14, s[4:5], 0x0
	s_load_dword s1, s[4:5], 0x28
	;; [unrolled: 1-line block ×3, first 2 shown]
	v_mov_b32_e32 v7, 0
	s_waitcnt lgkmcnt(0)
	v_cmp_gt_i32_e32 vcc_lo, s14, v0
	s_mul_hi_i32 s5, s1, s6
	s_mul_i32 s4, s1, s6
	s_ashr_i32 s1, s14, 31
	s_lshl_b64 s[4:5], s[4:5], 1
	v_cndmask_b32_e32 v1, 0, v0, vcc_lo
	s_lshr_b32 s1, s1, 24
	s_add_i32 s1, s14, s1
	v_lshlrev_b32_e32 v1, 1, v1
	v_add_co_u32 v1, s8, s10, v1
	v_add_co_ci_u32_e64 v2, null, s11, 0, s8
	v_add_co_u32 v1, vcc_lo, v1, s4
	v_add_co_ci_u32_e64 v2, null, s5, v2, vcc_lo
	s_and_b32 s4, s1, 0xffffff00
	s_cmpk_lt_i32 s14, 0x100
	s_mov_b32 s5, 0
	s_cbranch_scc1 .LBB610_23
; %bb.17:
	v_mad_i64_i32 v[3:4], null, s0, v0, 0
	v_mov_b32_e32 v8, 0
	v_mov_b32_e32 v7, 0
	s_ashr_i32 s1, s0, 31
	s_lshl_b64 s[8:9], s[0:1], 9
	v_lshlrev_b64 v[5:6], 1, v[3:4]
	v_mov_b32_e32 v4, v2
	v_mov_b32_e32 v3, v1
	v_add_co_u32 v5, vcc_lo, s2, v5
	v_add_co_ci_u32_e64 v6, null, s3, v6, vcc_lo
	s_inst_prefetch 0x1
	s_branch .LBB610_19
	.p2align	6
.LBB610_18:                             ;   in Loop: Header=BB610_19 Depth=1
	s_or_b32 exec_lo, exec_lo, s1
	v_and_b32_e32 v9, 0xffff0000, v10
	v_add_co_u32 v5, vcc_lo, v5, s8
	v_add_co_ci_u32_e64 v6, null, s9, v6, vcc_lo
	v_add_co_u32 v3, vcc_lo, 0x200, v3
	v_add_f32_e32 v7, v7, v9
	v_add_co_ci_u32_e64 v4, null, 0, v4, vcc_lo
	s_addk_i32 s5, 0x100
	s_cmp_ge_i32 s5, s4
	s_cbranch_scc1 .LBB610_23
.LBB610_19:                             ; =>This Inner Loop Header: Depth=1
	flat_load_ushort v9, v[5:6]
	flat_load_ushort v10, v[3:4]
	s_waitcnt vmcnt(1) lgkmcnt(1)
	v_lshlrev_b32_e32 v9, 16, v9
	s_waitcnt vmcnt(0) lgkmcnt(0)
	v_lshlrev_b32_e32 v10, 16, v10
	v_mul_f32_e32 v9, v10, v9
	v_and_b32_e32 v10, 0x7f800000, v9
	v_cmp_ne_u32_e32 vcc_lo, 0x7f800000, v10
                                        ; implicit-def: $vgpr10
	s_and_saveexec_b32 s1, vcc_lo
	s_xor_b32 s1, exec_lo, s1
; %bb.20:                               ;   in Loop: Header=BB610_19 Depth=1
	v_bfe_u32 v10, v9, 16, 1
	v_add3_u32 v10, v9, v10, 0x7fff
                                        ; implicit-def: $vgpr9
; %bb.21:                               ;   in Loop: Header=BB610_19 Depth=1
	s_andn2_saveexec_b32 s1, s1
	s_cbranch_execz .LBB610_18
; %bb.22:                               ;   in Loop: Header=BB610_19 Depth=1
	v_or_b32_e32 v10, 0x10000, v9
	v_cmp_eq_u32_sdwa vcc_lo, v9, v8 src0_sel:WORD_0 src1_sel:DWORD
	v_cndmask_b32_e32 v10, v10, v9, vcc_lo
	s_branch .LBB610_18
.LBB610_23:
	s_inst_prefetch 0x2
	v_add_nc_u32_e32 v3, s4, v0
	s_mov_b32 s1, exec_lo
	v_cmpx_gt_i32_e64 s14, v3
	s_cbranch_execz .LBB610_29
; %bb.24:
	v_mad_i64_i32 v[3:4], null, s0, v3, 0
	s_ashr_i32 s5, s4, 31
	s_lshl_b64 s[4:5], s[4:5], 1
	v_lshlrev_b64 v[3:4], 1, v[3:4]
	v_add_co_u32 v3, vcc_lo, s2, v3
	v_add_co_ci_u32_e64 v4, null, s3, v4, vcc_lo
	v_add_co_u32 v1, vcc_lo, v1, s4
	v_add_co_ci_u32_e64 v2, null, s5, v2, vcc_lo
	flat_load_ushort v3, v[3:4]
	flat_load_ushort v1, v[1:2]
	s_waitcnt vmcnt(1) lgkmcnt(1)
	v_lshlrev_b32_e32 v2, 16, v3
	s_waitcnt vmcnt(0) lgkmcnt(0)
	v_lshlrev_b32_e32 v1, 16, v1
	v_mul_f32_e32 v1, v1, v2
	v_and_b32_e32 v2, 0x7f800000, v1
	v_cmp_ne_u32_e32 vcc_lo, 0x7f800000, v2
                                        ; implicit-def: $vgpr2
	s_and_saveexec_b32 s0, vcc_lo
	s_xor_b32 s0, exec_lo, s0
; %bb.25:
	v_bfe_u32 v2, v1, 16, 1
	v_add3_u32 v2, v1, v2, 0x7fff
                                        ; implicit-def: $vgpr1
; %bb.26:
	s_andn2_saveexec_b32 s0, s0
; %bb.27:
	v_mov_b32_e32 v2, 0
	v_or_b32_e32 v3, 0x10000, v1
	v_cmp_eq_u32_sdwa vcc_lo, v1, v2 src0_sel:WORD_0 src1_sel:DWORD
	v_cndmask_b32_e32 v2, v3, v1, vcc_lo
; %bb.28:
	s_or_b32 exec_lo, exec_lo, s0
	v_and_b32_e32 v1, 0xffff0000, v2
	v_add_f32_e32 v7, v7, v1
.LBB610_29:
	s_or_b32 exec_lo, exec_lo, s1
	v_lshlrev_b32_e32 v1, 2, v0
	s_mov_b32 s0, exec_lo
	ds_write_b32 v1, v7
	s_waitcnt lgkmcnt(0)
	s_barrier
	buffer_gl0_inv
	v_cmpx_gt_u32_e32 0x80, v0
	s_cbranch_execz .LBB610_31
; %bb.30:
	ds_read2st64_b32 v[2:3], v1 offset1:2
	s_waitcnt lgkmcnt(0)
	v_add_f32_e32 v2, v3, v2
	ds_write_b32 v1, v2
.LBB610_31:
	s_or_b32 exec_lo, exec_lo, s0
	s_mov_b32 s0, exec_lo
	s_waitcnt lgkmcnt(0)
	s_barrier
	buffer_gl0_inv
	v_cmpx_gt_u32_e32 64, v0
	s_cbranch_execz .LBB610_33
; %bb.32:
	ds_read2st64_b32 v[2:3], v1 offset1:1
	s_waitcnt lgkmcnt(0)
	v_add_f32_e32 v2, v3, v2
	ds_write_b32 v1, v2
.LBB610_33:
	s_or_b32 exec_lo, exec_lo, s0
	s_mov_b32 s0, exec_lo
	s_waitcnt lgkmcnt(0)
	s_barrier
	buffer_gl0_inv
	v_cmpx_gt_u32_e32 32, v0
	s_cbranch_execz .LBB610_35
; %bb.34:
	ds_read2_b32 v[2:3], v1 offset1:32
	s_waitcnt lgkmcnt(0)
	v_add_f32_e32 v2, v3, v2
	ds_write_b32 v1, v2
.LBB610_35:
	s_or_b32 exec_lo, exec_lo, s0
	s_mov_b32 s0, exec_lo
	s_waitcnt lgkmcnt(0)
	s_barrier
	buffer_gl0_inv
	v_cmpx_gt_u32_e32 16, v0
	s_cbranch_execz .LBB610_37
; %bb.36:
	ds_read2_b32 v[2:3], v1 offset1:16
	s_waitcnt lgkmcnt(0)
	v_add_f32_e32 v2, v3, v2
	ds_write_b32 v1, v2
.LBB610_37:
	;; [unrolled: 13-line block ×5, first 2 shown]
	s_or_b32 exec_lo, exec_lo, s0
	v_cmp_eq_u32_e32 vcc_lo, 0, v0
	s_waitcnt lgkmcnt(0)
	s_barrier
	buffer_gl0_inv
	s_and_saveexec_b32 s0, vcc_lo
	s_cbranch_execz .LBB610_45
; %bb.44:
	v_mov_b32_e32 v2, 0
	ds_read_b64 v[0:1], v2
	s_waitcnt lgkmcnt(0)
	v_add_f32_e32 v0, v1, v0
	ds_write_b32 v2, v0
.LBB610_45:
	s_or_b32 exec_lo, exec_lo, s0
	s_waitcnt lgkmcnt(0)
	s_barrier
	buffer_gl0_inv
                                        ; implicit-def: $vgpr1
                                        ; implicit-def: $sgpr8_sgpr9
	s_and_saveexec_b32 s0, vcc_lo
	s_cbranch_execz .LBB610_65
; %bb.46:
	v_mov_b32_e32 v0, 0
	v_cmp_eq_f32_e64 s2, s16, 0
	ds_read_b32 v0, v0
	s_and_b32 vcc_lo, exec_lo, s2
	s_waitcnt lgkmcnt(0)
	v_mul_f32_e32 v0, s17, v0
	v_readfirstlane_b32 s1, v0
	s_cbranch_vccz .LBB610_49
; %bb.47:
	s_and_b32 s2, s1, 0x7f800000
	s_cmp_eq_u32 s2, 0x7f800000
	s_cbranch_scc1 .LBB610_50
; %bb.48:
	s_bfe_u32 s2, s1, 0x10010
	s_mov_b32 s3, 0
	s_add_i32 s2, s1, s2
	s_addk_i32 s2, 0x7fff
	s_branch .LBB610_51
.LBB610_49:
	s_mov_b32 s3, -1
                                        ; implicit-def: $sgpr2
	s_branch .LBB610_54
.LBB610_50:
	s_mov_b32 s3, -1
                                        ; implicit-def: $sgpr2
.LBB610_51:
	s_andn2_b32 vcc_lo, exec_lo, s3
	s_cbranch_vccnz .LBB610_53
; %bb.52:
	s_and_b32 s2, s1, 0xffff
	s_or_b32 s3, s1, 0x10000
	s_cmp_eq_u32 s2, 0
	s_cselect_b32 s2, s1, s3
.LBB610_53:
	s_mov_b32 s3, 0
.LBB610_54:
	v_mov_b32_e32 v0, s2
	s_andn2_b32 vcc_lo, exec_lo, s3
	s_mul_hi_i32 s9, s18, s6
	s_mul_i32 s8, s18, s6
	s_cbranch_vccnz .LBB610_64
; %bb.55:
	s_lshl_b64 s[2:3], s[8:9], 1
	s_add_u32 s2, s7, s2
	s_addc_u32 s3, s12, s3
	v_mov_b32_e32 v0, s2
	v_mov_b32_e32 v1, s3
	flat_load_ushort v0, v[0:1]
	s_waitcnt vmcnt(0) lgkmcnt(0)
	v_lshlrev_b32_e32 v0, 16, v0
	v_mul_f32_e32 v0, s16, v0
	v_and_b32_e32 v1, 0x7f800000, v0
	v_cmp_ne_u32_e32 vcc_lo, 0x7f800000, v1
                                        ; implicit-def: $vgpr1
	s_and_saveexec_b32 s2, vcc_lo
	s_xor_b32 s2, exec_lo, s2
; %bb.56:
	v_bfe_u32 v1, v0, 16, 1
	v_add3_u32 v1, v0, v1, 0x7fff
                                        ; implicit-def: $vgpr0
; %bb.57:
	s_andn2_saveexec_b32 s2, s2
; %bb.58:
	v_mov_b32_e32 v1, 0
	v_or_b32_e32 v2, 0x10000, v0
	v_cmp_eq_u32_sdwa vcc_lo, v0, v1 src0_sel:WORD_0 src1_sel:DWORD
	v_cndmask_b32_e32 v1, v2, v0, vcc_lo
; %bb.59:
	s_or_b32 exec_lo, exec_lo, s2
	v_and_b32_e32 v0, 0xffff0000, v1
	v_add_f32_e32 v1, s1, v0
	v_and_b32_e32 v0, 0x7f800000, v1
	v_cmp_ne_u32_e32 vcc_lo, 0x7f800000, v0
                                        ; implicit-def: $vgpr0
	s_and_saveexec_b32 s1, vcc_lo
	s_xor_b32 s1, exec_lo, s1
; %bb.60:
	v_bfe_u32 v0, v1, 16, 1
	v_add3_u32 v0, v1, v0, 0x7fff
                                        ; implicit-def: $vgpr1
; %bb.61:
	s_andn2_saveexec_b32 s1, s1
; %bb.62:
	v_mov_b32_e32 v0, 0
	v_or_b32_e32 v2, 0x10000, v1
	v_cmp_eq_u32_sdwa vcc_lo, v1, v0 src0_sel:WORD_0 src1_sel:DWORD
	v_cndmask_b32_e32 v0, v2, v1, vcc_lo
; %bb.63:
	s_or_b32 exec_lo, exec_lo, s1
.LBB610_64:
	v_lshrrev_b32_e32 v1, 16, v0
	s_or_b32 s13, s13, exec_lo
.LBB610_65:
	s_or_b32 exec_lo, exec_lo, s0
.LBB610_66:
	s_and_saveexec_b32 s0, s13
	s_cbranch_execz .LBB610_68
; %bb.67:
	s_lshl_b64 s[0:1], s[8:9], 1
	s_add_u32 s0, s7, s0
	s_addc_u32 s1, s12, s1
	v_mov_b32_e32 v3, s1
	v_mov_b32_e32 v2, s0
	flat_store_short v[2:3], v1
.LBB610_68:
	s_endpgm
	.section	.rodata,"a",@progbits
	.p2align	6, 0x0
	.amdhsa_kernel _ZL20rocblas_gemvt_kernelILb0ELi256EPK16rocblas_bfloat16PKfKPS0_EviiT2_lPKT1_lilSA_lilS7_lPT3_lili
		.amdhsa_group_segment_fixed_size 1024
		.amdhsa_private_segment_fixed_size 0
		.amdhsa_kernarg_size 140
		.amdhsa_user_sgpr_count 6
		.amdhsa_user_sgpr_private_segment_buffer 1
		.amdhsa_user_sgpr_dispatch_ptr 0
		.amdhsa_user_sgpr_queue_ptr 0
		.amdhsa_user_sgpr_kernarg_segment_ptr 1
		.amdhsa_user_sgpr_dispatch_id 0
		.amdhsa_user_sgpr_flat_scratch_init 0
		.amdhsa_user_sgpr_private_segment_size 0
		.amdhsa_wavefront_size32 1
		.amdhsa_uses_dynamic_stack 0
		.amdhsa_system_sgpr_private_segment_wavefront_offset 0
		.amdhsa_system_sgpr_workgroup_id_x 1
		.amdhsa_system_sgpr_workgroup_id_y 0
		.amdhsa_system_sgpr_workgroup_id_z 1
		.amdhsa_system_sgpr_workgroup_info 0
		.amdhsa_system_vgpr_workitem_id 0
		.amdhsa_next_free_vgpr 11
		.amdhsa_next_free_sgpr 24
		.amdhsa_reserve_vcc 1
		.amdhsa_reserve_flat_scratch 0
		.amdhsa_float_round_mode_32 0
		.amdhsa_float_round_mode_16_64 0
		.amdhsa_float_denorm_mode_32 3
		.amdhsa_float_denorm_mode_16_64 3
		.amdhsa_dx10_clamp 1
		.amdhsa_ieee_mode 1
		.amdhsa_fp16_overflow 0
		.amdhsa_workgroup_processor_mode 1
		.amdhsa_memory_ordered 1
		.amdhsa_forward_progress 1
		.amdhsa_shared_vgpr_count 0
		.amdhsa_exception_fp_ieee_invalid_op 0
		.amdhsa_exception_fp_denorm_src 0
		.amdhsa_exception_fp_ieee_div_zero 0
		.amdhsa_exception_fp_ieee_overflow 0
		.amdhsa_exception_fp_ieee_underflow 0
		.amdhsa_exception_fp_ieee_inexact 0
		.amdhsa_exception_int_div_zero 0
	.end_amdhsa_kernel
	.section	.text._ZL20rocblas_gemvt_kernelILb0ELi256EPK16rocblas_bfloat16PKfKPS0_EviiT2_lPKT1_lilSA_lilS7_lPT3_lili,"axG",@progbits,_ZL20rocblas_gemvt_kernelILb0ELi256EPK16rocblas_bfloat16PKfKPS0_EviiT2_lPKT1_lilSA_lilS7_lPT3_lili,comdat
.Lfunc_end610:
	.size	_ZL20rocblas_gemvt_kernelILb0ELi256EPK16rocblas_bfloat16PKfKPS0_EviiT2_lPKT1_lilSA_lilS7_lPT3_lili, .Lfunc_end610-_ZL20rocblas_gemvt_kernelILb0ELi256EPK16rocblas_bfloat16PKfKPS0_EviiT2_lPKT1_lilSA_lilS7_lPT3_lili
                                        ; -- End function
	.set _ZL20rocblas_gemvt_kernelILb0ELi256EPK16rocblas_bfloat16PKfKPS0_EviiT2_lPKT1_lilSA_lilS7_lPT3_lili.num_vgpr, 11
	.set _ZL20rocblas_gemvt_kernelILb0ELi256EPK16rocblas_bfloat16PKfKPS0_EviiT2_lPKT1_lilSA_lilS7_lPT3_lili.num_agpr, 0
	.set _ZL20rocblas_gemvt_kernelILb0ELi256EPK16rocblas_bfloat16PKfKPS0_EviiT2_lPKT1_lilSA_lilS7_lPT3_lili.numbered_sgpr, 24
	.set _ZL20rocblas_gemvt_kernelILb0ELi256EPK16rocblas_bfloat16PKfKPS0_EviiT2_lPKT1_lilSA_lilS7_lPT3_lili.num_named_barrier, 0
	.set _ZL20rocblas_gemvt_kernelILb0ELi256EPK16rocblas_bfloat16PKfKPS0_EviiT2_lPKT1_lilSA_lilS7_lPT3_lili.private_seg_size, 0
	.set _ZL20rocblas_gemvt_kernelILb0ELi256EPK16rocblas_bfloat16PKfKPS0_EviiT2_lPKT1_lilSA_lilS7_lPT3_lili.uses_vcc, 1
	.set _ZL20rocblas_gemvt_kernelILb0ELi256EPK16rocblas_bfloat16PKfKPS0_EviiT2_lPKT1_lilSA_lilS7_lPT3_lili.uses_flat_scratch, 0
	.set _ZL20rocblas_gemvt_kernelILb0ELi256EPK16rocblas_bfloat16PKfKPS0_EviiT2_lPKT1_lilSA_lilS7_lPT3_lili.has_dyn_sized_stack, 0
	.set _ZL20rocblas_gemvt_kernelILb0ELi256EPK16rocblas_bfloat16PKfKPS0_EviiT2_lPKT1_lilSA_lilS7_lPT3_lili.has_recursion, 0
	.set _ZL20rocblas_gemvt_kernelILb0ELi256EPK16rocblas_bfloat16PKfKPS0_EviiT2_lPKT1_lilSA_lilS7_lPT3_lili.has_indirect_call, 0
	.section	.AMDGPU.csdata,"",@progbits
; Kernel info:
; codeLenInByte = 2052
; TotalNumSgprs: 26
; NumVgprs: 11
; ScratchSize: 0
; MemoryBound: 0
; FloatMode: 240
; IeeeMode: 1
; LDSByteSize: 1024 bytes/workgroup (compile time only)
; SGPRBlocks: 0
; VGPRBlocks: 1
; NumSGPRsForWavesPerEU: 26
; NumVGPRsForWavesPerEU: 11
; Occupancy: 16
; WaveLimiterHint : 1
; COMPUTE_PGM_RSRC2:SCRATCH_EN: 0
; COMPUTE_PGM_RSRC2:USER_SGPR: 6
; COMPUTE_PGM_RSRC2:TRAP_HANDLER: 0
; COMPUTE_PGM_RSRC2:TGID_X_EN: 1
; COMPUTE_PGM_RSRC2:TGID_Y_EN: 0
; COMPUTE_PGM_RSRC2:TGID_Z_EN: 1
; COMPUTE_PGM_RSRC2:TIDIG_COMP_CNT: 0
	.section	.text._ZL20rocblas_gemvt_kernelILb0ELi256EPK16rocblas_bfloat16fKPS0_EviiT2_lPKT1_lilS8_lilS5_lPT3_lili,"axG",@progbits,_ZL20rocblas_gemvt_kernelILb0ELi256EPK16rocblas_bfloat16fKPS0_EviiT2_lPKT1_lilS8_lilS5_lPT3_lili,comdat
	.globl	_ZL20rocblas_gemvt_kernelILb0ELi256EPK16rocblas_bfloat16fKPS0_EviiT2_lPKT1_lilS8_lilS5_lPT3_lili ; -- Begin function _ZL20rocblas_gemvt_kernelILb0ELi256EPK16rocblas_bfloat16fKPS0_EviiT2_lPKT1_lilS8_lilS5_lPT3_lili
	.p2align	8
	.type	_ZL20rocblas_gemvt_kernelILb0ELi256EPK16rocblas_bfloat16fKPS0_EviiT2_lPKT1_lilS8_lilS5_lPT3_lili,@function
_ZL20rocblas_gemvt_kernelILb0ELi256EPK16rocblas_bfloat16fKPS0_EviiT2_lPKT1_lilS8_lilS5_lPT3_lili: ; @_ZL20rocblas_gemvt_kernelILb0ELi256EPK16rocblas_bfloat16fKPS0_EviiT2_lPKT1_lilS8_lilS5_lPT3_lili
; %bb.0:
	s_clause 0x1
	s_load_dword s15, s[4:5], 0x8
	s_load_dword s13, s[4:5], 0x58
	s_mov_b32 s9, 0
	s_waitcnt lgkmcnt(0)
	v_cmp_eq_f32_e64 s14, s15, 0
	v_cmp_eq_f32_e64 s0, s13, 1.0
	s_and_b32 s0, s14, s0
	s_and_b32 vcc_lo, exec_lo, s0
	s_cbranch_vccnz .LBB611_70
; %bb.1:
	s_mov_b32 s8, s7
	v_cmp_neq_f32_e64 s7, s15, 0
	s_and_b32 vcc_lo, exec_lo, s7
	s_cbranch_vccnz .LBB611_3
; %bb.2:
	s_mov_b32 s1, 0
	s_mov_b32 s0, s8
	;; [unrolled: 1-line block ×3, first 2 shown]
	s_mov_b64 s[2:3], 0
	s_andn2_b32 vcc_lo, exec_lo, s10
	s_mov_b64 s[10:11], 0
	s_cbranch_vccz .LBB611_4
	s_branch .LBB611_5
.LBB611_3:
	s_mov_b64 s[0:1], s[8:9]
	s_mov_b64 s[2:3], 0
	;; [unrolled: 1-line block ×3, first 2 shown]
.LBB611_4:
	s_load_dwordx4 s[16:19], s[4:5], 0x18
	s_lshl_b64 s[8:9], s[8:9], 3
	s_waitcnt lgkmcnt(0)
	s_add_u32 s8, s16, s8
	s_addc_u32 s9, s17, s9
	s_lshl_b64 s[10:11], s[18:19], 1
	s_load_dwordx2 s[8:9], s[8:9], 0x0
	s_waitcnt lgkmcnt(0)
	s_add_u32 s10, s8, s10
	s_addc_u32 s11, s9, s11
.LBB611_5:
	s_andn2_b32 vcc_lo, exec_lo, s7
	s_cbranch_vccnz .LBB611_7
; %bb.6:
	s_load_dwordx4 s[16:19], s[4:5], 0x38
	s_lshl_b64 s[2:3], s[0:1], 3
	s_waitcnt lgkmcnt(0)
	s_add_u32 s2, s16, s2
	s_addc_u32 s3, s17, s3
	s_lshl_b64 s[8:9], s[18:19], 1
	s_load_dwordx2 s[2:3], s[2:3], 0x0
	s_waitcnt lgkmcnt(0)
	s_add_u32 s2, s2, s8
	s_addc_u32 s3, s3, s9
.LBB611_7:
	s_clause 0x1
	s_load_dwordx4 s[20:23], s[4:5], 0x68
	s_load_dword s16, s[4:5], 0x78
	s_lshl_b64 s[0:1], s[0:1], 3
	s_waitcnt lgkmcnt(0)
	s_add_u32 s0, s20, s0
	s_addc_u32 s1, s21, s1
	s_lshl_b64 s[18:19], s[22:23], 1
	s_load_dwordx2 s[8:9], s[0:1], 0x0
	v_cmp_eq_u32_e64 s0, 0, v0
	s_waitcnt lgkmcnt(0)
	s_add_u32 s7, s8, s18
	s_addc_u32 s12, s9, s19
	s_andn2_b32 vcc_lo, exec_lo, s14
	s_cbranch_vccnz .LBB611_15
; %bb.8:
	s_mov_b32 s1, 0
	s_mov_b32 s14, 0
                                        ; implicit-def: $vgpr1
                                        ; implicit-def: $sgpr8_sgpr9
	s_and_saveexec_b32 s17, s0
	s_cbranch_execz .LBB611_16
; %bb.9:
	v_cmp_eq_f32_e64 s0, s13, 0
	s_mul_hi_i32 s9, s16, s6
	s_mul_i32 s8, s16, s6
	s_and_b32 vcc_lo, exec_lo, s0
	s_cbranch_vccnz .LBB611_17
; %bb.10:
	s_lshl_b64 s[18:19], s[8:9], 1
	s_add_u32 s18, s7, s18
	s_addc_u32 s19, s12, s19
	v_mov_b32_e32 v1, s18
	v_mov_b32_e32 v2, s19
	flat_load_ushort v1, v[1:2]
	s_waitcnt vmcnt(0) lgkmcnt(0)
	v_lshlrev_b32_e32 v1, 16, v1
	v_mul_f32_e32 v1, s13, v1
	v_and_b32_e32 v2, 0x7f800000, v1
	v_cmp_ne_u32_e32 vcc_lo, 0x7f800000, v2
                                        ; implicit-def: $vgpr2
	s_and_saveexec_b32 s0, vcc_lo
	s_xor_b32 s0, exec_lo, s0
; %bb.11:
	v_bfe_u32 v2, v1, 16, 1
	v_add3_u32 v2, v1, v2, 0x7fff
                                        ; implicit-def: $vgpr1
; %bb.12:
	s_andn2_saveexec_b32 s0, s0
; %bb.13:
	v_mov_b32_e32 v2, 0
	v_or_b32_e32 v3, 0x10000, v1
	v_cmp_eq_u32_sdwa vcc_lo, v1, v2 src0_sel:WORD_0 src1_sel:DWORD
	v_cndmask_b32_e32 v2, v3, v1, vcc_lo
; %bb.14:
	s_or_b32 exec_lo, exec_lo, s0
	v_lshrrev_b32_e32 v1, 16, v2
	s_mov_b32 s14, exec_lo
	s_or_b32 exec_lo, exec_lo, s17
	s_and_b32 vcc_lo, exec_lo, s1
	s_cbranch_vccnz .LBB611_18
	s_branch .LBB611_68
.LBB611_15:
	s_mov_b32 s14, 0
                                        ; implicit-def: $vgpr1
                                        ; implicit-def: $sgpr8_sgpr9
	s_cbranch_execnz .LBB611_18
	s_branch .LBB611_68
.LBB611_16:
	s_or_b32 exec_lo, exec_lo, s17
	s_and_b32 vcc_lo, exec_lo, s1
	s_cbranch_vccnz .LBB611_18
	s_branch .LBB611_68
.LBB611_17:
	v_mov_b32_e32 v1, 0
	s_mov_b32 s14, exec_lo
	s_or_b32 exec_lo, exec_lo, s17
	s_and_b32 vcc_lo, exec_lo, s1
	s_cbranch_vccz .LBB611_68
.LBB611_18:
	s_clause 0x2
	s_load_dword s17, s[4:5], 0x0
	s_load_dword s1, s[4:5], 0x28
	;; [unrolled: 1-line block ×3, first 2 shown]
	v_mov_b32_e32 v7, 0
	s_waitcnt lgkmcnt(0)
	v_cmp_gt_i32_e32 vcc_lo, s17, v0
	s_mul_hi_i32 s5, s1, s6
	s_mul_i32 s4, s1, s6
	s_ashr_i32 s1, s17, 31
	s_lshl_b64 s[4:5], s[4:5], 1
	v_cndmask_b32_e32 v1, 0, v0, vcc_lo
	s_lshr_b32 s1, s1, 24
	s_add_i32 s1, s17, s1
	v_lshlrev_b32_e32 v1, 1, v1
	v_add_co_u32 v1, s8, s10, v1
	v_add_co_ci_u32_e64 v2, null, s11, 0, s8
	v_add_co_u32 v1, vcc_lo, v1, s4
	v_add_co_ci_u32_e64 v2, null, s5, v2, vcc_lo
	s_and_b32 s4, s1, 0xffffff00
	s_cmpk_lt_i32 s17, 0x100
	s_mov_b32 s5, 0
	s_cbranch_scc1 .LBB611_25
; %bb.19:
	v_mad_i64_i32 v[3:4], null, s0, v0, 0
	v_mov_b32_e32 v8, 0
	v_mov_b32_e32 v7, 0
	s_ashr_i32 s1, s0, 31
	s_lshl_b64 s[8:9], s[0:1], 9
	v_lshlrev_b64 v[5:6], 1, v[3:4]
	v_mov_b32_e32 v4, v2
	v_mov_b32_e32 v3, v1
	v_add_co_u32 v5, vcc_lo, s2, v5
	v_add_co_ci_u32_e64 v6, null, s3, v6, vcc_lo
	s_inst_prefetch 0x1
	s_branch .LBB611_21
	.p2align	6
.LBB611_20:                             ;   in Loop: Header=BB611_21 Depth=1
	s_or_b32 exec_lo, exec_lo, s1
	v_and_b32_e32 v9, 0xffff0000, v10
	v_add_co_u32 v5, vcc_lo, v5, s8
	v_add_co_ci_u32_e64 v6, null, s9, v6, vcc_lo
	v_add_co_u32 v3, vcc_lo, 0x200, v3
	v_add_f32_e32 v7, v7, v9
	v_add_co_ci_u32_e64 v4, null, 0, v4, vcc_lo
	s_addk_i32 s5, 0x100
	s_cmp_ge_i32 s5, s4
	s_cbranch_scc1 .LBB611_25
.LBB611_21:                             ; =>This Inner Loop Header: Depth=1
	flat_load_ushort v9, v[5:6]
	flat_load_ushort v10, v[3:4]
	s_waitcnt vmcnt(1) lgkmcnt(1)
	v_lshlrev_b32_e32 v9, 16, v9
	s_waitcnt vmcnt(0) lgkmcnt(0)
	v_lshlrev_b32_e32 v10, 16, v10
	v_mul_f32_e32 v9, v10, v9
	v_and_b32_e32 v10, 0x7f800000, v9
	v_cmp_ne_u32_e32 vcc_lo, 0x7f800000, v10
                                        ; implicit-def: $vgpr10
	s_and_saveexec_b32 s1, vcc_lo
	s_xor_b32 s1, exec_lo, s1
; %bb.22:                               ;   in Loop: Header=BB611_21 Depth=1
	v_bfe_u32 v10, v9, 16, 1
	v_add3_u32 v10, v9, v10, 0x7fff
                                        ; implicit-def: $vgpr9
; %bb.23:                               ;   in Loop: Header=BB611_21 Depth=1
	s_andn2_saveexec_b32 s1, s1
	s_cbranch_execz .LBB611_20
; %bb.24:                               ;   in Loop: Header=BB611_21 Depth=1
	v_or_b32_e32 v10, 0x10000, v9
	v_cmp_eq_u32_sdwa vcc_lo, v9, v8 src0_sel:WORD_0 src1_sel:DWORD
	v_cndmask_b32_e32 v10, v10, v9, vcc_lo
	s_branch .LBB611_20
.LBB611_25:
	s_inst_prefetch 0x2
	v_add_nc_u32_e32 v3, s4, v0
	s_mov_b32 s1, exec_lo
	v_cmpx_gt_i32_e64 s17, v3
	s_cbranch_execz .LBB611_31
; %bb.26:
	v_mad_i64_i32 v[3:4], null, s0, v3, 0
	s_ashr_i32 s5, s4, 31
	s_lshl_b64 s[4:5], s[4:5], 1
	v_lshlrev_b64 v[3:4], 1, v[3:4]
	v_add_co_u32 v3, vcc_lo, s2, v3
	v_add_co_ci_u32_e64 v4, null, s3, v4, vcc_lo
	v_add_co_u32 v1, vcc_lo, v1, s4
	v_add_co_ci_u32_e64 v2, null, s5, v2, vcc_lo
	flat_load_ushort v3, v[3:4]
	flat_load_ushort v1, v[1:2]
	s_waitcnt vmcnt(1) lgkmcnt(1)
	v_lshlrev_b32_e32 v2, 16, v3
	s_waitcnt vmcnt(0) lgkmcnt(0)
	v_lshlrev_b32_e32 v1, 16, v1
	v_mul_f32_e32 v1, v1, v2
	v_and_b32_e32 v2, 0x7f800000, v1
	v_cmp_ne_u32_e32 vcc_lo, 0x7f800000, v2
                                        ; implicit-def: $vgpr2
	s_and_saveexec_b32 s0, vcc_lo
	s_xor_b32 s0, exec_lo, s0
; %bb.27:
	v_bfe_u32 v2, v1, 16, 1
	v_add3_u32 v2, v1, v2, 0x7fff
                                        ; implicit-def: $vgpr1
; %bb.28:
	s_andn2_saveexec_b32 s0, s0
; %bb.29:
	v_mov_b32_e32 v2, 0
	v_or_b32_e32 v3, 0x10000, v1
	v_cmp_eq_u32_sdwa vcc_lo, v1, v2 src0_sel:WORD_0 src1_sel:DWORD
	v_cndmask_b32_e32 v2, v3, v1, vcc_lo
; %bb.30:
	s_or_b32 exec_lo, exec_lo, s0
	v_and_b32_e32 v1, 0xffff0000, v2
	v_add_f32_e32 v7, v7, v1
.LBB611_31:
	s_or_b32 exec_lo, exec_lo, s1
	v_lshlrev_b32_e32 v1, 2, v0
	s_mov_b32 s0, exec_lo
	ds_write_b32 v1, v7
	s_waitcnt lgkmcnt(0)
	s_barrier
	buffer_gl0_inv
	v_cmpx_gt_u32_e32 0x80, v0
	s_cbranch_execz .LBB611_33
; %bb.32:
	ds_read2st64_b32 v[2:3], v1 offset1:2
	s_waitcnt lgkmcnt(0)
	v_add_f32_e32 v2, v3, v2
	ds_write_b32 v1, v2
.LBB611_33:
	s_or_b32 exec_lo, exec_lo, s0
	s_mov_b32 s0, exec_lo
	s_waitcnt lgkmcnt(0)
	s_barrier
	buffer_gl0_inv
	v_cmpx_gt_u32_e32 64, v0
	s_cbranch_execz .LBB611_35
; %bb.34:
	ds_read2st64_b32 v[2:3], v1 offset1:1
	s_waitcnt lgkmcnt(0)
	v_add_f32_e32 v2, v3, v2
	ds_write_b32 v1, v2
.LBB611_35:
	s_or_b32 exec_lo, exec_lo, s0
	s_mov_b32 s0, exec_lo
	s_waitcnt lgkmcnt(0)
	s_barrier
	buffer_gl0_inv
	v_cmpx_gt_u32_e32 32, v0
	s_cbranch_execz .LBB611_37
; %bb.36:
	ds_read2_b32 v[2:3], v1 offset1:32
	s_waitcnt lgkmcnt(0)
	v_add_f32_e32 v2, v3, v2
	ds_write_b32 v1, v2
.LBB611_37:
	s_or_b32 exec_lo, exec_lo, s0
	s_mov_b32 s0, exec_lo
	s_waitcnt lgkmcnt(0)
	s_barrier
	buffer_gl0_inv
	v_cmpx_gt_u32_e32 16, v0
	s_cbranch_execz .LBB611_39
; %bb.38:
	ds_read2_b32 v[2:3], v1 offset1:16
	s_waitcnt lgkmcnt(0)
	v_add_f32_e32 v2, v3, v2
	ds_write_b32 v1, v2
.LBB611_39:
	;; [unrolled: 13-line block ×5, first 2 shown]
	s_or_b32 exec_lo, exec_lo, s0
	v_cmp_eq_u32_e32 vcc_lo, 0, v0
	s_waitcnt lgkmcnt(0)
	s_barrier
	buffer_gl0_inv
	s_and_saveexec_b32 s0, vcc_lo
	s_cbranch_execz .LBB611_47
; %bb.46:
	v_mov_b32_e32 v2, 0
	ds_read_b64 v[0:1], v2
	s_waitcnt lgkmcnt(0)
	v_add_f32_e32 v0, v1, v0
	ds_write_b32 v2, v0
.LBB611_47:
	s_or_b32 exec_lo, exec_lo, s0
	s_waitcnt lgkmcnt(0)
	s_barrier
	buffer_gl0_inv
                                        ; implicit-def: $vgpr1
                                        ; implicit-def: $sgpr8_sgpr9
	s_and_saveexec_b32 s0, vcc_lo
	s_cbranch_execz .LBB611_67
; %bb.48:
	v_mov_b32_e32 v0, 0
	v_cmp_eq_f32_e64 s2, s13, 0
	ds_read_b32 v0, v0
	s_and_b32 vcc_lo, exec_lo, s2
	s_waitcnt lgkmcnt(0)
	v_mul_f32_e32 v0, s15, v0
	v_readfirstlane_b32 s1, v0
	s_cbranch_vccz .LBB611_51
; %bb.49:
	s_and_b32 s2, s1, 0x7f800000
	s_cmp_eq_u32 s2, 0x7f800000
	s_cbranch_scc1 .LBB611_52
; %bb.50:
	s_bfe_u32 s2, s1, 0x10010
	s_mov_b32 s3, 0
	s_add_i32 s2, s1, s2
	s_addk_i32 s2, 0x7fff
	s_branch .LBB611_53
.LBB611_51:
	s_mov_b32 s3, -1
                                        ; implicit-def: $sgpr2
	s_branch .LBB611_56
.LBB611_52:
	s_mov_b32 s3, -1
                                        ; implicit-def: $sgpr2
.LBB611_53:
	s_andn2_b32 vcc_lo, exec_lo, s3
	s_cbranch_vccnz .LBB611_55
; %bb.54:
	s_and_b32 s2, s1, 0xffff
	s_or_b32 s3, s1, 0x10000
	s_cmp_eq_u32 s2, 0
	s_cselect_b32 s2, s1, s3
.LBB611_55:
	s_mov_b32 s3, 0
.LBB611_56:
	v_mov_b32_e32 v0, s2
	s_andn2_b32 vcc_lo, exec_lo, s3
	s_mul_hi_i32 s9, s16, s6
	s_mul_i32 s8, s16, s6
	s_cbranch_vccnz .LBB611_66
; %bb.57:
	s_lshl_b64 s[2:3], s[8:9], 1
	s_add_u32 s2, s7, s2
	s_addc_u32 s3, s12, s3
	v_mov_b32_e32 v0, s2
	v_mov_b32_e32 v1, s3
	flat_load_ushort v0, v[0:1]
	s_waitcnt vmcnt(0) lgkmcnt(0)
	v_lshlrev_b32_e32 v0, 16, v0
	v_mul_f32_e32 v0, s13, v0
	v_and_b32_e32 v1, 0x7f800000, v0
	v_cmp_ne_u32_e32 vcc_lo, 0x7f800000, v1
                                        ; implicit-def: $vgpr1
	s_and_saveexec_b32 s2, vcc_lo
	s_xor_b32 s2, exec_lo, s2
; %bb.58:
	v_bfe_u32 v1, v0, 16, 1
	v_add3_u32 v1, v0, v1, 0x7fff
                                        ; implicit-def: $vgpr0
; %bb.59:
	s_andn2_saveexec_b32 s2, s2
; %bb.60:
	v_mov_b32_e32 v1, 0
	v_or_b32_e32 v2, 0x10000, v0
	v_cmp_eq_u32_sdwa vcc_lo, v0, v1 src0_sel:WORD_0 src1_sel:DWORD
	v_cndmask_b32_e32 v1, v2, v0, vcc_lo
; %bb.61:
	s_or_b32 exec_lo, exec_lo, s2
	v_and_b32_e32 v0, 0xffff0000, v1
	v_add_f32_e32 v1, s1, v0
	v_and_b32_e32 v0, 0x7f800000, v1
	v_cmp_ne_u32_e32 vcc_lo, 0x7f800000, v0
                                        ; implicit-def: $vgpr0
	s_and_saveexec_b32 s1, vcc_lo
	s_xor_b32 s1, exec_lo, s1
; %bb.62:
	v_bfe_u32 v0, v1, 16, 1
	v_add3_u32 v0, v1, v0, 0x7fff
                                        ; implicit-def: $vgpr1
; %bb.63:
	s_andn2_saveexec_b32 s1, s1
; %bb.64:
	v_mov_b32_e32 v0, 0
	v_or_b32_e32 v2, 0x10000, v1
	v_cmp_eq_u32_sdwa vcc_lo, v1, v0 src0_sel:WORD_0 src1_sel:DWORD
	v_cndmask_b32_e32 v0, v2, v1, vcc_lo
; %bb.65:
	s_or_b32 exec_lo, exec_lo, s1
.LBB611_66:
	v_lshrrev_b32_e32 v1, 16, v0
	s_or_b32 s14, s14, exec_lo
.LBB611_67:
	s_or_b32 exec_lo, exec_lo, s0
.LBB611_68:
	s_and_saveexec_b32 s0, s14
	s_cbranch_execz .LBB611_70
; %bb.69:
	s_lshl_b64 s[0:1], s[8:9], 1
	s_add_u32 s0, s7, s0
	s_addc_u32 s1, s12, s1
	v_mov_b32_e32 v3, s1
	v_mov_b32_e32 v2, s0
	flat_store_short v[2:3], v1
.LBB611_70:
	s_endpgm
	.section	.rodata,"a",@progbits
	.p2align	6, 0x0
	.amdhsa_kernel _ZL20rocblas_gemvt_kernelILb0ELi256EPK16rocblas_bfloat16fKPS0_EviiT2_lPKT1_lilS8_lilS5_lPT3_lili
		.amdhsa_group_segment_fixed_size 1024
		.amdhsa_private_segment_fixed_size 0
		.amdhsa_kernarg_size 140
		.amdhsa_user_sgpr_count 6
		.amdhsa_user_sgpr_private_segment_buffer 1
		.amdhsa_user_sgpr_dispatch_ptr 0
		.amdhsa_user_sgpr_queue_ptr 0
		.amdhsa_user_sgpr_kernarg_segment_ptr 1
		.amdhsa_user_sgpr_dispatch_id 0
		.amdhsa_user_sgpr_flat_scratch_init 0
		.amdhsa_user_sgpr_private_segment_size 0
		.amdhsa_wavefront_size32 1
		.amdhsa_uses_dynamic_stack 0
		.amdhsa_system_sgpr_private_segment_wavefront_offset 0
		.amdhsa_system_sgpr_workgroup_id_x 1
		.amdhsa_system_sgpr_workgroup_id_y 0
		.amdhsa_system_sgpr_workgroup_id_z 1
		.amdhsa_system_sgpr_workgroup_info 0
		.amdhsa_system_vgpr_workitem_id 0
		.amdhsa_next_free_vgpr 11
		.amdhsa_next_free_sgpr 24
		.amdhsa_reserve_vcc 1
		.amdhsa_reserve_flat_scratch 0
		.amdhsa_float_round_mode_32 0
		.amdhsa_float_round_mode_16_64 0
		.amdhsa_float_denorm_mode_32 3
		.amdhsa_float_denorm_mode_16_64 3
		.amdhsa_dx10_clamp 1
		.amdhsa_ieee_mode 1
		.amdhsa_fp16_overflow 0
		.amdhsa_workgroup_processor_mode 1
		.amdhsa_memory_ordered 1
		.amdhsa_forward_progress 1
		.amdhsa_shared_vgpr_count 0
		.amdhsa_exception_fp_ieee_invalid_op 0
		.amdhsa_exception_fp_denorm_src 0
		.amdhsa_exception_fp_ieee_div_zero 0
		.amdhsa_exception_fp_ieee_overflow 0
		.amdhsa_exception_fp_ieee_underflow 0
		.amdhsa_exception_fp_ieee_inexact 0
		.amdhsa_exception_int_div_zero 0
	.end_amdhsa_kernel
	.section	.text._ZL20rocblas_gemvt_kernelILb0ELi256EPK16rocblas_bfloat16fKPS0_EviiT2_lPKT1_lilS8_lilS5_lPT3_lili,"axG",@progbits,_ZL20rocblas_gemvt_kernelILb0ELi256EPK16rocblas_bfloat16fKPS0_EviiT2_lPKT1_lilS8_lilS5_lPT3_lili,comdat
.Lfunc_end611:
	.size	_ZL20rocblas_gemvt_kernelILb0ELi256EPK16rocblas_bfloat16fKPS0_EviiT2_lPKT1_lilS8_lilS5_lPT3_lili, .Lfunc_end611-_ZL20rocblas_gemvt_kernelILb0ELi256EPK16rocblas_bfloat16fKPS0_EviiT2_lPKT1_lilS8_lilS5_lPT3_lili
                                        ; -- End function
	.set _ZL20rocblas_gemvt_kernelILb0ELi256EPK16rocblas_bfloat16fKPS0_EviiT2_lPKT1_lilS8_lilS5_lPT3_lili.num_vgpr, 11
	.set _ZL20rocblas_gemvt_kernelILb0ELi256EPK16rocblas_bfloat16fKPS0_EviiT2_lPKT1_lilS8_lilS5_lPT3_lili.num_agpr, 0
	.set _ZL20rocblas_gemvt_kernelILb0ELi256EPK16rocblas_bfloat16fKPS0_EviiT2_lPKT1_lilS8_lilS5_lPT3_lili.numbered_sgpr, 24
	.set _ZL20rocblas_gemvt_kernelILb0ELi256EPK16rocblas_bfloat16fKPS0_EviiT2_lPKT1_lilS8_lilS5_lPT3_lili.num_named_barrier, 0
	.set _ZL20rocblas_gemvt_kernelILb0ELi256EPK16rocblas_bfloat16fKPS0_EviiT2_lPKT1_lilS8_lilS5_lPT3_lili.private_seg_size, 0
	.set _ZL20rocblas_gemvt_kernelILb0ELi256EPK16rocblas_bfloat16fKPS0_EviiT2_lPKT1_lilS8_lilS5_lPT3_lili.uses_vcc, 1
	.set _ZL20rocblas_gemvt_kernelILb0ELi256EPK16rocblas_bfloat16fKPS0_EviiT2_lPKT1_lilS8_lilS5_lPT3_lili.uses_flat_scratch, 0
	.set _ZL20rocblas_gemvt_kernelILb0ELi256EPK16rocblas_bfloat16fKPS0_EviiT2_lPKT1_lilS8_lilS5_lPT3_lili.has_dyn_sized_stack, 0
	.set _ZL20rocblas_gemvt_kernelILb0ELi256EPK16rocblas_bfloat16fKPS0_EviiT2_lPKT1_lilS8_lilS5_lPT3_lili.has_recursion, 0
	.set _ZL20rocblas_gemvt_kernelILb0ELi256EPK16rocblas_bfloat16fKPS0_EviiT2_lPKT1_lilS8_lilS5_lPT3_lili.has_indirect_call, 0
	.section	.AMDGPU.csdata,"",@progbits
; Kernel info:
; codeLenInByte = 2052
; TotalNumSgprs: 26
; NumVgprs: 11
; ScratchSize: 0
; MemoryBound: 0
; FloatMode: 240
; IeeeMode: 1
; LDSByteSize: 1024 bytes/workgroup (compile time only)
; SGPRBlocks: 0
; VGPRBlocks: 1
; NumSGPRsForWavesPerEU: 26
; NumVGPRsForWavesPerEU: 11
; Occupancy: 16
; WaveLimiterHint : 1
; COMPUTE_PGM_RSRC2:SCRATCH_EN: 0
; COMPUTE_PGM_RSRC2:USER_SGPR: 6
; COMPUTE_PGM_RSRC2:TRAP_HANDLER: 0
; COMPUTE_PGM_RSRC2:TGID_X_EN: 1
; COMPUTE_PGM_RSRC2:TGID_Y_EN: 0
; COMPUTE_PGM_RSRC2:TGID_Z_EN: 1
; COMPUTE_PGM_RSRC2:TIDIG_COMP_CNT: 0
	.section	.text._ZL32rocblas_gemvt_warp_reduce_kernelILb0ELi1024EiPK16rocblas_bfloat16PKfKPS0_EviiT3_lPKT2_lT1_lSA_lSB_lS7_lPT4_lSB_li,"axG",@progbits,_ZL32rocblas_gemvt_warp_reduce_kernelILb0ELi1024EiPK16rocblas_bfloat16PKfKPS0_EviiT3_lPKT2_lT1_lSA_lSB_lS7_lPT4_lSB_li,comdat
	.globl	_ZL32rocblas_gemvt_warp_reduce_kernelILb0ELi1024EiPK16rocblas_bfloat16PKfKPS0_EviiT3_lPKT2_lT1_lSA_lSB_lS7_lPT4_lSB_li ; -- Begin function _ZL32rocblas_gemvt_warp_reduce_kernelILb0ELi1024EiPK16rocblas_bfloat16PKfKPS0_EviiT3_lPKT2_lT1_lSA_lSB_lS7_lPT4_lSB_li
	.p2align	8
	.type	_ZL32rocblas_gemvt_warp_reduce_kernelILb0ELi1024EiPK16rocblas_bfloat16PKfKPS0_EviiT3_lPKT2_lT1_lSA_lSB_lS7_lPT4_lSB_li,@function
_ZL32rocblas_gemvt_warp_reduce_kernelILb0ELi1024EiPK16rocblas_bfloat16PKfKPS0_EviiT3_lPKT2_lT1_lSA_lSB_lS7_lPT4_lSB_li: ; @_ZL32rocblas_gemvt_warp_reduce_kernelILb0ELi1024EiPK16rocblas_bfloat16PKfKPS0_EviiT3_lPKT2_lT1_lSA_lSB_lS7_lPT4_lSB_li
; %bb.0:
	s_clause 0x1
	s_load_dwordx8 s[16:23], s[4:5], 0x8
	s_load_dwordx8 s[8:15], s[4:5], 0x58
	s_mov_b32 s0, s7
	s_waitcnt lgkmcnt(0)
	s_mul_i32 s1, s19, s7
	s_mul_hi_u32 s3, s18, s7
	s_mul_i32 s2, s18, s7
	s_add_i32 s3, s3, s1
	s_mul_i32 s1, s11, s7
	s_lshl_b64 s[2:3], s[2:3], 2
	s_mul_hi_u32 s7, s10, s7
	s_add_u32 s2, s16, s2
	s_addc_u32 s3, s17, s3
	s_add_i32 s11, s7, s1
	s_mul_i32 s10, s10, s0
	s_lshl_b64 s[10:11], s[10:11], 2
	s_add_u32 s8, s8, s10
	s_addc_u32 s9, s9, s11
	s_load_dword s17, s[2:3], 0x0
	s_load_dword s16, s[8:9], 0x0
	s_waitcnt lgkmcnt(0)
	v_cmp_eq_f32_e64 s8, s17, 0
	v_cmp_eq_f32_e64 s1, s16, 1.0
	s_and_b32 s1, s8, s1
	s_and_b32 vcc_lo, exec_lo, s1
	s_mov_b32 s1, 0
	s_cbranch_vccnz .LBB612_59
; %bb.1:
	v_cmp_neq_f32_e64 s7, s17, 0
	s_mov_b64 s[2:3], 0
	s_and_b32 vcc_lo, exec_lo, s8
	s_mov_b64 s[10:11], 0
	s_cbranch_vccnz .LBB612_3
; %bb.2:
	s_lshl_b64 s[10:11], s[0:1], 3
	s_add_u32 s10, s20, s10
	s_addc_u32 s11, s21, s11
	s_lshl_b64 s[18:19], s[22:23], 1
	s_load_dwordx2 s[10:11], s[10:11], 0x0
	s_waitcnt lgkmcnt(0)
	s_add_u32 s10, s10, s18
	s_addc_u32 s11, s11, s19
.LBB612_3:
	s_andn2_b32 vcc_lo, exec_lo, s7
	s_cbranch_vccnz .LBB612_5
; %bb.4:
	s_load_dwordx4 s[20:23], s[4:5], 0x38
	s_lshl_b64 s[2:3], s[0:1], 3
	s_waitcnt lgkmcnt(0)
	s_add_u32 s2, s20, s2
	s_addc_u32 s3, s21, s3
	s_lshl_b64 s[18:19], s[22:23], 1
	s_load_dwordx2 s[2:3], s[2:3], 0x0
	s_waitcnt lgkmcnt(0)
	s_add_u32 s2, s2, s18
	s_addc_u32 s3, s3, s19
.LBB612_5:
	s_lshl_b64 s[0:1], s[0:1], 3
	s_add_u32 s0, s12, s0
	s_addc_u32 s1, s13, s1
	s_lshl_b64 s[14:15], s[14:15], 1
	s_load_dwordx2 s[18:19], s[0:1], 0x0
	s_load_dword s13, s[4:5], 0x78
	v_cmp_eq_u32_e64 s0, 0, v0
	s_waitcnt lgkmcnt(0)
	s_add_u32 s1, s18, s14
	s_addc_u32 s7, s19, s15
	s_andn2_b32 vcc_lo, exec_lo, s8
	s_cbranch_vccnz .LBB612_13
; %bb.6:
	s_mov_b32 s14, 0
	s_mov_b32 s12, 0
                                        ; implicit-def: $vgpr1
                                        ; implicit-def: $sgpr8_sgpr9
	s_and_saveexec_b32 s15, s0
	s_cbranch_execz .LBB612_14
; %bb.7:
	v_cmp_eq_f32_e64 s0, s16, 0
	s_mul_i32 s8, s13, s6
	s_ashr_i32 s9, s8, 31
	s_and_b32 vcc_lo, exec_lo, s0
	s_cbranch_vccnz .LBB612_15
; %bb.8:
	s_lshl_b64 s[18:19], s[8:9], 1
	s_add_u32 s18, s1, s18
	s_addc_u32 s19, s7, s19
	v_mov_b32_e32 v1, s18
	v_mov_b32_e32 v2, s19
	flat_load_ushort v1, v[1:2]
	s_waitcnt vmcnt(0) lgkmcnt(0)
	v_lshlrev_b32_e32 v1, 16, v1
	v_mul_f32_e32 v1, s16, v1
	v_and_b32_e32 v2, 0x7f800000, v1
	v_cmp_ne_u32_e32 vcc_lo, 0x7f800000, v2
                                        ; implicit-def: $vgpr2
	s_and_saveexec_b32 s0, vcc_lo
	s_xor_b32 s0, exec_lo, s0
; %bb.9:
	v_bfe_u32 v2, v1, 16, 1
	v_add3_u32 v2, v1, v2, 0x7fff
                                        ; implicit-def: $vgpr1
; %bb.10:
	s_andn2_saveexec_b32 s0, s0
; %bb.11:
	v_mov_b32_e32 v2, 0
	v_or_b32_e32 v3, 0x10000, v1
	v_cmp_eq_u32_sdwa vcc_lo, v1, v2 src0_sel:WORD_0 src1_sel:DWORD
	v_cndmask_b32_e32 v2, v3, v1, vcc_lo
; %bb.12:
	s_or_b32 exec_lo, exec_lo, s0
	v_lshrrev_b32_e32 v1, 16, v2
	s_mov_b32 s12, exec_lo
	s_or_b32 exec_lo, exec_lo, s15
	s_and_b32 vcc_lo, exec_lo, s14
	s_cbranch_vccnz .LBB612_16
	s_branch .LBB612_57
.LBB612_13:
	s_mov_b32 s12, 0
                                        ; implicit-def: $vgpr1
                                        ; implicit-def: $sgpr8_sgpr9
	s_cbranch_execnz .LBB612_16
	s_branch .LBB612_57
.LBB612_14:
	s_or_b32 exec_lo, exec_lo, s15
	s_and_b32 vcc_lo, exec_lo, s14
	s_cbranch_vccnz .LBB612_16
	s_branch .LBB612_57
.LBB612_15:
	v_mov_b32_e32 v1, 0
	s_mov_b32 s12, exec_lo
	s_or_b32 exec_lo, exec_lo, s15
	s_and_b32 vcc_lo, exec_lo, s14
	s_cbranch_vccz .LBB612_57
.LBB612_16:
	s_clause 0x2
	s_load_dword s8, s[4:5], 0x0
	s_load_dword s0, s[4:5], 0x28
	;; [unrolled: 1-line block ×3, first 2 shown]
	v_mov_b32_e32 v7, 0
	s_mov_b32 s9, exec_lo
	s_waitcnt lgkmcnt(0)
	v_cmp_gt_i32_e32 vcc_lo, s8, v0
	s_mul_i32 s14, s0, s6
	s_ashr_i32 s0, s8, 31
	s_ashr_i32 s15, s14, 31
	s_lshr_b32 s0, s0, 22
	v_cndmask_b32_e32 v1, 0, v0, vcc_lo
	s_lshl_b64 s[14:15], s[14:15], 1
	s_add_i32 s0, s8, s0
	v_lshlrev_b32_e32 v1, 1, v1
	v_add_co_u32 v1, s4, s10, v1
	v_add_co_ci_u32_e64 v2, null, s11, 0, s4
	s_and_b32 s4, s0, 0xfffffc00
	v_add_co_u32 v1, vcc_lo, v1, s14
	v_add_co_ci_u32_e64 v2, null, s15, v2, vcc_lo
	s_mov_b32 s10, 0
	v_cmpx_gt_i32_e64 s4, v0
	s_cbranch_execz .LBB612_24
; %bb.17:
	v_mul_lo_u32 v3, v0, s5
	v_mov_b32_e32 v6, v2
	v_mov_b32_e32 v8, 0
	v_mov_b32_e32 v5, v1
	v_mov_b32_e32 v9, v0
	v_mov_b32_e32 v7, 0
	s_lshl_b32 s11, s5, 10
	s_branch .LBB612_19
.LBB612_18:                             ;   in Loop: Header=BB612_19 Depth=1
	s_or_b32 exec_lo, exec_lo, s0
	v_add_nc_u32_e32 v9, 0x400, v9
	v_and_b32_e32 v4, 0xffff0000, v10
	v_add_co_u32 v5, s0, 0x800, v5
	v_add_nc_u32_e32 v3, s11, v3
	v_cmp_le_i32_e32 vcc_lo, s4, v9
	v_add_f32_e32 v7, v7, v4
	v_add_co_ci_u32_e64 v6, null, 0, v6, s0
	s_or_b32 s10, vcc_lo, s10
	s_andn2_b32 exec_lo, exec_lo, s10
	s_cbranch_execz .LBB612_23
.LBB612_19:                             ; =>This Inner Loop Header: Depth=1
	v_ashrrev_i32_e32 v4, 31, v3
	v_lshlrev_b64 v[10:11], 1, v[3:4]
	v_add_co_u32 v10, vcc_lo, s2, v10
	v_add_co_ci_u32_e64 v11, null, s3, v11, vcc_lo
	flat_load_ushort v4, v[5:6]
	flat_load_ushort v10, v[10:11]
	s_waitcnt vmcnt(1) lgkmcnt(1)
	v_lshlrev_b32_e32 v4, 16, v4
	s_waitcnt vmcnt(0) lgkmcnt(0)
	v_lshlrev_b32_e32 v10, 16, v10
	v_mul_f32_e32 v4, v4, v10
	v_and_b32_e32 v10, 0x7f800000, v4
	v_cmp_ne_u32_e32 vcc_lo, 0x7f800000, v10
                                        ; implicit-def: $vgpr10
	s_and_saveexec_b32 s0, vcc_lo
	s_xor_b32 s0, exec_lo, s0
; %bb.20:                               ;   in Loop: Header=BB612_19 Depth=1
	v_bfe_u32 v10, v4, 16, 1
	v_add3_u32 v10, v4, v10, 0x7fff
                                        ; implicit-def: $vgpr4
; %bb.21:                               ;   in Loop: Header=BB612_19 Depth=1
	s_andn2_saveexec_b32 s0, s0
	s_cbranch_execz .LBB612_18
; %bb.22:                               ;   in Loop: Header=BB612_19 Depth=1
	v_or_b32_e32 v10, 0x10000, v4
	v_cmp_eq_u32_sdwa vcc_lo, v4, v8 src0_sel:WORD_0 src1_sel:DWORD
	v_cndmask_b32_e32 v10, v10, v4, vcc_lo
	s_branch .LBB612_18
.LBB612_23:
	s_or_b32 exec_lo, exec_lo, s10
.LBB612_24:
	s_or_b32 exec_lo, exec_lo, s9
	v_or_b32_e32 v3, s4, v0
	s_mov_b32 s0, exec_lo
	v_cmpx_gt_i32_e64 s8, v3
	s_cbranch_execz .LBB612_30
; %bb.25:
	v_mul_lo_u32 v3, s5, v3
	s_ashr_i32 s5, s4, 31
	s_lshl_b64 s[4:5], s[4:5], 1
	v_ashrrev_i32_e32 v4, 31, v3
	v_lshlrev_b64 v[3:4], 1, v[3:4]
	v_add_co_u32 v3, vcc_lo, s2, v3
	v_add_co_ci_u32_e64 v4, null, s3, v4, vcc_lo
	v_add_co_u32 v1, vcc_lo, v1, s4
	v_add_co_ci_u32_e64 v2, null, s5, v2, vcc_lo
	flat_load_ushort v3, v[3:4]
	flat_load_ushort v1, v[1:2]
	s_waitcnt vmcnt(1) lgkmcnt(1)
	v_lshlrev_b32_e32 v2, 16, v3
	s_waitcnt vmcnt(0) lgkmcnt(0)
	v_lshlrev_b32_e32 v1, 16, v1
	v_mul_f32_e32 v1, v1, v2
	v_and_b32_e32 v2, 0x7f800000, v1
	v_cmp_ne_u32_e32 vcc_lo, 0x7f800000, v2
                                        ; implicit-def: $vgpr2
	s_and_saveexec_b32 s2, vcc_lo
	s_xor_b32 s2, exec_lo, s2
; %bb.26:
	v_bfe_u32 v2, v1, 16, 1
	v_add3_u32 v2, v1, v2, 0x7fff
                                        ; implicit-def: $vgpr1
; %bb.27:
	s_andn2_saveexec_b32 s2, s2
; %bb.28:
	v_mov_b32_e32 v2, 0
	v_or_b32_e32 v3, 0x10000, v1
	v_cmp_eq_u32_sdwa vcc_lo, v1, v2 src0_sel:WORD_0 src1_sel:DWORD
	v_cndmask_b32_e32 v2, v3, v1, vcc_lo
; %bb.29:
	s_or_b32 exec_lo, exec_lo, s2
	v_and_b32_e32 v1, 0xffff0000, v2
	v_add_f32_e32 v7, v7, v1
.LBB612_30:
	s_or_b32 exec_lo, exec_lo, s0
	v_and_b32_e32 v8, 31, v0
	v_cmp_gt_u32_e32 vcc_lo, 32, v0
	v_lshlrev_b32_e32 v1, 2, v8
	s_and_saveexec_b32 s0, vcc_lo
; %bb.31:
	v_mov_b32_e32 v2, 0
	ds_write_b32 v1, v2
; %bb.32:
	s_or_b32 exec_lo, exec_lo, s0
	v_mbcnt_lo_u32_b32 v6, -1, 0
	s_mov_b32 s2, exec_lo
	s_waitcnt lgkmcnt(0)
	s_barrier
	buffer_gl0_inv
	v_lshl_or_b32 v2, v6, 2, 64
	v_cmp_gt_u32_e64 s0, 24, v6
	ds_bpermute_b32 v4, v2, v7
	v_cndmask_b32_e64 v3, 0, 8, s0
	v_cmp_gt_u32_e64 s0, 28, v6
	v_add_lshl_u32 v3, v3, v6, 2
	s_waitcnt lgkmcnt(0)
	v_add_f32_e32 v5, v7, v4
	v_cndmask_b32_e64 v4, 0, 4, s0
	v_cmp_gt_u32_e64 s0, 30, v6
	ds_bpermute_b32 v7, v3, v5
	v_add_lshl_u32 v4, v4, v6, 2
	s_waitcnt lgkmcnt(0)
	v_add_f32_e32 v7, v5, v7
	v_cndmask_b32_e64 v5, 0, 2, s0
	v_cmp_ne_u32_e64 s0, 31, v6
	ds_bpermute_b32 v9, v4, v7
	v_add_lshl_u32 v5, v5, v6, 2
	v_add_co_ci_u32_e64 v6, null, 0, v6, s0
	v_lshlrev_b32_e32 v6, 2, v6
	s_waitcnt lgkmcnt(0)
	v_add_f32_e32 v7, v7, v9
	ds_bpermute_b32 v9, v5, v7
	s_waitcnt lgkmcnt(0)
	v_add_f32_e32 v7, v7, v9
	ds_bpermute_b32 v9, v6, v7
	v_cmpx_eq_u32_e32 0, v8
	s_cbranch_execz .LBB612_34
; %bb.33:
	v_lshrrev_b32_e32 v8, 3, v0
	s_waitcnt lgkmcnt(0)
	v_add_f32_e32 v7, v7, v9
	v_and_b32_e32 v8, 0x7c, v8
	ds_write_b32 v8, v7
.LBB612_34:
	s_or_b32 exec_lo, exec_lo, s2
	v_mov_b32_e32 v7, 0
	s_waitcnt lgkmcnt(0)
	s_barrier
	buffer_gl0_inv
	s_and_saveexec_b32 s0, vcc_lo
; %bb.35:
	ds_read_b32 v7, v1
; %bb.36:
	s_or_b32 exec_lo, exec_lo, s0
	s_and_saveexec_b32 s0, vcc_lo
	s_cbranch_execz .LBB612_38
; %bb.37:
	s_waitcnt lgkmcnt(0)
	ds_bpermute_b32 v1, v2, v7
	s_waitcnt lgkmcnt(0)
	v_add_f32_e32 v1, v7, v1
	ds_bpermute_b32 v2, v3, v1
	s_waitcnt lgkmcnt(0)
	v_add_f32_e32 v1, v1, v2
	;; [unrolled: 3-line block ×5, first 2 shown]
.LBB612_38:
	s_or_b32 exec_lo, exec_lo, s0
	s_mov_b32 s0, exec_lo
                                        ; implicit-def: $vgpr1
                                        ; implicit-def: $sgpr8_sgpr9
	v_cmpx_eq_u32_e32 0, v0
	s_cbranch_execz .LBB612_56
; %bb.39:
	v_cmp_eq_f32_e64 s2, s16, 0
	s_waitcnt lgkmcnt(0)
	v_mul_f32_e32 v0, s17, v7
	s_and_b32 vcc_lo, exec_lo, s2
	s_cbranch_vccz .LBB612_45
; %bb.40:
	v_and_b32_e32 v1, 0x7f800000, v0
	v_cmp_ne_u32_e32 vcc_lo, 0x7f800000, v1
                                        ; implicit-def: $vgpr1
	s_and_saveexec_b32 s2, vcc_lo
	s_xor_b32 s2, exec_lo, s2
; %bb.41:
	v_bfe_u32 v1, v0, 16, 1
	v_add3_u32 v1, v0, v1, 0x7fff
; %bb.42:
	s_andn2_saveexec_b32 s2, s2
; %bb.43:
	v_mov_b32_e32 v1, 0
	v_or_b32_e32 v2, 0x10000, v0
	v_cmp_eq_u32_sdwa vcc_lo, v0, v1 src0_sel:WORD_0 src1_sel:DWORD
	v_cndmask_b32_e32 v1, v2, v0, vcc_lo
; %bb.44:
	s_or_b32 exec_lo, exec_lo, s2
	s_mul_i32 s8, s13, s6
	s_cbranch_execz .LBB612_46
	s_branch .LBB612_55
.LBB612_45:
                                        ; implicit-def: $vgpr1
	s_mul_i32 s8, s13, s6
.LBB612_46:
	s_ashr_i32 s9, s8, 31
	s_lshl_b64 s[2:3], s[8:9], 1
	s_add_u32 s2, s1, s2
	s_addc_u32 s3, s7, s3
	v_mov_b32_e32 v1, s2
	v_mov_b32_e32 v2, s3
	flat_load_ushort v1, v[1:2]
	s_waitcnt vmcnt(0) lgkmcnt(0)
	v_lshlrev_b32_e32 v1, 16, v1
	v_mul_f32_e32 v1, s16, v1
	v_and_b32_e32 v2, 0x7f800000, v1
	v_cmp_ne_u32_e32 vcc_lo, 0x7f800000, v2
                                        ; implicit-def: $vgpr2
	s_and_saveexec_b32 s2, vcc_lo
	s_xor_b32 s2, exec_lo, s2
; %bb.47:
	v_bfe_u32 v2, v1, 16, 1
	v_add3_u32 v2, v1, v2, 0x7fff
                                        ; implicit-def: $vgpr1
; %bb.48:
	s_andn2_saveexec_b32 s2, s2
; %bb.49:
	v_mov_b32_e32 v2, 0
	v_or_b32_e32 v3, 0x10000, v1
	v_cmp_eq_u32_sdwa vcc_lo, v1, v2 src0_sel:WORD_0 src1_sel:DWORD
	v_cndmask_b32_e32 v2, v3, v1, vcc_lo
; %bb.50:
	s_or_b32 exec_lo, exec_lo, s2
	v_and_b32_e32 v1, 0xffff0000, v2
	v_add_f32_e32 v0, v0, v1
	v_and_b32_e32 v1, 0x7f800000, v0
	v_cmp_ne_u32_e32 vcc_lo, 0x7f800000, v1
                                        ; implicit-def: $vgpr1
	s_and_saveexec_b32 s2, vcc_lo
	s_xor_b32 s2, exec_lo, s2
; %bb.51:
	v_bfe_u32 v1, v0, 16, 1
	v_add3_u32 v1, v0, v1, 0x7fff
                                        ; implicit-def: $vgpr0
; %bb.52:
	s_andn2_saveexec_b32 s2, s2
; %bb.53:
	v_mov_b32_e32 v1, 0
	v_or_b32_e32 v2, 0x10000, v0
	v_cmp_eq_u32_sdwa vcc_lo, v0, v1 src0_sel:WORD_0 src1_sel:DWORD
	v_cndmask_b32_e32 v1, v2, v0, vcc_lo
; %bb.54:
	s_or_b32 exec_lo, exec_lo, s2
.LBB612_55:
	v_lshrrev_b32_e32 v1, 16, v1
	s_ashr_i32 s9, s8, 31
	s_or_b32 s12, s12, exec_lo
.LBB612_56:
	s_or_b32 exec_lo, exec_lo, s0
.LBB612_57:
	s_and_saveexec_b32 s0, s12
	s_cbranch_execz .LBB612_59
; %bb.58:
	s_lshl_b64 s[2:3], s[8:9], 1
	s_add_u32 s0, s1, s2
	s_addc_u32 s1, s7, s3
	v_mov_b32_e32 v3, s1
	v_mov_b32_e32 v2, s0
	flat_store_short v[2:3], v1
.LBB612_59:
	s_endpgm
	.section	.rodata,"a",@progbits
	.p2align	6, 0x0
	.amdhsa_kernel _ZL32rocblas_gemvt_warp_reduce_kernelILb0ELi1024EiPK16rocblas_bfloat16PKfKPS0_EviiT3_lPKT2_lT1_lSA_lSB_lS7_lPT4_lSB_li
		.amdhsa_group_segment_fixed_size 128
		.amdhsa_private_segment_fixed_size 0
		.amdhsa_kernarg_size 140
		.amdhsa_user_sgpr_count 6
		.amdhsa_user_sgpr_private_segment_buffer 1
		.amdhsa_user_sgpr_dispatch_ptr 0
		.amdhsa_user_sgpr_queue_ptr 0
		.amdhsa_user_sgpr_kernarg_segment_ptr 1
		.amdhsa_user_sgpr_dispatch_id 0
		.amdhsa_user_sgpr_flat_scratch_init 0
		.amdhsa_user_sgpr_private_segment_size 0
		.amdhsa_wavefront_size32 1
		.amdhsa_uses_dynamic_stack 0
		.amdhsa_system_sgpr_private_segment_wavefront_offset 0
		.amdhsa_system_sgpr_workgroup_id_x 1
		.amdhsa_system_sgpr_workgroup_id_y 0
		.amdhsa_system_sgpr_workgroup_id_z 1
		.amdhsa_system_sgpr_workgroup_info 0
		.amdhsa_system_vgpr_workitem_id 0
		.amdhsa_next_free_vgpr 12
		.amdhsa_next_free_sgpr 24
		.amdhsa_reserve_vcc 1
		.amdhsa_reserve_flat_scratch 0
		.amdhsa_float_round_mode_32 0
		.amdhsa_float_round_mode_16_64 0
		.amdhsa_float_denorm_mode_32 3
		.amdhsa_float_denorm_mode_16_64 3
		.amdhsa_dx10_clamp 1
		.amdhsa_ieee_mode 1
		.amdhsa_fp16_overflow 0
		.amdhsa_workgroup_processor_mode 1
		.amdhsa_memory_ordered 1
		.amdhsa_forward_progress 1
		.amdhsa_shared_vgpr_count 0
		.amdhsa_exception_fp_ieee_invalid_op 0
		.amdhsa_exception_fp_denorm_src 0
		.amdhsa_exception_fp_ieee_div_zero 0
		.amdhsa_exception_fp_ieee_overflow 0
		.amdhsa_exception_fp_ieee_underflow 0
		.amdhsa_exception_fp_ieee_inexact 0
		.amdhsa_exception_int_div_zero 0
	.end_amdhsa_kernel
	.section	.text._ZL32rocblas_gemvt_warp_reduce_kernelILb0ELi1024EiPK16rocblas_bfloat16PKfKPS0_EviiT3_lPKT2_lT1_lSA_lSB_lS7_lPT4_lSB_li,"axG",@progbits,_ZL32rocblas_gemvt_warp_reduce_kernelILb0ELi1024EiPK16rocblas_bfloat16PKfKPS0_EviiT3_lPKT2_lT1_lSA_lSB_lS7_lPT4_lSB_li,comdat
.Lfunc_end612:
	.size	_ZL32rocblas_gemvt_warp_reduce_kernelILb0ELi1024EiPK16rocblas_bfloat16PKfKPS0_EviiT3_lPKT2_lT1_lSA_lSB_lS7_lPT4_lSB_li, .Lfunc_end612-_ZL32rocblas_gemvt_warp_reduce_kernelILb0ELi1024EiPK16rocblas_bfloat16PKfKPS0_EviiT3_lPKT2_lT1_lSA_lSB_lS7_lPT4_lSB_li
                                        ; -- End function
	.set _ZL32rocblas_gemvt_warp_reduce_kernelILb0ELi1024EiPK16rocblas_bfloat16PKfKPS0_EviiT3_lPKT2_lT1_lSA_lSB_lS7_lPT4_lSB_li.num_vgpr, 12
	.set _ZL32rocblas_gemvt_warp_reduce_kernelILb0ELi1024EiPK16rocblas_bfloat16PKfKPS0_EviiT3_lPKT2_lT1_lSA_lSB_lS7_lPT4_lSB_li.num_agpr, 0
	.set _ZL32rocblas_gemvt_warp_reduce_kernelILb0ELi1024EiPK16rocblas_bfloat16PKfKPS0_EviiT3_lPKT2_lT1_lSA_lSB_lS7_lPT4_lSB_li.numbered_sgpr, 24
	.set _ZL32rocblas_gemvt_warp_reduce_kernelILb0ELi1024EiPK16rocblas_bfloat16PKfKPS0_EviiT3_lPKT2_lT1_lSA_lSB_lS7_lPT4_lSB_li.num_named_barrier, 0
	.set _ZL32rocblas_gemvt_warp_reduce_kernelILb0ELi1024EiPK16rocblas_bfloat16PKfKPS0_EviiT3_lPKT2_lT1_lSA_lSB_lS7_lPT4_lSB_li.private_seg_size, 0
	.set _ZL32rocblas_gemvt_warp_reduce_kernelILb0ELi1024EiPK16rocblas_bfloat16PKfKPS0_EviiT3_lPKT2_lT1_lSA_lSB_lS7_lPT4_lSB_li.uses_vcc, 1
	.set _ZL32rocblas_gemvt_warp_reduce_kernelILb0ELi1024EiPK16rocblas_bfloat16PKfKPS0_EviiT3_lPKT2_lT1_lSA_lSB_lS7_lPT4_lSB_li.uses_flat_scratch, 0
	.set _ZL32rocblas_gemvt_warp_reduce_kernelILb0ELi1024EiPK16rocblas_bfloat16PKfKPS0_EviiT3_lPKT2_lT1_lSA_lSB_lS7_lPT4_lSB_li.has_dyn_sized_stack, 0
	.set _ZL32rocblas_gemvt_warp_reduce_kernelILb0ELi1024EiPK16rocblas_bfloat16PKfKPS0_EviiT3_lPKT2_lT1_lSA_lSB_lS7_lPT4_lSB_li.has_recursion, 0
	.set _ZL32rocblas_gemvt_warp_reduce_kernelILb0ELi1024EiPK16rocblas_bfloat16PKfKPS0_EviiT3_lPKT2_lT1_lSA_lSB_lS7_lPT4_lSB_li.has_indirect_call, 0
	.section	.AMDGPU.csdata,"",@progbits
; Kernel info:
; codeLenInByte = 1924
; TotalNumSgprs: 26
; NumVgprs: 12
; ScratchSize: 0
; MemoryBound: 0
; FloatMode: 240
; IeeeMode: 1
; LDSByteSize: 128 bytes/workgroup (compile time only)
; SGPRBlocks: 0
; VGPRBlocks: 1
; NumSGPRsForWavesPerEU: 26
; NumVGPRsForWavesPerEU: 12
; Occupancy: 16
; WaveLimiterHint : 1
; COMPUTE_PGM_RSRC2:SCRATCH_EN: 0
; COMPUTE_PGM_RSRC2:USER_SGPR: 6
; COMPUTE_PGM_RSRC2:TRAP_HANDLER: 0
; COMPUTE_PGM_RSRC2:TGID_X_EN: 1
; COMPUTE_PGM_RSRC2:TGID_Y_EN: 0
; COMPUTE_PGM_RSRC2:TGID_Z_EN: 1
; COMPUTE_PGM_RSRC2:TIDIG_COMP_CNT: 0
	.section	.text._ZL32rocblas_gemvt_warp_reduce_kernelILb0ELi1024ElPK16rocblas_bfloat16PKfKPS0_EviiT3_lPKT2_lT1_lSA_lSB_lS7_lPT4_lSB_li,"axG",@progbits,_ZL32rocblas_gemvt_warp_reduce_kernelILb0ELi1024ElPK16rocblas_bfloat16PKfKPS0_EviiT3_lPKT2_lT1_lSA_lSB_lS7_lPT4_lSB_li,comdat
	.globl	_ZL32rocblas_gemvt_warp_reduce_kernelILb0ELi1024ElPK16rocblas_bfloat16PKfKPS0_EviiT3_lPKT2_lT1_lSA_lSB_lS7_lPT4_lSB_li ; -- Begin function _ZL32rocblas_gemvt_warp_reduce_kernelILb0ELi1024ElPK16rocblas_bfloat16PKfKPS0_EviiT3_lPKT2_lT1_lSA_lSB_lS7_lPT4_lSB_li
	.p2align	8
	.type	_ZL32rocblas_gemvt_warp_reduce_kernelILb0ELi1024ElPK16rocblas_bfloat16PKfKPS0_EviiT3_lPKT2_lT1_lSA_lSB_lS7_lPT4_lSB_li,@function
_ZL32rocblas_gemvt_warp_reduce_kernelILb0ELi1024ElPK16rocblas_bfloat16PKfKPS0_EviiT3_lPKT2_lT1_lSA_lSB_lS7_lPT4_lSB_li: ; @_ZL32rocblas_gemvt_warp_reduce_kernelILb0ELi1024ElPK16rocblas_bfloat16PKfKPS0_EviiT3_lPKT2_lT1_lSA_lSB_lS7_lPT4_lSB_li
; %bb.0:
	s_clause 0x1
	s_load_dwordx8 s[16:23], s[4:5], 0x8
	s_load_dwordx8 s[8:15], s[4:5], 0x58
	s_mov_b32 s27, 0
	s_waitcnt lgkmcnt(0)
	s_mul_i32 s1, s19, s7
	s_mul_hi_u32 s2, s18, s7
	s_mul_i32 s0, s18, s7
	s_add_i32 s1, s2, s1
	s_mul_i32 s2, s11, s7
	s_lshl_b64 s[0:1], s[0:1], 2
	s_mul_hi_u32 s3, s10, s7
	s_add_u32 s0, s16, s0
	s_addc_u32 s1, s17, s1
	s_add_i32 s3, s3, s2
	s_mul_i32 s2, s10, s7
	s_lshl_b64 s[2:3], s[2:3], 2
	s_add_u32 s2, s8, s2
	s_addc_u32 s3, s9, s3
	s_load_dword s29, s[0:1], 0x0
	s_load_dword s28, s[2:3], 0x0
	s_waitcnt lgkmcnt(0)
	v_cmp_eq_f32_e64 s30, s29, 0
	v_cmp_eq_f32_e64 s0, s28, 1.0
	s_and_b32 s0, s30, s0
	s_and_b32 vcc_lo, exec_lo, s0
	s_cbranch_vccnz .LBB613_60
; %bb.1:
	s_clause 0x1
	s_load_dwordx2 s[18:19], s[4:5], 0x28
	s_load_dwordx2 s[8:9], s[4:5], 0x78
	s_mov_b32 s26, s7
	v_cmp_neq_f32_e64 s7, s29, 0
	s_mov_b64 s[10:11], 0
	s_and_b32 vcc_lo, exec_lo, s30
	s_mov_b64 s[24:25], 0
	s_cbranch_vccnz .LBB613_3
; %bb.2:
	s_lshl_b64 s[0:1], s[26:27], 3
	s_add_u32 s0, s20, s0
	s_addc_u32 s1, s21, s1
	s_lshl_b64 s[2:3], s[22:23], 1
	s_load_dwordx2 s[0:1], s[0:1], 0x0
	s_waitcnt lgkmcnt(0)
	s_add_u32 s24, s0, s2
	s_addc_u32 s25, s1, s3
.LBB613_3:
	s_clause 0x1
	s_load_dwordx4 s[0:3], s[4:5], 0x38
	s_load_dwordx2 s[16:17], s[4:5], 0x48
	s_andn2_b32 vcc_lo, exec_lo, s7
	s_cbranch_vccnz .LBB613_5
; %bb.4:
	s_lshl_b64 s[10:11], s[26:27], 3
	s_waitcnt lgkmcnt(0)
	s_add_u32 s0, s0, s10
	s_addc_u32 s1, s1, s11
	s_lshl_b64 s[2:3], s[2:3], 1
	s_load_dwordx2 s[0:1], s[0:1], 0x0
	s_waitcnt lgkmcnt(0)
	s_add_u32 s10, s0, s2
	s_addc_u32 s11, s1, s3
.LBB613_5:
	s_waitcnt lgkmcnt(0)
	s_lshl_b64 s[0:1], s[26:27], 3
	s_add_u32 s0, s12, s0
	s_addc_u32 s1, s13, s1
	s_lshl_b64 s[12:13], s[14:15], 1
	s_load_dwordx2 s[2:3], s[0:1], 0x0
	v_cmp_eq_u32_e64 s0, 0, v0
	s_waitcnt lgkmcnt(0)
	s_add_u32 s1, s2, s12
	s_addc_u32 s7, s3, s13
	s_andn2_b32 vcc_lo, exec_lo, s30
	s_cbranch_vccnz .LBB613_13
; %bb.6:
	s_mov_b32 s13, 0
	s_mov_b32 s12, 0
                                        ; implicit-def: $vgpr1
                                        ; implicit-def: $sgpr2_sgpr3
	s_and_saveexec_b32 s14, s0
	s_cbranch_execz .LBB613_14
; %bb.7:
	s_ashr_i32 s2, s6, 31
	v_cmp_eq_f32_e64 s0, s28, 0
	s_mul_hi_u32 s3, s8, s6
	s_mul_i32 s2, s8, s2
	s_mul_i32 s12, s9, s6
	s_add_i32 s2, s3, s2
	s_and_b32 vcc_lo, exec_lo, s0
	s_add_i32 s3, s2, s12
	s_mul_i32 s2, s8, s6
	s_cbranch_vccnz .LBB613_15
; %bb.8:
	s_lshl_b64 s[20:21], s[2:3], 1
	s_add_u32 s20, s1, s20
	s_addc_u32 s21, s7, s21
	v_mov_b32_e32 v1, s20
	v_mov_b32_e32 v2, s21
	flat_load_ushort v1, v[1:2]
	s_waitcnt vmcnt(0) lgkmcnt(0)
	v_lshlrev_b32_e32 v1, 16, v1
	v_mul_f32_e32 v1, s28, v1
	v_and_b32_e32 v2, 0x7f800000, v1
	v_cmp_ne_u32_e32 vcc_lo, 0x7f800000, v2
                                        ; implicit-def: $vgpr2
	s_and_saveexec_b32 s0, vcc_lo
	s_xor_b32 s0, exec_lo, s0
; %bb.9:
	v_bfe_u32 v2, v1, 16, 1
	v_add3_u32 v2, v1, v2, 0x7fff
                                        ; implicit-def: $vgpr1
; %bb.10:
	s_andn2_saveexec_b32 s0, s0
; %bb.11:
	v_mov_b32_e32 v2, 0
	v_or_b32_e32 v3, 0x10000, v1
	v_cmp_eq_u32_sdwa vcc_lo, v1, v2 src0_sel:WORD_0 src1_sel:DWORD
	v_cndmask_b32_e32 v2, v3, v1, vcc_lo
; %bb.12:
	s_or_b32 exec_lo, exec_lo, s0
	v_lshrrev_b32_e32 v1, 16, v2
	s_mov_b32 s12, exec_lo
	s_or_b32 exec_lo, exec_lo, s14
	s_and_b32 vcc_lo, exec_lo, s13
	s_cbranch_vccnz .LBB613_16
	s_branch .LBB613_58
.LBB613_13:
	s_mov_b32 s12, 0
                                        ; implicit-def: $vgpr1
                                        ; implicit-def: $sgpr2_sgpr3
	s_cbranch_execnz .LBB613_16
	s_branch .LBB613_58
.LBB613_14:
	s_or_b32 exec_lo, exec_lo, s14
	s_and_b32 vcc_lo, exec_lo, s13
	s_cbranch_vccnz .LBB613_16
	s_branch .LBB613_58
.LBB613_15:
	v_mov_b32_e32 v1, 0
	s_mov_b32 s12, exec_lo
	s_or_b32 exec_lo, exec_lo, s14
	s_and_b32 vcc_lo, exec_lo, s13
	s_cbranch_vccz .LBB613_58
.LBB613_16:
	s_load_dword s3, s[4:5], 0x0
	s_ashr_i32 s13, s6, 31
	s_mul_hi_u32 s0, s18, s6
	s_mul_i32 s4, s18, s13
	s_mul_i32 s2, s19, s6
	s_add_i32 s0, s0, s4
	s_mul_i32 s4, s18, s6
	s_add_i32 s5, s0, s2
	v_mov_b32_e32 v7, 0
	s_lshl_b64 s[4:5], s[4:5], 1
	s_mov_b32 s15, 0
	s_mov_b32 s14, exec_lo
	s_waitcnt lgkmcnt(0)
	v_cmp_gt_i32_e32 vcc_lo, s3, v0
	s_ashr_i32 s0, s3, 31
	s_lshr_b32 s0, s0, 22
	s_add_i32 s0, s3, s0
	v_cndmask_b32_e32 v1, 0, v0, vcc_lo
	v_lshlrev_b32_e32 v1, 1, v1
	v_add_co_u32 v1, s2, s24, v1
	v_add_co_ci_u32_e64 v2, null, s25, 0, s2
	s_and_b32 s2, s0, 0xfffffc00
	v_add_co_u32 v1, vcc_lo, v1, s4
	v_add_co_ci_u32_e64 v2, null, s5, v2, vcc_lo
	v_cmpx_gt_i32_e64 s2, v0
	s_cbranch_execz .LBB613_24
; %bb.17:
	v_mad_u64_u32 v[3:4], null, s16, v0, 0
	v_mov_b32_e32 v8, 0
	v_mov_b32_e32 v9, v0
	;; [unrolled: 1-line block ×3, first 2 shown]
	s_lshl_b64 s[4:5], s[16:17], 11
	v_mad_u64_u32 v[4:5], null, s17, v0, v[4:5]
	v_lshlrev_b64 v[5:6], 1, v[3:4]
	v_mov_b32_e32 v4, v2
	v_mov_b32_e32 v3, v1
	v_add_co_u32 v5, vcc_lo, s10, v5
	v_add_co_ci_u32_e64 v6, null, s11, v6, vcc_lo
	s_inst_prefetch 0x1
	s_branch .LBB613_19
	.p2align	6
.LBB613_18:                             ;   in Loop: Header=BB613_19 Depth=1
	s_or_b32 exec_lo, exec_lo, s0
	v_add_nc_u32_e32 v9, 0x400, v9
	v_and_b32_e32 v10, 0xffff0000, v11
	v_add_co_u32 v3, vcc_lo, 0x800, v3
	v_add_co_ci_u32_e64 v4, null, 0, v4, vcc_lo
	v_cmp_le_i32_e32 vcc_lo, s2, v9
	v_add_co_u32 v5, s0, v5, s4
	v_add_f32_e32 v7, v7, v10
	v_add_co_ci_u32_e64 v6, null, s5, v6, s0
	s_or_b32 s15, vcc_lo, s15
	s_andn2_b32 exec_lo, exec_lo, s15
	s_cbranch_execz .LBB613_23
.LBB613_19:                             ; =>This Inner Loop Header: Depth=1
	flat_load_ushort v10, v[5:6]
	flat_load_ushort v11, v[3:4]
	s_waitcnt vmcnt(1) lgkmcnt(1)
	v_lshlrev_b32_e32 v10, 16, v10
	s_waitcnt vmcnt(0) lgkmcnt(0)
	v_lshlrev_b32_e32 v11, 16, v11
	v_mul_f32_e32 v10, v11, v10
	v_and_b32_e32 v11, 0x7f800000, v10
	v_cmp_ne_u32_e32 vcc_lo, 0x7f800000, v11
                                        ; implicit-def: $vgpr11
	s_and_saveexec_b32 s0, vcc_lo
	s_xor_b32 s0, exec_lo, s0
; %bb.20:                               ;   in Loop: Header=BB613_19 Depth=1
	v_bfe_u32 v11, v10, 16, 1
	v_add3_u32 v11, v10, v11, 0x7fff
                                        ; implicit-def: $vgpr10
; %bb.21:                               ;   in Loop: Header=BB613_19 Depth=1
	s_andn2_saveexec_b32 s0, s0
	s_cbranch_execz .LBB613_18
; %bb.22:                               ;   in Loop: Header=BB613_19 Depth=1
	v_or_b32_e32 v11, 0x10000, v10
	v_cmp_eq_u32_sdwa vcc_lo, v10, v8 src0_sel:WORD_0 src1_sel:DWORD
	v_cndmask_b32_e32 v11, v11, v10, vcc_lo
	s_branch .LBB613_18
.LBB613_23:
	s_inst_prefetch 0x2
	s_or_b32 exec_lo, exec_lo, s15
.LBB613_24:
	s_or_b32 exec_lo, exec_lo, s14
	v_or_b32_e32 v3, s2, v0
	s_mov_b32 s0, exec_lo
	v_cmpx_gt_i32_e64 s3, v3
	s_cbranch_execz .LBB613_30
; %bb.25:
	v_ashrrev_i32_e32 v5, 31, v3
	v_mul_lo_u32 v6, s17, v3
	v_mad_u64_u32 v[3:4], null, s16, v3, 0
	s_ashr_i32 s3, s2, 31
	v_mul_lo_u32 v5, s16, v5
	s_lshl_b64 s[2:3], s[2:3], 1
	v_add3_u32 v4, v4, v5, v6
	v_lshlrev_b64 v[3:4], 1, v[3:4]
	v_add_co_u32 v3, vcc_lo, s10, v3
	v_add_co_ci_u32_e64 v4, null, s11, v4, vcc_lo
	v_add_co_u32 v1, vcc_lo, v1, s2
	v_add_co_ci_u32_e64 v2, null, s3, v2, vcc_lo
	flat_load_ushort v3, v[3:4]
	flat_load_ushort v1, v[1:2]
	s_waitcnt vmcnt(1) lgkmcnt(1)
	v_lshlrev_b32_e32 v2, 16, v3
	s_waitcnt vmcnt(0) lgkmcnt(0)
	v_lshlrev_b32_e32 v1, 16, v1
	v_mul_f32_e32 v1, v1, v2
	v_and_b32_e32 v2, 0x7f800000, v1
	v_cmp_ne_u32_e32 vcc_lo, 0x7f800000, v2
                                        ; implicit-def: $vgpr2
	s_and_saveexec_b32 s2, vcc_lo
	s_xor_b32 s2, exec_lo, s2
; %bb.26:
	v_bfe_u32 v2, v1, 16, 1
	v_add3_u32 v2, v1, v2, 0x7fff
                                        ; implicit-def: $vgpr1
; %bb.27:
	s_andn2_saveexec_b32 s2, s2
; %bb.28:
	v_mov_b32_e32 v2, 0
	v_or_b32_e32 v3, 0x10000, v1
	v_cmp_eq_u32_sdwa vcc_lo, v1, v2 src0_sel:WORD_0 src1_sel:DWORD
	v_cndmask_b32_e32 v2, v3, v1, vcc_lo
; %bb.29:
	s_or_b32 exec_lo, exec_lo, s2
	v_and_b32_e32 v1, 0xffff0000, v2
	v_add_f32_e32 v7, v7, v1
.LBB613_30:
	s_or_b32 exec_lo, exec_lo, s0
	v_and_b32_e32 v8, 31, v0
	v_cmp_gt_u32_e32 vcc_lo, 32, v0
	v_lshlrev_b32_e32 v1, 2, v8
	s_and_saveexec_b32 s0, vcc_lo
; %bb.31:
	v_mov_b32_e32 v2, 0
	ds_write_b32 v1, v2
; %bb.32:
	s_or_b32 exec_lo, exec_lo, s0
	v_mbcnt_lo_u32_b32 v6, -1, 0
	s_mov_b32 s2, exec_lo
	s_waitcnt lgkmcnt(0)
	s_barrier
	buffer_gl0_inv
	v_lshl_or_b32 v2, v6, 2, 64
	v_cmp_gt_u32_e64 s0, 24, v6
	ds_bpermute_b32 v4, v2, v7
	v_cndmask_b32_e64 v3, 0, 8, s0
	v_cmp_gt_u32_e64 s0, 28, v6
	v_add_lshl_u32 v3, v3, v6, 2
	s_waitcnt lgkmcnt(0)
	v_add_f32_e32 v5, v7, v4
	v_cndmask_b32_e64 v4, 0, 4, s0
	v_cmp_gt_u32_e64 s0, 30, v6
	ds_bpermute_b32 v7, v3, v5
	v_add_lshl_u32 v4, v4, v6, 2
	s_waitcnt lgkmcnt(0)
	v_add_f32_e32 v7, v5, v7
	v_cndmask_b32_e64 v5, 0, 2, s0
	v_cmp_ne_u32_e64 s0, 31, v6
	ds_bpermute_b32 v9, v4, v7
	v_add_lshl_u32 v5, v5, v6, 2
	v_add_co_ci_u32_e64 v6, null, 0, v6, s0
	v_lshlrev_b32_e32 v6, 2, v6
	s_waitcnt lgkmcnt(0)
	v_add_f32_e32 v7, v7, v9
	ds_bpermute_b32 v9, v5, v7
	s_waitcnt lgkmcnt(0)
	v_add_f32_e32 v7, v7, v9
	ds_bpermute_b32 v9, v6, v7
	v_cmpx_eq_u32_e32 0, v8
	s_cbranch_execz .LBB613_34
; %bb.33:
	v_lshrrev_b32_e32 v8, 3, v0
	s_waitcnt lgkmcnt(0)
	v_add_f32_e32 v7, v7, v9
	v_and_b32_e32 v8, 0x7c, v8
	ds_write_b32 v8, v7
.LBB613_34:
	s_or_b32 exec_lo, exec_lo, s2
	v_mov_b32_e32 v7, 0
	s_waitcnt lgkmcnt(0)
	s_barrier
	buffer_gl0_inv
	s_and_saveexec_b32 s0, vcc_lo
; %bb.35:
	ds_read_b32 v7, v1
; %bb.36:
	s_or_b32 exec_lo, exec_lo, s0
	s_and_saveexec_b32 s0, vcc_lo
	s_cbranch_execz .LBB613_38
; %bb.37:
	s_waitcnt lgkmcnt(0)
	ds_bpermute_b32 v1, v2, v7
	s_waitcnt lgkmcnt(0)
	v_add_f32_e32 v1, v7, v1
	ds_bpermute_b32 v2, v3, v1
	s_waitcnt lgkmcnt(0)
	v_add_f32_e32 v1, v1, v2
	;; [unrolled: 3-line block ×5, first 2 shown]
.LBB613_38:
	s_or_b32 exec_lo, exec_lo, s0
	s_mov_b32 s0, exec_lo
                                        ; implicit-def: $vgpr1
                                        ; implicit-def: $sgpr2_sgpr3
	v_cmpx_eq_u32_e32 0, v0
	s_cbranch_execz .LBB613_57
; %bb.39:
	v_cmp_eq_f32_e64 s2, s28, 0
	s_waitcnt lgkmcnt(0)
	v_mul_f32_e32 v0, s29, v7
	s_and_b32 vcc_lo, exec_lo, s2
	s_cbranch_vccz .LBB613_45
; %bb.40:
	v_and_b32_e32 v1, 0x7f800000, v0
	v_cmp_ne_u32_e32 vcc_lo, 0x7f800000, v1
                                        ; implicit-def: $vgpr1
	s_and_saveexec_b32 s2, vcc_lo
	s_xor_b32 s2, exec_lo, s2
; %bb.41:
	v_bfe_u32 v1, v0, 16, 1
	v_add3_u32 v1, v0, v1, 0x7fff
; %bb.42:
	s_andn2_saveexec_b32 s2, s2
; %bb.43:
	v_mov_b32_e32 v1, 0
	v_or_b32_e32 v2, 0x10000, v0
	v_cmp_eq_u32_sdwa vcc_lo, v0, v1 src0_sel:WORD_0 src1_sel:DWORD
	v_cndmask_b32_e32 v1, v2, v0, vcc_lo
; %bb.44:
	s_or_b32 exec_lo, exec_lo, s2
	s_mov_b32 s2, 0
	s_branch .LBB613_46
.LBB613_45:
	s_mov_b32 s2, -1
                                        ; implicit-def: $vgpr1
.LBB613_46:
	s_mul_i32 s4, s8, s13
	s_mul_hi_u32 s5, s8, s6
	s_andn2_b32 vcc_lo, exec_lo, s2
	s_mul_i32 s9, s9, s6
	s_mul_i32 s2, s8, s6
	s_cbranch_vccnz .LBB613_56
; %bb.47:
	s_add_i32 s3, s5, s4
	s_add_i32 s3, s3, s9
	s_lshl_b64 s[10:11], s[2:3], 1
	s_add_u32 s10, s1, s10
	s_addc_u32 s11, s7, s11
	v_mov_b32_e32 v1, s10
	v_mov_b32_e32 v2, s11
	flat_load_ushort v1, v[1:2]
	s_waitcnt vmcnt(0) lgkmcnt(0)
	v_lshlrev_b32_e32 v1, 16, v1
	v_mul_f32_e32 v1, s28, v1
	v_and_b32_e32 v2, 0x7f800000, v1
	v_cmp_ne_u32_e32 vcc_lo, 0x7f800000, v2
                                        ; implicit-def: $vgpr2
	s_and_saveexec_b32 s3, vcc_lo
	s_xor_b32 s3, exec_lo, s3
; %bb.48:
	v_bfe_u32 v2, v1, 16, 1
	v_add3_u32 v2, v1, v2, 0x7fff
                                        ; implicit-def: $vgpr1
; %bb.49:
	s_andn2_saveexec_b32 s3, s3
; %bb.50:
	v_mov_b32_e32 v2, 0
	v_or_b32_e32 v3, 0x10000, v1
	v_cmp_eq_u32_sdwa vcc_lo, v1, v2 src0_sel:WORD_0 src1_sel:DWORD
	v_cndmask_b32_e32 v2, v3, v1, vcc_lo
; %bb.51:
	s_or_b32 exec_lo, exec_lo, s3
	v_and_b32_e32 v1, 0xffff0000, v2
	v_add_f32_e32 v0, v0, v1
	v_and_b32_e32 v1, 0x7f800000, v0
	v_cmp_ne_u32_e32 vcc_lo, 0x7f800000, v1
                                        ; implicit-def: $vgpr1
	s_and_saveexec_b32 s3, vcc_lo
	s_xor_b32 s3, exec_lo, s3
; %bb.52:
	v_bfe_u32 v1, v0, 16, 1
	v_add3_u32 v1, v0, v1, 0x7fff
                                        ; implicit-def: $vgpr0
; %bb.53:
	s_andn2_saveexec_b32 s3, s3
; %bb.54:
	v_mov_b32_e32 v1, 0
	v_or_b32_e32 v2, 0x10000, v0
	v_cmp_eq_u32_sdwa vcc_lo, v0, v1 src0_sel:WORD_0 src1_sel:DWORD
	v_cndmask_b32_e32 v1, v2, v0, vcc_lo
; %bb.55:
	s_or_b32 exec_lo, exec_lo, s3
.LBB613_56:
	v_lshrrev_b32_e32 v1, 16, v1
	s_add_i32 s3, s5, s4
	s_or_b32 s12, s12, exec_lo
	s_add_i32 s3, s3, s9
.LBB613_57:
	s_or_b32 exec_lo, exec_lo, s0
.LBB613_58:
	s_and_saveexec_b32 s0, s12
	s_cbranch_execz .LBB613_60
; %bb.59:
	s_lshl_b64 s[2:3], s[2:3], 1
	s_add_u32 s0, s1, s2
	s_addc_u32 s1, s7, s3
	v_mov_b32_e32 v3, s1
	v_mov_b32_e32 v2, s0
	flat_store_short v[2:3], v1
.LBB613_60:
	s_endpgm
	.section	.rodata,"a",@progbits
	.p2align	6, 0x0
	.amdhsa_kernel _ZL32rocblas_gemvt_warp_reduce_kernelILb0ELi1024ElPK16rocblas_bfloat16PKfKPS0_EviiT3_lPKT2_lT1_lSA_lSB_lS7_lPT4_lSB_li
		.amdhsa_group_segment_fixed_size 128
		.amdhsa_private_segment_fixed_size 0
		.amdhsa_kernarg_size 140
		.amdhsa_user_sgpr_count 6
		.amdhsa_user_sgpr_private_segment_buffer 1
		.amdhsa_user_sgpr_dispatch_ptr 0
		.amdhsa_user_sgpr_queue_ptr 0
		.amdhsa_user_sgpr_kernarg_segment_ptr 1
		.amdhsa_user_sgpr_dispatch_id 0
		.amdhsa_user_sgpr_flat_scratch_init 0
		.amdhsa_user_sgpr_private_segment_size 0
		.amdhsa_wavefront_size32 1
		.amdhsa_uses_dynamic_stack 0
		.amdhsa_system_sgpr_private_segment_wavefront_offset 0
		.amdhsa_system_sgpr_workgroup_id_x 1
		.amdhsa_system_sgpr_workgroup_id_y 0
		.amdhsa_system_sgpr_workgroup_id_z 1
		.amdhsa_system_sgpr_workgroup_info 0
		.amdhsa_system_vgpr_workitem_id 0
		.amdhsa_next_free_vgpr 12
		.amdhsa_next_free_sgpr 31
		.amdhsa_reserve_vcc 1
		.amdhsa_reserve_flat_scratch 0
		.amdhsa_float_round_mode_32 0
		.amdhsa_float_round_mode_16_64 0
		.amdhsa_float_denorm_mode_32 3
		.amdhsa_float_denorm_mode_16_64 3
		.amdhsa_dx10_clamp 1
		.amdhsa_ieee_mode 1
		.amdhsa_fp16_overflow 0
		.amdhsa_workgroup_processor_mode 1
		.amdhsa_memory_ordered 1
		.amdhsa_forward_progress 1
		.amdhsa_shared_vgpr_count 0
		.amdhsa_exception_fp_ieee_invalid_op 0
		.amdhsa_exception_fp_denorm_src 0
		.amdhsa_exception_fp_ieee_div_zero 0
		.amdhsa_exception_fp_ieee_overflow 0
		.amdhsa_exception_fp_ieee_underflow 0
		.amdhsa_exception_fp_ieee_inexact 0
		.amdhsa_exception_int_div_zero 0
	.end_amdhsa_kernel
	.section	.text._ZL32rocblas_gemvt_warp_reduce_kernelILb0ELi1024ElPK16rocblas_bfloat16PKfKPS0_EviiT3_lPKT2_lT1_lSA_lSB_lS7_lPT4_lSB_li,"axG",@progbits,_ZL32rocblas_gemvt_warp_reduce_kernelILb0ELi1024ElPK16rocblas_bfloat16PKfKPS0_EviiT3_lPKT2_lT1_lSA_lSB_lS7_lPT4_lSB_li,comdat
.Lfunc_end613:
	.size	_ZL32rocblas_gemvt_warp_reduce_kernelILb0ELi1024ElPK16rocblas_bfloat16PKfKPS0_EviiT3_lPKT2_lT1_lSA_lSB_lS7_lPT4_lSB_li, .Lfunc_end613-_ZL32rocblas_gemvt_warp_reduce_kernelILb0ELi1024ElPK16rocblas_bfloat16PKfKPS0_EviiT3_lPKT2_lT1_lSA_lSB_lS7_lPT4_lSB_li
                                        ; -- End function
	.set _ZL32rocblas_gemvt_warp_reduce_kernelILb0ELi1024ElPK16rocblas_bfloat16PKfKPS0_EviiT3_lPKT2_lT1_lSA_lSB_lS7_lPT4_lSB_li.num_vgpr, 12
	.set _ZL32rocblas_gemvt_warp_reduce_kernelILb0ELi1024ElPK16rocblas_bfloat16PKfKPS0_EviiT3_lPKT2_lT1_lSA_lSB_lS7_lPT4_lSB_li.num_agpr, 0
	.set _ZL32rocblas_gemvt_warp_reduce_kernelILb0ELi1024ElPK16rocblas_bfloat16PKfKPS0_EviiT3_lPKT2_lT1_lSA_lSB_lS7_lPT4_lSB_li.numbered_sgpr, 31
	.set _ZL32rocblas_gemvt_warp_reduce_kernelILb0ELi1024ElPK16rocblas_bfloat16PKfKPS0_EviiT3_lPKT2_lT1_lSA_lSB_lS7_lPT4_lSB_li.num_named_barrier, 0
	.set _ZL32rocblas_gemvt_warp_reduce_kernelILb0ELi1024ElPK16rocblas_bfloat16PKfKPS0_EviiT3_lPKT2_lT1_lSA_lSB_lS7_lPT4_lSB_li.private_seg_size, 0
	.set _ZL32rocblas_gemvt_warp_reduce_kernelILb0ELi1024ElPK16rocblas_bfloat16PKfKPS0_EviiT3_lPKT2_lT1_lSA_lSB_lS7_lPT4_lSB_li.uses_vcc, 1
	.set _ZL32rocblas_gemvt_warp_reduce_kernelILb0ELi1024ElPK16rocblas_bfloat16PKfKPS0_EviiT3_lPKT2_lT1_lSA_lSB_lS7_lPT4_lSB_li.uses_flat_scratch, 0
	.set _ZL32rocblas_gemvt_warp_reduce_kernelILb0ELi1024ElPK16rocblas_bfloat16PKfKPS0_EviiT3_lPKT2_lT1_lSA_lSB_lS7_lPT4_lSB_li.has_dyn_sized_stack, 0
	.set _ZL32rocblas_gemvt_warp_reduce_kernelILb0ELi1024ElPK16rocblas_bfloat16PKfKPS0_EviiT3_lPKT2_lT1_lSA_lSB_lS7_lPT4_lSB_li.has_recursion, 0
	.set _ZL32rocblas_gemvt_warp_reduce_kernelILb0ELi1024ElPK16rocblas_bfloat16PKfKPS0_EviiT3_lPKT2_lT1_lSA_lSB_lS7_lPT4_lSB_li.has_indirect_call, 0
	.section	.AMDGPU.csdata,"",@progbits
; Kernel info:
; codeLenInByte = 2088
; TotalNumSgprs: 33
; NumVgprs: 12
; ScratchSize: 0
; MemoryBound: 0
; FloatMode: 240
; IeeeMode: 1
; LDSByteSize: 128 bytes/workgroup (compile time only)
; SGPRBlocks: 0
; VGPRBlocks: 1
; NumSGPRsForWavesPerEU: 33
; NumVGPRsForWavesPerEU: 12
; Occupancy: 16
; WaveLimiterHint : 1
; COMPUTE_PGM_RSRC2:SCRATCH_EN: 0
; COMPUTE_PGM_RSRC2:USER_SGPR: 6
; COMPUTE_PGM_RSRC2:TRAP_HANDLER: 0
; COMPUTE_PGM_RSRC2:TGID_X_EN: 1
; COMPUTE_PGM_RSRC2:TGID_Y_EN: 0
; COMPUTE_PGM_RSRC2:TGID_Z_EN: 1
; COMPUTE_PGM_RSRC2:TIDIG_COMP_CNT: 0
	.section	.text._ZL32rocblas_gemvt_warp_reduce_kernelILb0ELi1024EiPK16rocblas_bfloat16fKPS0_EviiT3_lPKT2_lT1_lS8_lS9_lS5_lPT4_lS9_li,"axG",@progbits,_ZL32rocblas_gemvt_warp_reduce_kernelILb0ELi1024EiPK16rocblas_bfloat16fKPS0_EviiT3_lPKT2_lT1_lS8_lS9_lS5_lPT4_lS9_li,comdat
	.globl	_ZL32rocblas_gemvt_warp_reduce_kernelILb0ELi1024EiPK16rocblas_bfloat16fKPS0_EviiT3_lPKT2_lT1_lS8_lS9_lS5_lPT4_lS9_li ; -- Begin function _ZL32rocblas_gemvt_warp_reduce_kernelILb0ELi1024EiPK16rocblas_bfloat16fKPS0_EviiT3_lPKT2_lT1_lS8_lS9_lS5_lPT4_lS9_li
	.p2align	8
	.type	_ZL32rocblas_gemvt_warp_reduce_kernelILb0ELi1024EiPK16rocblas_bfloat16fKPS0_EviiT3_lPKT2_lT1_lS8_lS9_lS5_lPT4_lS9_li,@function
_ZL32rocblas_gemvt_warp_reduce_kernelILb0ELi1024EiPK16rocblas_bfloat16fKPS0_EviiT3_lPKT2_lT1_lS8_lS9_lS5_lPT4_lS9_li: ; @_ZL32rocblas_gemvt_warp_reduce_kernelILb0ELi1024EiPK16rocblas_bfloat16fKPS0_EviiT3_lPKT2_lT1_lS8_lS9_lS5_lPT4_lS9_li
; %bb.0:
	s_clause 0x1
	s_load_dword s13, s[4:5], 0x8
	s_load_dword s12, s[4:5], 0x58
	s_mov_b32 s9, 0
	s_waitcnt lgkmcnt(0)
	v_cmp_eq_f32_e64 s14, s13, 0
	v_cmp_eq_f32_e64 s0, s12, 1.0
	s_and_b32 s0, s14, s0
	s_and_b32 vcc_lo, exec_lo, s0
	s_cbranch_vccnz .LBB614_61
; %bb.1:
	s_mov_b32 s8, s7
	v_cmp_neq_f32_e64 s7, s13, 0
	s_and_b32 vcc_lo, exec_lo, s7
	s_cbranch_vccnz .LBB614_3
; %bb.2:
	s_mov_b32 s1, 0
	s_mov_b32 s0, s8
	;; [unrolled: 1-line block ×3, first 2 shown]
	s_mov_b64 s[2:3], 0
	s_andn2_b32 vcc_lo, exec_lo, s10
	s_mov_b64 s[10:11], 0
	s_cbranch_vccz .LBB614_4
	s_branch .LBB614_5
.LBB614_3:
	s_mov_b64 s[0:1], s[8:9]
	s_mov_b64 s[2:3], 0
	;; [unrolled: 1-line block ×3, first 2 shown]
.LBB614_4:
	s_load_dwordx4 s[16:19], s[4:5], 0x18
	s_lshl_b64 s[8:9], s[8:9], 3
	s_waitcnt lgkmcnt(0)
	s_add_u32 s8, s16, s8
	s_addc_u32 s9, s17, s9
	s_lshl_b64 s[10:11], s[18:19], 1
	s_load_dwordx2 s[8:9], s[8:9], 0x0
	s_waitcnt lgkmcnt(0)
	s_add_u32 s10, s8, s10
	s_addc_u32 s11, s9, s11
.LBB614_5:
	s_andn2_b32 vcc_lo, exec_lo, s7
	s_cbranch_vccnz .LBB614_7
; %bb.6:
	s_load_dwordx4 s[16:19], s[4:5], 0x38
	s_lshl_b64 s[2:3], s[0:1], 3
	s_waitcnt lgkmcnt(0)
	s_add_u32 s2, s16, s2
	s_addc_u32 s3, s17, s3
	s_lshl_b64 s[8:9], s[18:19], 1
	s_load_dwordx2 s[2:3], s[2:3], 0x0
	s_waitcnt lgkmcnt(0)
	s_add_u32 s2, s2, s8
	s_addc_u32 s3, s3, s9
.LBB614_7:
	s_clause 0x1
	s_load_dwordx4 s[16:19], s[4:5], 0x68
	s_load_dword s15, s[4:5], 0x78
	s_lshl_b64 s[0:1], s[0:1], 3
	s_waitcnt lgkmcnt(0)
	s_add_u32 s0, s16, s0
	s_addc_u32 s1, s17, s1
	s_lshl_b64 s[16:17], s[18:19], 1
	s_load_dwordx2 s[8:9], s[0:1], 0x0
	v_cmp_eq_u32_e64 s0, 0, v0
	s_waitcnt lgkmcnt(0)
	s_add_u32 s1, s8, s16
	s_addc_u32 s7, s9, s17
	s_andn2_b32 vcc_lo, exec_lo, s14
	s_cbranch_vccnz .LBB614_15
; %bb.8:
	s_mov_b32 s16, 0
	s_mov_b32 s14, 0
                                        ; implicit-def: $vgpr1
                                        ; implicit-def: $sgpr8_sgpr9
	s_and_saveexec_b32 s17, s0
	s_cbranch_execz .LBB614_16
; %bb.9:
	v_cmp_eq_f32_e64 s0, s12, 0
	s_mul_i32 s8, s15, s6
	s_ashr_i32 s9, s8, 31
	s_and_b32 vcc_lo, exec_lo, s0
	s_cbranch_vccnz .LBB614_17
; %bb.10:
	s_lshl_b64 s[18:19], s[8:9], 1
	s_add_u32 s18, s1, s18
	s_addc_u32 s19, s7, s19
	v_mov_b32_e32 v1, s18
	v_mov_b32_e32 v2, s19
	flat_load_ushort v1, v[1:2]
	s_waitcnt vmcnt(0) lgkmcnt(0)
	v_lshlrev_b32_e32 v1, 16, v1
	v_mul_f32_e32 v1, s12, v1
	v_and_b32_e32 v2, 0x7f800000, v1
	v_cmp_ne_u32_e32 vcc_lo, 0x7f800000, v2
                                        ; implicit-def: $vgpr2
	s_and_saveexec_b32 s0, vcc_lo
	s_xor_b32 s0, exec_lo, s0
; %bb.11:
	v_bfe_u32 v2, v1, 16, 1
	v_add3_u32 v2, v1, v2, 0x7fff
                                        ; implicit-def: $vgpr1
; %bb.12:
	s_andn2_saveexec_b32 s0, s0
; %bb.13:
	v_mov_b32_e32 v2, 0
	v_or_b32_e32 v3, 0x10000, v1
	v_cmp_eq_u32_sdwa vcc_lo, v1, v2 src0_sel:WORD_0 src1_sel:DWORD
	v_cndmask_b32_e32 v2, v3, v1, vcc_lo
; %bb.14:
	s_or_b32 exec_lo, exec_lo, s0
	v_lshrrev_b32_e32 v1, 16, v2
	s_mov_b32 s14, exec_lo
	s_or_b32 exec_lo, exec_lo, s17
	s_and_b32 vcc_lo, exec_lo, s16
	s_cbranch_vccnz .LBB614_18
	s_branch .LBB614_59
.LBB614_15:
	s_mov_b32 s14, 0
                                        ; implicit-def: $vgpr1
                                        ; implicit-def: $sgpr8_sgpr9
	s_cbranch_execnz .LBB614_18
	s_branch .LBB614_59
.LBB614_16:
	s_or_b32 exec_lo, exec_lo, s17
	s_and_b32 vcc_lo, exec_lo, s16
	s_cbranch_vccnz .LBB614_18
	s_branch .LBB614_59
.LBB614_17:
	v_mov_b32_e32 v1, 0
	s_mov_b32 s14, exec_lo
	s_or_b32 exec_lo, exec_lo, s17
	s_and_b32 vcc_lo, exec_lo, s16
	s_cbranch_vccz .LBB614_59
.LBB614_18:
	s_clause 0x2
	s_load_dword s8, s[4:5], 0x0
	s_load_dword s0, s[4:5], 0x28
	;; [unrolled: 1-line block ×3, first 2 shown]
	v_mov_b32_e32 v7, 0
	s_mov_b32 s9, exec_lo
	s_waitcnt lgkmcnt(0)
	v_cmp_gt_i32_e32 vcc_lo, s8, v0
	s_mul_i32 s16, s0, s6
	s_ashr_i32 s0, s8, 31
	s_ashr_i32 s17, s16, 31
	s_lshr_b32 s0, s0, 22
	v_cndmask_b32_e32 v1, 0, v0, vcc_lo
	s_lshl_b64 s[16:17], s[16:17], 1
	s_add_i32 s0, s8, s0
	v_lshlrev_b32_e32 v1, 1, v1
	v_add_co_u32 v1, s4, s10, v1
	v_add_co_ci_u32_e64 v2, null, s11, 0, s4
	s_and_b32 s4, s0, 0xfffffc00
	v_add_co_u32 v1, vcc_lo, v1, s16
	v_add_co_ci_u32_e64 v2, null, s17, v2, vcc_lo
	s_mov_b32 s10, 0
	v_cmpx_gt_i32_e64 s4, v0
	s_cbranch_execz .LBB614_26
; %bb.19:
	v_mul_lo_u32 v3, v0, s5
	v_mov_b32_e32 v6, v2
	v_mov_b32_e32 v8, 0
	;; [unrolled: 1-line block ×5, first 2 shown]
	s_lshl_b32 s11, s5, 10
	s_branch .LBB614_21
.LBB614_20:                             ;   in Loop: Header=BB614_21 Depth=1
	s_or_b32 exec_lo, exec_lo, s0
	v_add_nc_u32_e32 v9, 0x400, v9
	v_and_b32_e32 v4, 0xffff0000, v10
	v_add_co_u32 v5, s0, 0x800, v5
	v_add_nc_u32_e32 v3, s11, v3
	v_cmp_le_i32_e32 vcc_lo, s4, v9
	v_add_f32_e32 v7, v7, v4
	v_add_co_ci_u32_e64 v6, null, 0, v6, s0
	s_or_b32 s10, vcc_lo, s10
	s_andn2_b32 exec_lo, exec_lo, s10
	s_cbranch_execz .LBB614_25
.LBB614_21:                             ; =>This Inner Loop Header: Depth=1
	v_ashrrev_i32_e32 v4, 31, v3
	v_lshlrev_b64 v[10:11], 1, v[3:4]
	v_add_co_u32 v10, vcc_lo, s2, v10
	v_add_co_ci_u32_e64 v11, null, s3, v11, vcc_lo
	flat_load_ushort v4, v[5:6]
	flat_load_ushort v10, v[10:11]
	s_waitcnt vmcnt(1) lgkmcnt(1)
	v_lshlrev_b32_e32 v4, 16, v4
	s_waitcnt vmcnt(0) lgkmcnt(0)
	v_lshlrev_b32_e32 v10, 16, v10
	v_mul_f32_e32 v4, v4, v10
	v_and_b32_e32 v10, 0x7f800000, v4
	v_cmp_ne_u32_e32 vcc_lo, 0x7f800000, v10
                                        ; implicit-def: $vgpr10
	s_and_saveexec_b32 s0, vcc_lo
	s_xor_b32 s0, exec_lo, s0
; %bb.22:                               ;   in Loop: Header=BB614_21 Depth=1
	v_bfe_u32 v10, v4, 16, 1
	v_add3_u32 v10, v4, v10, 0x7fff
                                        ; implicit-def: $vgpr4
; %bb.23:                               ;   in Loop: Header=BB614_21 Depth=1
	s_andn2_saveexec_b32 s0, s0
	s_cbranch_execz .LBB614_20
; %bb.24:                               ;   in Loop: Header=BB614_21 Depth=1
	v_or_b32_e32 v10, 0x10000, v4
	v_cmp_eq_u32_sdwa vcc_lo, v4, v8 src0_sel:WORD_0 src1_sel:DWORD
	v_cndmask_b32_e32 v10, v10, v4, vcc_lo
	s_branch .LBB614_20
.LBB614_25:
	s_or_b32 exec_lo, exec_lo, s10
.LBB614_26:
	s_or_b32 exec_lo, exec_lo, s9
	v_or_b32_e32 v3, s4, v0
	s_mov_b32 s0, exec_lo
	v_cmpx_gt_i32_e64 s8, v3
	s_cbranch_execz .LBB614_32
; %bb.27:
	v_mul_lo_u32 v3, s5, v3
	s_ashr_i32 s5, s4, 31
	s_lshl_b64 s[4:5], s[4:5], 1
	v_ashrrev_i32_e32 v4, 31, v3
	v_lshlrev_b64 v[3:4], 1, v[3:4]
	v_add_co_u32 v3, vcc_lo, s2, v3
	v_add_co_ci_u32_e64 v4, null, s3, v4, vcc_lo
	v_add_co_u32 v1, vcc_lo, v1, s4
	v_add_co_ci_u32_e64 v2, null, s5, v2, vcc_lo
	flat_load_ushort v3, v[3:4]
	flat_load_ushort v1, v[1:2]
	s_waitcnt vmcnt(1) lgkmcnt(1)
	v_lshlrev_b32_e32 v2, 16, v3
	s_waitcnt vmcnt(0) lgkmcnt(0)
	v_lshlrev_b32_e32 v1, 16, v1
	v_mul_f32_e32 v1, v1, v2
	v_and_b32_e32 v2, 0x7f800000, v1
	v_cmp_ne_u32_e32 vcc_lo, 0x7f800000, v2
                                        ; implicit-def: $vgpr2
	s_and_saveexec_b32 s2, vcc_lo
	s_xor_b32 s2, exec_lo, s2
; %bb.28:
	v_bfe_u32 v2, v1, 16, 1
	v_add3_u32 v2, v1, v2, 0x7fff
                                        ; implicit-def: $vgpr1
; %bb.29:
	s_andn2_saveexec_b32 s2, s2
; %bb.30:
	v_mov_b32_e32 v2, 0
	v_or_b32_e32 v3, 0x10000, v1
	v_cmp_eq_u32_sdwa vcc_lo, v1, v2 src0_sel:WORD_0 src1_sel:DWORD
	v_cndmask_b32_e32 v2, v3, v1, vcc_lo
; %bb.31:
	s_or_b32 exec_lo, exec_lo, s2
	v_and_b32_e32 v1, 0xffff0000, v2
	v_add_f32_e32 v7, v7, v1
.LBB614_32:
	s_or_b32 exec_lo, exec_lo, s0
	v_and_b32_e32 v8, 31, v0
	v_cmp_gt_u32_e32 vcc_lo, 32, v0
	v_lshlrev_b32_e32 v1, 2, v8
	s_and_saveexec_b32 s0, vcc_lo
; %bb.33:
	v_mov_b32_e32 v2, 0
	ds_write_b32 v1, v2
; %bb.34:
	s_or_b32 exec_lo, exec_lo, s0
	v_mbcnt_lo_u32_b32 v6, -1, 0
	s_mov_b32 s2, exec_lo
	s_waitcnt lgkmcnt(0)
	s_barrier
	buffer_gl0_inv
	v_lshl_or_b32 v2, v6, 2, 64
	v_cmp_gt_u32_e64 s0, 24, v6
	ds_bpermute_b32 v4, v2, v7
	v_cndmask_b32_e64 v3, 0, 8, s0
	v_cmp_gt_u32_e64 s0, 28, v6
	v_add_lshl_u32 v3, v3, v6, 2
	s_waitcnt lgkmcnt(0)
	v_add_f32_e32 v5, v7, v4
	v_cndmask_b32_e64 v4, 0, 4, s0
	v_cmp_gt_u32_e64 s0, 30, v6
	ds_bpermute_b32 v7, v3, v5
	v_add_lshl_u32 v4, v4, v6, 2
	s_waitcnt lgkmcnt(0)
	v_add_f32_e32 v7, v5, v7
	v_cndmask_b32_e64 v5, 0, 2, s0
	v_cmp_ne_u32_e64 s0, 31, v6
	ds_bpermute_b32 v9, v4, v7
	v_add_lshl_u32 v5, v5, v6, 2
	v_add_co_ci_u32_e64 v6, null, 0, v6, s0
	v_lshlrev_b32_e32 v6, 2, v6
	s_waitcnt lgkmcnt(0)
	v_add_f32_e32 v7, v7, v9
	ds_bpermute_b32 v9, v5, v7
	s_waitcnt lgkmcnt(0)
	v_add_f32_e32 v7, v7, v9
	ds_bpermute_b32 v9, v6, v7
	v_cmpx_eq_u32_e32 0, v8
	s_cbranch_execz .LBB614_36
; %bb.35:
	v_lshrrev_b32_e32 v8, 3, v0
	s_waitcnt lgkmcnt(0)
	v_add_f32_e32 v7, v7, v9
	v_and_b32_e32 v8, 0x7c, v8
	ds_write_b32 v8, v7
.LBB614_36:
	s_or_b32 exec_lo, exec_lo, s2
	v_mov_b32_e32 v7, 0
	s_waitcnt lgkmcnt(0)
	s_barrier
	buffer_gl0_inv
	s_and_saveexec_b32 s0, vcc_lo
; %bb.37:
	ds_read_b32 v7, v1
; %bb.38:
	s_or_b32 exec_lo, exec_lo, s0
	s_and_saveexec_b32 s0, vcc_lo
	s_cbranch_execz .LBB614_40
; %bb.39:
	s_waitcnt lgkmcnt(0)
	ds_bpermute_b32 v1, v2, v7
	s_waitcnt lgkmcnt(0)
	v_add_f32_e32 v1, v7, v1
	ds_bpermute_b32 v2, v3, v1
	s_waitcnt lgkmcnt(0)
	v_add_f32_e32 v1, v1, v2
	;; [unrolled: 3-line block ×5, first 2 shown]
.LBB614_40:
	s_or_b32 exec_lo, exec_lo, s0
	s_mov_b32 s0, exec_lo
                                        ; implicit-def: $vgpr1
                                        ; implicit-def: $sgpr8_sgpr9
	v_cmpx_eq_u32_e32 0, v0
	s_cbranch_execz .LBB614_58
; %bb.41:
	v_cmp_eq_f32_e64 s2, s12, 0
	s_waitcnt lgkmcnt(0)
	v_mul_f32_e32 v0, s13, v7
	s_and_b32 vcc_lo, exec_lo, s2
	s_cbranch_vccz .LBB614_47
; %bb.42:
	v_and_b32_e32 v1, 0x7f800000, v0
	v_cmp_ne_u32_e32 vcc_lo, 0x7f800000, v1
                                        ; implicit-def: $vgpr1
	s_and_saveexec_b32 s2, vcc_lo
	s_xor_b32 s2, exec_lo, s2
; %bb.43:
	v_bfe_u32 v1, v0, 16, 1
	v_add3_u32 v1, v0, v1, 0x7fff
; %bb.44:
	s_andn2_saveexec_b32 s2, s2
; %bb.45:
	v_mov_b32_e32 v1, 0
	v_or_b32_e32 v2, 0x10000, v0
	v_cmp_eq_u32_sdwa vcc_lo, v0, v1 src0_sel:WORD_0 src1_sel:DWORD
	v_cndmask_b32_e32 v1, v2, v0, vcc_lo
; %bb.46:
	s_or_b32 exec_lo, exec_lo, s2
	s_mul_i32 s8, s15, s6
	s_cbranch_execz .LBB614_48
	s_branch .LBB614_57
.LBB614_47:
                                        ; implicit-def: $vgpr1
	s_mul_i32 s8, s15, s6
.LBB614_48:
	s_ashr_i32 s9, s8, 31
	s_lshl_b64 s[2:3], s[8:9], 1
	s_add_u32 s2, s1, s2
	s_addc_u32 s3, s7, s3
	v_mov_b32_e32 v1, s2
	v_mov_b32_e32 v2, s3
	flat_load_ushort v1, v[1:2]
	s_waitcnt vmcnt(0) lgkmcnt(0)
	v_lshlrev_b32_e32 v1, 16, v1
	v_mul_f32_e32 v1, s12, v1
	v_and_b32_e32 v2, 0x7f800000, v1
	v_cmp_ne_u32_e32 vcc_lo, 0x7f800000, v2
                                        ; implicit-def: $vgpr2
	s_and_saveexec_b32 s2, vcc_lo
	s_xor_b32 s2, exec_lo, s2
; %bb.49:
	v_bfe_u32 v2, v1, 16, 1
	v_add3_u32 v2, v1, v2, 0x7fff
                                        ; implicit-def: $vgpr1
; %bb.50:
	s_andn2_saveexec_b32 s2, s2
; %bb.51:
	v_mov_b32_e32 v2, 0
	v_or_b32_e32 v3, 0x10000, v1
	v_cmp_eq_u32_sdwa vcc_lo, v1, v2 src0_sel:WORD_0 src1_sel:DWORD
	v_cndmask_b32_e32 v2, v3, v1, vcc_lo
; %bb.52:
	s_or_b32 exec_lo, exec_lo, s2
	v_and_b32_e32 v1, 0xffff0000, v2
	v_add_f32_e32 v0, v0, v1
	v_and_b32_e32 v1, 0x7f800000, v0
	v_cmp_ne_u32_e32 vcc_lo, 0x7f800000, v1
                                        ; implicit-def: $vgpr1
	s_and_saveexec_b32 s2, vcc_lo
	s_xor_b32 s2, exec_lo, s2
; %bb.53:
	v_bfe_u32 v1, v0, 16, 1
	v_add3_u32 v1, v0, v1, 0x7fff
                                        ; implicit-def: $vgpr0
; %bb.54:
	s_andn2_saveexec_b32 s2, s2
; %bb.55:
	v_mov_b32_e32 v1, 0
	v_or_b32_e32 v2, 0x10000, v0
	v_cmp_eq_u32_sdwa vcc_lo, v0, v1 src0_sel:WORD_0 src1_sel:DWORD
	v_cndmask_b32_e32 v1, v2, v0, vcc_lo
; %bb.56:
	s_or_b32 exec_lo, exec_lo, s2
.LBB614_57:
	v_lshrrev_b32_e32 v1, 16, v1
	s_ashr_i32 s9, s8, 31
	s_or_b32 s14, s14, exec_lo
.LBB614_58:
	s_or_b32 exec_lo, exec_lo, s0
.LBB614_59:
	s_and_saveexec_b32 s0, s14
	s_cbranch_execz .LBB614_61
; %bb.60:
	s_lshl_b64 s[2:3], s[8:9], 1
	s_add_u32 s0, s1, s2
	s_addc_u32 s1, s7, s3
	v_mov_b32_e32 v3, s1
	v_mov_b32_e32 v2, s0
	flat_store_short v[2:3], v1
.LBB614_61:
	s_endpgm
	.section	.rodata,"a",@progbits
	.p2align	6, 0x0
	.amdhsa_kernel _ZL32rocblas_gemvt_warp_reduce_kernelILb0ELi1024EiPK16rocblas_bfloat16fKPS0_EviiT3_lPKT2_lT1_lS8_lS9_lS5_lPT4_lS9_li
		.amdhsa_group_segment_fixed_size 128
		.amdhsa_private_segment_fixed_size 0
		.amdhsa_kernarg_size 140
		.amdhsa_user_sgpr_count 6
		.amdhsa_user_sgpr_private_segment_buffer 1
		.amdhsa_user_sgpr_dispatch_ptr 0
		.amdhsa_user_sgpr_queue_ptr 0
		.amdhsa_user_sgpr_kernarg_segment_ptr 1
		.amdhsa_user_sgpr_dispatch_id 0
		.amdhsa_user_sgpr_flat_scratch_init 0
		.amdhsa_user_sgpr_private_segment_size 0
		.amdhsa_wavefront_size32 1
		.amdhsa_uses_dynamic_stack 0
		.amdhsa_system_sgpr_private_segment_wavefront_offset 0
		.amdhsa_system_sgpr_workgroup_id_x 1
		.amdhsa_system_sgpr_workgroup_id_y 0
		.amdhsa_system_sgpr_workgroup_id_z 1
		.amdhsa_system_sgpr_workgroup_info 0
		.amdhsa_system_vgpr_workitem_id 0
		.amdhsa_next_free_vgpr 12
		.amdhsa_next_free_sgpr 20
		.amdhsa_reserve_vcc 1
		.amdhsa_reserve_flat_scratch 0
		.amdhsa_float_round_mode_32 0
		.amdhsa_float_round_mode_16_64 0
		.amdhsa_float_denorm_mode_32 3
		.amdhsa_float_denorm_mode_16_64 3
		.amdhsa_dx10_clamp 1
		.amdhsa_ieee_mode 1
		.amdhsa_fp16_overflow 0
		.amdhsa_workgroup_processor_mode 1
		.amdhsa_memory_ordered 1
		.amdhsa_forward_progress 1
		.amdhsa_shared_vgpr_count 0
		.amdhsa_exception_fp_ieee_invalid_op 0
		.amdhsa_exception_fp_denorm_src 0
		.amdhsa_exception_fp_ieee_div_zero 0
		.amdhsa_exception_fp_ieee_overflow 0
		.amdhsa_exception_fp_ieee_underflow 0
		.amdhsa_exception_fp_ieee_inexact 0
		.amdhsa_exception_int_div_zero 0
	.end_amdhsa_kernel
	.section	.text._ZL32rocblas_gemvt_warp_reduce_kernelILb0ELi1024EiPK16rocblas_bfloat16fKPS0_EviiT3_lPKT2_lT1_lS8_lS9_lS5_lPT4_lS9_li,"axG",@progbits,_ZL32rocblas_gemvt_warp_reduce_kernelILb0ELi1024EiPK16rocblas_bfloat16fKPS0_EviiT3_lPKT2_lT1_lS8_lS9_lS5_lPT4_lS9_li,comdat
.Lfunc_end614:
	.size	_ZL32rocblas_gemvt_warp_reduce_kernelILb0ELi1024EiPK16rocblas_bfloat16fKPS0_EviiT3_lPKT2_lT1_lS8_lS9_lS5_lPT4_lS9_li, .Lfunc_end614-_ZL32rocblas_gemvt_warp_reduce_kernelILb0ELi1024EiPK16rocblas_bfloat16fKPS0_EviiT3_lPKT2_lT1_lS8_lS9_lS5_lPT4_lS9_li
                                        ; -- End function
	.set _ZL32rocblas_gemvt_warp_reduce_kernelILb0ELi1024EiPK16rocblas_bfloat16fKPS0_EviiT3_lPKT2_lT1_lS8_lS9_lS5_lPT4_lS9_li.num_vgpr, 12
	.set _ZL32rocblas_gemvt_warp_reduce_kernelILb0ELi1024EiPK16rocblas_bfloat16fKPS0_EviiT3_lPKT2_lT1_lS8_lS9_lS5_lPT4_lS9_li.num_agpr, 0
	.set _ZL32rocblas_gemvt_warp_reduce_kernelILb0ELi1024EiPK16rocblas_bfloat16fKPS0_EviiT3_lPKT2_lT1_lS8_lS9_lS5_lPT4_lS9_li.numbered_sgpr, 20
	.set _ZL32rocblas_gemvt_warp_reduce_kernelILb0ELi1024EiPK16rocblas_bfloat16fKPS0_EviiT3_lPKT2_lT1_lS8_lS9_lS5_lPT4_lS9_li.num_named_barrier, 0
	.set _ZL32rocblas_gemvt_warp_reduce_kernelILb0ELi1024EiPK16rocblas_bfloat16fKPS0_EviiT3_lPKT2_lT1_lS8_lS9_lS5_lPT4_lS9_li.private_seg_size, 0
	.set _ZL32rocblas_gemvt_warp_reduce_kernelILb0ELi1024EiPK16rocblas_bfloat16fKPS0_EviiT3_lPKT2_lT1_lS8_lS9_lS5_lPT4_lS9_li.uses_vcc, 1
	.set _ZL32rocblas_gemvt_warp_reduce_kernelILb0ELi1024EiPK16rocblas_bfloat16fKPS0_EviiT3_lPKT2_lT1_lS8_lS9_lS5_lPT4_lS9_li.uses_flat_scratch, 0
	.set _ZL32rocblas_gemvt_warp_reduce_kernelILb0ELi1024EiPK16rocblas_bfloat16fKPS0_EviiT3_lPKT2_lT1_lS8_lS9_lS5_lPT4_lS9_li.has_dyn_sized_stack, 0
	.set _ZL32rocblas_gemvt_warp_reduce_kernelILb0ELi1024EiPK16rocblas_bfloat16fKPS0_EviiT3_lPKT2_lT1_lS8_lS9_lS5_lPT4_lS9_li.has_recursion, 0
	.set _ZL32rocblas_gemvt_warp_reduce_kernelILb0ELi1024EiPK16rocblas_bfloat16fKPS0_EviiT3_lPKT2_lT1_lS8_lS9_lS5_lPT4_lS9_li.has_indirect_call, 0
	.section	.AMDGPU.csdata,"",@progbits
; Kernel info:
; codeLenInByte = 1912
; TotalNumSgprs: 22
; NumVgprs: 12
; ScratchSize: 0
; MemoryBound: 0
; FloatMode: 240
; IeeeMode: 1
; LDSByteSize: 128 bytes/workgroup (compile time only)
; SGPRBlocks: 0
; VGPRBlocks: 1
; NumSGPRsForWavesPerEU: 22
; NumVGPRsForWavesPerEU: 12
; Occupancy: 16
; WaveLimiterHint : 1
; COMPUTE_PGM_RSRC2:SCRATCH_EN: 0
; COMPUTE_PGM_RSRC2:USER_SGPR: 6
; COMPUTE_PGM_RSRC2:TRAP_HANDLER: 0
; COMPUTE_PGM_RSRC2:TGID_X_EN: 1
; COMPUTE_PGM_RSRC2:TGID_Y_EN: 0
; COMPUTE_PGM_RSRC2:TGID_Z_EN: 1
; COMPUTE_PGM_RSRC2:TIDIG_COMP_CNT: 0
	.section	.text._ZL32rocblas_gemvt_warp_reduce_kernelILb0ELi1024ElPK16rocblas_bfloat16fKPS0_EviiT3_lPKT2_lT1_lS8_lS9_lS5_lPT4_lS9_li,"axG",@progbits,_ZL32rocblas_gemvt_warp_reduce_kernelILb0ELi1024ElPK16rocblas_bfloat16fKPS0_EviiT3_lPKT2_lT1_lS8_lS9_lS5_lPT4_lS9_li,comdat
	.globl	_ZL32rocblas_gemvt_warp_reduce_kernelILb0ELi1024ElPK16rocblas_bfloat16fKPS0_EviiT3_lPKT2_lT1_lS8_lS9_lS5_lPT4_lS9_li ; -- Begin function _ZL32rocblas_gemvt_warp_reduce_kernelILb0ELi1024ElPK16rocblas_bfloat16fKPS0_EviiT3_lPKT2_lT1_lS8_lS9_lS5_lPT4_lS9_li
	.p2align	8
	.type	_ZL32rocblas_gemvt_warp_reduce_kernelILb0ELi1024ElPK16rocblas_bfloat16fKPS0_EviiT3_lPKT2_lT1_lS8_lS9_lS5_lPT4_lS9_li,@function
_ZL32rocblas_gemvt_warp_reduce_kernelILb0ELi1024ElPK16rocblas_bfloat16fKPS0_EviiT3_lPKT2_lT1_lS8_lS9_lS5_lPT4_lS9_li: ; @_ZL32rocblas_gemvt_warp_reduce_kernelILb0ELi1024ElPK16rocblas_bfloat16fKPS0_EviiT3_lPKT2_lT1_lS8_lS9_lS5_lPT4_lS9_li
; %bb.0:
	s_clause 0x1
	s_load_dword s19, s[4:5], 0x8
	s_load_dword s18, s[4:5], 0x58
	s_mov_b32 s11, 0
	s_waitcnt lgkmcnt(0)
	v_cmp_eq_f32_e64 s20, s19, 0
	v_cmp_eq_f32_e64 s0, s18, 1.0
	s_and_b32 s0, s20, s0
	s_and_b32 vcc_lo, exec_lo, s0
	s_cbranch_vccnz .LBB615_62
; %bb.1:
	s_clause 0x1
	s_load_dwordx4 s[0:3], s[4:5], 0x18
	s_load_dwordx2 s[14:15], s[4:5], 0x28
	s_mov_b32 s10, s7
	v_cmp_neq_f32_e64 s7, s19, 0
	s_and_b32 vcc_lo, exec_lo, s7
	s_cbranch_vccnz .LBB615_3
; %bb.2:
	s_mov_b32 s13, 0
	s_mov_b32 s12, s10
	;; [unrolled: 1-line block ×3, first 2 shown]
	s_mov_b64 s[8:9], 0
	s_andn2_b32 vcc_lo, exec_lo, s16
	s_mov_b64 s[16:17], 0
	s_cbranch_vccz .LBB615_4
	s_branch .LBB615_5
.LBB615_3:
	s_mov_b64 s[12:13], s[10:11]
	s_mov_b64 s[8:9], 0
	;; [unrolled: 1-line block ×3, first 2 shown]
.LBB615_4:
	s_lshl_b64 s[10:11], s[10:11], 3
	s_waitcnt lgkmcnt(0)
	s_add_u32 s0, s0, s10
	s_addc_u32 s1, s1, s11
	s_lshl_b64 s[2:3], s[2:3], 1
	s_load_dwordx2 s[0:1], s[0:1], 0x0
	s_waitcnt lgkmcnt(0)
	s_add_u32 s16, s0, s2
	s_addc_u32 s17, s1, s3
.LBB615_5:
	s_waitcnt lgkmcnt(0)
	s_clause 0x1
	s_load_dwordx4 s[0:3], s[4:5], 0x38
	s_load_dwordx2 s[10:11], s[4:5], 0x48
	s_andn2_b32 vcc_lo, exec_lo, s7
	s_cbranch_vccnz .LBB615_7
; %bb.6:
	s_lshl_b64 s[8:9], s[12:13], 3
	s_waitcnt lgkmcnt(0)
	s_add_u32 s0, s0, s8
	s_addc_u32 s1, s1, s9
	s_lshl_b64 s[2:3], s[2:3], 1
	s_load_dwordx2 s[0:1], s[0:1], 0x0
	s_waitcnt lgkmcnt(0)
	s_add_u32 s8, s0, s2
	s_addc_u32 s9, s1, s3
.LBB615_7:
	s_load_dwordx4 s[24:27], s[4:5], 0x68
	s_waitcnt lgkmcnt(0)
	s_load_dwordx2 s[2:3], s[4:5], 0x78
	s_lshl_b64 s[0:1], s[12:13], 3
	s_add_u32 s0, s24, s0
	s_addc_u32 s1, s25, s1
	s_lshl_b64 s[22:23], s[26:27], 1
	s_load_dwordx2 s[12:13], s[0:1], 0x0
	v_cmp_eq_u32_e64 s0, 0, v0
	s_waitcnt lgkmcnt(0)
	s_add_u32 s1, s12, s22
	s_addc_u32 s7, s13, s23
	s_andn2_b32 vcc_lo, exec_lo, s20
	s_cbranch_vccnz .LBB615_15
; %bb.8:
	s_mov_b32 s21, 0
	s_mov_b32 s20, 0
                                        ; implicit-def: $vgpr1
                                        ; implicit-def: $sgpr12_sgpr13
	s_and_saveexec_b32 s22, s0
	s_cbranch_execz .LBB615_16
; %bb.9:
	s_ashr_i32 s12, s6, 31
	v_cmp_eq_f32_e64 s0, s18, 0
	s_mul_hi_u32 s13, s2, s6
	s_mul_i32 s12, s2, s12
	s_mul_i32 s20, s3, s6
	s_add_i32 s12, s13, s12
	s_and_b32 vcc_lo, exec_lo, s0
	s_add_i32 s13, s12, s20
	s_mul_i32 s12, s2, s6
	s_cbranch_vccnz .LBB615_17
; %bb.10:
	s_lshl_b64 s[24:25], s[12:13], 1
	s_add_u32 s24, s1, s24
	s_addc_u32 s25, s7, s25
	v_mov_b32_e32 v1, s24
	v_mov_b32_e32 v2, s25
	flat_load_ushort v1, v[1:2]
	s_waitcnt vmcnt(0) lgkmcnt(0)
	v_lshlrev_b32_e32 v1, 16, v1
	v_mul_f32_e32 v1, s18, v1
	v_and_b32_e32 v2, 0x7f800000, v1
	v_cmp_ne_u32_e32 vcc_lo, 0x7f800000, v2
                                        ; implicit-def: $vgpr2
	s_and_saveexec_b32 s0, vcc_lo
	s_xor_b32 s0, exec_lo, s0
; %bb.11:
	v_bfe_u32 v2, v1, 16, 1
	v_add3_u32 v2, v1, v2, 0x7fff
                                        ; implicit-def: $vgpr1
; %bb.12:
	s_andn2_saveexec_b32 s0, s0
; %bb.13:
	v_mov_b32_e32 v2, 0
	v_or_b32_e32 v3, 0x10000, v1
	v_cmp_eq_u32_sdwa vcc_lo, v1, v2 src0_sel:WORD_0 src1_sel:DWORD
	v_cndmask_b32_e32 v2, v3, v1, vcc_lo
; %bb.14:
	s_or_b32 exec_lo, exec_lo, s0
	v_lshrrev_b32_e32 v1, 16, v2
	s_mov_b32 s20, exec_lo
	s_or_b32 exec_lo, exec_lo, s22
	s_and_b32 vcc_lo, exec_lo, s21
	s_cbranch_vccnz .LBB615_18
	s_branch .LBB615_60
.LBB615_15:
	s_mov_b32 s20, 0
                                        ; implicit-def: $vgpr1
                                        ; implicit-def: $sgpr12_sgpr13
	s_cbranch_execnz .LBB615_18
	s_branch .LBB615_60
.LBB615_16:
	s_or_b32 exec_lo, exec_lo, s22
	s_and_b32 vcc_lo, exec_lo, s21
	s_cbranch_vccnz .LBB615_18
	s_branch .LBB615_60
.LBB615_17:
	v_mov_b32_e32 v1, 0
	s_mov_b32 s20, exec_lo
	s_or_b32 exec_lo, exec_lo, s22
	s_and_b32 vcc_lo, exec_lo, s21
	s_cbranch_vccz .LBB615_60
.LBB615_18:
	s_load_dword s5, s[4:5], 0x0
	s_ashr_i32 s21, s6, 31
	s_mul_hi_u32 s0, s14, s6
	s_mul_i32 s12, s14, s21
	s_mul_i32 s4, s15, s6
	s_add_i32 s0, s0, s12
	s_mul_i32 s12, s14, s6
	s_add_i32 s13, s0, s4
	v_mov_b32_e32 v7, 0
	s_lshl_b64 s[12:13], s[12:13], 1
	s_mov_b32 s15, 0
	s_mov_b32 s14, exec_lo
	s_waitcnt lgkmcnt(0)
	v_cmp_gt_i32_e32 vcc_lo, s5, v0
	s_ashr_i32 s0, s5, 31
	s_lshr_b32 s0, s0, 22
	s_add_i32 s0, s5, s0
	v_cndmask_b32_e32 v1, 0, v0, vcc_lo
	v_lshlrev_b32_e32 v1, 1, v1
	v_add_co_u32 v1, s4, s16, v1
	v_add_co_ci_u32_e64 v2, null, s17, 0, s4
	s_and_b32 s4, s0, 0xfffffc00
	v_add_co_u32 v1, vcc_lo, v1, s12
	v_add_co_ci_u32_e64 v2, null, s13, v2, vcc_lo
	v_cmpx_gt_i32_e64 s4, v0
	s_cbranch_execz .LBB615_26
; %bb.19:
	v_mad_u64_u32 v[3:4], null, s10, v0, 0
	v_mov_b32_e32 v8, 0
	v_mov_b32_e32 v9, v0
	;; [unrolled: 1-line block ×3, first 2 shown]
	s_lshl_b64 s[12:13], s[10:11], 11
	v_mad_u64_u32 v[4:5], null, s11, v0, v[4:5]
	v_lshlrev_b64 v[5:6], 1, v[3:4]
	v_mov_b32_e32 v4, v2
	v_mov_b32_e32 v3, v1
	v_add_co_u32 v5, vcc_lo, s8, v5
	v_add_co_ci_u32_e64 v6, null, s9, v6, vcc_lo
	s_inst_prefetch 0x1
	s_branch .LBB615_21
	.p2align	6
.LBB615_20:                             ;   in Loop: Header=BB615_21 Depth=1
	s_or_b32 exec_lo, exec_lo, s0
	v_add_nc_u32_e32 v9, 0x400, v9
	v_and_b32_e32 v10, 0xffff0000, v11
	v_add_co_u32 v3, vcc_lo, 0x800, v3
	v_add_co_ci_u32_e64 v4, null, 0, v4, vcc_lo
	v_cmp_le_i32_e32 vcc_lo, s4, v9
	v_add_co_u32 v5, s0, v5, s12
	v_add_f32_e32 v7, v7, v10
	v_add_co_ci_u32_e64 v6, null, s13, v6, s0
	s_or_b32 s15, vcc_lo, s15
	s_andn2_b32 exec_lo, exec_lo, s15
	s_cbranch_execz .LBB615_25
.LBB615_21:                             ; =>This Inner Loop Header: Depth=1
	flat_load_ushort v10, v[5:6]
	flat_load_ushort v11, v[3:4]
	s_waitcnt vmcnt(1) lgkmcnt(1)
	v_lshlrev_b32_e32 v10, 16, v10
	s_waitcnt vmcnt(0) lgkmcnt(0)
	v_lshlrev_b32_e32 v11, 16, v11
	v_mul_f32_e32 v10, v11, v10
	v_and_b32_e32 v11, 0x7f800000, v10
	v_cmp_ne_u32_e32 vcc_lo, 0x7f800000, v11
                                        ; implicit-def: $vgpr11
	s_and_saveexec_b32 s0, vcc_lo
	s_xor_b32 s0, exec_lo, s0
; %bb.22:                               ;   in Loop: Header=BB615_21 Depth=1
	v_bfe_u32 v11, v10, 16, 1
	v_add3_u32 v11, v10, v11, 0x7fff
                                        ; implicit-def: $vgpr10
; %bb.23:                               ;   in Loop: Header=BB615_21 Depth=1
	s_andn2_saveexec_b32 s0, s0
	s_cbranch_execz .LBB615_20
; %bb.24:                               ;   in Loop: Header=BB615_21 Depth=1
	v_or_b32_e32 v11, 0x10000, v10
	v_cmp_eq_u32_sdwa vcc_lo, v10, v8 src0_sel:WORD_0 src1_sel:DWORD
	v_cndmask_b32_e32 v11, v11, v10, vcc_lo
	s_branch .LBB615_20
.LBB615_25:
	s_inst_prefetch 0x2
	s_or_b32 exec_lo, exec_lo, s15
.LBB615_26:
	s_or_b32 exec_lo, exec_lo, s14
	v_or_b32_e32 v3, s4, v0
	s_mov_b32 s0, exec_lo
	v_cmpx_gt_i32_e64 s5, v3
	s_cbranch_execz .LBB615_32
; %bb.27:
	v_ashrrev_i32_e32 v5, 31, v3
	v_mul_lo_u32 v6, s11, v3
	v_mad_u64_u32 v[3:4], null, s10, v3, 0
	s_ashr_i32 s5, s4, 31
	v_mul_lo_u32 v5, s10, v5
	s_lshl_b64 s[4:5], s[4:5], 1
	v_add3_u32 v4, v4, v5, v6
	v_lshlrev_b64 v[3:4], 1, v[3:4]
	v_add_co_u32 v3, vcc_lo, s8, v3
	v_add_co_ci_u32_e64 v4, null, s9, v4, vcc_lo
	v_add_co_u32 v1, vcc_lo, v1, s4
	v_add_co_ci_u32_e64 v2, null, s5, v2, vcc_lo
	flat_load_ushort v3, v[3:4]
	flat_load_ushort v1, v[1:2]
	s_waitcnt vmcnt(1) lgkmcnt(1)
	v_lshlrev_b32_e32 v2, 16, v3
	s_waitcnt vmcnt(0) lgkmcnt(0)
	v_lshlrev_b32_e32 v1, 16, v1
	v_mul_f32_e32 v1, v1, v2
	v_and_b32_e32 v2, 0x7f800000, v1
	v_cmp_ne_u32_e32 vcc_lo, 0x7f800000, v2
                                        ; implicit-def: $vgpr2
	s_and_saveexec_b32 s4, vcc_lo
	s_xor_b32 s4, exec_lo, s4
; %bb.28:
	v_bfe_u32 v2, v1, 16, 1
	v_add3_u32 v2, v1, v2, 0x7fff
                                        ; implicit-def: $vgpr1
; %bb.29:
	s_andn2_saveexec_b32 s4, s4
; %bb.30:
	v_mov_b32_e32 v2, 0
	v_or_b32_e32 v3, 0x10000, v1
	v_cmp_eq_u32_sdwa vcc_lo, v1, v2 src0_sel:WORD_0 src1_sel:DWORD
	v_cndmask_b32_e32 v2, v3, v1, vcc_lo
; %bb.31:
	s_or_b32 exec_lo, exec_lo, s4
	v_and_b32_e32 v1, 0xffff0000, v2
	v_add_f32_e32 v7, v7, v1
.LBB615_32:
	s_or_b32 exec_lo, exec_lo, s0
	v_and_b32_e32 v8, 31, v0
	v_cmp_gt_u32_e32 vcc_lo, 32, v0
	v_lshlrev_b32_e32 v1, 2, v8
	s_and_saveexec_b32 s0, vcc_lo
; %bb.33:
	v_mov_b32_e32 v2, 0
	ds_write_b32 v1, v2
; %bb.34:
	s_or_b32 exec_lo, exec_lo, s0
	v_mbcnt_lo_u32_b32 v6, -1, 0
	s_mov_b32 s4, exec_lo
	s_waitcnt lgkmcnt(0)
	s_barrier
	buffer_gl0_inv
	v_lshl_or_b32 v2, v6, 2, 64
	v_cmp_gt_u32_e64 s0, 24, v6
	ds_bpermute_b32 v4, v2, v7
	v_cndmask_b32_e64 v3, 0, 8, s0
	v_cmp_gt_u32_e64 s0, 28, v6
	v_add_lshl_u32 v3, v3, v6, 2
	s_waitcnt lgkmcnt(0)
	v_add_f32_e32 v5, v7, v4
	v_cndmask_b32_e64 v4, 0, 4, s0
	v_cmp_gt_u32_e64 s0, 30, v6
	ds_bpermute_b32 v7, v3, v5
	v_add_lshl_u32 v4, v4, v6, 2
	s_waitcnt lgkmcnt(0)
	v_add_f32_e32 v7, v5, v7
	v_cndmask_b32_e64 v5, 0, 2, s0
	v_cmp_ne_u32_e64 s0, 31, v6
	ds_bpermute_b32 v9, v4, v7
	v_add_lshl_u32 v5, v5, v6, 2
	v_add_co_ci_u32_e64 v6, null, 0, v6, s0
	v_lshlrev_b32_e32 v6, 2, v6
	s_waitcnt lgkmcnt(0)
	v_add_f32_e32 v7, v7, v9
	ds_bpermute_b32 v9, v5, v7
	s_waitcnt lgkmcnt(0)
	v_add_f32_e32 v7, v7, v9
	ds_bpermute_b32 v9, v6, v7
	v_cmpx_eq_u32_e32 0, v8
	s_cbranch_execz .LBB615_36
; %bb.35:
	v_lshrrev_b32_e32 v8, 3, v0
	s_waitcnt lgkmcnt(0)
	v_add_f32_e32 v7, v7, v9
	v_and_b32_e32 v8, 0x7c, v8
	ds_write_b32 v8, v7
.LBB615_36:
	s_or_b32 exec_lo, exec_lo, s4
	v_mov_b32_e32 v7, 0
	s_waitcnt lgkmcnt(0)
	s_barrier
	buffer_gl0_inv
	s_and_saveexec_b32 s0, vcc_lo
; %bb.37:
	ds_read_b32 v7, v1
; %bb.38:
	s_or_b32 exec_lo, exec_lo, s0
	s_and_saveexec_b32 s0, vcc_lo
	s_cbranch_execz .LBB615_40
; %bb.39:
	s_waitcnt lgkmcnt(0)
	ds_bpermute_b32 v1, v2, v7
	s_waitcnt lgkmcnt(0)
	v_add_f32_e32 v1, v7, v1
	ds_bpermute_b32 v2, v3, v1
	s_waitcnt lgkmcnt(0)
	v_add_f32_e32 v1, v1, v2
	;; [unrolled: 3-line block ×5, first 2 shown]
.LBB615_40:
	s_or_b32 exec_lo, exec_lo, s0
	s_mov_b32 s0, exec_lo
                                        ; implicit-def: $vgpr1
                                        ; implicit-def: $sgpr12_sgpr13
	v_cmpx_eq_u32_e32 0, v0
	s_cbranch_execz .LBB615_59
; %bb.41:
	v_cmp_eq_f32_e64 s4, s18, 0
	s_waitcnt lgkmcnt(0)
	v_mul_f32_e32 v0, s19, v7
	s_and_b32 vcc_lo, exec_lo, s4
	s_cbranch_vccz .LBB615_47
; %bb.42:
	v_and_b32_e32 v1, 0x7f800000, v0
	v_cmp_ne_u32_e32 vcc_lo, 0x7f800000, v1
                                        ; implicit-def: $vgpr1
	s_and_saveexec_b32 s4, vcc_lo
	s_xor_b32 s4, exec_lo, s4
; %bb.43:
	v_bfe_u32 v1, v0, 16, 1
	v_add3_u32 v1, v0, v1, 0x7fff
; %bb.44:
	s_andn2_saveexec_b32 s4, s4
; %bb.45:
	v_mov_b32_e32 v1, 0
	v_or_b32_e32 v2, 0x10000, v0
	v_cmp_eq_u32_sdwa vcc_lo, v0, v1 src0_sel:WORD_0 src1_sel:DWORD
	v_cndmask_b32_e32 v1, v2, v0, vcc_lo
; %bb.46:
	s_or_b32 exec_lo, exec_lo, s4
	s_mov_b32 s8, 0
	s_branch .LBB615_48
.LBB615_47:
	s_mov_b32 s8, -1
                                        ; implicit-def: $vgpr1
.LBB615_48:
	s_mul_i32 s4, s2, s21
	s_mul_hi_u32 s5, s2, s6
	s_andn2_b32 vcc_lo, exec_lo, s8
	s_mul_i32 s3, s3, s6
	s_mul_i32 s12, s2, s6
	s_cbranch_vccnz .LBB615_58
; %bb.49:
	s_add_i32 s2, s5, s4
	s_add_i32 s13, s2, s3
	s_lshl_b64 s[8:9], s[12:13], 1
	s_add_u32 s8, s1, s8
	s_addc_u32 s9, s7, s9
	v_mov_b32_e32 v1, s8
	v_mov_b32_e32 v2, s9
	flat_load_ushort v1, v[1:2]
	s_waitcnt vmcnt(0) lgkmcnt(0)
	v_lshlrev_b32_e32 v1, 16, v1
	v_mul_f32_e32 v1, s18, v1
	v_and_b32_e32 v2, 0x7f800000, v1
	v_cmp_ne_u32_e32 vcc_lo, 0x7f800000, v2
                                        ; implicit-def: $vgpr2
	s_and_saveexec_b32 s2, vcc_lo
	s_xor_b32 s2, exec_lo, s2
; %bb.50:
	v_bfe_u32 v2, v1, 16, 1
	v_add3_u32 v2, v1, v2, 0x7fff
                                        ; implicit-def: $vgpr1
; %bb.51:
	s_andn2_saveexec_b32 s2, s2
; %bb.52:
	v_mov_b32_e32 v2, 0
	v_or_b32_e32 v3, 0x10000, v1
	v_cmp_eq_u32_sdwa vcc_lo, v1, v2 src0_sel:WORD_0 src1_sel:DWORD
	v_cndmask_b32_e32 v2, v3, v1, vcc_lo
; %bb.53:
	s_or_b32 exec_lo, exec_lo, s2
	v_and_b32_e32 v1, 0xffff0000, v2
	v_add_f32_e32 v0, v0, v1
	v_and_b32_e32 v1, 0x7f800000, v0
	v_cmp_ne_u32_e32 vcc_lo, 0x7f800000, v1
                                        ; implicit-def: $vgpr1
	s_and_saveexec_b32 s2, vcc_lo
	s_xor_b32 s2, exec_lo, s2
; %bb.54:
	v_bfe_u32 v1, v0, 16, 1
	v_add3_u32 v1, v0, v1, 0x7fff
                                        ; implicit-def: $vgpr0
; %bb.55:
	s_andn2_saveexec_b32 s2, s2
; %bb.56:
	v_mov_b32_e32 v1, 0
	v_or_b32_e32 v2, 0x10000, v0
	v_cmp_eq_u32_sdwa vcc_lo, v0, v1 src0_sel:WORD_0 src1_sel:DWORD
	v_cndmask_b32_e32 v1, v2, v0, vcc_lo
; %bb.57:
	s_or_b32 exec_lo, exec_lo, s2
.LBB615_58:
	v_lshrrev_b32_e32 v1, 16, v1
	s_add_i32 s2, s5, s4
	s_or_b32 s20, s20, exec_lo
	s_add_i32 s13, s2, s3
.LBB615_59:
	s_or_b32 exec_lo, exec_lo, s0
.LBB615_60:
	s_and_saveexec_b32 s0, s20
	s_cbranch_execz .LBB615_62
; %bb.61:
	s_lshl_b64 s[2:3], s[12:13], 1
	s_add_u32 s0, s1, s2
	s_addc_u32 s1, s7, s3
	v_mov_b32_e32 v3, s1
	v_mov_b32_e32 v2, s0
	flat_store_short v[2:3], v1
.LBB615_62:
	s_endpgm
	.section	.rodata,"a",@progbits
	.p2align	6, 0x0
	.amdhsa_kernel _ZL32rocblas_gemvt_warp_reduce_kernelILb0ELi1024ElPK16rocblas_bfloat16fKPS0_EviiT3_lPKT2_lT1_lS8_lS9_lS5_lPT4_lS9_li
		.amdhsa_group_segment_fixed_size 128
		.amdhsa_private_segment_fixed_size 0
		.amdhsa_kernarg_size 140
		.amdhsa_user_sgpr_count 6
		.amdhsa_user_sgpr_private_segment_buffer 1
		.amdhsa_user_sgpr_dispatch_ptr 0
		.amdhsa_user_sgpr_queue_ptr 0
		.amdhsa_user_sgpr_kernarg_segment_ptr 1
		.amdhsa_user_sgpr_dispatch_id 0
		.amdhsa_user_sgpr_flat_scratch_init 0
		.amdhsa_user_sgpr_private_segment_size 0
		.amdhsa_wavefront_size32 1
		.amdhsa_uses_dynamic_stack 0
		.amdhsa_system_sgpr_private_segment_wavefront_offset 0
		.amdhsa_system_sgpr_workgroup_id_x 1
		.amdhsa_system_sgpr_workgroup_id_y 0
		.amdhsa_system_sgpr_workgroup_id_z 1
		.amdhsa_system_sgpr_workgroup_info 0
		.amdhsa_system_vgpr_workitem_id 0
		.amdhsa_next_free_vgpr 12
		.amdhsa_next_free_sgpr 28
		.amdhsa_reserve_vcc 1
		.amdhsa_reserve_flat_scratch 0
		.amdhsa_float_round_mode_32 0
		.amdhsa_float_round_mode_16_64 0
		.amdhsa_float_denorm_mode_32 3
		.amdhsa_float_denorm_mode_16_64 3
		.amdhsa_dx10_clamp 1
		.amdhsa_ieee_mode 1
		.amdhsa_fp16_overflow 0
		.amdhsa_workgroup_processor_mode 1
		.amdhsa_memory_ordered 1
		.amdhsa_forward_progress 1
		.amdhsa_shared_vgpr_count 0
		.amdhsa_exception_fp_ieee_invalid_op 0
		.amdhsa_exception_fp_denorm_src 0
		.amdhsa_exception_fp_ieee_div_zero 0
		.amdhsa_exception_fp_ieee_overflow 0
		.amdhsa_exception_fp_ieee_underflow 0
		.amdhsa_exception_fp_ieee_inexact 0
		.amdhsa_exception_int_div_zero 0
	.end_amdhsa_kernel
	.section	.text._ZL32rocblas_gemvt_warp_reduce_kernelILb0ELi1024ElPK16rocblas_bfloat16fKPS0_EviiT3_lPKT2_lT1_lS8_lS9_lS5_lPT4_lS9_li,"axG",@progbits,_ZL32rocblas_gemvt_warp_reduce_kernelILb0ELi1024ElPK16rocblas_bfloat16fKPS0_EviiT3_lPKT2_lT1_lS8_lS9_lS5_lPT4_lS9_li,comdat
.Lfunc_end615:
	.size	_ZL32rocblas_gemvt_warp_reduce_kernelILb0ELi1024ElPK16rocblas_bfloat16fKPS0_EviiT3_lPKT2_lT1_lS8_lS9_lS5_lPT4_lS9_li, .Lfunc_end615-_ZL32rocblas_gemvt_warp_reduce_kernelILb0ELi1024ElPK16rocblas_bfloat16fKPS0_EviiT3_lPKT2_lT1_lS8_lS9_lS5_lPT4_lS9_li
                                        ; -- End function
	.set _ZL32rocblas_gemvt_warp_reduce_kernelILb0ELi1024ElPK16rocblas_bfloat16fKPS0_EviiT3_lPKT2_lT1_lS8_lS9_lS5_lPT4_lS9_li.num_vgpr, 12
	.set _ZL32rocblas_gemvt_warp_reduce_kernelILb0ELi1024ElPK16rocblas_bfloat16fKPS0_EviiT3_lPKT2_lT1_lS8_lS9_lS5_lPT4_lS9_li.num_agpr, 0
	.set _ZL32rocblas_gemvt_warp_reduce_kernelILb0ELi1024ElPK16rocblas_bfloat16fKPS0_EviiT3_lPKT2_lT1_lS8_lS9_lS5_lPT4_lS9_li.numbered_sgpr, 28
	.set _ZL32rocblas_gemvt_warp_reduce_kernelILb0ELi1024ElPK16rocblas_bfloat16fKPS0_EviiT3_lPKT2_lT1_lS8_lS9_lS5_lPT4_lS9_li.num_named_barrier, 0
	.set _ZL32rocblas_gemvt_warp_reduce_kernelILb0ELi1024ElPK16rocblas_bfloat16fKPS0_EviiT3_lPKT2_lT1_lS8_lS9_lS5_lPT4_lS9_li.private_seg_size, 0
	.set _ZL32rocblas_gemvt_warp_reduce_kernelILb0ELi1024ElPK16rocblas_bfloat16fKPS0_EviiT3_lPKT2_lT1_lS8_lS9_lS5_lPT4_lS9_li.uses_vcc, 1
	.set _ZL32rocblas_gemvt_warp_reduce_kernelILb0ELi1024ElPK16rocblas_bfloat16fKPS0_EviiT3_lPKT2_lT1_lS8_lS9_lS5_lPT4_lS9_li.uses_flat_scratch, 0
	.set _ZL32rocblas_gemvt_warp_reduce_kernelILb0ELi1024ElPK16rocblas_bfloat16fKPS0_EviiT3_lPKT2_lT1_lS8_lS9_lS5_lPT4_lS9_li.has_dyn_sized_stack, 0
	.set _ZL32rocblas_gemvt_warp_reduce_kernelILb0ELi1024ElPK16rocblas_bfloat16fKPS0_EviiT3_lPKT2_lT1_lS8_lS9_lS5_lPT4_lS9_li.has_recursion, 0
	.set _ZL32rocblas_gemvt_warp_reduce_kernelILb0ELi1024ElPK16rocblas_bfloat16fKPS0_EviiT3_lPKT2_lT1_lS8_lS9_lS5_lPT4_lS9_li.has_indirect_call, 0
	.section	.AMDGPU.csdata,"",@progbits
; Kernel info:
; codeLenInByte = 2088
; TotalNumSgprs: 30
; NumVgprs: 12
; ScratchSize: 0
; MemoryBound: 0
; FloatMode: 240
; IeeeMode: 1
; LDSByteSize: 128 bytes/workgroup (compile time only)
; SGPRBlocks: 0
; VGPRBlocks: 1
; NumSGPRsForWavesPerEU: 30
; NumVGPRsForWavesPerEU: 12
; Occupancy: 16
; WaveLimiterHint : 1
; COMPUTE_PGM_RSRC2:SCRATCH_EN: 0
; COMPUTE_PGM_RSRC2:USER_SGPR: 6
; COMPUTE_PGM_RSRC2:TRAP_HANDLER: 0
; COMPUTE_PGM_RSRC2:TGID_X_EN: 1
; COMPUTE_PGM_RSRC2:TGID_Y_EN: 0
; COMPUTE_PGM_RSRC2:TGID_Z_EN: 1
; COMPUTE_PGM_RSRC2:TIDIG_COMP_CNT: 0
	.section	.text._ZL22rocblas_gemvtsm_kernelILb1ELi256EPK16rocblas_bfloat16PKfKPS0_EviiT2_lPKT1_lilSA_lilS7_lPT3_lil,"axG",@progbits,_ZL22rocblas_gemvtsm_kernelILb1ELi256EPK16rocblas_bfloat16PKfKPS0_EviiT2_lPKT1_lilSA_lilS7_lPT3_lil,comdat
	.globl	_ZL22rocblas_gemvtsm_kernelILb1ELi256EPK16rocblas_bfloat16PKfKPS0_EviiT2_lPKT1_lilSA_lilS7_lPT3_lil ; -- Begin function _ZL22rocblas_gemvtsm_kernelILb1ELi256EPK16rocblas_bfloat16PKfKPS0_EviiT2_lPKT1_lilSA_lilS7_lPT3_lil
	.p2align	8
	.type	_ZL22rocblas_gemvtsm_kernelILb1ELi256EPK16rocblas_bfloat16PKfKPS0_EviiT2_lPKT1_lilSA_lilS7_lPT3_lil,@function
_ZL22rocblas_gemvtsm_kernelILb1ELi256EPK16rocblas_bfloat16PKfKPS0_EviiT2_lPKT1_lilSA_lilS7_lPT3_lil: ; @_ZL22rocblas_gemvtsm_kernelILb1ELi256EPK16rocblas_bfloat16PKfKPS0_EviiT2_lPKT1_lilSA_lilS7_lPT3_lil
; %bb.0:
	s_clause 0x1
	s_load_dwordx8 s[16:23], s[4:5], 0x8
	s_load_dwordx8 s[8:15], s[4:5], 0x58
	s_mov_b32 s7, 0
	s_waitcnt lgkmcnt(0)
	s_mul_i32 s1, s19, s6
	s_mul_hi_u32 s2, s18, s6
	s_mul_i32 s0, s18, s6
	s_add_i32 s1, s2, s1
	s_mul_i32 s2, s11, s6
	s_lshl_b64 s[0:1], s[0:1], 2
	s_mul_hi_u32 s3, s10, s6
	s_add_u32 s0, s16, s0
	s_addc_u32 s1, s17, s1
	s_add_i32 s3, s3, s2
	s_mul_i32 s2, s10, s6
	s_lshl_b64 s[2:3], s[2:3], 2
	s_add_u32 s2, s8, s2
	s_addc_u32 s3, s9, s3
	s_load_dword s19, s[0:1], 0x0
	s_load_dword s18, s[2:3], 0x0
	s_waitcnt lgkmcnt(0)
	v_cmp_eq_f32_e64 s0, s19, 0
	v_cmp_eq_f32_e64 s1, s18, 1.0
	s_and_b32 s1, s0, s1
	s_and_b32 vcc_lo, exec_lo, s1
	s_cbranch_vccnz .LBB616_74
; %bb.1:
	v_cmp_neq_f32_e64 s1, s19, 0
	s_mov_b64 s[16:17], 0
	s_and_b32 vcc_lo, exec_lo, s0
	s_mov_b64 s[8:9], 0
	s_cbranch_vccnz .LBB616_3
; %bb.2:
	s_lshl_b64 s[2:3], s[6:7], 3
	s_add_u32 s2, s20, s2
	s_addc_u32 s3, s21, s3
	s_lshl_b64 s[8:9], s[22:23], 1
	s_load_dwordx2 s[2:3], s[2:3], 0x0
	s_waitcnt lgkmcnt(0)
	s_add_u32 s8, s2, s8
	s_addc_u32 s9, s3, s9
.LBB616_3:
	s_andn2_b32 vcc_lo, exec_lo, s1
	s_cbranch_vccnz .LBB616_5
; %bb.4:
	s_load_dwordx4 s[20:23], s[4:5], 0x38
	s_lshl_b64 s[2:3], s[6:7], 3
	s_waitcnt lgkmcnt(0)
	s_add_u32 s2, s20, s2
	s_addc_u32 s3, s21, s3
	s_lshl_b64 s[10:11], s[22:23], 1
	s_load_dwordx2 s[2:3], s[2:3], 0x0
	s_waitcnt lgkmcnt(0)
	s_add_u32 s16, s2, s10
	s_addc_u32 s17, s3, s11
.LBB616_5:
	s_lshl_b64 s[2:3], s[6:7], 3
	s_add_u32 s10, s12, s2
	s_addc_u32 s11, s13, s3
	s_clause 0x1
	s_load_dwordx2 s[2:3], s[4:5], 0x0
	s_load_dword s6, s[4:5], 0x78
	s_load_dwordx2 s[10:11], s[10:11], 0x0
	s_andn2_b32 vcc_lo, exec_lo, s0
	s_mov_b32 s0, -1
	s_cbranch_vccnz .LBB616_24
; %bb.6:
	s_waitcnt lgkmcnt(0)
	s_cmp_gt_i32 s3, 0
	v_cmp_neq_f32_e64 s0, s18, 0
	s_cselect_b32 s12, -1, 0
	v_cndmask_b32_e64 v1, 0, 1, s12
	s_and_b32 vcc_lo, exec_lo, s0
	v_cmp_ne_u32_e64 s0, 1, v1
	s_cbranch_vccnz .LBB616_13
; %bb.7:
	s_and_b32 vcc_lo, exec_lo, s0
	s_cbranch_vccnz .LBB616_12
; %bb.8:
	v_mad_i64_i32 v[1:2], null, s6, v0, 0
	s_lshl_b64 s[0:1], s[14:15], 1
	s_ashr_i32 s7, s6, 31
	s_add_u32 s0, s10, s0
	s_addc_u32 s1, s11, s1
	v_mov_b32_e32 v3, 0
	v_lshlrev_b64 v[1:2], 1, v[1:2]
	v_add_co_u32 v1, vcc_lo, s0, v1
	v_add_co_ci_u32_e64 v2, null, s1, v2, vcc_lo
	s_lshl_b64 s[0:1], s[6:7], 9
	s_mov_b32 s7, 0
	s_branch .LBB616_10
.LBB616_9:                              ;   in Loop: Header=BB616_10 Depth=1
	s_or_b32 exec_lo, exec_lo, s13
	v_add_co_u32 v1, vcc_lo, v1, s0
	v_add_co_ci_u32_e64 v2, null, s1, v2, vcc_lo
	s_addk_i32 s7, 0x100
	s_cmp_ge_i32 s7, s3
	s_cbranch_scc1 .LBB616_12
.LBB616_10:                             ; =>This Inner Loop Header: Depth=1
	v_add_nc_u32_e32 v4, s7, v0
	s_mov_b32 s13, exec_lo
	v_cmpx_gt_i32_e64 s3, v4
	s_cbranch_execz .LBB616_9
; %bb.11:                               ;   in Loop: Header=BB616_10 Depth=1
	flat_store_short v[1:2], v3
	s_branch .LBB616_9
.LBB616_12:
	s_cbranch_execz .LBB616_14
	s_branch .LBB616_23
.LBB616_13:
.LBB616_14:
	s_andn2_b32 vcc_lo, exec_lo, s12
	s_cbranch_vccnz .LBB616_23
; %bb.15:
	v_mad_i64_i32 v[1:2], null, s6, v0, 0
	s_lshl_b64 s[0:1], s[14:15], 1
	s_ashr_i32 s7, s6, 31
	s_add_u32 s0, s10, s0
	s_addc_u32 s1, s11, s1
	v_mov_b32_e32 v3, 0
	v_lshlrev_b64 v[1:2], 1, v[1:2]
	v_add_co_u32 v1, vcc_lo, s0, v1
	v_add_co_ci_u32_e64 v2, null, s1, v2, vcc_lo
	s_lshl_b64 s[0:1], s[6:7], 9
	s_mov_b32 s7, 0
	s_inst_prefetch 0x1
	s_branch .LBB616_18
	.p2align	6
.LBB616_16:                             ;   in Loop: Header=BB616_18 Depth=1
	s_or_b32 exec_lo, exec_lo, s13
	flat_store_short_d16_hi v[1:2], v5
.LBB616_17:                             ;   in Loop: Header=BB616_18 Depth=1
	s_or_b32 exec_lo, exec_lo, s12
	v_add_co_u32 v1, vcc_lo, v1, s0
	v_add_co_ci_u32_e64 v2, null, s1, v2, vcc_lo
	s_addk_i32 s7, 0x100
	s_cmp_ge_i32 s7, s3
	s_cbranch_scc1 .LBB616_23
.LBB616_18:                             ; =>This Inner Loop Header: Depth=1
	v_add_nc_u32_e32 v4, s7, v0
	s_mov_b32 s12, exec_lo
	v_cmpx_gt_i32_e64 s3, v4
	s_cbranch_execz .LBB616_17
; %bb.19:                               ;   in Loop: Header=BB616_18 Depth=1
	flat_load_ushort v4, v[1:2]
	s_waitcnt vmcnt(0) lgkmcnt(0)
	v_lshlrev_b32_e32 v4, 16, v4
	v_mul_f32_e32 v4, s18, v4
	v_and_b32_e32 v5, 0x7f800000, v4
	v_cmp_ne_u32_e32 vcc_lo, 0x7f800000, v5
                                        ; implicit-def: $vgpr5
	s_and_saveexec_b32 s13, vcc_lo
	s_xor_b32 s13, exec_lo, s13
; %bb.20:                               ;   in Loop: Header=BB616_18 Depth=1
	v_bfe_u32 v5, v4, 16, 1
	v_add3_u32 v5, v4, v5, 0x7fff
                                        ; implicit-def: $vgpr4
; %bb.21:                               ;   in Loop: Header=BB616_18 Depth=1
	s_andn2_saveexec_b32 s13, s13
	s_cbranch_execz .LBB616_16
; %bb.22:                               ;   in Loop: Header=BB616_18 Depth=1
	v_or_b32_e32 v5, 0x10000, v4
	v_cmp_eq_u32_sdwa vcc_lo, v4, v3 src0_sel:WORD_0 src1_sel:DWORD
	v_cndmask_b32_e32 v5, v5, v4, vcc_lo
	s_branch .LBB616_16
.LBB616_23:
	s_inst_prefetch 0x2
	s_mov_b32 s0, 0
.LBB616_24:
	s_andn2_b32 vcc_lo, exec_lo, s0
	s_cbranch_vccnz .LBB616_74
; %bb.25:
	s_mov_b32 s0, exec_lo
	s_waitcnt lgkmcnt(0)
	v_cmpx_gt_i32_e64 s2, v0
	s_cbranch_execz .LBB616_31
; %bb.26:
	s_load_dword s1, s[4:5], 0x48
	s_waitcnt lgkmcnt(0)
	v_mad_i64_i32 v[1:2], null, s1, v0, 0
	v_lshlrev_b64 v[1:2], 1, v[1:2]
	v_add_co_u32 v1, vcc_lo, s16, v1
	v_add_co_ci_u32_e64 v2, null, s17, v2, vcc_lo
	flat_load_ushort v1, v[1:2]
	s_waitcnt vmcnt(0) lgkmcnt(0)
	v_lshlrev_b32_e32 v1, 16, v1
	v_mul_f32_e32 v1, s19, v1
	v_and_b32_e32 v2, 0x7f800000, v1
	v_cmp_ne_u32_e32 vcc_lo, 0x7f800000, v2
                                        ; implicit-def: $vgpr2
	s_and_saveexec_b32 s1, vcc_lo
	s_xor_b32 s1, exec_lo, s1
; %bb.27:
	v_bfe_u32 v2, v1, 16, 1
	v_add3_u32 v2, v1, v2, 0x7fff
                                        ; implicit-def: $vgpr1
; %bb.28:
	s_andn2_saveexec_b32 s1, s1
; %bb.29:
	v_mov_b32_e32 v2, 0
	v_or_b32_e32 v3, 0x10000, v1
	v_cmp_eq_u32_sdwa vcc_lo, v1, v2 src0_sel:WORD_0 src1_sel:DWORD
	v_cndmask_b32_e32 v2, v3, v1, vcc_lo
; %bb.30:
	s_or_b32 exec_lo, exec_lo, s1
	v_and_b32_e32 v1, 0xffff0000, v2
	v_lshlrev_b32_e32 v2, 2, v0
	ds_write_b32 v2, v1
.LBB616_31:
	s_or_b32 exec_lo, exec_lo, s0
	s_cmp_lt_i32 s3, 1
	s_waitcnt lgkmcnt(0)
	s_waitcnt_vscnt null, 0x0
	s_barrier
	buffer_gl0_inv
	s_cbranch_scc1 .LBB616_74
; %bb.32:
	s_load_dword s0, s[4:5], 0x28
	s_lshl_b64 s[4:5], s[14:15], 1
	v_mov_b32_e32 v7, 0
	s_add_u32 s4, s10, s4
	s_addc_u32 s5, s11, s5
	s_ashr_i32 s7, s6, 31
	v_cmp_neq_f32_e64 s10, s18, 0
	s_waitcnt lgkmcnt(0)
	v_mad_i64_i32 v[1:2], null, s0, v0, 0
	s_ashr_i32 s1, s0, 31
	s_cmp_gt_i32 s2, 0
	s_cselect_b32 s11, -1, 0
	s_and_b32 s12, s2, 3
	s_cmp_gt_u32 s2, 3
	v_lshlrev_b64 v[1:2], 1, v[1:2]
	s_cselect_b32 s13, -1, 0
	s_and_b32 s2, s2, 0x7ffffffc
	s_cmp_lg_u32 s12, 0
	s_cselect_b32 s14, -1, 0
	v_add_co_u32 v1, vcc_lo, s8, v1
	v_add_co_ci_u32_e64 v2, null, s9, v2, vcc_lo
	s_mov_b32 s8, 0
	s_lshl_b64 s[0:1], s[0:1], 9
	s_branch .LBB616_35
.LBB616_33:                             ;   in Loop: Header=BB616_35 Depth=1
	s_or_b32 exec_lo, exec_lo, s15
	v_add_co_u32 v3, vcc_lo, s4, v3
	v_add_co_ci_u32_e64 v4, null, s5, v4, vcc_lo
	flat_store_short_d16_hi v[3:4], v5
.LBB616_34:                             ;   in Loop: Header=BB616_35 Depth=1
	s_or_b32 exec_lo, exec_lo, s9
	v_add_co_u32 v1, vcc_lo, v1, s0
	v_add_co_ci_u32_e64 v2, null, s1, v2, vcc_lo
	s_addk_i32 s8, 0x100
	s_cmp_ge_i32 s8, s3
	s_cbranch_scc1 .LBB616_74
.LBB616_35:                             ; =>This Loop Header: Depth=1
                                        ;     Child Loop BB616_46 Depth 2
                                        ;     Child Loop BB616_66 Depth 2
	v_add_nc_u32_e32 v3, s8, v0
	s_mov_b32 s9, exec_lo
	v_cmpx_gt_i32_e64 s3, v3
	s_cbranch_execz .LBB616_34
; %bb.36:                               ;   in Loop: Header=BB616_35 Depth=1
	v_mad_u64_u32 v[4:5], null, v3, s6, 0
	s_andn2_b32 vcc_lo, exec_lo, s10
	v_mad_u64_u32 v[5:6], null, v3, s7, v[5:6]
	v_lshlrev_b64 v[3:4], 1, v[4:5]
	s_cbranch_vccnz .LBB616_42
; %bb.37:                               ;   in Loop: Header=BB616_35 Depth=1
	v_add_co_u32 v5, vcc_lo, s4, v3
	v_add_co_ci_u32_e64 v6, null, s5, v4, vcc_lo
	flat_load_ushort v5, v[5:6]
	s_waitcnt vmcnt(0) lgkmcnt(0)
	v_lshlrev_b32_e32 v5, 16, v5
	v_mul_f32_e32 v5, s18, v5
	v_and_b32_e32 v6, 0x7f800000, v5
	v_cmp_ne_u32_e32 vcc_lo, 0x7f800000, v6
                                        ; implicit-def: $vgpr6
	s_and_saveexec_b32 s15, vcc_lo
	s_xor_b32 s15, exec_lo, s15
; %bb.38:                               ;   in Loop: Header=BB616_35 Depth=1
	v_bfe_u32 v6, v5, 16, 1
	v_add3_u32 v6, v5, v6, 0x7fff
                                        ; implicit-def: $vgpr5
; %bb.39:                               ;   in Loop: Header=BB616_35 Depth=1
	s_andn2_saveexec_b32 s15, s15
; %bb.40:                               ;   in Loop: Header=BB616_35 Depth=1
	v_or_b32_e32 v6, 0x10000, v5
	v_cmp_eq_u32_sdwa vcc_lo, v5, v7 src0_sel:WORD_0 src1_sel:DWORD
	v_cndmask_b32_e32 v6, v6, v5, vcc_lo
; %bb.41:                               ;   in Loop: Header=BB616_35 Depth=1
	s_or_b32 exec_lo, exec_lo, s15
	v_and_b32_e32 v5, 0xffff0000, v6
	v_cvt_i32_f32_e32 v5, v5
	v_cvt_f32_i32_e32 v8, v5
	s_andn2_b32 vcc_lo, exec_lo, s11
	s_cbranch_vccz .LBB616_43
	s_branch .LBB616_70
.LBB616_42:                             ;   in Loop: Header=BB616_35 Depth=1
	v_mov_b32_e32 v8, 0
	s_andn2_b32 vcc_lo, exec_lo, s11
	s_cbranch_vccnz .LBB616_70
.LBB616_43:                             ;   in Loop: Header=BB616_35 Depth=1
	s_andn2_b32 vcc_lo, exec_lo, s13
	s_mov_b32 s15, 0
	s_cbranch_vccnz .LBB616_63
; %bb.44:                               ;   in Loop: Header=BB616_35 Depth=1
	v_mov_b32_e32 v6, v2
	v_mov_b32_e32 v5, v1
	s_mov_b32 s16, 0
	s_branch .LBB616_46
.LBB616_45:                             ;   in Loop: Header=BB616_46 Depth=2
	s_or_b32 exec_lo, exec_lo, s17
	v_and_b32_e32 v9, 0xffff0000, v9
	v_and_b32_e32 v10, 0xffff0000, v10
	v_add_co_u32 v5, vcc_lo, v5, 8
	v_add_co_ci_u32_e64 v6, null, 0, v6, vcc_lo
	v_add_f32_e32 v8, v8, v9
	v_and_b32_e32 v9, 0xffff0000, v11
	s_add_i32 s16, s16, 4
	s_add_i32 s15, s15, 16
	s_cmp_eq_u32 s2, s16
	v_add_f32_e32 v8, v8, v10
	v_and_b32_e32 v10, 0xffff0000, v12
	v_add_f32_e32 v8, v8, v9
	v_add_f32_e32 v8, v8, v10
	s_cbranch_scc1 .LBB616_62
.LBB616_46:                             ;   Parent Loop BB616_35 Depth=1
                                        ; =>  This Inner Loop Header: Depth=2
	flat_load_ushort v9, v[5:6]
	v_mov_b32_e32 v10, s15
	ds_read_b32 v10, v10
	s_waitcnt vmcnt(0) lgkmcnt(1)
	v_lshlrev_b32_e32 v9, 16, v9
	s_waitcnt lgkmcnt(0)
	v_mul_f32_e32 v10, v10, v9
	v_and_b32_e32 v9, 0x7f800000, v10
	v_cmp_ne_u32_e32 vcc_lo, 0x7f800000, v9
                                        ; implicit-def: $vgpr9
	s_and_saveexec_b32 s17, vcc_lo
	s_xor_b32 s17, exec_lo, s17
; %bb.47:                               ;   in Loop: Header=BB616_46 Depth=2
	v_bfe_u32 v9, v10, 16, 1
	v_add3_u32 v9, v10, v9, 0x7fff
                                        ; implicit-def: $vgpr10
; %bb.48:                               ;   in Loop: Header=BB616_46 Depth=2
	s_andn2_saveexec_b32 s17, s17
; %bb.49:                               ;   in Loop: Header=BB616_46 Depth=2
	v_or_b32_e32 v9, 0x10000, v10
	v_cmp_eq_u32_sdwa vcc_lo, v10, v7 src0_sel:WORD_0 src1_sel:DWORD
	v_cndmask_b32_e32 v9, v9, v10, vcc_lo
; %bb.50:                               ;   in Loop: Header=BB616_46 Depth=2
	s_or_b32 exec_lo, exec_lo, s17
	flat_load_ushort v10, v[5:6] offset:2
	v_mov_b32_e32 v11, s15
	ds_read_b32 v11, v11 offset:4
	s_waitcnt vmcnt(0) lgkmcnt(1)
	v_lshlrev_b32_e32 v10, 16, v10
	s_waitcnt lgkmcnt(0)
	v_mul_f32_e32 v11, v11, v10
	v_and_b32_e32 v10, 0x7f800000, v11
	v_cmp_ne_u32_e32 vcc_lo, 0x7f800000, v10
                                        ; implicit-def: $vgpr10
	s_and_saveexec_b32 s17, vcc_lo
	s_xor_b32 s17, exec_lo, s17
; %bb.51:                               ;   in Loop: Header=BB616_46 Depth=2
	v_bfe_u32 v10, v11, 16, 1
	v_add3_u32 v10, v11, v10, 0x7fff
                                        ; implicit-def: $vgpr11
; %bb.52:                               ;   in Loop: Header=BB616_46 Depth=2
	s_andn2_saveexec_b32 s17, s17
; %bb.53:                               ;   in Loop: Header=BB616_46 Depth=2
	v_or_b32_e32 v10, 0x10000, v11
	v_cmp_eq_u32_sdwa vcc_lo, v11, v7 src0_sel:WORD_0 src1_sel:DWORD
	v_cndmask_b32_e32 v10, v10, v11, vcc_lo
; %bb.54:                               ;   in Loop: Header=BB616_46 Depth=2
	s_or_b32 exec_lo, exec_lo, s17
	flat_load_ushort v11, v[5:6] offset:4
	v_mov_b32_e32 v12, s15
	ds_read_b32 v12, v12 offset:8
	s_waitcnt vmcnt(0) lgkmcnt(1)
	v_lshlrev_b32_e32 v11, 16, v11
	s_waitcnt lgkmcnt(0)
	v_mul_f32_e32 v12, v12, v11
	v_and_b32_e32 v11, 0x7f800000, v12
	v_cmp_ne_u32_e32 vcc_lo, 0x7f800000, v11
                                        ; implicit-def: $vgpr11
	s_and_saveexec_b32 s17, vcc_lo
	s_xor_b32 s17, exec_lo, s17
; %bb.55:                               ;   in Loop: Header=BB616_46 Depth=2
	v_bfe_u32 v11, v12, 16, 1
	v_add3_u32 v11, v12, v11, 0x7fff
                                        ; implicit-def: $vgpr12
; %bb.56:                               ;   in Loop: Header=BB616_46 Depth=2
	s_andn2_saveexec_b32 s17, s17
; %bb.57:                               ;   in Loop: Header=BB616_46 Depth=2
	v_or_b32_e32 v11, 0x10000, v12
	v_cmp_eq_u32_sdwa vcc_lo, v12, v7 src0_sel:WORD_0 src1_sel:DWORD
	v_cndmask_b32_e32 v11, v11, v12, vcc_lo
; %bb.58:                               ;   in Loop: Header=BB616_46 Depth=2
	s_or_b32 exec_lo, exec_lo, s17
	flat_load_ushort v12, v[5:6] offset:6
	v_mov_b32_e32 v13, s15
	ds_read_b32 v13, v13 offset:12
	s_waitcnt vmcnt(0) lgkmcnt(1)
	v_lshlrev_b32_e32 v12, 16, v12
	s_waitcnt lgkmcnt(0)
	v_mul_f32_e32 v13, v13, v12
	v_and_b32_e32 v12, 0x7f800000, v13
	v_cmp_ne_u32_e32 vcc_lo, 0x7f800000, v12
                                        ; implicit-def: $vgpr12
	s_and_saveexec_b32 s17, vcc_lo
	s_xor_b32 s17, exec_lo, s17
; %bb.59:                               ;   in Loop: Header=BB616_46 Depth=2
	v_bfe_u32 v12, v13, 16, 1
	v_add3_u32 v12, v13, v12, 0x7fff
                                        ; implicit-def: $vgpr13
; %bb.60:                               ;   in Loop: Header=BB616_46 Depth=2
	s_andn2_saveexec_b32 s17, s17
	s_cbranch_execz .LBB616_45
; %bb.61:                               ;   in Loop: Header=BB616_46 Depth=2
	v_or_b32_e32 v12, 0x10000, v13
	v_cmp_eq_u32_sdwa vcc_lo, v13, v7 src0_sel:WORD_0 src1_sel:DWORD
	v_cndmask_b32_e32 v12, v12, v13, vcc_lo
	s_branch .LBB616_45
.LBB616_62:                             ;   in Loop: Header=BB616_35 Depth=1
	s_mov_b32 s15, s2
.LBB616_63:                             ;   in Loop: Header=BB616_35 Depth=1
	s_andn2_b32 vcc_lo, exec_lo, s14
	s_cbranch_vccnz .LBB616_70
; %bb.64:                               ;   in Loop: Header=BB616_35 Depth=1
	s_lshl_b32 s16, s15, 1
	s_lshl_b32 s15, s15, 2
	v_add_co_u32 v5, vcc_lo, v1, s16
	v_add_co_ci_u32_e64 v6, null, 0, v2, vcc_lo
	s_mov_b32 s16, s12
	s_inst_prefetch 0x1
	s_branch .LBB616_66
	.p2align	6
.LBB616_65:                             ;   in Loop: Header=BB616_66 Depth=2
	s_or_b32 exec_lo, exec_lo, s17
	v_and_b32_e32 v9, 0xffff0000, v10
	v_add_co_u32 v5, vcc_lo, v5, 2
	v_add_co_ci_u32_e64 v6, null, 0, v6, vcc_lo
	v_add_f32_e32 v8, v8, v9
	s_add_i32 s16, s16, -1
	s_add_i32 s15, s15, 4
	s_cmp_lg_u32 s16, 0
	s_cbranch_scc0 .LBB616_70
.LBB616_66:                             ;   Parent Loop BB616_35 Depth=1
                                        ; =>  This Inner Loop Header: Depth=2
	flat_load_ushort v9, v[5:6]
	v_mov_b32_e32 v10, s15
	ds_read_b32 v10, v10
	s_waitcnt vmcnt(0) lgkmcnt(1)
	v_lshlrev_b32_e32 v9, 16, v9
	s_waitcnt lgkmcnt(0)
	v_mul_f32_e32 v9, v10, v9
	v_and_b32_e32 v10, 0x7f800000, v9
	v_cmp_ne_u32_e32 vcc_lo, 0x7f800000, v10
                                        ; implicit-def: $vgpr10
	s_and_saveexec_b32 s17, vcc_lo
	s_xor_b32 s17, exec_lo, s17
; %bb.67:                               ;   in Loop: Header=BB616_66 Depth=2
	v_bfe_u32 v10, v9, 16, 1
	v_add3_u32 v10, v9, v10, 0x7fff
                                        ; implicit-def: $vgpr9
; %bb.68:                               ;   in Loop: Header=BB616_66 Depth=2
	s_andn2_saveexec_b32 s17, s17
	s_cbranch_execz .LBB616_65
; %bb.69:                               ;   in Loop: Header=BB616_66 Depth=2
	v_or_b32_e32 v10, 0x10000, v9
	v_cmp_eq_u32_sdwa vcc_lo, v9, v7 src0_sel:WORD_0 src1_sel:DWORD
	v_cndmask_b32_e32 v10, v10, v9, vcc_lo
	s_branch .LBB616_65
.LBB616_70:                             ;   in Loop: Header=BB616_35 Depth=1
	s_inst_prefetch 0x2
	v_and_b32_e32 v5, 0x7f800000, v8
	v_cmp_ne_u32_e32 vcc_lo, 0x7f800000, v5
                                        ; implicit-def: $vgpr5
	s_and_saveexec_b32 s15, vcc_lo
	s_xor_b32 s15, exec_lo, s15
; %bb.71:                               ;   in Loop: Header=BB616_35 Depth=1
	v_bfe_u32 v5, v8, 16, 1
	v_add3_u32 v5, v8, v5, 0x7fff
                                        ; implicit-def: $vgpr8
; %bb.72:                               ;   in Loop: Header=BB616_35 Depth=1
	s_andn2_saveexec_b32 s15, s15
	s_cbranch_execz .LBB616_33
; %bb.73:                               ;   in Loop: Header=BB616_35 Depth=1
	v_or_b32_e32 v5, 0x10000, v8
	v_cmp_eq_u32_sdwa vcc_lo, v8, v7 src0_sel:WORD_0 src1_sel:DWORD
	v_cndmask_b32_e32 v5, v5, v8, vcc_lo
	s_branch .LBB616_33
.LBB616_74:
	s_endpgm
	.section	.rodata,"a",@progbits
	.p2align	6, 0x0
	.amdhsa_kernel _ZL22rocblas_gemvtsm_kernelILb1ELi256EPK16rocblas_bfloat16PKfKPS0_EviiT2_lPKT1_lilSA_lilS7_lPT3_lil
		.amdhsa_group_segment_fixed_size 256
		.amdhsa_private_segment_fixed_size 0
		.amdhsa_kernarg_size 136
		.amdhsa_user_sgpr_count 6
		.amdhsa_user_sgpr_private_segment_buffer 1
		.amdhsa_user_sgpr_dispatch_ptr 0
		.amdhsa_user_sgpr_queue_ptr 0
		.amdhsa_user_sgpr_kernarg_segment_ptr 1
		.amdhsa_user_sgpr_dispatch_id 0
		.amdhsa_user_sgpr_flat_scratch_init 0
		.amdhsa_user_sgpr_private_segment_size 0
		.amdhsa_wavefront_size32 1
		.amdhsa_uses_dynamic_stack 0
		.amdhsa_system_sgpr_private_segment_wavefront_offset 0
		.amdhsa_system_sgpr_workgroup_id_x 1
		.amdhsa_system_sgpr_workgroup_id_y 0
		.amdhsa_system_sgpr_workgroup_id_z 0
		.amdhsa_system_sgpr_workgroup_info 0
		.amdhsa_system_vgpr_workitem_id 0
		.amdhsa_next_free_vgpr 14
		.amdhsa_next_free_sgpr 24
		.amdhsa_reserve_vcc 1
		.amdhsa_reserve_flat_scratch 0
		.amdhsa_float_round_mode_32 0
		.amdhsa_float_round_mode_16_64 0
		.amdhsa_float_denorm_mode_32 3
		.amdhsa_float_denorm_mode_16_64 3
		.amdhsa_dx10_clamp 1
		.amdhsa_ieee_mode 1
		.amdhsa_fp16_overflow 0
		.amdhsa_workgroup_processor_mode 1
		.amdhsa_memory_ordered 1
		.amdhsa_forward_progress 1
		.amdhsa_shared_vgpr_count 0
		.amdhsa_exception_fp_ieee_invalid_op 0
		.amdhsa_exception_fp_denorm_src 0
		.amdhsa_exception_fp_ieee_div_zero 0
		.amdhsa_exception_fp_ieee_overflow 0
		.amdhsa_exception_fp_ieee_underflow 0
		.amdhsa_exception_fp_ieee_inexact 0
		.amdhsa_exception_int_div_zero 0
	.end_amdhsa_kernel
	.section	.text._ZL22rocblas_gemvtsm_kernelILb1ELi256EPK16rocblas_bfloat16PKfKPS0_EviiT2_lPKT1_lilSA_lilS7_lPT3_lil,"axG",@progbits,_ZL22rocblas_gemvtsm_kernelILb1ELi256EPK16rocblas_bfloat16PKfKPS0_EviiT2_lPKT1_lilSA_lilS7_lPT3_lil,comdat
.Lfunc_end616:
	.size	_ZL22rocblas_gemvtsm_kernelILb1ELi256EPK16rocblas_bfloat16PKfKPS0_EviiT2_lPKT1_lilSA_lilS7_lPT3_lil, .Lfunc_end616-_ZL22rocblas_gemvtsm_kernelILb1ELi256EPK16rocblas_bfloat16PKfKPS0_EviiT2_lPKT1_lilSA_lilS7_lPT3_lil
                                        ; -- End function
	.set _ZL22rocblas_gemvtsm_kernelILb1ELi256EPK16rocblas_bfloat16PKfKPS0_EviiT2_lPKT1_lilSA_lilS7_lPT3_lil.num_vgpr, 14
	.set _ZL22rocblas_gemvtsm_kernelILb1ELi256EPK16rocblas_bfloat16PKfKPS0_EviiT2_lPKT1_lilSA_lilS7_lPT3_lil.num_agpr, 0
	.set _ZL22rocblas_gemvtsm_kernelILb1ELi256EPK16rocblas_bfloat16PKfKPS0_EviiT2_lPKT1_lilSA_lilS7_lPT3_lil.numbered_sgpr, 24
	.set _ZL22rocblas_gemvtsm_kernelILb1ELi256EPK16rocblas_bfloat16PKfKPS0_EviiT2_lPKT1_lilSA_lilS7_lPT3_lil.num_named_barrier, 0
	.set _ZL22rocblas_gemvtsm_kernelILb1ELi256EPK16rocblas_bfloat16PKfKPS0_EviiT2_lPKT1_lilSA_lilS7_lPT3_lil.private_seg_size, 0
	.set _ZL22rocblas_gemvtsm_kernelILb1ELi256EPK16rocblas_bfloat16PKfKPS0_EviiT2_lPKT1_lilSA_lilS7_lPT3_lil.uses_vcc, 1
	.set _ZL22rocblas_gemvtsm_kernelILb1ELi256EPK16rocblas_bfloat16PKfKPS0_EviiT2_lPKT1_lilSA_lilS7_lPT3_lil.uses_flat_scratch, 0
	.set _ZL22rocblas_gemvtsm_kernelILb1ELi256EPK16rocblas_bfloat16PKfKPS0_EviiT2_lPKT1_lilSA_lilS7_lPT3_lil.has_dyn_sized_stack, 0
	.set _ZL22rocblas_gemvtsm_kernelILb1ELi256EPK16rocblas_bfloat16PKfKPS0_EviiT2_lPKT1_lilSA_lilS7_lPT3_lil.has_recursion, 0
	.set _ZL22rocblas_gemvtsm_kernelILb1ELi256EPK16rocblas_bfloat16PKfKPS0_EviiT2_lPKT1_lilSA_lilS7_lPT3_lil.has_indirect_call, 0
	.section	.AMDGPU.csdata,"",@progbits
; Kernel info:
; codeLenInByte = 2228
; TotalNumSgprs: 26
; NumVgprs: 14
; ScratchSize: 0
; MemoryBound: 0
; FloatMode: 240
; IeeeMode: 1
; LDSByteSize: 256 bytes/workgroup (compile time only)
; SGPRBlocks: 0
; VGPRBlocks: 1
; NumSGPRsForWavesPerEU: 26
; NumVGPRsForWavesPerEU: 14
; Occupancy: 16
; WaveLimiterHint : 1
; COMPUTE_PGM_RSRC2:SCRATCH_EN: 0
; COMPUTE_PGM_RSRC2:USER_SGPR: 6
; COMPUTE_PGM_RSRC2:TRAP_HANDLER: 0
; COMPUTE_PGM_RSRC2:TGID_X_EN: 1
; COMPUTE_PGM_RSRC2:TGID_Y_EN: 0
; COMPUTE_PGM_RSRC2:TGID_Z_EN: 0
; COMPUTE_PGM_RSRC2:TIDIG_COMP_CNT: 0
	.section	.text._ZL22rocblas_gemvtsm_kernelILb1ELi256EPK16rocblas_bfloat16fKPS0_EviiT2_lPKT1_lilS8_lilS5_lPT3_lil,"axG",@progbits,_ZL22rocblas_gemvtsm_kernelILb1ELi256EPK16rocblas_bfloat16fKPS0_EviiT2_lPKT1_lilS8_lilS5_lPT3_lil,comdat
	.globl	_ZL22rocblas_gemvtsm_kernelILb1ELi256EPK16rocblas_bfloat16fKPS0_EviiT2_lPKT1_lilS8_lilS5_lPT3_lil ; -- Begin function _ZL22rocblas_gemvtsm_kernelILb1ELi256EPK16rocblas_bfloat16fKPS0_EviiT2_lPKT1_lilS8_lilS5_lPT3_lil
	.p2align	8
	.type	_ZL22rocblas_gemvtsm_kernelILb1ELi256EPK16rocblas_bfloat16fKPS0_EviiT2_lPKT1_lilS8_lilS5_lPT3_lil,@function
_ZL22rocblas_gemvtsm_kernelILb1ELi256EPK16rocblas_bfloat16fKPS0_EviiT2_lPKT1_lilS8_lilS5_lPT3_lil: ; @_ZL22rocblas_gemvtsm_kernelILb1ELi256EPK16rocblas_bfloat16fKPS0_EviiT2_lPKT1_lilS8_lilS5_lPT3_lil
; %bb.0:
	s_load_dwordx4 s[8:11], s[4:5], 0x0
	s_waitcnt lgkmcnt(0)
	s_load_dword s11, s[4:5], 0x58
	s_mov_b32 s7, 0
	v_cmp_eq_f32_e64 s18, s10, 0
	s_waitcnt lgkmcnt(0)
	v_cmp_eq_f32_e64 s0, s11, 1.0
	s_and_b32 s0, s18, s0
	s_and_b32 vcc_lo, exec_lo, s0
	s_cbranch_vccnz .LBB617_76
; %bb.1:
	v_cmp_neq_f32_e64 s0, s10, 0
	s_and_b32 vcc_lo, exec_lo, s0
	s_cbranch_vccnz .LBB617_3
; %bb.2:
	s_mov_b32 s15, 0
	s_mov_b32 s14, s6
	;; [unrolled: 1-line block ×3, first 2 shown]
	s_mov_b64 s[16:17], 0
	s_andn2_b32 vcc_lo, exec_lo, s1
	s_mov_b64 s[12:13], 0
	s_cbranch_vccz .LBB617_4
	s_branch .LBB617_5
.LBB617_3:
	s_mov_b64 s[14:15], s[6:7]
	s_mov_b64 s[16:17], 0
	;; [unrolled: 1-line block ×3, first 2 shown]
.LBB617_4:
	s_load_dwordx4 s[20:23], s[4:5], 0x18
	s_lshl_b64 s[2:3], s[6:7], 3
	s_waitcnt lgkmcnt(0)
	s_add_u32 s2, s20, s2
	s_addc_u32 s3, s21, s3
	s_lshl_b64 s[6:7], s[22:23], 1
	s_load_dwordx2 s[2:3], s[2:3], 0x0
	s_waitcnt lgkmcnt(0)
	s_add_u32 s12, s2, s6
	s_addc_u32 s13, s3, s7
.LBB617_5:
	s_andn2_b32 vcc_lo, exec_lo, s0
	s_cbranch_vccnz .LBB617_7
; %bb.6:
	s_load_dwordx4 s[0:3], s[4:5], 0x38
	s_lshl_b64 s[6:7], s[14:15], 3
	s_waitcnt lgkmcnt(0)
	s_add_u32 s0, s0, s6
	s_addc_u32 s1, s1, s7
	s_lshl_b64 s[2:3], s[2:3], 1
	s_load_dwordx2 s[0:1], s[0:1], 0x0
	s_waitcnt lgkmcnt(0)
	s_add_u32 s16, s0, s2
	s_addc_u32 s17, s1, s3
.LBB617_7:
	s_clause 0x1
	s_load_dwordx4 s[0:3], s[4:5], 0x68
	s_load_dword s6, s[4:5], 0x78
	s_lshl_b64 s[14:15], s[14:15], 3
	s_waitcnt lgkmcnt(0)
	s_add_u32 s0, s0, s14
	s_addc_u32 s1, s1, s15
	s_andn2_b32 vcc_lo, exec_lo, s18
	s_load_dwordx2 s[14:15], s[0:1], 0x0
	s_mov_b32 s0, -1
	s_cbranch_vccnz .LBB617_26
; %bb.8:
	s_cmp_gt_i32 s9, 0
	v_cmp_neq_f32_e64 s0, s11, 0
	s_cselect_b32 s18, -1, 0
	v_cndmask_b32_e64 v1, 0, 1, s18
	s_and_b32 vcc_lo, exec_lo, s0
	v_cmp_ne_u32_e64 s0, 1, v1
	s_cbranch_vccnz .LBB617_15
; %bb.9:
	s_and_b32 vcc_lo, exec_lo, s0
	s_cbranch_vccnz .LBB617_14
; %bb.10:
	v_mad_i64_i32 v[1:2], null, s6, v0, 0
	s_lshl_b64 s[0:1], s[2:3], 1
	s_ashr_i32 s7, s6, 31
	s_waitcnt lgkmcnt(0)
	s_add_u32 s0, s14, s0
	s_addc_u32 s1, s15, s1
	v_mov_b32_e32 v3, 0
	v_lshlrev_b64 v[1:2], 1, v[1:2]
	v_add_co_u32 v1, vcc_lo, s0, v1
	v_add_co_ci_u32_e64 v2, null, s1, v2, vcc_lo
	s_lshl_b64 s[0:1], s[6:7], 9
	s_mov_b32 s7, 0
	s_branch .LBB617_12
.LBB617_11:                             ;   in Loop: Header=BB617_12 Depth=1
	s_or_b32 exec_lo, exec_lo, s19
	v_add_co_u32 v1, vcc_lo, v1, s0
	v_add_co_ci_u32_e64 v2, null, s1, v2, vcc_lo
	s_addk_i32 s7, 0x100
	s_cmp_ge_i32 s7, s9
	s_cbranch_scc1 .LBB617_14
.LBB617_12:                             ; =>This Inner Loop Header: Depth=1
	v_add_nc_u32_e32 v4, s7, v0
	s_mov_b32 s19, exec_lo
	v_cmpx_gt_i32_e64 s9, v4
	s_cbranch_execz .LBB617_11
; %bb.13:                               ;   in Loop: Header=BB617_12 Depth=1
	flat_store_short v[1:2], v3
	s_branch .LBB617_11
.LBB617_14:
	s_cbranch_execz .LBB617_16
	s_branch .LBB617_25
.LBB617_15:
.LBB617_16:
	s_andn2_b32 vcc_lo, exec_lo, s18
	s_cbranch_vccnz .LBB617_25
; %bb.17:
	v_mad_i64_i32 v[1:2], null, s6, v0, 0
	s_lshl_b64 s[0:1], s[2:3], 1
	s_ashr_i32 s7, s6, 31
	s_waitcnt lgkmcnt(0)
	s_add_u32 s0, s14, s0
	s_addc_u32 s1, s15, s1
	v_mov_b32_e32 v3, 0
	v_lshlrev_b64 v[1:2], 1, v[1:2]
	v_add_co_u32 v1, vcc_lo, s0, v1
	v_add_co_ci_u32_e64 v2, null, s1, v2, vcc_lo
	s_lshl_b64 s[0:1], s[6:7], 9
	s_mov_b32 s7, 0
	s_inst_prefetch 0x1
	s_branch .LBB617_20
	.p2align	6
.LBB617_18:                             ;   in Loop: Header=BB617_20 Depth=1
	s_or_b32 exec_lo, exec_lo, s19
	flat_store_short_d16_hi v[1:2], v5
.LBB617_19:                             ;   in Loop: Header=BB617_20 Depth=1
	s_or_b32 exec_lo, exec_lo, s18
	v_add_co_u32 v1, vcc_lo, v1, s0
	v_add_co_ci_u32_e64 v2, null, s1, v2, vcc_lo
	s_addk_i32 s7, 0x100
	s_cmp_ge_i32 s7, s9
	s_cbranch_scc1 .LBB617_25
.LBB617_20:                             ; =>This Inner Loop Header: Depth=1
	v_add_nc_u32_e32 v4, s7, v0
	s_mov_b32 s18, exec_lo
	v_cmpx_gt_i32_e64 s9, v4
	s_cbranch_execz .LBB617_19
; %bb.21:                               ;   in Loop: Header=BB617_20 Depth=1
	flat_load_ushort v4, v[1:2]
	s_waitcnt vmcnt(0) lgkmcnt(0)
	v_lshlrev_b32_e32 v4, 16, v4
	v_mul_f32_e32 v4, s11, v4
	v_and_b32_e32 v5, 0x7f800000, v4
	v_cmp_ne_u32_e32 vcc_lo, 0x7f800000, v5
                                        ; implicit-def: $vgpr5
	s_and_saveexec_b32 s19, vcc_lo
	s_xor_b32 s19, exec_lo, s19
; %bb.22:                               ;   in Loop: Header=BB617_20 Depth=1
	v_bfe_u32 v5, v4, 16, 1
	v_add3_u32 v5, v4, v5, 0x7fff
                                        ; implicit-def: $vgpr4
; %bb.23:                               ;   in Loop: Header=BB617_20 Depth=1
	s_andn2_saveexec_b32 s19, s19
	s_cbranch_execz .LBB617_18
; %bb.24:                               ;   in Loop: Header=BB617_20 Depth=1
	v_or_b32_e32 v5, 0x10000, v4
	v_cmp_eq_u32_sdwa vcc_lo, v4, v3 src0_sel:WORD_0 src1_sel:DWORD
	v_cndmask_b32_e32 v5, v5, v4, vcc_lo
	s_branch .LBB617_18
.LBB617_25:
	s_inst_prefetch 0x2
	s_mov_b32 s0, 0
.LBB617_26:
	s_andn2_b32 vcc_lo, exec_lo, s0
	s_cbranch_vccnz .LBB617_76
; %bb.27:
	s_mov_b32 s0, exec_lo
	v_cmpx_gt_i32_e64 s8, v0
	s_cbranch_execz .LBB617_33
; %bb.28:
	s_load_dword s1, s[4:5], 0x48
	s_waitcnt lgkmcnt(0)
	v_mad_i64_i32 v[1:2], null, s1, v0, 0
	v_lshlrev_b64 v[1:2], 1, v[1:2]
	v_add_co_u32 v1, vcc_lo, s16, v1
	v_add_co_ci_u32_e64 v2, null, s17, v2, vcc_lo
	flat_load_ushort v1, v[1:2]
	s_waitcnt vmcnt(0) lgkmcnt(0)
	v_lshlrev_b32_e32 v1, 16, v1
	v_mul_f32_e32 v1, s10, v1
	v_and_b32_e32 v2, 0x7f800000, v1
	v_cmp_ne_u32_e32 vcc_lo, 0x7f800000, v2
                                        ; implicit-def: $vgpr2
	s_and_saveexec_b32 s1, vcc_lo
	s_xor_b32 s1, exec_lo, s1
; %bb.29:
	v_bfe_u32 v2, v1, 16, 1
	v_add3_u32 v2, v1, v2, 0x7fff
                                        ; implicit-def: $vgpr1
; %bb.30:
	s_andn2_saveexec_b32 s1, s1
; %bb.31:
	v_mov_b32_e32 v2, 0
	v_or_b32_e32 v3, 0x10000, v1
	v_cmp_eq_u32_sdwa vcc_lo, v1, v2 src0_sel:WORD_0 src1_sel:DWORD
	v_cndmask_b32_e32 v2, v3, v1, vcc_lo
; %bb.32:
	s_or_b32 exec_lo, exec_lo, s1
	v_and_b32_e32 v1, 0xffff0000, v2
	v_lshlrev_b32_e32 v2, 2, v0
	ds_write_b32 v2, v1
.LBB617_33:
	s_or_b32 exec_lo, exec_lo, s0
	s_cmp_lt_i32 s9, 1
	s_waitcnt lgkmcnt(0)
	s_waitcnt_vscnt null, 0x0
	s_barrier
	buffer_gl0_inv
	s_cbranch_scc1 .LBB617_76
; %bb.34:
	s_load_dword s0, s[4:5], 0x28
	s_lshl_b64 s[2:3], s[2:3], 1
	v_cmp_neq_f32_e64 s5, s11, 0
	s_add_u32 s2, s14, s2
	s_addc_u32 s3, s15, s3
	s_ashr_i32 s4, s6, 31
	v_mov_b32_e32 v7, 0
	s_waitcnt lgkmcnt(0)
	v_mad_i64_i32 v[1:2], null, s0, v0, 0
	s_ashr_i32 s1, s0, 31
	s_cmp_gt_i32 s8, 0
	s_cselect_b32 s7, -1, 0
	s_and_b32 s10, s8, 3
	s_cmp_gt_u32 s8, 3
	v_lshlrev_b64 v[1:2], 1, v[1:2]
	s_cselect_b32 s14, -1, 0
	s_and_b32 s8, s8, 0x7ffffffc
	s_cmp_lg_u32 s10, 0
	s_cselect_b32 s15, -1, 0
	v_add_co_u32 v1, vcc_lo, s12, v1
	v_add_co_ci_u32_e64 v2, null, s13, v2, vcc_lo
	s_mov_b32 s12, 0
	s_lshl_b64 s[0:1], s[0:1], 9
	s_branch .LBB617_37
.LBB617_35:                             ;   in Loop: Header=BB617_37 Depth=1
	s_or_b32 exec_lo, exec_lo, s16
	v_add_co_u32 v3, vcc_lo, s2, v3
	v_add_co_ci_u32_e64 v4, null, s3, v4, vcc_lo
	flat_store_short_d16_hi v[3:4], v5
.LBB617_36:                             ;   in Loop: Header=BB617_37 Depth=1
	s_or_b32 exec_lo, exec_lo, s13
	v_add_co_u32 v1, vcc_lo, v1, s0
	v_add_co_ci_u32_e64 v2, null, s1, v2, vcc_lo
	s_addk_i32 s12, 0x100
	s_cmp_ge_i32 s12, s9
	s_cbranch_scc1 .LBB617_76
.LBB617_37:                             ; =>This Loop Header: Depth=1
                                        ;     Child Loop BB617_48 Depth 2
                                        ;     Child Loop BB617_68 Depth 2
	v_add_nc_u32_e32 v3, s12, v0
	s_mov_b32 s13, exec_lo
	v_cmpx_gt_i32_e64 s9, v3
	s_cbranch_execz .LBB617_36
; %bb.38:                               ;   in Loop: Header=BB617_37 Depth=1
	v_mad_u64_u32 v[4:5], null, v3, s6, 0
	s_andn2_b32 vcc_lo, exec_lo, s5
	v_mad_u64_u32 v[5:6], null, v3, s4, v[5:6]
	v_lshlrev_b64 v[3:4], 1, v[4:5]
	s_cbranch_vccnz .LBB617_44
; %bb.39:                               ;   in Loop: Header=BB617_37 Depth=1
	v_add_co_u32 v5, vcc_lo, s2, v3
	v_add_co_ci_u32_e64 v6, null, s3, v4, vcc_lo
	flat_load_ushort v5, v[5:6]
	s_waitcnt vmcnt(0) lgkmcnt(0)
	v_lshlrev_b32_e32 v5, 16, v5
	v_mul_f32_e32 v5, s11, v5
	v_and_b32_e32 v6, 0x7f800000, v5
	v_cmp_ne_u32_e32 vcc_lo, 0x7f800000, v6
                                        ; implicit-def: $vgpr6
	s_and_saveexec_b32 s16, vcc_lo
	s_xor_b32 s16, exec_lo, s16
; %bb.40:                               ;   in Loop: Header=BB617_37 Depth=1
	v_bfe_u32 v6, v5, 16, 1
	v_add3_u32 v6, v5, v6, 0x7fff
                                        ; implicit-def: $vgpr5
; %bb.41:                               ;   in Loop: Header=BB617_37 Depth=1
	s_andn2_saveexec_b32 s16, s16
; %bb.42:                               ;   in Loop: Header=BB617_37 Depth=1
	v_or_b32_e32 v6, 0x10000, v5
	v_cmp_eq_u32_sdwa vcc_lo, v5, v7 src0_sel:WORD_0 src1_sel:DWORD
	v_cndmask_b32_e32 v6, v6, v5, vcc_lo
; %bb.43:                               ;   in Loop: Header=BB617_37 Depth=1
	s_or_b32 exec_lo, exec_lo, s16
	v_and_b32_e32 v5, 0xffff0000, v6
	v_cvt_i32_f32_e32 v5, v5
	v_cvt_f32_i32_e32 v8, v5
	s_andn2_b32 vcc_lo, exec_lo, s7
	s_cbranch_vccz .LBB617_45
	s_branch .LBB617_72
.LBB617_44:                             ;   in Loop: Header=BB617_37 Depth=1
	v_mov_b32_e32 v8, 0
	s_andn2_b32 vcc_lo, exec_lo, s7
	s_cbranch_vccnz .LBB617_72
.LBB617_45:                             ;   in Loop: Header=BB617_37 Depth=1
	s_andn2_b32 vcc_lo, exec_lo, s14
	s_mov_b32 s16, 0
	s_cbranch_vccnz .LBB617_65
; %bb.46:                               ;   in Loop: Header=BB617_37 Depth=1
	v_mov_b32_e32 v6, v2
	v_mov_b32_e32 v5, v1
	s_mov_b32 s17, 0
	s_branch .LBB617_48
.LBB617_47:                             ;   in Loop: Header=BB617_48 Depth=2
	s_or_b32 exec_lo, exec_lo, s18
	v_and_b32_e32 v9, 0xffff0000, v9
	v_and_b32_e32 v10, 0xffff0000, v10
	v_add_co_u32 v5, vcc_lo, v5, 8
	v_add_co_ci_u32_e64 v6, null, 0, v6, vcc_lo
	v_add_f32_e32 v8, v8, v9
	v_and_b32_e32 v9, 0xffff0000, v11
	s_add_i32 s17, s17, 4
	s_add_i32 s16, s16, 16
	s_cmp_eq_u32 s8, s17
	v_add_f32_e32 v8, v8, v10
	v_and_b32_e32 v10, 0xffff0000, v12
	v_add_f32_e32 v8, v8, v9
	v_add_f32_e32 v8, v8, v10
	s_cbranch_scc1 .LBB617_64
.LBB617_48:                             ;   Parent Loop BB617_37 Depth=1
                                        ; =>  This Inner Loop Header: Depth=2
	flat_load_ushort v9, v[5:6]
	v_mov_b32_e32 v10, s16
	ds_read_b32 v10, v10
	s_waitcnt vmcnt(0) lgkmcnt(1)
	v_lshlrev_b32_e32 v9, 16, v9
	s_waitcnt lgkmcnt(0)
	v_mul_f32_e32 v10, v10, v9
	v_and_b32_e32 v9, 0x7f800000, v10
	v_cmp_ne_u32_e32 vcc_lo, 0x7f800000, v9
                                        ; implicit-def: $vgpr9
	s_and_saveexec_b32 s18, vcc_lo
	s_xor_b32 s18, exec_lo, s18
; %bb.49:                               ;   in Loop: Header=BB617_48 Depth=2
	v_bfe_u32 v9, v10, 16, 1
	v_add3_u32 v9, v10, v9, 0x7fff
                                        ; implicit-def: $vgpr10
; %bb.50:                               ;   in Loop: Header=BB617_48 Depth=2
	s_andn2_saveexec_b32 s18, s18
; %bb.51:                               ;   in Loop: Header=BB617_48 Depth=2
	v_or_b32_e32 v9, 0x10000, v10
	v_cmp_eq_u32_sdwa vcc_lo, v10, v7 src0_sel:WORD_0 src1_sel:DWORD
	v_cndmask_b32_e32 v9, v9, v10, vcc_lo
; %bb.52:                               ;   in Loop: Header=BB617_48 Depth=2
	s_or_b32 exec_lo, exec_lo, s18
	flat_load_ushort v10, v[5:6] offset:2
	v_mov_b32_e32 v11, s16
	ds_read_b32 v11, v11 offset:4
	s_waitcnt vmcnt(0) lgkmcnt(1)
	v_lshlrev_b32_e32 v10, 16, v10
	s_waitcnt lgkmcnt(0)
	v_mul_f32_e32 v11, v11, v10
	v_and_b32_e32 v10, 0x7f800000, v11
	v_cmp_ne_u32_e32 vcc_lo, 0x7f800000, v10
                                        ; implicit-def: $vgpr10
	s_and_saveexec_b32 s18, vcc_lo
	s_xor_b32 s18, exec_lo, s18
; %bb.53:                               ;   in Loop: Header=BB617_48 Depth=2
	v_bfe_u32 v10, v11, 16, 1
	v_add3_u32 v10, v11, v10, 0x7fff
                                        ; implicit-def: $vgpr11
; %bb.54:                               ;   in Loop: Header=BB617_48 Depth=2
	s_andn2_saveexec_b32 s18, s18
; %bb.55:                               ;   in Loop: Header=BB617_48 Depth=2
	v_or_b32_e32 v10, 0x10000, v11
	v_cmp_eq_u32_sdwa vcc_lo, v11, v7 src0_sel:WORD_0 src1_sel:DWORD
	v_cndmask_b32_e32 v10, v10, v11, vcc_lo
; %bb.56:                               ;   in Loop: Header=BB617_48 Depth=2
	s_or_b32 exec_lo, exec_lo, s18
	flat_load_ushort v11, v[5:6] offset:4
	v_mov_b32_e32 v12, s16
	ds_read_b32 v12, v12 offset:8
	s_waitcnt vmcnt(0) lgkmcnt(1)
	v_lshlrev_b32_e32 v11, 16, v11
	s_waitcnt lgkmcnt(0)
	v_mul_f32_e32 v12, v12, v11
	v_and_b32_e32 v11, 0x7f800000, v12
	v_cmp_ne_u32_e32 vcc_lo, 0x7f800000, v11
                                        ; implicit-def: $vgpr11
	s_and_saveexec_b32 s18, vcc_lo
	s_xor_b32 s18, exec_lo, s18
; %bb.57:                               ;   in Loop: Header=BB617_48 Depth=2
	v_bfe_u32 v11, v12, 16, 1
	v_add3_u32 v11, v12, v11, 0x7fff
                                        ; implicit-def: $vgpr12
; %bb.58:                               ;   in Loop: Header=BB617_48 Depth=2
	s_andn2_saveexec_b32 s18, s18
; %bb.59:                               ;   in Loop: Header=BB617_48 Depth=2
	v_or_b32_e32 v11, 0x10000, v12
	v_cmp_eq_u32_sdwa vcc_lo, v12, v7 src0_sel:WORD_0 src1_sel:DWORD
	v_cndmask_b32_e32 v11, v11, v12, vcc_lo
; %bb.60:                               ;   in Loop: Header=BB617_48 Depth=2
	s_or_b32 exec_lo, exec_lo, s18
	flat_load_ushort v12, v[5:6] offset:6
	v_mov_b32_e32 v13, s16
	ds_read_b32 v13, v13 offset:12
	s_waitcnt vmcnt(0) lgkmcnt(1)
	v_lshlrev_b32_e32 v12, 16, v12
	s_waitcnt lgkmcnt(0)
	v_mul_f32_e32 v13, v13, v12
	v_and_b32_e32 v12, 0x7f800000, v13
	v_cmp_ne_u32_e32 vcc_lo, 0x7f800000, v12
                                        ; implicit-def: $vgpr12
	s_and_saveexec_b32 s18, vcc_lo
	s_xor_b32 s18, exec_lo, s18
; %bb.61:                               ;   in Loop: Header=BB617_48 Depth=2
	v_bfe_u32 v12, v13, 16, 1
	v_add3_u32 v12, v13, v12, 0x7fff
                                        ; implicit-def: $vgpr13
; %bb.62:                               ;   in Loop: Header=BB617_48 Depth=2
	s_andn2_saveexec_b32 s18, s18
	s_cbranch_execz .LBB617_47
; %bb.63:                               ;   in Loop: Header=BB617_48 Depth=2
	v_or_b32_e32 v12, 0x10000, v13
	v_cmp_eq_u32_sdwa vcc_lo, v13, v7 src0_sel:WORD_0 src1_sel:DWORD
	v_cndmask_b32_e32 v12, v12, v13, vcc_lo
	s_branch .LBB617_47
.LBB617_64:                             ;   in Loop: Header=BB617_37 Depth=1
	s_mov_b32 s16, s8
.LBB617_65:                             ;   in Loop: Header=BB617_37 Depth=1
	s_andn2_b32 vcc_lo, exec_lo, s15
	s_cbranch_vccnz .LBB617_72
; %bb.66:                               ;   in Loop: Header=BB617_37 Depth=1
	s_lshl_b32 s17, s16, 1
	s_lshl_b32 s16, s16, 2
	v_add_co_u32 v5, vcc_lo, v1, s17
	v_add_co_ci_u32_e64 v6, null, 0, v2, vcc_lo
	s_mov_b32 s17, s10
	s_inst_prefetch 0x1
	s_branch .LBB617_68
	.p2align	6
.LBB617_67:                             ;   in Loop: Header=BB617_68 Depth=2
	s_or_b32 exec_lo, exec_lo, s18
	v_and_b32_e32 v9, 0xffff0000, v10
	v_add_co_u32 v5, vcc_lo, v5, 2
	v_add_co_ci_u32_e64 v6, null, 0, v6, vcc_lo
	v_add_f32_e32 v8, v8, v9
	s_add_i32 s17, s17, -1
	s_add_i32 s16, s16, 4
	s_cmp_lg_u32 s17, 0
	s_cbranch_scc0 .LBB617_72
.LBB617_68:                             ;   Parent Loop BB617_37 Depth=1
                                        ; =>  This Inner Loop Header: Depth=2
	flat_load_ushort v9, v[5:6]
	v_mov_b32_e32 v10, s16
	ds_read_b32 v10, v10
	s_waitcnt vmcnt(0) lgkmcnt(1)
	v_lshlrev_b32_e32 v9, 16, v9
	s_waitcnt lgkmcnt(0)
	v_mul_f32_e32 v9, v10, v9
	v_and_b32_e32 v10, 0x7f800000, v9
	v_cmp_ne_u32_e32 vcc_lo, 0x7f800000, v10
                                        ; implicit-def: $vgpr10
	s_and_saveexec_b32 s18, vcc_lo
	s_xor_b32 s18, exec_lo, s18
; %bb.69:                               ;   in Loop: Header=BB617_68 Depth=2
	v_bfe_u32 v10, v9, 16, 1
	v_add3_u32 v10, v9, v10, 0x7fff
                                        ; implicit-def: $vgpr9
; %bb.70:                               ;   in Loop: Header=BB617_68 Depth=2
	s_andn2_saveexec_b32 s18, s18
	s_cbranch_execz .LBB617_67
; %bb.71:                               ;   in Loop: Header=BB617_68 Depth=2
	v_or_b32_e32 v10, 0x10000, v9
	v_cmp_eq_u32_sdwa vcc_lo, v9, v7 src0_sel:WORD_0 src1_sel:DWORD
	v_cndmask_b32_e32 v10, v10, v9, vcc_lo
	s_branch .LBB617_67
.LBB617_72:                             ;   in Loop: Header=BB617_37 Depth=1
	s_inst_prefetch 0x2
	v_and_b32_e32 v5, 0x7f800000, v8
	v_cmp_ne_u32_e32 vcc_lo, 0x7f800000, v5
                                        ; implicit-def: $vgpr5
	s_and_saveexec_b32 s16, vcc_lo
	s_xor_b32 s16, exec_lo, s16
; %bb.73:                               ;   in Loop: Header=BB617_37 Depth=1
	v_bfe_u32 v5, v8, 16, 1
	v_add3_u32 v5, v8, v5, 0x7fff
                                        ; implicit-def: $vgpr8
; %bb.74:                               ;   in Loop: Header=BB617_37 Depth=1
	s_andn2_saveexec_b32 s16, s16
	s_cbranch_execz .LBB617_35
; %bb.75:                               ;   in Loop: Header=BB617_37 Depth=1
	v_or_b32_e32 v5, 0x10000, v8
	v_cmp_eq_u32_sdwa vcc_lo, v8, v7 src0_sel:WORD_0 src1_sel:DWORD
	v_cndmask_b32_e32 v5, v5, v8, vcc_lo
	s_branch .LBB617_35
.LBB617_76:
	s_endpgm
	.section	.rodata,"a",@progbits
	.p2align	6, 0x0
	.amdhsa_kernel _ZL22rocblas_gemvtsm_kernelILb1ELi256EPK16rocblas_bfloat16fKPS0_EviiT2_lPKT1_lilS8_lilS5_lPT3_lil
		.amdhsa_group_segment_fixed_size 256
		.amdhsa_private_segment_fixed_size 0
		.amdhsa_kernarg_size 136
		.amdhsa_user_sgpr_count 6
		.amdhsa_user_sgpr_private_segment_buffer 1
		.amdhsa_user_sgpr_dispatch_ptr 0
		.amdhsa_user_sgpr_queue_ptr 0
		.amdhsa_user_sgpr_kernarg_segment_ptr 1
		.amdhsa_user_sgpr_dispatch_id 0
		.amdhsa_user_sgpr_flat_scratch_init 0
		.amdhsa_user_sgpr_private_segment_size 0
		.amdhsa_wavefront_size32 1
		.amdhsa_uses_dynamic_stack 0
		.amdhsa_system_sgpr_private_segment_wavefront_offset 0
		.amdhsa_system_sgpr_workgroup_id_x 1
		.amdhsa_system_sgpr_workgroup_id_y 0
		.amdhsa_system_sgpr_workgroup_id_z 0
		.amdhsa_system_sgpr_workgroup_info 0
		.amdhsa_system_vgpr_workitem_id 0
		.amdhsa_next_free_vgpr 14
		.amdhsa_next_free_sgpr 24
		.amdhsa_reserve_vcc 1
		.amdhsa_reserve_flat_scratch 0
		.amdhsa_float_round_mode_32 0
		.amdhsa_float_round_mode_16_64 0
		.amdhsa_float_denorm_mode_32 3
		.amdhsa_float_denorm_mode_16_64 3
		.amdhsa_dx10_clamp 1
		.amdhsa_ieee_mode 1
		.amdhsa_fp16_overflow 0
		.amdhsa_workgroup_processor_mode 1
		.amdhsa_memory_ordered 1
		.amdhsa_forward_progress 1
		.amdhsa_shared_vgpr_count 0
		.amdhsa_exception_fp_ieee_invalid_op 0
		.amdhsa_exception_fp_denorm_src 0
		.amdhsa_exception_fp_ieee_div_zero 0
		.amdhsa_exception_fp_ieee_overflow 0
		.amdhsa_exception_fp_ieee_underflow 0
		.amdhsa_exception_fp_ieee_inexact 0
		.amdhsa_exception_int_div_zero 0
	.end_amdhsa_kernel
	.section	.text._ZL22rocblas_gemvtsm_kernelILb1ELi256EPK16rocblas_bfloat16fKPS0_EviiT2_lPKT1_lilS8_lilS5_lPT3_lil,"axG",@progbits,_ZL22rocblas_gemvtsm_kernelILb1ELi256EPK16rocblas_bfloat16fKPS0_EviiT2_lPKT1_lilS8_lilS5_lPT3_lil,comdat
.Lfunc_end617:
	.size	_ZL22rocblas_gemvtsm_kernelILb1ELi256EPK16rocblas_bfloat16fKPS0_EviiT2_lPKT1_lilS8_lilS5_lPT3_lil, .Lfunc_end617-_ZL22rocblas_gemvtsm_kernelILb1ELi256EPK16rocblas_bfloat16fKPS0_EviiT2_lPKT1_lilS8_lilS5_lPT3_lil
                                        ; -- End function
	.set _ZL22rocblas_gemvtsm_kernelILb1ELi256EPK16rocblas_bfloat16fKPS0_EviiT2_lPKT1_lilS8_lilS5_lPT3_lil.num_vgpr, 14
	.set _ZL22rocblas_gemvtsm_kernelILb1ELi256EPK16rocblas_bfloat16fKPS0_EviiT2_lPKT1_lilS8_lilS5_lPT3_lil.num_agpr, 0
	.set _ZL22rocblas_gemvtsm_kernelILb1ELi256EPK16rocblas_bfloat16fKPS0_EviiT2_lPKT1_lilS8_lilS5_lPT3_lil.numbered_sgpr, 24
	.set _ZL22rocblas_gemvtsm_kernelILb1ELi256EPK16rocblas_bfloat16fKPS0_EviiT2_lPKT1_lilS8_lilS5_lPT3_lil.num_named_barrier, 0
	.set _ZL22rocblas_gemvtsm_kernelILb1ELi256EPK16rocblas_bfloat16fKPS0_EviiT2_lPKT1_lilS8_lilS5_lPT3_lil.private_seg_size, 0
	.set _ZL22rocblas_gemvtsm_kernelILb1ELi256EPK16rocblas_bfloat16fKPS0_EviiT2_lPKT1_lilS8_lilS5_lPT3_lil.uses_vcc, 1
	.set _ZL22rocblas_gemvtsm_kernelILb1ELi256EPK16rocblas_bfloat16fKPS0_EviiT2_lPKT1_lilS8_lilS5_lPT3_lil.uses_flat_scratch, 0
	.set _ZL22rocblas_gemvtsm_kernelILb1ELi256EPK16rocblas_bfloat16fKPS0_EviiT2_lPKT1_lilS8_lilS5_lPT3_lil.has_dyn_sized_stack, 0
	.set _ZL22rocblas_gemvtsm_kernelILb1ELi256EPK16rocblas_bfloat16fKPS0_EviiT2_lPKT1_lilS8_lilS5_lPT3_lil.has_recursion, 0
	.set _ZL22rocblas_gemvtsm_kernelILb1ELi256EPK16rocblas_bfloat16fKPS0_EviiT2_lPKT1_lilS8_lilS5_lPT3_lil.has_indirect_call, 0
	.section	.AMDGPU.csdata,"",@progbits
; Kernel info:
; codeLenInByte = 2228
; TotalNumSgprs: 26
; NumVgprs: 14
; ScratchSize: 0
; MemoryBound: 0
; FloatMode: 240
; IeeeMode: 1
; LDSByteSize: 256 bytes/workgroup (compile time only)
; SGPRBlocks: 0
; VGPRBlocks: 1
; NumSGPRsForWavesPerEU: 26
; NumVGPRsForWavesPerEU: 14
; Occupancy: 16
; WaveLimiterHint : 1
; COMPUTE_PGM_RSRC2:SCRATCH_EN: 0
; COMPUTE_PGM_RSRC2:USER_SGPR: 6
; COMPUTE_PGM_RSRC2:TRAP_HANDLER: 0
; COMPUTE_PGM_RSRC2:TGID_X_EN: 1
; COMPUTE_PGM_RSRC2:TGID_Y_EN: 0
; COMPUTE_PGM_RSRC2:TGID_Z_EN: 0
; COMPUTE_PGM_RSRC2:TIDIG_COMP_CNT: 0
	.section	.text._ZL23rocblas_gemvt_sn_kernelILb1ELi256ELi4EiPK16rocblas_bfloat16PKffEviiT4_lPKT3_lilS8_lilPT5_i,"axG",@progbits,_ZL23rocblas_gemvt_sn_kernelILb1ELi256ELi4EiPK16rocblas_bfloat16PKffEviiT4_lPKT3_lilS8_lilPT5_i,comdat
	.globl	_ZL23rocblas_gemvt_sn_kernelILb1ELi256ELi4EiPK16rocblas_bfloat16PKffEviiT4_lPKT3_lilS8_lilPT5_i ; -- Begin function _ZL23rocblas_gemvt_sn_kernelILb1ELi256ELi4EiPK16rocblas_bfloat16PKffEviiT4_lPKT3_lilS8_lilPT5_i
	.p2align	8
	.type	_ZL23rocblas_gemvt_sn_kernelILb1ELi256ELi4EiPK16rocblas_bfloat16PKffEviiT4_lPKT3_lilS8_lilPT5_i,@function
_ZL23rocblas_gemvt_sn_kernelILb1ELi256ELi4EiPK16rocblas_bfloat16PKffEviiT4_lPKT3_lilS8_lilPT5_i: ; @_ZL23rocblas_gemvt_sn_kernelILb1ELi256ELi4EiPK16rocblas_bfloat16PKffEviiT4_lPKT3_lilS8_lilPT5_i
; %bb.0:
	s_load_dwordx8 s[8:15], s[4:5], 0x8
	s_mov_b32 s2, s7
	s_mov_b32 s3, 0
	s_waitcnt lgkmcnt(0)
	s_mul_i32 s0, s11, s7
	s_mul_hi_u32 s1, s10, s7
	s_add_i32 s1, s1, s0
	s_mul_i32 s0, s10, s7
	s_mov_b64 s[10:11], 0
	s_lshl_b64 s[0:1], s[0:1], 2
	s_add_u32 s0, s8, s0
	s_addc_u32 s1, s9, s1
	s_load_dword s26, s[0:1], 0x0
	s_mov_b64 s[0:1], 0
	s_waitcnt lgkmcnt(0)
	v_cmp_eq_f32_e64 s7, s26, 0
	v_cmp_neq_f32_e64 s8, s26, 0
	s_and_b32 vcc_lo, exec_lo, s7
	s_cbranch_vccnz .LBB618_2
; %bb.1:
	s_lshl_b64 s[0:1], s[2:3], 3
	s_add_u32 s0, s12, s0
	s_addc_u32 s1, s13, s1
	s_lshl_b64 s[12:13], s[14:15], 1
	s_load_dwordx2 s[0:1], s[0:1], 0x0
	s_waitcnt lgkmcnt(0)
	s_add_u32 s0, s0, s12
	s_addc_u32 s1, s1, s13
.LBB618_2:
	s_andn2_b32 vcc_lo, exec_lo, s8
	s_cbranch_vccnz .LBB618_4
; %bb.3:
	s_load_dwordx4 s[8:11], s[4:5], 0x38
	s_lshl_b64 s[12:13], s[2:3], 3
	s_waitcnt lgkmcnt(0)
	s_add_u32 s8, s8, s12
	s_addc_u32 s9, s9, s13
	s_lshl_b64 s[10:11], s[10:11], 1
	s_load_dwordx2 s[8:9], s[8:9], 0x0
	s_waitcnt lgkmcnt(0)
	s_add_u32 s10, s8, s10
	s_addc_u32 s11, s9, s11
.LBB618_4:
	s_clause 0x2
	s_load_dwordx2 s[12:13], s[4:5], 0x0
	s_load_dword s14, s[4:5], 0x68
	s_load_dwordx2 s[8:9], s[4:5], 0x58
	s_waitcnt lgkmcnt(0)
	s_ashr_i32 s17, s13, 31
	s_mul_hi_u32 s3, s13, s2
	s_mul_i32 s15, s17, s2
	s_mul_i32 s2, s13, s2
	s_add_i32 s3, s3, s15
	s_mul_hi_u32 s15, s2, s14
	s_mul_i32 s3, s3, s14
	s_mul_i32 s2, s2, s14
	s_add_i32 s3, s15, s3
	s_mov_b32 s15, 0
	s_lshl_b64 s[2:3], s[2:3], 2
	s_add_u32 s28, s8, s2
	s_addc_u32 s29, s9, s3
	s_andn2_b32 vcc_lo, exec_lo, s7
	s_mov_b32 s2, -1
	s_cbranch_vccnz .LBB618_9
; %bb.5:
	v_cmp_eq_u32_e32 vcc_lo, 0, v0
	s_cmp_gt_i32 s13, 0
	s_cselect_b32 s2, -1, 0
	s_and_b32 s2, vcc_lo, s2
	s_and_saveexec_b32 s16, s2
	s_cbranch_execz .LBB618_8
; %bb.6:
	s_mov_b32 s7, 0
	v_mov_b32_e32 v1, 0
	s_lshl_b64 s[2:3], s[6:7], 2
	s_mov_b32 s7, s13
	s_add_u32 s2, s28, s2
	s_addc_u32 s3, s29, s3
	s_lshl_b64 s[8:9], s[14:15], 2
.LBB618_7:                              ; =>This Inner Loop Header: Depth=1
	s_add_i32 s7, s7, -1
	global_store_dword v1, v1, s[2:3]
	s_add_u32 s2, s2, s8
	s_addc_u32 s3, s3, s9
	s_cmp_eq_u32 s7, 0
	s_cbranch_scc0 .LBB618_7
.LBB618_8:
	s_or_b32 exec_lo, exec_lo, s16
	s_mov_b32 s2, 0
.LBB618_9:
	s_andn2_b32 vcc_lo, exec_lo, s2
	s_cbranch_vccnz .LBB618_84
; %bb.10:
	s_clause 0x1
	s_load_dword s16, s[4:5], 0x28
	s_load_dword s15, s[4:5], 0x48
	s_lshl_b32 s2, s6, 10
	s_lshr_b32 s3, s17, 30
	v_lshl_or_b32 v1, v0, 2, s2
	s_ashr_i32 s2, s12, 31
	s_add_i32 s3, s13, s3
	s_lshr_b32 s2, s2, 30
	v_and_b32_e32 v21, 31, v0
	v_ashrrev_i32_e32 v2, 31, v1
	s_add_i32 s2, s12, s2
	v_add_nc_u32_e32 v24, 4, v1
	s_and_b32 s2, s2, -4
	v_mbcnt_lo_u32_b32 v23, -1, 0
	v_lshlrev_b64 v[2:3], 1, v[1:2]
	s_sub_i32 s27, s12, s2
	v_lshrrev_b32_e32 v22, 3, v0
	v_add_nc_u32_e32 v25, s27, v1
	v_cmp_eq_u32_e64 s2, 0, v0
	s_and_b32 s30, s3, -4
	v_add_co_u32 v19, vcc_lo, s0, v2
	s_waitcnt lgkmcnt(0)
	v_mul_lo_u32 v9, s15, v1
	v_add_co_ci_u32_e64 v20, null, s1, v3, vcc_lo
	v_cmp_gt_u32_e64 s0, 32, v0
	v_cmp_gt_u32_e64 s1, 8, v0
	s_cmp_lt_i32 s30, 1
	s_cbranch_scc1 .LBB618_59
; %bb.11:
	v_cmp_gt_u32_e32 vcc_lo, 24, v23
	v_mul_lo_u32 v10, s15, v1
	s_cmp_gt_i32 s27, 0
	s_mov_b32 s9, 0
	v_cmp_ge_i32_e64 s3, s12, v24
	v_cndmask_b32_e64 v2, 0, 8, vcc_lo
	v_cmp_gt_u32_e32 vcc_lo, 28, v23
	v_cmp_ge_i32_e64 s4, s12, v25
	v_lshl_or_b32 v26, v23, 2, 64
	v_add_nc_u32_e32 v1, s15, v10
	v_ashrrev_i32_e32 v11, 31, v10
	v_cndmask_b32_e64 v3, 0, 4, vcc_lo
	v_cmp_gt_u32_e32 vcc_lo, 30, v23
	v_add_lshl_u32 v27, v2, v23, 2
	v_ashrrev_i32_e32 v2, 31, v1
	v_cmp_eq_u32_e64 s5, 0, v21
	v_add_lshl_u32 v28, v3, v23, 2
	v_cndmask_b32_e64 v4, 0, 2, vcc_lo
	v_cmp_ne_u32_e32 vcc_lo, 31, v23
	v_add_nc_u32_e32 v3, s15, v1
	v_lshlrev_b64 v[1:2], 1, v[1:2]
	v_lshlrev_b32_e32 v31, 2, v21
	v_add_lshl_u32 v29, v4, v23, 2
	v_add_co_ci_u32_e64 v5, null, 0, v23, vcc_lo
	v_add_nc_u32_e32 v7, s15, v3
	v_ashrrev_i32_e32 v4, 31, v3
	v_and_b32_e32 v32, 28, v22
	v_lshlrev_b32_e32 v30, 2, v5
	v_lshlrev_b64 v[5:6], 1, v[10:11]
	v_ashrrev_i32_e32 v8, 31, v7
	v_lshlrev_b64 v[3:4], 1, v[3:4]
	s_cselect_b32 s31, -1, 0
	s_mov_b32 s17, s9
	s_lshl_b32 s8, s16, 1
	v_add_co_u32 v11, vcc_lo, s10, v5
	v_add_co_ci_u32_e64 v12, null, s11, v6, vcc_lo
	v_add_co_u32 v13, vcc_lo, s10, v1
	v_mov_b32_e32 v5, 0
	v_add_co_ci_u32_e64 v14, null, s11, v2, vcc_lo
	v_lshlrev_b64 v[1:2], 1, v[7:8]
	v_add_co_u32 v15, vcc_lo, s10, v3
	v_mov_b32_e32 v6, v5
	v_mov_b32_e32 v7, v5
	;; [unrolled: 1-line block ×3, first 2 shown]
	v_add_co_ci_u32_e64 v16, null, s11, v4, vcc_lo
	v_add_co_u32 v17, vcc_lo, s10, v1
	v_add_co_ci_u32_e64 v18, null, s11, v2, vcc_lo
	v_mov_b32_e32 v1, v5
	v_mov_b32_e32 v2, v6
	v_mov_b32_e32 v3, v7
	v_mov_b32_e32 v4, v8
	s_lshl_b32 s33, s16, 2
	s_mul_i32 s34, s16, 3
	s_mov_b32 s35, s9
	s_mov_b32 s18, s9
	s_mov_b64 s[20:21], s[8:9]
	s_mov_b64 s[22:23], s[16:17]
	s_mov_b32 s17, 0
	s_branch .LBB618_13
.LBB618_12:                             ;   in Loop: Header=BB618_13 Depth=1
	s_or_b32 exec_lo, exec_lo, s7
	s_add_i32 s17, s17, 4
	s_add_u32 s22, s22, s33
	s_addc_u32 s23, s23, 0
	s_add_u32 s20, s20, s33
	s_addc_u32 s21, s21, 0
	;; [unrolled: 2-line block ×3, first 2 shown]
	s_add_i32 s18, s18, s33
	s_cmp_ge_i32 s17, s30
	s_cbranch_scc1 .LBB618_60
.LBB618_13:                             ; =>This Loop Header: Depth=1
                                        ;     Child Loop BB618_44 Depth 2
                                        ;     Child Loop BB618_47 Depth 2
                                        ; implicit-def: $vgpr8
                                        ; implicit-def: $vgpr33
                                        ; implicit-def: $vgpr34
                                        ; implicit-def: $vgpr35
	s_and_saveexec_b32 s7, s3
	s_xor_b32 s7, exec_lo, s7
	s_cbranch_execnz .LBB618_40
; %bb.14:                               ;   in Loop: Header=BB618_13 Depth=1
	s_andn2_saveexec_b32 s36, s7
	s_cbranch_execnz .LBB618_41
.LBB618_15:                             ;   in Loop: Header=BB618_13 Depth=1
	s_or_b32 exec_lo, exec_lo, s36
	s_and_saveexec_b32 s7, s0
.LBB618_16:                             ;   in Loop: Header=BB618_13 Depth=1
	ds_write_b32 v31, v5
.LBB618_17:                             ;   in Loop: Header=BB618_13 Depth=1
	s_or_b32 exec_lo, exec_lo, s7
	ds_bpermute_b32 v6, v26, v35
	s_waitcnt lgkmcnt(0)
	s_waitcnt_vscnt null, 0x0
	s_barrier
	buffer_gl0_inv
	v_add_f32_e32 v6, v35, v6
	ds_bpermute_b32 v7, v27, v6
	s_waitcnt lgkmcnt(0)
	v_add_f32_e32 v6, v6, v7
	ds_bpermute_b32 v7, v28, v6
	s_waitcnt lgkmcnt(0)
	;; [unrolled: 3-line block ×3, first 2 shown]
	v_add_f32_e32 v6, v6, v7
	ds_bpermute_b32 v7, v30, v6
	s_and_saveexec_b32 s7, s5
	s_cbranch_execz .LBB618_19
; %bb.18:                               ;   in Loop: Header=BB618_13 Depth=1
	s_waitcnt lgkmcnt(0)
	v_add_f32_e32 v6, v6, v7
	ds_write_b32 v32, v6
.LBB618_19:                             ;   in Loop: Header=BB618_13 Depth=1
	s_or_b32 exec_lo, exec_lo, s7
	v_mov_b32_e32 v6, 0
	s_waitcnt lgkmcnt(0)
	s_barrier
	buffer_gl0_inv
	s_and_saveexec_b32 s7, s1
	s_cbranch_execnz .LBB618_48
; %bb.20:                               ;   in Loop: Header=BB618_13 Depth=1
	s_or_b32 exec_lo, exec_lo, s7
	s_and_saveexec_b32 s7, s0
	s_cbranch_execnz .LBB618_49
.LBB618_21:                             ;   in Loop: Header=BB618_13 Depth=1
	s_or_b32 exec_lo, exec_lo, s7
	s_and_saveexec_b32 s7, s0
.LBB618_22:                             ;   in Loop: Header=BB618_13 Depth=1
	ds_write_b32 v31, v5
.LBB618_23:                             ;   in Loop: Header=BB618_13 Depth=1
	s_or_b32 exec_lo, exec_lo, s7
	ds_bpermute_b32 v7, v26, v34
	s_waitcnt lgkmcnt(0)
	s_barrier
	buffer_gl0_inv
	v_add_f32_e32 v7, v34, v7
	ds_bpermute_b32 v34, v27, v7
	s_waitcnt lgkmcnt(0)
	v_add_f32_e32 v7, v7, v34
	ds_bpermute_b32 v34, v28, v7
	s_waitcnt lgkmcnt(0)
	;; [unrolled: 3-line block ×3, first 2 shown]
	v_add_f32_e32 v7, v7, v34
	ds_bpermute_b32 v34, v30, v7
	s_and_saveexec_b32 s7, s5
	s_cbranch_execz .LBB618_25
; %bb.24:                               ;   in Loop: Header=BB618_13 Depth=1
	s_waitcnt lgkmcnt(0)
	v_add_f32_e32 v7, v7, v34
	ds_write_b32 v32, v7
.LBB618_25:                             ;   in Loop: Header=BB618_13 Depth=1
	s_or_b32 exec_lo, exec_lo, s7
	v_mov_b32_e32 v7, 0
	s_waitcnt lgkmcnt(0)
	s_barrier
	buffer_gl0_inv
	s_and_saveexec_b32 s7, s1
	s_cbranch_execnz .LBB618_50
; %bb.26:                               ;   in Loop: Header=BB618_13 Depth=1
	s_or_b32 exec_lo, exec_lo, s7
	s_and_saveexec_b32 s7, s0
	s_cbranch_execnz .LBB618_51
.LBB618_27:                             ;   in Loop: Header=BB618_13 Depth=1
	s_or_b32 exec_lo, exec_lo, s7
	s_and_saveexec_b32 s7, s0
.LBB618_28:                             ;   in Loop: Header=BB618_13 Depth=1
	ds_write_b32 v31, v5
.LBB618_29:                             ;   in Loop: Header=BB618_13 Depth=1
	s_or_b32 exec_lo, exec_lo, s7
	ds_bpermute_b32 v34, v26, v33
	s_waitcnt lgkmcnt(0)
	s_barrier
	buffer_gl0_inv
	v_add_f32_e32 v33, v33, v34
	ds_bpermute_b32 v34, v27, v33
	s_waitcnt lgkmcnt(0)
	v_add_f32_e32 v33, v33, v34
	ds_bpermute_b32 v34, v28, v33
	s_waitcnt lgkmcnt(0)
	v_add_f32_e32 v33, v33, v34
	ds_bpermute_b32 v34, v29, v33
	s_waitcnt lgkmcnt(0)
	v_add_f32_e32 v33, v33, v34
	ds_bpermute_b32 v34, v30, v33
	s_and_saveexec_b32 s7, s5
	s_cbranch_execz .LBB618_31
; %bb.30:                               ;   in Loop: Header=BB618_13 Depth=1
	s_waitcnt lgkmcnt(0)
	v_add_f32_e32 v33, v33, v34
	ds_write_b32 v32, v33
.LBB618_31:                             ;   in Loop: Header=BB618_13 Depth=1
	s_or_b32 exec_lo, exec_lo, s7
	v_mov_b32_e32 v33, 0
	s_waitcnt lgkmcnt(0)
	s_barrier
	buffer_gl0_inv
	s_and_saveexec_b32 s7, s1
	s_cbranch_execnz .LBB618_52
; %bb.32:                               ;   in Loop: Header=BB618_13 Depth=1
	s_or_b32 exec_lo, exec_lo, s7
	s_and_saveexec_b32 s7, s0
	s_cbranch_execnz .LBB618_53
.LBB618_33:                             ;   in Loop: Header=BB618_13 Depth=1
	s_or_b32 exec_lo, exec_lo, s7
	s_and_saveexec_b32 s7, s0
.LBB618_34:                             ;   in Loop: Header=BB618_13 Depth=1
	ds_write_b32 v31, v5
.LBB618_35:                             ;   in Loop: Header=BB618_13 Depth=1
	s_or_b32 exec_lo, exec_lo, s7
	ds_bpermute_b32 v34, v26, v8
	s_waitcnt lgkmcnt(0)
	s_barrier
	buffer_gl0_inv
	v_add_f32_e32 v8, v8, v34
	ds_bpermute_b32 v34, v27, v8
	s_waitcnt lgkmcnt(0)
	v_add_f32_e32 v8, v8, v34
	ds_bpermute_b32 v34, v28, v8
	s_waitcnt lgkmcnt(0)
	;; [unrolled: 3-line block ×3, first 2 shown]
	v_add_f32_e32 v8, v8, v34
	ds_bpermute_b32 v34, v30, v8
	s_and_saveexec_b32 s7, s5
	s_cbranch_execz .LBB618_37
; %bb.36:                               ;   in Loop: Header=BB618_13 Depth=1
	s_waitcnt lgkmcnt(0)
	v_add_f32_e32 v8, v8, v34
	ds_write_b32 v32, v8
.LBB618_37:                             ;   in Loop: Header=BB618_13 Depth=1
	s_or_b32 exec_lo, exec_lo, s7
	v_mov_b32_e32 v8, 0
	s_waitcnt lgkmcnt(0)
	s_barrier
	buffer_gl0_inv
	s_and_saveexec_b32 s7, s1
	s_cbranch_execnz .LBB618_54
; %bb.38:                               ;   in Loop: Header=BB618_13 Depth=1
	s_or_b32 exec_lo, exec_lo, s7
	s_and_saveexec_b32 s7, s0
	s_cbranch_execnz .LBB618_55
.LBB618_39:                             ;   in Loop: Header=BB618_13 Depth=1
	s_or_b32 exec_lo, exec_lo, s7
	s_and_saveexec_b32 s7, s2
	s_cbranch_execz .LBB618_12
	s_branch .LBB618_56
.LBB618_40:                             ;   in Loop: Header=BB618_13 Depth=1
	s_mul_i32 s24, s17, s16
	s_ashr_i32 s25, s24, 31
	s_add_i32 s36, s24, s16
	s_lshl_b64 s[24:25], s[24:25], 1
	s_ashr_i32 s37, s36, 31
	v_add_co_u32 v1, vcc_lo, v19, s24
	v_add_co_ci_u32_e64 v2, null, s25, v20, vcc_lo
	s_lshl_b64 s[24:25], s[36:37], 1
	v_add_co_u32 v3, vcc_lo, v19, s24
	s_add_i32 s24, s36, s16
	v_add_co_ci_u32_e64 v4, null, s25, v20, vcc_lo
	s_ashr_i32 s25, s24, 31
	s_add_i32 s36, s24, s16
	s_lshl_b64 s[24:25], s[24:25], 1
	s_clause 0x1
	flat_load_dwordx2 v[6:7], v[1:2]
	flat_load_dwordx2 v[33:34], v[3:4]
	s_ashr_i32 s37, s36, 31
	v_add_co_u32 v1, vcc_lo, v19, s24
	v_add_co_ci_u32_e64 v2, null, s25, v20, vcc_lo
	s_lshl_b64 s[24:25], s[36:37], 1
	s_waitcnt lgkmcnt(2)
	s_clause 0x2
	flat_load_ushort v8, v[11:12]
	flat_load_ushort v39, v[13:14]
	;; [unrolled: 1-line block ×3, first 2 shown]
	v_add_co_u32 v3, vcc_lo, v19, s24
	v_add_co_ci_u32_e64 v4, null, s25, v20, vcc_lo
	s_clause 0x1
	flat_load_dwordx2 v[35:36], v[1:2]
	flat_load_dwordx2 v[37:38], v[3:4]
	flat_load_ushort v4, v[17:18]
	s_waitcnt vmcnt(6) lgkmcnt(6)
	v_and_b32_e32 v41, 0xffff0000, v33
	v_lshlrev_b32_e32 v42, 16, v34
	v_and_b32_e32 v43, 0xffff0000, v34
	s_waitcnt vmcnt(5) lgkmcnt(5)
	v_lshlrev_b32_e32 v1, 16, v8
	v_lshlrev_b32_e32 v8, 16, v6
	s_waitcnt vmcnt(3) lgkmcnt(3)
	v_lshlrev_b32_e32 v3, 16, v40
	v_lshlrev_b32_e32 v40, 16, v33
	v_lshlrev_b32_e32 v2, 16, v39
	v_and_b32_e32 v6, 0xffff0000, v6
	v_lshlrev_b32_e32 v39, 16, v7
	s_waitcnt vmcnt(2) lgkmcnt(2)
	v_lshlrev_b32_e32 v33, 16, v35
	s_waitcnt vmcnt(1) lgkmcnt(1)
	v_lshlrev_b32_e32 v46, 16, v37
	v_and_b32_e32 v44, 0xffff0000, v35
	v_fma_f32 v35, v1, v8, 0
	v_and_b32_e32 v37, 0xffff0000, v37
	v_fma_f32 v34, v1, v40, 0
	v_fma_f32 v33, v1, v33, 0
	;; [unrolled: 1-line block ×3, first 2 shown]
	v_lshlrev_b32_e32 v45, 16, v36
	v_fmac_f32_e32 v35, v2, v6
	v_fmac_f32_e32 v34, v2, v41
	;; [unrolled: 1-line block ×4, first 2 shown]
	v_lshlrev_b32_e32 v6, 16, v38
	v_and_b32_e32 v7, 0xffff0000, v7
	v_and_b32_e32 v36, 0xffff0000, v36
	;; [unrolled: 1-line block ×3, first 2 shown]
	s_waitcnt vmcnt(0) lgkmcnt(0)
	v_lshlrev_b32_e32 v4, 16, v4
	v_fmac_f32_e32 v35, v3, v39
	v_fmac_f32_e32 v34, v3, v42
	;; [unrolled: 1-line block ×8, first 2 shown]
	s_andn2_saveexec_b32 s36, s7
	s_cbranch_execz .LBB618_15
.LBB618_41:                             ;   in Loop: Header=BB618_13 Depth=1
	s_waitcnt lgkmcnt(0)
	v_mov_b32_e32 v8, 0
	v_mov_b32_e32 v33, 0
	;; [unrolled: 1-line block ×4, first 2 shown]
	s_and_saveexec_b32 s37, s4
	s_cbranch_execz .LBB618_58
; %bb.42:                               ;   in Loop: Header=BB618_13 Depth=1
	s_andn2_b32 vcc_lo, exec_lo, s31
	s_cbranch_vccnz .LBB618_45
; %bb.43:                               ;   in Loop: Header=BB618_13 Depth=1
	v_mov_b32_e32 v6, v10
	s_mov_b64 s[24:25], 0
	.p2align	6
.LBB618_44:                             ;   Parent Loop BB618_13 Depth=1
                                        ; =>  This Inner Loop Header: Depth=2
	v_ashrrev_i32_e32 v7, 31, v6
	s_cmp_eq_u32 s24, 3
	v_lshlrev_b64 v[7:8], 1, v[6:7]
	v_add_nc_u32_e32 v6, s15, v6
	v_add_co_u32 v7, vcc_lo, s10, v7
	v_add_co_ci_u32_e64 v8, null, s11, v8, vcc_lo
	s_cselect_b32 vcc_lo, -1, 0
	s_cmp_eq_u32 s24, 2
	s_cselect_b32 s7, -1, 0
	flat_load_ushort v7, v[7:8]
	s_cmp_eq_u32 s24, 1
	s_cselect_b32 s8, -1, 0
	s_cmp_eq_u32 s24, 0
	s_waitcnt vmcnt(0) lgkmcnt(0)
	v_lshlrev_b32_e32 v7, 16, v7
	v_cndmask_b32_e32 v4, v4, v7, vcc_lo
	s_cselect_b32 vcc_lo, -1, 0
	v_cndmask_b32_e64 v3, v3, v7, s7
	v_cndmask_b32_e64 v2, v2, v7, s8
	v_cndmask_b32_e32 v1, v1, v7, vcc_lo
	s_add_u32 s24, s24, 1
	s_addc_u32 s25, s25, 0
	s_cmp_eq_u32 s27, s24
	s_cbranch_scc0 .LBB618_44
.LBB618_45:                             ;   in Loop: Header=BB618_13 Depth=1
	s_andn2_b32 vcc_lo, exec_lo, s31
	s_cbranch_vccnz .LBB618_57
; %bb.46:                               ;   in Loop: Header=BB618_13 Depth=1
	s_ashr_i32 s19, s18, 31
	v_mov_b32_e32 v35, 0
	s_lshl_b64 s[24:25], s[18:19], 1
	v_mov_b32_e32 v34, 0
	v_add_co_u32 v6, vcc_lo, v19, s24
	v_add_co_ci_u32_e64 v7, null, s25, v20, vcc_lo
	v_mov_b32_e32 v33, 0
	v_mov_b32_e32 v8, 0
	s_mov_b64 s[24:25], 0
.LBB618_47:                             ;   Parent Loop BB618_13 Depth=1
                                        ; =>  This Inner Loop Header: Depth=2
	s_cmp_eq_u32 s24, 1
	s_cselect_b32 vcc_lo, -1, 0
	s_cmp_eq_u32 s24, 2
	v_cndmask_b32_e32 v36, v1, v2, vcc_lo
	s_cselect_b32 vcc_lo, -1, 0
	s_cmp_eq_u32 s24, 3
	v_cndmask_b32_e32 v42, v36, v3, vcc_lo
	s_cselect_b32 vcc_lo, -1, 0
	s_add_i32 s38, s22, s24
	s_add_i32 s40, s20, s24
	s_ashr_i32 s39, s38, 31
	s_add_i32 s42, s34, s24
	s_ashr_i32 s41, s40, 31
	s_lshl_b64 s[38:39], s[38:39], 1
	s_ashr_i32 s43, s42, 31
	s_lshl_b64 s[40:41], s[40:41], 1
	v_add_co_u32 v36, s7, v19, s38
	s_lshl_b64 s[42:43], s[42:43], 1
	v_add_co_ci_u32_e64 v37, null, s39, v20, s7
	v_add_co_u32 v38, s7, v19, s40
	v_add_co_ci_u32_e64 v39, null, s41, v20, s7
	v_add_co_u32 v40, s7, v19, s42
	v_add_co_ci_u32_e64 v41, null, s43, v20, s7
	flat_load_ushort v43, v[6:7]
	s_clause 0x2
	flat_load_ushort v36, v[36:37]
	flat_load_ushort v37, v[38:39]
	;; [unrolled: 1-line block ×3, first 2 shown]
	v_cndmask_b32_e32 v39, v42, v4, vcc_lo
	v_add_co_u32 v6, s7, v6, 2
	v_add_co_ci_u32_e64 v7, null, 0, v7, s7
	s_add_u32 s24, s24, 1
	s_addc_u32 s25, s25, 0
	s_cmp_lg_u32 s27, s24
	s_waitcnt vmcnt(3) lgkmcnt(3)
	v_lshlrev_b32_e32 v40, 16, v43
	s_waitcnt vmcnt(2) lgkmcnt(2)
	v_lshlrev_b32_e32 v36, 16, v36
	s_waitcnt vmcnt(1) lgkmcnt(1)
	v_lshlrev_b32_e32 v37, 16, v37
	s_waitcnt vmcnt(0) lgkmcnt(0)
	v_lshlrev_b32_e32 v38, 16, v38
	v_fmac_f32_e32 v35, v39, v40
	v_fmac_f32_e32 v34, v39, v36
	;; [unrolled: 1-line block ×4, first 2 shown]
	s_cbranch_scc1 .LBB618_47
	s_branch .LBB618_58
.LBB618_48:                             ;   in Loop: Header=BB618_13 Depth=1
	ds_read_b32 v6, v31
	s_or_b32 exec_lo, exec_lo, s7
	s_and_saveexec_b32 s7, s0
	s_cbranch_execz .LBB618_21
.LBB618_49:                             ;   in Loop: Header=BB618_13 Depth=1
	s_waitcnt lgkmcnt(0)
	ds_bpermute_b32 v7, v28, v6
	s_waitcnt lgkmcnt(0)
	v_add_f32_e32 v6, v6, v7
	ds_bpermute_b32 v7, v29, v6
	s_waitcnt lgkmcnt(0)
	v_add_f32_e32 v6, v6, v7
	ds_bpermute_b32 v7, v30, v6
	s_waitcnt lgkmcnt(0)
	v_add_f32_e32 v6, v6, v7
	s_or_b32 exec_lo, exec_lo, s7
	s_and_saveexec_b32 s7, s0
	s_cbranch_execnz .LBB618_22
	s_branch .LBB618_23
.LBB618_50:                             ;   in Loop: Header=BB618_13 Depth=1
	ds_read_b32 v7, v31
	s_or_b32 exec_lo, exec_lo, s7
	s_and_saveexec_b32 s7, s0
	s_cbranch_execz .LBB618_27
.LBB618_51:                             ;   in Loop: Header=BB618_13 Depth=1
	s_waitcnt lgkmcnt(0)
	ds_bpermute_b32 v34, v28, v7
	s_waitcnt lgkmcnt(0)
	v_add_f32_e32 v7, v7, v34
	ds_bpermute_b32 v34, v29, v7
	s_waitcnt lgkmcnt(0)
	v_add_f32_e32 v7, v7, v34
	;; [unrolled: 3-line block ×3, first 2 shown]
	s_or_b32 exec_lo, exec_lo, s7
	s_and_saveexec_b32 s7, s0
	s_cbranch_execnz .LBB618_28
	s_branch .LBB618_29
.LBB618_52:                             ;   in Loop: Header=BB618_13 Depth=1
	ds_read_b32 v33, v31
	s_or_b32 exec_lo, exec_lo, s7
	s_and_saveexec_b32 s7, s0
	s_cbranch_execz .LBB618_33
.LBB618_53:                             ;   in Loop: Header=BB618_13 Depth=1
	s_waitcnt lgkmcnt(0)
	ds_bpermute_b32 v34, v28, v33
	s_waitcnt lgkmcnt(0)
	v_add_f32_e32 v33, v33, v34
	ds_bpermute_b32 v34, v29, v33
	s_waitcnt lgkmcnt(0)
	v_add_f32_e32 v33, v33, v34
	;; [unrolled: 3-line block ×3, first 2 shown]
	s_or_b32 exec_lo, exec_lo, s7
	s_and_saveexec_b32 s7, s0
	s_cbranch_execnz .LBB618_34
	s_branch .LBB618_35
.LBB618_54:                             ;   in Loop: Header=BB618_13 Depth=1
	ds_read_b32 v8, v31
	s_or_b32 exec_lo, exec_lo, s7
	s_and_saveexec_b32 s7, s0
	s_cbranch_execz .LBB618_39
.LBB618_55:                             ;   in Loop: Header=BB618_13 Depth=1
	s_waitcnt lgkmcnt(0)
	ds_bpermute_b32 v34, v28, v8
	s_waitcnt lgkmcnt(0)
	v_add_f32_e32 v8, v8, v34
	ds_bpermute_b32 v34, v29, v8
	s_waitcnt lgkmcnt(0)
	v_add_f32_e32 v8, v8, v34
	;; [unrolled: 3-line block ×3, first 2 shown]
	s_or_b32 exec_lo, exec_lo, s7
	s_and_saveexec_b32 s7, s2
	s_cbranch_execz .LBB618_12
.LBB618_56:                             ;   in Loop: Header=BB618_13 Depth=1
	s_mul_i32 s8, s17, s14
	v_mul_f32_e32 v6, s26, v6
	s_add_i32 s8, s8, s6
	v_mul_f32_e32 v7, s26, v7
	s_lshl_b64 s[24:25], s[8:9], 2
	v_mul_f32_e32 v33, s26, v33
	s_add_u32 s24, s28, s24
	s_addc_u32 s25, s29, s25
	s_add_i32 s8, s8, s14
	global_store_dword v5, v6, s[24:25]
	s_lshl_b64 s[36:37], s[8:9], 2
	s_waitcnt lgkmcnt(0)
	v_mul_f32_e32 v6, s26, v8
	s_add_u32 s36, s28, s36
	s_addc_u32 s37, s29, s37
	s_add_i32 s8, s8, s14
	global_store_dword v5, v7, s[36:37]
	s_lshl_b64 s[38:39], s[8:9], 2
	s_add_u32 s24, s28, s38
	s_addc_u32 s25, s29, s39
	s_add_i32 s8, s8, s14
	s_lshl_b64 s[38:39], s[8:9], 2
	s_add_u32 s36, s28, s38
	s_addc_u32 s37, s29, s39
	global_store_dword v5, v33, s[24:25]
	global_store_dword v5, v6, s[36:37]
	s_branch .LBB618_12
.LBB618_57:                             ;   in Loop: Header=BB618_13 Depth=1
	v_mov_b32_e32 v8, 0
	v_mov_b32_e32 v33, 0
	;; [unrolled: 1-line block ×4, first 2 shown]
.LBB618_58:                             ;   in Loop: Header=BB618_13 Depth=1
	s_or_b32 exec_lo, exec_lo, s37
	s_or_b32 exec_lo, exec_lo, s36
	s_and_saveexec_b32 s7, s0
	s_cbranch_execnz .LBB618_16
	s_branch .LBB618_17
.LBB618_59:
	v_mov_b32_e32 v1, 0
	s_mov_b32 s17, 0
	v_mov_b32_e32 v2, v1
	v_mov_b32_e32 v3, v1
	;; [unrolled: 1-line block ×3, first 2 shown]
.LBB618_60:
	s_cmp_ge_i32 s17, s13
	s_cbranch_scc1 .LBB618_84
; %bb.61:
	v_cmp_gt_u32_e32 vcc_lo, 24, v23
	v_cmp_ge_i32_e64 s0, s12, v24
	v_lshl_or_b32 v17, v23, 2, 64
	v_ashrrev_i32_e32 v10, 31, v9
	v_cmp_ge_i32_e64 s1, s12, v25
	v_cndmask_b32_e64 v5, 0, 8, vcc_lo
	v_cmp_gt_u32_e32 vcc_lo, 28, v23
	s_cmp_gt_i32 s27, 0
	v_lshlrev_b64 v[10:11], 1, v[9:10]
	s_mov_b32 s7, 0
	v_add_lshl_u32 v18, v5, v23, 2
	v_cndmask_b32_e64 v6, 0, 4, vcc_lo
	v_cmp_gt_u32_e32 vcc_lo, 30, v23
	v_add_nc_u32_e32 v5, s15, v9
	s_cselect_b32 s12, -1, 0
	v_cmp_gt_u32_e64 s2, 32, v0
	v_add_lshl_u32 v24, v6, v23, 2
	v_cndmask_b32_e64 v7, 0, 2, vcc_lo
	v_cmp_ne_u32_e32 vcc_lo, 31, v23
	v_ashrrev_i32_e32 v6, 31, v5
	v_lshlrev_b32_e32 v16, 2, v21
	v_cmp_eq_u32_e64 s3, 0, v21
	v_and_b32_e32 v21, 28, v22
	s_waitcnt lgkmcnt(0)
	v_add_co_ci_u32_e64 v8, null, 0, v23, vcc_lo
	v_add_lshl_u32 v23, v7, v23, 2
	v_add_nc_u32_e32 v7, s15, v5
	v_lshlrev_b64 v[12:13], 1, v[5:6]
	v_lshlrev_b32_e32 v25, 2, v8
	v_add_co_u32 v5, vcc_lo, s10, v10
	v_add_nc_u32_e32 v14, s15, v7
	v_ashrrev_i32_e32 v8, 31, v7
	v_add_co_ci_u32_e64 v6, null, s11, v11, vcc_lo
	v_cmp_gt_u32_e64 s4, 8, v0
	v_ashrrev_i32_e32 v15, 31, v14
	v_lshlrev_b64 v[10:11], 1, v[7:8]
	v_add_co_u32 v7, vcc_lo, s10, v12
	v_add_co_ci_u32_e64 v8, null, s11, v13, vcc_lo
	v_lshlrev_b64 v[12:13], 1, v[14:15]
	v_add_co_u32 v10, vcc_lo, s10, v10
	v_add_co_ci_u32_e64 v11, null, s11, v11, vcc_lo
	v_cmp_eq_u32_e64 s5, 0, v0
	v_add_co_u32 v12, vcc_lo, s10, v12
	s_lshl_b64 s[8:9], s[6:7], 2
	v_add_co_ci_u32_e64 v13, null, s11, v13, vcc_lo
	v_mov_b32_e32 v0, 0
	s_add_u32 s22, s28, s8
	s_addc_u32 s23, s29, s9
	s_mul_i32 s18, s17, s16
	s_branch .LBB618_63
.LBB618_62:                             ;   in Loop: Header=BB618_63 Depth=1
	s_or_b32 exec_lo, exec_lo, s6
	s_add_i32 s17, s17, 1
	s_add_i32 s18, s18, s16
	s_cmp_ge_i32 s17, s13
	s_cbranch_scc1 .LBB618_84
.LBB618_63:                             ; =>This Loop Header: Depth=1
                                        ;     Child Loop BB618_76 Depth 2
                                        ;     Child Loop BB618_79 Depth 2
	v_mov_b32_e32 v22, s7
	s_and_saveexec_b32 s6, s0
	s_xor_b32 s6, exec_lo, s6
	s_cbranch_execnz .LBB618_72
; %bb.64:                               ;   in Loop: Header=BB618_63 Depth=1
	s_andn2_saveexec_b32 s24, s6
	s_cbranch_execnz .LBB618_73
.LBB618_65:                             ;   in Loop: Header=BB618_63 Depth=1
	s_or_b32 exec_lo, exec_lo, s24
	s_and_saveexec_b32 s6, s2
.LBB618_66:                             ;   in Loop: Header=BB618_63 Depth=1
	ds_write_b32 v16, v0
.LBB618_67:                             ;   in Loop: Header=BB618_63 Depth=1
	s_or_b32 exec_lo, exec_lo, s6
	s_waitcnt lgkmcnt(0)
	ds_bpermute_b32 v14, v17, v22
	s_waitcnt lgkmcnt(0)
	s_waitcnt_vscnt null, 0x0
	s_barrier
	buffer_gl0_inv
	v_add_f32_e32 v14, v22, v14
	ds_bpermute_b32 v15, v18, v14
	s_waitcnt lgkmcnt(0)
	v_add_f32_e32 v14, v14, v15
	ds_bpermute_b32 v15, v24, v14
	s_waitcnt lgkmcnt(0)
	;; [unrolled: 3-line block ×3, first 2 shown]
	v_add_f32_e32 v14, v14, v15
	ds_bpermute_b32 v15, v25, v14
	s_and_saveexec_b32 s6, s3
	s_cbranch_execz .LBB618_69
; %bb.68:                               ;   in Loop: Header=BB618_63 Depth=1
	s_waitcnt lgkmcnt(0)
	v_add_f32_e32 v14, v14, v15
	ds_write_b32 v21, v14
.LBB618_69:                             ;   in Loop: Header=BB618_63 Depth=1
	s_or_b32 exec_lo, exec_lo, s6
	v_mov_b32_e32 v14, 0
	s_waitcnt lgkmcnt(0)
	s_barrier
	buffer_gl0_inv
	s_and_saveexec_b32 s6, s4
	s_cbranch_execnz .LBB618_81
; %bb.70:                               ;   in Loop: Header=BB618_63 Depth=1
	s_or_b32 exec_lo, exec_lo, s6
	s_and_saveexec_b32 s6, s2
	s_cbranch_execnz .LBB618_82
.LBB618_71:                             ;   in Loop: Header=BB618_63 Depth=1
	s_or_b32 exec_lo, exec_lo, s6
	s_and_saveexec_b32 s6, s5
	s_cbranch_execz .LBB618_62
	s_branch .LBB618_83
.LBB618_72:                             ;   in Loop: Header=BB618_63 Depth=1
	s_mul_i32 s8, s17, s16
	s_ashr_i32 s9, s8, 31
	s_lshl_b64 s[8:9], s[8:9], 1
	v_add_co_u32 v1, vcc_lo, v19, s8
	v_add_co_ci_u32_e64 v2, null, s9, v20, vcc_lo
	flat_load_ushort v3, v[5:6]
	s_waitcnt lgkmcnt(1)
	flat_load_dwordx2 v[14:15], v[1:2]
	s_clause 0x2
	flat_load_ushort v2, v[7:8]
	flat_load_ushort v4, v[10:11]
	flat_load_ushort v26, v[12:13]
	s_waitcnt vmcnt(4) lgkmcnt(4)
	v_lshlrev_b32_e32 v1, 16, v3
	s_waitcnt vmcnt(3) lgkmcnt(3)
	v_lshlrev_b32_e32 v3, 16, v14
	;; [unrolled: 2-line block ×3, first 2 shown]
	v_and_b32_e32 v14, 0xffff0000, v14
	v_fma_f32 v22, v1, v3, 0
	s_waitcnt vmcnt(1) lgkmcnt(1)
	v_lshlrev_b32_e32 v3, 16, v4
	s_waitcnt vmcnt(0) lgkmcnt(0)
	v_lshlrev_b32_e32 v4, 16, v26
	v_fmac_f32_e32 v22, v2, v14
	v_lshlrev_b32_e32 v14, 16, v15
	v_and_b32_e32 v15, 0xffff0000, v15
	v_fmac_f32_e32 v22, v3, v14
	v_fmac_f32_e32 v22, v4, v15
	s_andn2_saveexec_b32 s24, s6
	s_cbranch_execz .LBB618_65
.LBB618_73:                             ;   in Loop: Header=BB618_63 Depth=1
	s_and_saveexec_b32 s25, s1
	s_cbranch_execz .LBB618_80
; %bb.74:                               ;   in Loop: Header=BB618_63 Depth=1
	s_andn2_b32 vcc_lo, exec_lo, s12
	s_cbranch_vccnz .LBB618_77
; %bb.75:                               ;   in Loop: Header=BB618_63 Depth=1
	s_waitcnt lgkmcnt(0)
	v_mov_b32_e32 v14, v9
	s_mov_b64 s[20:21], 0
	.p2align	6
.LBB618_76:                             ;   Parent Loop BB618_63 Depth=1
                                        ; =>  This Inner Loop Header: Depth=2
	v_ashrrev_i32_e32 v15, 31, v14
	s_cmp_eq_u32 s20, 3
	v_lshlrev_b64 v[26:27], 1, v[14:15]
	v_add_nc_u32_e32 v14, s15, v14
	v_add_co_u32 v26, vcc_lo, s10, v26
	v_add_co_ci_u32_e64 v27, null, s11, v27, vcc_lo
	s_cselect_b32 vcc_lo, -1, 0
	s_cmp_eq_u32 s20, 2
	s_cselect_b32 s6, -1, 0
	flat_load_ushort v15, v[26:27]
	s_cmp_eq_u32 s20, 1
	s_cselect_b32 s8, -1, 0
	s_cmp_eq_u32 s20, 0
	s_waitcnt vmcnt(0) lgkmcnt(0)
	v_lshlrev_b32_e32 v15, 16, v15
	v_cndmask_b32_e32 v4, v4, v15, vcc_lo
	s_cselect_b32 vcc_lo, -1, 0
	v_cndmask_b32_e64 v3, v3, v15, s6
	v_cndmask_b32_e64 v2, v2, v15, s8
	v_cndmask_b32_e32 v1, v1, v15, vcc_lo
	s_add_u32 s20, s20, 1
	s_addc_u32 s21, s21, 0
	s_cmp_eq_u32 s27, s20
	s_cbranch_scc0 .LBB618_76
.LBB618_77:                             ;   in Loop: Header=BB618_63 Depth=1
	s_andn2_b32 vcc_lo, exec_lo, s12
	s_cbranch_vccnz .LBB618_80
; %bb.78:                               ;   in Loop: Header=BB618_63 Depth=1
	s_ashr_i32 s19, s18, 31
	s_lshl_b64 s[8:9], s[18:19], 1
	s_waitcnt lgkmcnt(0)
	v_add_co_u32 v14, vcc_lo, v19, s8
	v_add_co_ci_u32_e64 v15, null, s9, v20, vcc_lo
	s_mov_b64 s[8:9], 0
	.p2align	6
.LBB618_79:                             ;   Parent Loop BB618_63 Depth=1
                                        ; =>  This Inner Loop Header: Depth=2
	flat_load_ushort v26, v[14:15]
	s_cmp_eq_u32 s8, 1
	s_cselect_b32 vcc_lo, -1, 0
	s_cmp_eq_u32 s8, 2
	v_cndmask_b32_e32 v27, v1, v2, vcc_lo
	s_cselect_b32 vcc_lo, -1, 0
	s_cmp_eq_u32 s8, 3
	v_cndmask_b32_e32 v27, v27, v3, vcc_lo
	s_cselect_b32 vcc_lo, -1, 0
	s_add_u32 s8, s8, 1
	s_addc_u32 s9, s9, 0
	s_cmp_lg_u32 s27, s8
	v_cndmask_b32_e32 v27, v27, v4, vcc_lo
	v_add_co_u32 v14, vcc_lo, v14, 2
	v_add_co_ci_u32_e64 v15, null, 0, v15, vcc_lo
	s_waitcnt vmcnt(0) lgkmcnt(0)
	v_lshlrev_b32_e32 v26, 16, v26
	v_fmac_f32_e32 v22, v27, v26
	s_cbranch_scc1 .LBB618_79
.LBB618_80:                             ;   in Loop: Header=BB618_63 Depth=1
	s_or_b32 exec_lo, exec_lo, s25
	s_or_b32 exec_lo, exec_lo, s24
	s_and_saveexec_b32 s6, s2
	s_cbranch_execnz .LBB618_66
	s_branch .LBB618_67
.LBB618_81:                             ;   in Loop: Header=BB618_63 Depth=1
	ds_read_b32 v14, v16
	s_or_b32 exec_lo, exec_lo, s6
	s_and_saveexec_b32 s6, s2
	s_cbranch_execz .LBB618_71
.LBB618_82:                             ;   in Loop: Header=BB618_63 Depth=1
	s_waitcnt lgkmcnt(0)
	ds_bpermute_b32 v15, v24, v14
	s_waitcnt lgkmcnt(0)
	v_add_f32_e32 v14, v14, v15
	ds_bpermute_b32 v15, v23, v14
	s_waitcnt lgkmcnt(0)
	v_add_f32_e32 v14, v14, v15
	;; [unrolled: 3-line block ×3, first 2 shown]
	s_or_b32 exec_lo, exec_lo, s6
	s_and_saveexec_b32 s6, s5
	s_cbranch_execz .LBB618_62
.LBB618_83:                             ;   in Loop: Header=BB618_63 Depth=1
	s_mul_hi_u32 s9, s17, s14
	s_mul_i32 s8, s17, s14
	s_waitcnt lgkmcnt(0)
	v_mul_f32_e32 v14, s26, v14
	s_lshl_b64 s[8:9], s[8:9], 2
	s_add_u32 s8, s22, s8
	s_addc_u32 s9, s23, s9
	global_store_dword v0, v14, s[8:9]
	s_branch .LBB618_62
.LBB618_84:
	s_endpgm
	.section	.rodata,"a",@progbits
	.p2align	6, 0x0
	.amdhsa_kernel _ZL23rocblas_gemvt_sn_kernelILb1ELi256ELi4EiPK16rocblas_bfloat16PKffEviiT4_lPKT3_lilS8_lilPT5_i
		.amdhsa_group_segment_fixed_size 128
		.amdhsa_private_segment_fixed_size 0
		.amdhsa_kernarg_size 360
		.amdhsa_user_sgpr_count 6
		.amdhsa_user_sgpr_private_segment_buffer 1
		.amdhsa_user_sgpr_dispatch_ptr 0
		.amdhsa_user_sgpr_queue_ptr 0
		.amdhsa_user_sgpr_kernarg_segment_ptr 1
		.amdhsa_user_sgpr_dispatch_id 0
		.amdhsa_user_sgpr_flat_scratch_init 0
		.amdhsa_user_sgpr_private_segment_size 0
		.amdhsa_wavefront_size32 1
		.amdhsa_uses_dynamic_stack 0
		.amdhsa_system_sgpr_private_segment_wavefront_offset 0
		.amdhsa_system_sgpr_workgroup_id_x 1
		.amdhsa_system_sgpr_workgroup_id_y 0
		.amdhsa_system_sgpr_workgroup_id_z 1
		.amdhsa_system_sgpr_workgroup_info 0
		.amdhsa_system_vgpr_workitem_id 0
		.amdhsa_next_free_vgpr 47
		.amdhsa_next_free_sgpr 44
		.amdhsa_reserve_vcc 1
		.amdhsa_reserve_flat_scratch 1
		.amdhsa_float_round_mode_32 0
		.amdhsa_float_round_mode_16_64 0
		.amdhsa_float_denorm_mode_32 3
		.amdhsa_float_denorm_mode_16_64 3
		.amdhsa_dx10_clamp 1
		.amdhsa_ieee_mode 1
		.amdhsa_fp16_overflow 0
		.amdhsa_workgroup_processor_mode 1
		.amdhsa_memory_ordered 1
		.amdhsa_forward_progress 1
		.amdhsa_shared_vgpr_count 0
		.amdhsa_exception_fp_ieee_invalid_op 0
		.amdhsa_exception_fp_denorm_src 0
		.amdhsa_exception_fp_ieee_div_zero 0
		.amdhsa_exception_fp_ieee_overflow 0
		.amdhsa_exception_fp_ieee_underflow 0
		.amdhsa_exception_fp_ieee_inexact 0
		.amdhsa_exception_int_div_zero 0
	.end_amdhsa_kernel
	.section	.text._ZL23rocblas_gemvt_sn_kernelILb1ELi256ELi4EiPK16rocblas_bfloat16PKffEviiT4_lPKT3_lilS8_lilPT5_i,"axG",@progbits,_ZL23rocblas_gemvt_sn_kernelILb1ELi256ELi4EiPK16rocblas_bfloat16PKffEviiT4_lPKT3_lilS8_lilPT5_i,comdat
.Lfunc_end618:
	.size	_ZL23rocblas_gemvt_sn_kernelILb1ELi256ELi4EiPK16rocblas_bfloat16PKffEviiT4_lPKT3_lilS8_lilPT5_i, .Lfunc_end618-_ZL23rocblas_gemvt_sn_kernelILb1ELi256ELi4EiPK16rocblas_bfloat16PKffEviiT4_lPKT3_lilS8_lilPT5_i
                                        ; -- End function
	.set _ZL23rocblas_gemvt_sn_kernelILb1ELi256ELi4EiPK16rocblas_bfloat16PKffEviiT4_lPKT3_lilS8_lilPT5_i.num_vgpr, 47
	.set _ZL23rocblas_gemvt_sn_kernelILb1ELi256ELi4EiPK16rocblas_bfloat16PKffEviiT4_lPKT3_lilS8_lilPT5_i.num_agpr, 0
	.set _ZL23rocblas_gemvt_sn_kernelILb1ELi256ELi4EiPK16rocblas_bfloat16PKffEviiT4_lPKT3_lilS8_lilPT5_i.numbered_sgpr, 44
	.set _ZL23rocblas_gemvt_sn_kernelILb1ELi256ELi4EiPK16rocblas_bfloat16PKffEviiT4_lPKT3_lilS8_lilPT5_i.num_named_barrier, 0
	.set _ZL23rocblas_gemvt_sn_kernelILb1ELi256ELi4EiPK16rocblas_bfloat16PKffEviiT4_lPKT3_lilS8_lilPT5_i.private_seg_size, 0
	.set _ZL23rocblas_gemvt_sn_kernelILb1ELi256ELi4EiPK16rocblas_bfloat16PKffEviiT4_lPKT3_lilS8_lilPT5_i.uses_vcc, 1
	.set _ZL23rocblas_gemvt_sn_kernelILb1ELi256ELi4EiPK16rocblas_bfloat16PKffEviiT4_lPKT3_lilS8_lilPT5_i.uses_flat_scratch, 1
	.set _ZL23rocblas_gemvt_sn_kernelILb1ELi256ELi4EiPK16rocblas_bfloat16PKffEviiT4_lPKT3_lilS8_lilPT5_i.has_dyn_sized_stack, 0
	.set _ZL23rocblas_gemvt_sn_kernelILb1ELi256ELi4EiPK16rocblas_bfloat16PKffEviiT4_lPKT3_lilS8_lilPT5_i.has_recursion, 0
	.set _ZL23rocblas_gemvt_sn_kernelILb1ELi256ELi4EiPK16rocblas_bfloat16PKffEviiT4_lPKT3_lilS8_lilPT5_i.has_indirect_call, 0
	.section	.AMDGPU.csdata,"",@progbits
; Kernel info:
; codeLenInByte = 4268
; TotalNumSgprs: 46
; NumVgprs: 47
; ScratchSize: 0
; MemoryBound: 0
; FloatMode: 240
; IeeeMode: 1
; LDSByteSize: 128 bytes/workgroup (compile time only)
; SGPRBlocks: 0
; VGPRBlocks: 5
; NumSGPRsForWavesPerEU: 46
; NumVGPRsForWavesPerEU: 47
; Occupancy: 16
; WaveLimiterHint : 0
; COMPUTE_PGM_RSRC2:SCRATCH_EN: 0
; COMPUTE_PGM_RSRC2:USER_SGPR: 6
; COMPUTE_PGM_RSRC2:TRAP_HANDLER: 0
; COMPUTE_PGM_RSRC2:TGID_X_EN: 1
; COMPUTE_PGM_RSRC2:TGID_Y_EN: 0
; COMPUTE_PGM_RSRC2:TGID_Z_EN: 1
; COMPUTE_PGM_RSRC2:TIDIG_COMP_CNT: 0
	.section	.text._ZL23rocblas_gemvt_sn_kernelILb1ELi256ELi4ElPK16rocblas_bfloat16PKffEviiT4_lPKT3_lilS8_lilPT5_i,"axG",@progbits,_ZL23rocblas_gemvt_sn_kernelILb1ELi256ELi4ElPK16rocblas_bfloat16PKffEviiT4_lPKT3_lilS8_lilPT5_i,comdat
	.globl	_ZL23rocblas_gemvt_sn_kernelILb1ELi256ELi4ElPK16rocblas_bfloat16PKffEviiT4_lPKT3_lilS8_lilPT5_i ; -- Begin function _ZL23rocblas_gemvt_sn_kernelILb1ELi256ELi4ElPK16rocblas_bfloat16PKffEviiT4_lPKT3_lilS8_lilPT5_i
	.p2align	8
	.type	_ZL23rocblas_gemvt_sn_kernelILb1ELi256ELi4ElPK16rocblas_bfloat16PKffEviiT4_lPKT3_lilS8_lilPT5_i,@function
_ZL23rocblas_gemvt_sn_kernelILb1ELi256ELi4ElPK16rocblas_bfloat16PKffEviiT4_lPKT3_lilS8_lilPT5_i: ; @_ZL23rocblas_gemvt_sn_kernelILb1ELi256ELi4ElPK16rocblas_bfloat16PKffEviiT4_lPKT3_lilS8_lilPT5_i
; %bb.0:
	s_load_dwordx8 s[8:15], s[4:5], 0x8
	s_mov_b32 s0, s7
	s_mov_b64 s[18:19], 0
	s_mov_b64 s[16:17], 0
	s_waitcnt lgkmcnt(0)
	s_mul_i32 s1, s11, s7
	s_mul_hi_u32 s2, s10, s7
	s_add_i32 s3, s2, s1
	s_mul_i32 s2, s10, s7
	s_mov_b32 s1, 0
	s_lshl_b64 s[2:3], s[2:3], 2
	s_add_u32 s2, s8, s2
	s_addc_u32 s3, s9, s3
	s_load_dword s33, s[2:3], 0x0
	s_waitcnt lgkmcnt(0)
	v_cmp_eq_f32_e64 s2, s33, 0
	v_cmp_neq_f32_e64 s3, s33, 0
	s_and_b32 vcc_lo, exec_lo, s2
	s_cbranch_vccnz .LBB619_2
; %bb.1:
	s_lshl_b64 s[8:9], s[0:1], 3
	s_add_u32 s8, s12, s8
	s_addc_u32 s9, s13, s9
	s_lshl_b64 s[10:11], s[14:15], 1
	s_load_dwordx2 s[8:9], s[8:9], 0x0
	s_waitcnt lgkmcnt(0)
	s_add_u32 s16, s8, s10
	s_addc_u32 s17, s9, s11
.LBB619_2:
	s_andn2_b32 vcc_lo, exec_lo, s3
	s_cbranch_vccnz .LBB619_4
; %bb.3:
	s_load_dwordx4 s[8:11], s[4:5], 0x38
	s_lshl_b64 s[12:13], s[0:1], 3
	s_waitcnt lgkmcnt(0)
	s_add_u32 s8, s8, s12
	s_addc_u32 s9, s9, s13
	s_lshl_b64 s[10:11], s[10:11], 1
	s_load_dwordx2 s[8:9], s[8:9], 0x0
	s_waitcnt lgkmcnt(0)
	s_add_u32 s18, s8, s10
	s_addc_u32 s19, s9, s11
.LBB619_4:
	s_clause 0x2
	s_load_dwordx2 s[10:11], s[4:5], 0x0
	s_load_dword s12, s[4:5], 0x68
	s_load_dwordx2 s[14:15], s[4:5], 0x58
	s_mov_b32 s13, 0
	s_waitcnt lgkmcnt(0)
	s_ashr_i32 s8, s11, 31
	s_mul_hi_u32 s1, s11, s0
	s_mul_i32 s3, s8, s0
	s_mul_i32 s0, s11, s0
	s_add_i32 s1, s1, s3
	s_mul_hi_u32 s3, s0, s12
	s_mul_i32 s1, s1, s12
	s_mul_i32 s0, s0, s12
	s_add_i32 s1, s3, s1
	s_lshl_b64 s[0:1], s[0:1], 2
	s_add_u32 s34, s14, s0
	s_addc_u32 s35, s15, s1
	s_andn2_b32 vcc_lo, exec_lo, s2
	s_mov_b32 s0, -1
	s_cbranch_vccnz .LBB619_9
; %bb.5:
	v_cmp_eq_u32_e32 vcc_lo, 0, v0
	s_cmp_gt_i32 s11, 0
	s_cselect_b32 s0, -1, 0
	s_and_b32 s0, vcc_lo, s0
	s_and_saveexec_b32 s9, s0
	s_cbranch_execz .LBB619_8
; %bb.6:
	s_mov_b32 s7, 0
	v_mov_b32_e32 v1, 0
	s_lshl_b64 s[0:1], s[6:7], 2
	s_mov_b32 s7, s11
	s_add_u32 s0, s34, s0
	s_addc_u32 s1, s35, s1
	s_lshl_b64 s[2:3], s[12:13], 2
.LBB619_7:                              ; =>This Inner Loop Header: Depth=1
	s_add_i32 s7, s7, -1
	global_store_dword v1, v1, s[0:1]
	s_add_u32 s0, s0, s2
	s_addc_u32 s1, s1, s3
	s_cmp_eq_u32 s7, 0
	s_cbranch_scc0 .LBB619_7
.LBB619_8:
	s_or_b32 exec_lo, exec_lo, s9
	s_mov_b32 s0, 0
.LBB619_9:
	s_andn2_b32 vcc_lo, exec_lo, s0
	s_cbranch_vccnz .LBB619_84
; %bb.10:
	s_lshl_b32 s0, s6, 10
	s_clause 0x1
	s_load_dword s14, s[4:5], 0x28
	s_load_dword s20, s[4:5], 0x48
	v_lshl_or_b32 v13, v0, 2, s0
	s_ashr_i32 s0, s10, 31
	s_lshr_b32 s1, s8, 30
	s_lshr_b32 s0, s0, 30
	s_add_i32 s1, s11, s1
	v_ashrrev_i32_e32 v14, 31, v13
	s_add_i32 s0, s10, s0
	s_and_b32 s36, s1, -4
	s_and_b32 s0, s0, -4
	v_add_nc_u32_e32 v30, 4, v13
	v_lshlrev_b64 v[11:12], 1, v[13:14]
	s_sub_i32 s13, s10, s0
	v_and_b32_e32 v27, 31, v0
	v_add_nc_u32_e32 v31, s13, v13
	v_cmp_gt_u32_e64 s0, 32, v0
	v_mbcnt_lo_u32_b32 v29, -1, 0
	v_add_co_u32 v9, vcc_lo, s16, v11
	v_add_co_ci_u32_e64 v10, null, s17, v12, vcc_lo
	v_cmp_gt_u32_e64 s1, 8, v0
	v_lshrrev_b32_e32 v28, 3, v0
	v_cmp_eq_u32_e64 s2, 0, v0
	v_or_b32_e32 v26, 1, v13
	v_or_b32_e32 v25, 2, v13
	;; [unrolled: 1-line block ×3, first 2 shown]
	s_waitcnt lgkmcnt(0)
	s_ashr_i32 s15, s14, 31
	s_ashr_i32 s21, s20, 31
	s_cmp_lt_i32 s36, 1
	s_cbranch_scc1 .LBB619_59
; %bb.11:
	v_cmp_gt_u32_e32 vcc_lo, 24, v29
	v_mad_i64_i32 v[5:6], null, s20, v25, 0
	v_mad_i64_i32 v[7:8], null, s20, v24, 0
	v_cndmask_b32_e64 v1, 0, 8, vcc_lo
	v_cmp_gt_u32_e32 vcc_lo, 28, v29
	s_cmp_gt_i32 s13, 0
	s_mov_b32 s7, 0
	v_mov_b32_e32 v23, v10
	v_add_lshl_u32 v33, v1, v29, 2
	v_cndmask_b32_e64 v2, 0, 4, vcc_lo
	v_cmp_gt_u32_e32 vcc_lo, 30, v29
	v_cmp_ge_i32_e64 s3, s10, v30
	v_cmp_ge_i32_e64 s4, s10, v31
	s_cselect_b32 s37, -1, 0
	v_add_lshl_u32 v34, v2, v29, 2
	v_cndmask_b32_e64 v3, 0, 2, vcc_lo
	v_cmp_ne_u32_e32 vcc_lo, 31, v29
	v_mad_i64_i32 v[1:2], null, s20, v13, 0
	v_lshl_or_b32 v32, v29, 2, 64
	v_add_lshl_u32 v35, v3, v29, 2
	v_add_co_ci_u32_e64 v4, null, 0, v29, vcc_lo
	v_cmp_eq_u32_e64 s5, 0, v27
	v_lshlrev_b32_e32 v37, 2, v27
	v_lshlrev_b64 v[1:2], 1, v[1:2]
	v_lshlrev_b32_e32 v36, 2, v4
	v_mad_i64_i32 v[3:4], null, s20, v26, 0
	s_lshl_b64 s[8:9], s[6:7], 2
	v_and_b32_e32 v38, 28, v28
	v_add_co_u32 v14, vcc_lo, s18, v1
	v_add_co_ci_u32_e64 v15, null, s19, v2, vcc_lo
	v_lshlrev_b64 v[3:4], 1, v[3:4]
	v_lshlrev_b64 v[1:2], 1, v[5:6]
	v_mov_b32_e32 v5, 0
	v_mov_b32_e32 v22, v9
	s_add_u32 s38, s34, s8
	s_addc_u32 s39, s35, s9
	v_add_co_u32 v16, vcc_lo, s18, v3
	v_add_co_ci_u32_e64 v17, null, s19, v4, vcc_lo
	v_lshlrev_b64 v[3:4], 1, v[7:8]
	v_add_co_u32 v18, vcc_lo, s18, v1
	v_mov_b32_e32 v6, v5
	v_mov_b32_e32 v7, v5
	;; [unrolled: 1-line block ×3, first 2 shown]
	v_add_co_ci_u32_e64 v19, null, s19, v2, vcc_lo
	v_add_co_u32 v20, vcc_lo, s18, v3
	v_add_co_ci_u32_e64 v21, null, s19, v4, vcc_lo
	v_mov_b32_e32 v1, v5
	v_mov_b32_e32 v2, v6
	;; [unrolled: 1-line block ×4, first 2 shown]
	s_lshl_b64 s[22:23], s[20:21], 1
	s_mul_hi_i32 s40, s14, 6
	s_mul_i32 s41, s14, 6
	s_lshl_b64 s[24:25], s[14:15], 3
	s_lshl_b64 s[26:27], s[14:15], 2
	;; [unrolled: 1-line block ×3, first 2 shown]
	s_branch .LBB619_13
.LBB619_12:                             ;   in Loop: Header=BB619_13 Depth=1
	s_or_b32 exec_lo, exec_lo, s8
	v_add_co_u32 v22, vcc_lo, v22, s24
	v_add_co_ci_u32_e64 v23, null, s25, v23, vcc_lo
	s_add_i32 s7, s7, 4
	s_cmp_ge_i32 s7, s36
	s_cbranch_scc1 .LBB619_60
.LBB619_13:                             ; =>This Loop Header: Depth=1
                                        ;     Child Loop BB619_44 Depth 2
                                        ;     Child Loop BB619_47 Depth 2
                                        ; implicit-def: $vgpr8
                                        ; implicit-def: $vgpr39
                                        ; implicit-def: $vgpr40
                                        ; implicit-def: $vgpr41
	s_and_saveexec_b32 s8, s3
	s_xor_b32 s8, exec_lo, s8
	s_cbranch_execnz .LBB619_40
; %bb.14:                               ;   in Loop: Header=BB619_13 Depth=1
	s_andn2_saveexec_b32 s42, s8
	s_cbranch_execnz .LBB619_41
.LBB619_15:                             ;   in Loop: Header=BB619_13 Depth=1
	s_or_b32 exec_lo, exec_lo, s42
	s_and_saveexec_b32 s8, s0
.LBB619_16:                             ;   in Loop: Header=BB619_13 Depth=1
	ds_write_b32 v37, v5
.LBB619_17:                             ;   in Loop: Header=BB619_13 Depth=1
	s_or_b32 exec_lo, exec_lo, s8
	ds_bpermute_b32 v6, v32, v41
	s_waitcnt lgkmcnt(0)
	s_waitcnt_vscnt null, 0x0
	s_barrier
	buffer_gl0_inv
	v_add_f32_e32 v6, v41, v6
	ds_bpermute_b32 v7, v33, v6
	s_waitcnt lgkmcnt(0)
	v_add_f32_e32 v6, v6, v7
	ds_bpermute_b32 v7, v34, v6
	s_waitcnt lgkmcnt(0)
	;; [unrolled: 3-line block ×3, first 2 shown]
	v_add_f32_e32 v6, v6, v7
	ds_bpermute_b32 v7, v36, v6
	s_and_saveexec_b32 s8, s5
	s_cbranch_execz .LBB619_19
; %bb.18:                               ;   in Loop: Header=BB619_13 Depth=1
	s_waitcnt lgkmcnt(0)
	v_add_f32_e32 v6, v6, v7
	ds_write_b32 v38, v6
.LBB619_19:                             ;   in Loop: Header=BB619_13 Depth=1
	s_or_b32 exec_lo, exec_lo, s8
	v_mov_b32_e32 v6, 0
	s_waitcnt lgkmcnt(0)
	s_barrier
	buffer_gl0_inv
	s_and_saveexec_b32 s8, s1
	s_cbranch_execnz .LBB619_48
; %bb.20:                               ;   in Loop: Header=BB619_13 Depth=1
	s_or_b32 exec_lo, exec_lo, s8
	s_and_saveexec_b32 s8, s0
	s_cbranch_execnz .LBB619_49
.LBB619_21:                             ;   in Loop: Header=BB619_13 Depth=1
	s_or_b32 exec_lo, exec_lo, s8
	s_and_saveexec_b32 s8, s0
.LBB619_22:                             ;   in Loop: Header=BB619_13 Depth=1
	ds_write_b32 v37, v5
.LBB619_23:                             ;   in Loop: Header=BB619_13 Depth=1
	s_or_b32 exec_lo, exec_lo, s8
	ds_bpermute_b32 v7, v32, v40
	s_waitcnt lgkmcnt(0)
	s_barrier
	buffer_gl0_inv
	v_add_f32_e32 v7, v40, v7
	ds_bpermute_b32 v40, v33, v7
	s_waitcnt lgkmcnt(0)
	v_add_f32_e32 v7, v7, v40
	ds_bpermute_b32 v40, v34, v7
	s_waitcnt lgkmcnt(0)
	;; [unrolled: 3-line block ×3, first 2 shown]
	v_add_f32_e32 v7, v7, v40
	ds_bpermute_b32 v40, v36, v7
	s_and_saveexec_b32 s8, s5
	s_cbranch_execz .LBB619_25
; %bb.24:                               ;   in Loop: Header=BB619_13 Depth=1
	s_waitcnt lgkmcnt(0)
	v_add_f32_e32 v7, v7, v40
	ds_write_b32 v38, v7
.LBB619_25:                             ;   in Loop: Header=BB619_13 Depth=1
	s_or_b32 exec_lo, exec_lo, s8
	v_mov_b32_e32 v7, 0
	s_waitcnt lgkmcnt(0)
	s_barrier
	buffer_gl0_inv
	s_and_saveexec_b32 s8, s1
	s_cbranch_execnz .LBB619_50
; %bb.26:                               ;   in Loop: Header=BB619_13 Depth=1
	s_or_b32 exec_lo, exec_lo, s8
	s_and_saveexec_b32 s8, s0
	s_cbranch_execnz .LBB619_51
.LBB619_27:                             ;   in Loop: Header=BB619_13 Depth=1
	s_or_b32 exec_lo, exec_lo, s8
	s_and_saveexec_b32 s8, s0
.LBB619_28:                             ;   in Loop: Header=BB619_13 Depth=1
	ds_write_b32 v37, v5
.LBB619_29:                             ;   in Loop: Header=BB619_13 Depth=1
	s_or_b32 exec_lo, exec_lo, s8
	ds_bpermute_b32 v40, v32, v39
	s_waitcnt lgkmcnt(0)
	s_barrier
	buffer_gl0_inv
	v_add_f32_e32 v39, v39, v40
	ds_bpermute_b32 v40, v33, v39
	s_waitcnt lgkmcnt(0)
	v_add_f32_e32 v39, v39, v40
	ds_bpermute_b32 v40, v34, v39
	s_waitcnt lgkmcnt(0)
	;; [unrolled: 3-line block ×3, first 2 shown]
	v_add_f32_e32 v39, v39, v40
	ds_bpermute_b32 v40, v36, v39
	s_and_saveexec_b32 s8, s5
	s_cbranch_execz .LBB619_31
; %bb.30:                               ;   in Loop: Header=BB619_13 Depth=1
	s_waitcnt lgkmcnt(0)
	v_add_f32_e32 v39, v39, v40
	ds_write_b32 v38, v39
.LBB619_31:                             ;   in Loop: Header=BB619_13 Depth=1
	s_or_b32 exec_lo, exec_lo, s8
	v_mov_b32_e32 v39, 0
	s_waitcnt lgkmcnt(0)
	s_barrier
	buffer_gl0_inv
	s_and_saveexec_b32 s8, s1
	s_cbranch_execnz .LBB619_52
; %bb.32:                               ;   in Loop: Header=BB619_13 Depth=1
	s_or_b32 exec_lo, exec_lo, s8
	s_and_saveexec_b32 s8, s0
	s_cbranch_execnz .LBB619_53
.LBB619_33:                             ;   in Loop: Header=BB619_13 Depth=1
	s_or_b32 exec_lo, exec_lo, s8
	s_and_saveexec_b32 s8, s0
.LBB619_34:                             ;   in Loop: Header=BB619_13 Depth=1
	ds_write_b32 v37, v5
.LBB619_35:                             ;   in Loop: Header=BB619_13 Depth=1
	s_or_b32 exec_lo, exec_lo, s8
	ds_bpermute_b32 v40, v32, v8
	s_waitcnt lgkmcnt(0)
	s_barrier
	buffer_gl0_inv
	v_add_f32_e32 v8, v8, v40
	ds_bpermute_b32 v40, v33, v8
	s_waitcnt lgkmcnt(0)
	v_add_f32_e32 v8, v8, v40
	ds_bpermute_b32 v40, v34, v8
	s_waitcnt lgkmcnt(0)
	v_add_f32_e32 v8, v8, v40
	ds_bpermute_b32 v40, v35, v8
	s_waitcnt lgkmcnt(0)
	v_add_f32_e32 v8, v8, v40
	ds_bpermute_b32 v40, v36, v8
	s_and_saveexec_b32 s8, s5
	s_cbranch_execz .LBB619_37
; %bb.36:                               ;   in Loop: Header=BB619_13 Depth=1
	s_waitcnt lgkmcnt(0)
	v_add_f32_e32 v8, v8, v40
	ds_write_b32 v38, v8
.LBB619_37:                             ;   in Loop: Header=BB619_13 Depth=1
	s_or_b32 exec_lo, exec_lo, s8
	v_mov_b32_e32 v8, 0
	s_waitcnt lgkmcnt(0)
	s_barrier
	buffer_gl0_inv
	s_and_saveexec_b32 s8, s1
	s_cbranch_execnz .LBB619_54
; %bb.38:                               ;   in Loop: Header=BB619_13 Depth=1
	s_or_b32 exec_lo, exec_lo, s8
	s_and_saveexec_b32 s8, s0
	s_cbranch_execnz .LBB619_55
.LBB619_39:                             ;   in Loop: Header=BB619_13 Depth=1
	s_or_b32 exec_lo, exec_lo, s8
	s_and_saveexec_b32 s8, s2
	s_cbranch_execz .LBB619_12
	s_branch .LBB619_56
.LBB619_40:                             ;   in Loop: Header=BB619_13 Depth=1
	s_mul_i32 s9, s7, s15
	s_mul_hi_u32 s31, s7, s14
	s_mul_i32 s30, s7, s14
	s_add_i32 s31, s31, s9
	s_or_b32 s9, s7, 1
	s_lshl_b64 s[30:31], s[30:31], 1
	v_add_co_u32 v1, vcc_lo, v9, s30
	v_add_co_ci_u32_e64 v2, null, s31, v10, vcc_lo
	s_mul_i32 s30, s9, s15
	s_mul_hi_u32 s31, s9, s14
	s_add_i32 s31, s31, s30
	s_mul_i32 s30, s9, s14
	s_or_b32 s9, s7, 2
	s_lshl_b64 s[30:31], s[30:31], 1
	flat_load_dwordx2 v[6:7], v[1:2]
	s_mul_i32 s42, s9, s15
	s_mul_hi_u32 s43, s9, s14
	v_add_co_u32 v1, vcc_lo, v9, s30
	v_add_co_ci_u32_e64 v2, null, s31, v10, vcc_lo
	s_add_i32 s31, s43, s42
	s_or_b32 s42, s7, 3
	s_mul_i32 s30, s9, s14
	s_mul_i32 s9, s42, s15
	s_mul_hi_u32 s43, s42, s14
	s_lshl_b64 s[30:31], s[30:31], 1
	s_add_i32 s43, s43, s9
	s_mul_i32 s42, s42, s14
	v_add_co_u32 v3, vcc_lo, v9, s30
	v_add_co_ci_u32_e64 v4, null, s31, v10, vcc_lo
	s_lshl_b64 s[30:31], s[42:43], 1
	s_waitcnt lgkmcnt(1)
	s_clause 0x3
	flat_load_ushort v8, v[14:15]
	flat_load_ushort v47, v[16:17]
	;; [unrolled: 1-line block ×4, first 2 shown]
	v_add_co_u32 v39, vcc_lo, v9, s30
	v_add_co_ci_u32_e64 v40, null, s31, v10, vcc_lo
	s_clause 0x2
	flat_load_dwordx2 v[41:42], v[1:2]
	flat_load_dwordx2 v[43:44], v[3:4]
	;; [unrolled: 1-line block ×3, first 2 shown]
	s_waitcnt vmcnt(6) lgkmcnt(6)
	v_lshlrev_b32_e32 v1, 16, v8
	v_lshlrev_b32_e32 v8, 16, v6
	s_waitcnt vmcnt(4) lgkmcnt(4)
	v_lshlrev_b32_e32 v3, 16, v48
	v_lshlrev_b32_e32 v2, 16, v47
	s_waitcnt vmcnt(3) lgkmcnt(3)
	v_lshlrev_b32_e32 v4, 16, v49
	v_and_b32_e32 v6, 0xffff0000, v6
	v_lshlrev_b32_e32 v47, 16, v7
	s_waitcnt vmcnt(2) lgkmcnt(2)
	v_lshlrev_b32_e32 v39, 16, v41
	s_waitcnt vmcnt(1) lgkmcnt(1)
	;; [unrolled: 2-line block ×3, first 2 shown]
	v_and_b32_e32 v50, 0xffff0000, v45
	v_lshlrev_b32_e32 v45, 16, v45
	v_and_b32_e32 v49, 0xffff0000, v41
	v_and_b32_e32 v43, 0xffff0000, v43
	v_fma_f32 v41, v1, v8, 0
	v_fma_f32 v40, v1, v39, 0
	;; [unrolled: 1-line block ×4, first 2 shown]
	v_lshlrev_b32_e32 v51, 16, v42
	v_lshlrev_b32_e32 v52, 16, v44
	;; [unrolled: 1-line block ×3, first 2 shown]
	v_fmac_f32_e32 v41, v2, v6
	v_fmac_f32_e32 v40, v2, v49
	;; [unrolled: 1-line block ×4, first 2 shown]
	v_and_b32_e32 v7, 0xffff0000, v7
	v_and_b32_e32 v42, 0xffff0000, v42
	;; [unrolled: 1-line block ×4, first 2 shown]
	v_fmac_f32_e32 v41, v3, v47
	v_fmac_f32_e32 v40, v3, v51
	;; [unrolled: 1-line block ×8, first 2 shown]
	s_andn2_saveexec_b32 s42, s8
	s_cbranch_execz .LBB619_15
.LBB619_41:                             ;   in Loop: Header=BB619_13 Depth=1
	s_waitcnt lgkmcnt(0)
	v_mov_b32_e32 v8, 0
	v_mov_b32_e32 v39, 0
	;; [unrolled: 1-line block ×4, first 2 shown]
	s_and_saveexec_b32 s43, s4
	s_cbranch_execz .LBB619_58
; %bb.42:                               ;   in Loop: Header=BB619_13 Depth=1
	s_andn2_b32 vcc_lo, exec_lo, s37
	s_cbranch_vccnz .LBB619_45
; %bb.43:                               ;   in Loop: Header=BB619_13 Depth=1
	v_mov_b32_e32 v6, v14
	v_mov_b32_e32 v7, v15
	s_mov_b64 s[30:31], 0
	.p2align	6
.LBB619_44:                             ;   Parent Loop BB619_13 Depth=1
                                        ; =>  This Inner Loop Header: Depth=2
	flat_load_ushort v8, v[6:7]
	s_cmp_eq_u32 s30, 3
	v_add_co_u32 v6, vcc_lo, v6, s22
	v_add_co_ci_u32_e64 v7, null, s23, v7, vcc_lo
	s_cselect_b32 vcc_lo, -1, 0
	s_cmp_eq_u32 s30, 2
	s_cselect_b32 s8, -1, 0
	s_cmp_eq_u32 s30, 1
	s_cselect_b32 s9, -1, 0
	s_cmp_eq_u32 s30, 0
	s_waitcnt vmcnt(0) lgkmcnt(0)
	v_lshlrev_b32_e32 v8, 16, v8
	v_cndmask_b32_e32 v4, v4, v8, vcc_lo
	s_cselect_b32 vcc_lo, -1, 0
	v_cndmask_b32_e64 v3, v3, v8, s8
	v_cndmask_b32_e64 v2, v2, v8, s9
	v_cndmask_b32_e32 v1, v1, v8, vcc_lo
	s_add_u32 s30, s30, 1
	s_addc_u32 s31, s31, 0
	s_cmp_eq_u32 s13, s30
	s_cbranch_scc0 .LBB619_44
.LBB619_45:                             ;   in Loop: Header=BB619_13 Depth=1
	s_andn2_b32 vcc_lo, exec_lo, s37
	s_cbranch_vccnz .LBB619_57
; %bb.46:                               ;   in Loop: Header=BB619_13 Depth=1
	v_mov_b32_e32 v6, v22
	v_mov_b32_e32 v41, 0
	;; [unrolled: 1-line block ×6, first 2 shown]
	s_mov_b64 s[30:31], 0
	s_inst_prefetch 0x1
	.p2align	6
.LBB619_47:                             ;   Parent Loop BB619_13 Depth=1
                                        ; =>  This Inner Loop Header: Depth=2
	v_add_co_u32 v42, vcc_lo, v6, s28
	v_add_co_ci_u32_e64 v43, null, s29, v7, vcc_lo
	v_add_co_u32 v44, vcc_lo, v6, s26
	v_add_co_ci_u32_e64 v45, null, s27, v7, vcc_lo
	;; [unrolled: 2-line block ×3, first 2 shown]
	s_clause 0x3
	flat_load_ushort v48, v[6:7]
	flat_load_ushort v42, v[42:43]
	;; [unrolled: 1-line block ×4, first 2 shown]
	s_cmp_eq_u32 s30, 1
	v_add_co_u32 v6, s8, v6, 2
	s_cselect_b32 vcc_lo, -1, 0
	s_cmp_eq_u32 s30, 2
	v_cndmask_b32_e32 v45, v1, v2, vcc_lo
	s_cselect_b32 vcc_lo, -1, 0
	s_cmp_eq_u32 s30, 3
	v_add_co_ci_u32_e64 v7, null, 0, v7, s8
	v_cndmask_b32_e32 v45, v45, v3, vcc_lo
	s_cselect_b32 vcc_lo, -1, 0
	s_add_u32 s30, s30, 1
	s_addc_u32 s31, s31, 0
	s_cmp_lg_u32 s13, s30
	v_cndmask_b32_e32 v45, v45, v4, vcc_lo
	s_waitcnt vmcnt(3) lgkmcnt(3)
	v_lshlrev_b32_e32 v46, 16, v48
	s_waitcnt vmcnt(2) lgkmcnt(2)
	v_lshlrev_b32_e32 v42, 16, v42
	;; [unrolled: 2-line block ×4, first 2 shown]
	v_fmac_f32_e32 v41, v45, v46
	v_fmac_f32_e32 v40, v45, v42
	;; [unrolled: 1-line block ×4, first 2 shown]
	s_cbranch_scc1 .LBB619_47
	s_branch .LBB619_58
.LBB619_48:                             ;   in Loop: Header=BB619_13 Depth=1
	ds_read_b32 v6, v37
	s_or_b32 exec_lo, exec_lo, s8
	s_and_saveexec_b32 s8, s0
	s_cbranch_execz .LBB619_21
.LBB619_49:                             ;   in Loop: Header=BB619_13 Depth=1
	s_waitcnt lgkmcnt(0)
	ds_bpermute_b32 v7, v34, v6
	s_waitcnt lgkmcnt(0)
	v_add_f32_e32 v6, v6, v7
	ds_bpermute_b32 v7, v35, v6
	s_waitcnt lgkmcnt(0)
	v_add_f32_e32 v6, v6, v7
	;; [unrolled: 3-line block ×3, first 2 shown]
	s_or_b32 exec_lo, exec_lo, s8
	s_and_saveexec_b32 s8, s0
	s_cbranch_execnz .LBB619_22
	s_branch .LBB619_23
.LBB619_50:                             ;   in Loop: Header=BB619_13 Depth=1
	ds_read_b32 v7, v37
	s_or_b32 exec_lo, exec_lo, s8
	s_and_saveexec_b32 s8, s0
	s_cbranch_execz .LBB619_27
.LBB619_51:                             ;   in Loop: Header=BB619_13 Depth=1
	s_waitcnt lgkmcnt(0)
	ds_bpermute_b32 v40, v34, v7
	s_waitcnt lgkmcnt(0)
	v_add_f32_e32 v7, v7, v40
	ds_bpermute_b32 v40, v35, v7
	s_waitcnt lgkmcnt(0)
	v_add_f32_e32 v7, v7, v40
	;; [unrolled: 3-line block ×3, first 2 shown]
	s_or_b32 exec_lo, exec_lo, s8
	s_and_saveexec_b32 s8, s0
	s_cbranch_execnz .LBB619_28
	s_branch .LBB619_29
.LBB619_52:                             ;   in Loop: Header=BB619_13 Depth=1
	ds_read_b32 v39, v37
	s_or_b32 exec_lo, exec_lo, s8
	s_and_saveexec_b32 s8, s0
	s_cbranch_execz .LBB619_33
.LBB619_53:                             ;   in Loop: Header=BB619_13 Depth=1
	s_waitcnt lgkmcnt(0)
	ds_bpermute_b32 v40, v34, v39
	s_waitcnt lgkmcnt(0)
	v_add_f32_e32 v39, v39, v40
	ds_bpermute_b32 v40, v35, v39
	s_waitcnt lgkmcnt(0)
	v_add_f32_e32 v39, v39, v40
	;; [unrolled: 3-line block ×3, first 2 shown]
	s_or_b32 exec_lo, exec_lo, s8
	s_and_saveexec_b32 s8, s0
	s_cbranch_execnz .LBB619_34
	s_branch .LBB619_35
.LBB619_54:                             ;   in Loop: Header=BB619_13 Depth=1
	ds_read_b32 v8, v37
	s_or_b32 exec_lo, exec_lo, s8
	s_and_saveexec_b32 s8, s0
	s_cbranch_execz .LBB619_39
.LBB619_55:                             ;   in Loop: Header=BB619_13 Depth=1
	s_waitcnt lgkmcnt(0)
	ds_bpermute_b32 v40, v34, v8
	s_waitcnt lgkmcnt(0)
	v_add_f32_e32 v8, v8, v40
	ds_bpermute_b32 v40, v35, v8
	s_waitcnt lgkmcnt(0)
	v_add_f32_e32 v8, v8, v40
	;; [unrolled: 3-line block ×3, first 2 shown]
	s_or_b32 exec_lo, exec_lo, s8
	s_and_saveexec_b32 s8, s2
	s_cbranch_execz .LBB619_12
.LBB619_56:                             ;   in Loop: Header=BB619_13 Depth=1
	s_mul_hi_u32 s31, s7, s12
	s_mul_i32 s30, s7, s12
	v_mul_f32_e32 v6, s33, v6
	s_lshl_b64 s[30:31], s[30:31], 2
	v_mul_f32_e32 v7, s33, v7
	s_add_u32 s30, s38, s30
	s_addc_u32 s31, s39, s31
	s_or_b32 s9, s7, 1
	global_store_dword v5, v6, s[30:31]
	s_mul_hi_u32 s43, s9, s12
	s_mul_i32 s42, s9, s12
	v_mul_f32_e32 v6, s33, v39
	s_lshl_b64 s[42:43], s[42:43], 2
	s_waitcnt lgkmcnt(0)
	v_mul_f32_e32 v8, s33, v8
	s_add_u32 s42, s38, s42
	s_addc_u32 s43, s39, s43
	s_or_b32 s9, s7, 2
	global_store_dword v5, v7, s[42:43]
	s_mul_hi_u32 s45, s9, s12
	s_mul_i32 s44, s9, s12
	s_lshl_b64 s[44:45], s[44:45], 2
	s_add_u32 s30, s38, s44
	s_addc_u32 s31, s39, s45
	s_or_b32 s9, s7, 3
	s_mul_hi_u32 s45, s9, s12
	s_mul_i32 s44, s9, s12
	s_lshl_b64 s[44:45], s[44:45], 2
	s_add_u32 s42, s38, s44
	s_addc_u32 s43, s39, s45
	global_store_dword v5, v6, s[30:31]
	global_store_dword v5, v8, s[42:43]
	s_branch .LBB619_12
.LBB619_57:                             ;   in Loop: Header=BB619_13 Depth=1
	v_mov_b32_e32 v8, 0
	v_mov_b32_e32 v39, 0
	;; [unrolled: 1-line block ×4, first 2 shown]
.LBB619_58:                             ;   in Loop: Header=BB619_13 Depth=1
	s_inst_prefetch 0x2
	s_or_b32 exec_lo, exec_lo, s43
	s_or_b32 exec_lo, exec_lo, s42
	s_and_saveexec_b32 s8, s0
	s_cbranch_execnz .LBB619_16
	s_branch .LBB619_17
.LBB619_59:
	v_mov_b32_e32 v1, 0
	s_mov_b32 s7, 0
	v_mov_b32_e32 v2, v1
	v_mov_b32_e32 v3, v1
	v_mov_b32_e32 v4, v1
.LBB619_60:
	s_cmp_ge_i32 s7, s11
	s_cbranch_scc1 .LBB619_84
; %bb.61:
	v_cmp_gt_u32_e32 vcc_lo, 24, v29
	v_lshl_or_b32 v20, v29, 2, 64
	v_mad_i64_i32 v[15:16], null, s20, v24, 0
	s_cmp_gt_i32 s13, 0
	v_cndmask_b32_e64 v5, 0, 8, vcc_lo
	v_cmp_gt_u32_e32 vcc_lo, 28, v29
	s_mov_b32 s9, 0
	s_mov_b32 s8, s6
	v_cmp_ge_i32_e64 s0, s10, v30
	v_add_lshl_u32 v21, v5, v29, 2
	v_cndmask_b32_e64 v6, 0, 4, vcc_lo
	v_cmp_gt_u32_e32 vcc_lo, 30, v29
	v_lshlrev_b64 v[15:16], 1, v[15:16]
	v_cmp_ge_i32_e64 s1, s10, v31
	s_cselect_b32 s10, -1, 0
	v_add_lshl_u32 v22, v6, v29, 2
	v_cndmask_b32_e64 v7, 0, 2, vcc_lo
	v_cmp_ne_u32_e32 vcc_lo, 31, v29
	v_mad_i64_i32 v[5:6], null, s20, v13, 0
	v_mad_i64_i32 v[13:14], null, s20, v25, 0
	s_waitcnt lgkmcnt(0)
	v_add_co_ci_u32_e64 v8, null, 0, v29, vcc_lo
	v_add_lshl_u32 v23, v7, v29, 2
	s_lshl_b64 s[22:23], s[8:9], 2
	v_lshlrev_b64 v[5:6], 1, v[5:6]
	v_lshlrev_b32_e32 v29, 2, v8
	v_mad_i64_i32 v[7:8], null, s20, v26, 0
	v_lshlrev_b64 v[13:14], 1, v[13:14]
	s_mul_i32 s6, s15, s7
	v_add_co_u32 v5, vcc_lo, s18, v5
	v_add_co_ci_u32_e64 v6, null, s19, v6, vcc_lo
	v_lshlrev_b64 v[7:8], 1, v[7:8]
	s_mul_hi_u32 s8, s14, s7
	s_add_u32 s22, s34, s22
	s_addc_u32 s23, s35, s23
	s_add_i32 s25, s8, s6
	s_mul_i32 s24, s14, s7
	v_add_co_u32 v7, vcc_lo, s18, v7
	v_add_co_ci_u32_e64 v8, null, s19, v8, vcc_lo
	v_add_co_u32 v13, vcc_lo, s18, v13
	v_add_co_ci_u32_e64 v14, null, s19, v14, vcc_lo
	v_add_co_u32 v15, vcc_lo, s18, v15
	s_lshl_b64 s[24:25], s[24:25], 1
	v_add_co_ci_u32_e64 v16, null, s19, v16, vcc_lo
	s_lshl_b64 s[18:19], s[20:21], 1
	s_add_u32 s6, s16, s24
	s_addc_u32 s8, s17, s25
	v_add_co_u32 v11, vcc_lo, s6, v11
	v_cmp_gt_u32_e64 s2, 32, v0
	v_lshlrev_b32_e32 v19, 2, v27
	v_cmp_eq_u32_e64 s3, 0, v27
	v_and_b32_e32 v27, 28, v28
	v_cmp_gt_u32_e64 s4, 8, v0
	v_cmp_eq_u32_e64 s5, 0, v0
	v_add_co_ci_u32_e64 v12, null, s8, v12, vcc_lo
	v_mov_b32_e32 v0, 0
	s_lshl_b64 s[16:17], s[14:15], 1
	s_branch .LBB619_63
.LBB619_62:                             ;   in Loop: Header=BB619_63 Depth=1
	s_or_b32 exec_lo, exec_lo, s6
	v_add_co_u32 v11, vcc_lo, v11, s16
	v_add_co_ci_u32_e64 v12, null, s17, v12, vcc_lo
	s_add_i32 s7, s7, 1
	s_cmp_ge_i32 s7, s11
	s_cbranch_scc1 .LBB619_84
.LBB619_63:                             ; =>This Loop Header: Depth=1
                                        ;     Child Loop BB619_76 Depth 2
                                        ;     Child Loop BB619_79 Depth 2
	v_mov_b32_e32 v24, s9
	s_and_saveexec_b32 s6, s0
	s_xor_b32 s6, exec_lo, s6
	s_cbranch_execnz .LBB619_72
; %bb.64:                               ;   in Loop: Header=BB619_63 Depth=1
	s_andn2_saveexec_b32 s24, s6
	s_cbranch_execnz .LBB619_73
.LBB619_65:                             ;   in Loop: Header=BB619_63 Depth=1
	s_or_b32 exec_lo, exec_lo, s24
	s_and_saveexec_b32 s6, s2
.LBB619_66:                             ;   in Loop: Header=BB619_63 Depth=1
	ds_write_b32 v19, v0
.LBB619_67:                             ;   in Loop: Header=BB619_63 Depth=1
	s_or_b32 exec_lo, exec_lo, s6
	s_waitcnt lgkmcnt(0)
	ds_bpermute_b32 v17, v20, v24
	s_waitcnt lgkmcnt(0)
	s_waitcnt_vscnt null, 0x0
	s_barrier
	buffer_gl0_inv
	v_add_f32_e32 v17, v24, v17
	ds_bpermute_b32 v18, v21, v17
	s_waitcnt lgkmcnt(0)
	v_add_f32_e32 v17, v17, v18
	ds_bpermute_b32 v18, v22, v17
	s_waitcnt lgkmcnt(0)
	;; [unrolled: 3-line block ×3, first 2 shown]
	v_add_f32_e32 v17, v17, v18
	ds_bpermute_b32 v18, v29, v17
	s_and_saveexec_b32 s6, s3
	s_cbranch_execz .LBB619_69
; %bb.68:                               ;   in Loop: Header=BB619_63 Depth=1
	s_waitcnt lgkmcnt(0)
	v_add_f32_e32 v17, v17, v18
	ds_write_b32 v27, v17
.LBB619_69:                             ;   in Loop: Header=BB619_63 Depth=1
	s_or_b32 exec_lo, exec_lo, s6
	v_mov_b32_e32 v17, 0
	s_waitcnt lgkmcnt(0)
	s_barrier
	buffer_gl0_inv
	s_and_saveexec_b32 s6, s4
	s_cbranch_execnz .LBB619_81
; %bb.70:                               ;   in Loop: Header=BB619_63 Depth=1
	s_or_b32 exec_lo, exec_lo, s6
	s_and_saveexec_b32 s6, s2
	s_cbranch_execnz .LBB619_82
.LBB619_71:                             ;   in Loop: Header=BB619_63 Depth=1
	s_or_b32 exec_lo, exec_lo, s6
	s_and_saveexec_b32 s6, s5
	s_cbranch_execz .LBB619_62
	s_branch .LBB619_83
.LBB619_72:                             ;   in Loop: Header=BB619_63 Depth=1
	s_mul_i32 s8, s7, s15
	s_mul_hi_u32 s21, s7, s14
	s_mul_i32 s20, s7, s14
	s_add_i32 s21, s21, s8
	s_lshl_b64 s[20:21], s[20:21], 1
	v_add_co_u32 v1, vcc_lo, v9, s20
	v_add_co_ci_u32_e64 v2, null, s21, v10, vcc_lo
	flat_load_ushort v3, v[5:6]
	s_waitcnt lgkmcnt(1)
	flat_load_dwordx2 v[17:18], v[1:2]
	s_clause 0x2
	flat_load_ushort v2, v[7:8]
	flat_load_ushort v4, v[13:14]
	;; [unrolled: 1-line block ×3, first 2 shown]
	s_waitcnt vmcnt(4) lgkmcnt(4)
	v_lshlrev_b32_e32 v1, 16, v3
	s_waitcnt vmcnt(3) lgkmcnt(3)
	v_lshlrev_b32_e32 v3, 16, v17
	;; [unrolled: 2-line block ×3, first 2 shown]
	v_and_b32_e32 v17, 0xffff0000, v17
	v_fma_f32 v24, v1, v3, 0
	s_waitcnt vmcnt(1) lgkmcnt(1)
	v_lshlrev_b32_e32 v3, 16, v4
	s_waitcnt vmcnt(0) lgkmcnt(0)
	v_lshlrev_b32_e32 v4, 16, v25
	v_fmac_f32_e32 v24, v2, v17
	v_lshlrev_b32_e32 v17, 16, v18
	v_and_b32_e32 v18, 0xffff0000, v18
	v_fmac_f32_e32 v24, v3, v17
	v_fmac_f32_e32 v24, v4, v18
	s_andn2_saveexec_b32 s24, s6
	s_cbranch_execz .LBB619_65
.LBB619_73:                             ;   in Loop: Header=BB619_63 Depth=1
	s_and_saveexec_b32 s25, s1
	s_cbranch_execz .LBB619_80
; %bb.74:                               ;   in Loop: Header=BB619_63 Depth=1
	s_andn2_b32 vcc_lo, exec_lo, s10
	s_cbranch_vccnz .LBB619_77
; %bb.75:                               ;   in Loop: Header=BB619_63 Depth=1
	s_waitcnt lgkmcnt(0)
	v_mov_b32_e32 v18, v6
	v_mov_b32_e32 v17, v5
	s_mov_b64 s[20:21], 0
	.p2align	6
.LBB619_76:                             ;   Parent Loop BB619_63 Depth=1
                                        ; =>  This Inner Loop Header: Depth=2
	flat_load_ushort v25, v[17:18]
	s_cmp_eq_u32 s20, 3
	v_add_co_u32 v17, vcc_lo, v17, s18
	v_add_co_ci_u32_e64 v18, null, s19, v18, vcc_lo
	s_cselect_b32 vcc_lo, -1, 0
	s_cmp_eq_u32 s20, 2
	s_cselect_b32 s6, -1, 0
	s_cmp_eq_u32 s20, 1
	s_cselect_b32 s8, -1, 0
	s_cmp_eq_u32 s20, 0
	s_waitcnt vmcnt(0) lgkmcnt(0)
	v_lshlrev_b32_e32 v25, 16, v25
	v_cndmask_b32_e32 v4, v4, v25, vcc_lo
	s_cselect_b32 vcc_lo, -1, 0
	v_cndmask_b32_e64 v3, v3, v25, s6
	v_cndmask_b32_e64 v2, v2, v25, s8
	v_cndmask_b32_e32 v1, v1, v25, vcc_lo
	s_add_u32 s20, s20, 1
	s_addc_u32 s21, s21, 0
	s_cmp_eq_u32 s13, s20
	s_cbranch_scc0 .LBB619_76
.LBB619_77:                             ;   in Loop: Header=BB619_63 Depth=1
	s_andn2_b32 vcc_lo, exec_lo, s10
	s_cbranch_vccnz .LBB619_80
; %bb.78:                               ;   in Loop: Header=BB619_63 Depth=1
	s_waitcnt lgkmcnt(0)
	v_mov_b32_e32 v18, v12
	v_mov_b32_e32 v17, v11
	s_mov_b64 s[20:21], 0
	.p2align	6
.LBB619_79:                             ;   Parent Loop BB619_63 Depth=1
                                        ; =>  This Inner Loop Header: Depth=2
	flat_load_ushort v25, v[17:18]
	s_cmp_eq_u32 s20, 1
	s_cselect_b32 vcc_lo, -1, 0
	s_cmp_eq_u32 s20, 2
	v_cndmask_b32_e32 v26, v1, v2, vcc_lo
	s_cselect_b32 vcc_lo, -1, 0
	s_cmp_eq_u32 s20, 3
	v_cndmask_b32_e32 v26, v26, v3, vcc_lo
	s_cselect_b32 vcc_lo, -1, 0
	s_add_u32 s20, s20, 1
	s_addc_u32 s21, s21, 0
	s_cmp_lg_u32 s13, s20
	v_cndmask_b32_e32 v26, v26, v4, vcc_lo
	v_add_co_u32 v17, vcc_lo, v17, 2
	v_add_co_ci_u32_e64 v18, null, 0, v18, vcc_lo
	s_waitcnt vmcnt(0) lgkmcnt(0)
	v_lshlrev_b32_e32 v25, 16, v25
	v_fmac_f32_e32 v24, v26, v25
	s_cbranch_scc1 .LBB619_79
.LBB619_80:                             ;   in Loop: Header=BB619_63 Depth=1
	s_or_b32 exec_lo, exec_lo, s25
	s_or_b32 exec_lo, exec_lo, s24
	s_and_saveexec_b32 s6, s2
	s_cbranch_execnz .LBB619_66
	s_branch .LBB619_67
.LBB619_81:                             ;   in Loop: Header=BB619_63 Depth=1
	ds_read_b32 v17, v19
	s_or_b32 exec_lo, exec_lo, s6
	s_and_saveexec_b32 s6, s2
	s_cbranch_execz .LBB619_71
.LBB619_82:                             ;   in Loop: Header=BB619_63 Depth=1
	s_waitcnt lgkmcnt(0)
	ds_bpermute_b32 v18, v22, v17
	s_waitcnt lgkmcnt(0)
	v_add_f32_e32 v17, v17, v18
	ds_bpermute_b32 v18, v23, v17
	s_waitcnt lgkmcnt(0)
	v_add_f32_e32 v17, v17, v18
	;; [unrolled: 3-line block ×3, first 2 shown]
	s_or_b32 exec_lo, exec_lo, s6
	s_and_saveexec_b32 s6, s5
	s_cbranch_execz .LBB619_62
.LBB619_83:                             ;   in Loop: Header=BB619_63 Depth=1
	s_mul_hi_u32 s21, s7, s12
	s_mul_i32 s20, s7, s12
	s_waitcnt lgkmcnt(0)
	v_mul_f32_e32 v17, s33, v17
	s_lshl_b64 s[20:21], s[20:21], 2
	s_add_u32 s20, s22, s20
	s_addc_u32 s21, s23, s21
	global_store_dword v0, v17, s[20:21]
	s_branch .LBB619_62
.LBB619_84:
	s_endpgm
	.section	.rodata,"a",@progbits
	.p2align	6, 0x0
	.amdhsa_kernel _ZL23rocblas_gemvt_sn_kernelILb1ELi256ELi4ElPK16rocblas_bfloat16PKffEviiT4_lPKT3_lilS8_lilPT5_i
		.amdhsa_group_segment_fixed_size 128
		.amdhsa_private_segment_fixed_size 0
		.amdhsa_kernarg_size 360
		.amdhsa_user_sgpr_count 6
		.amdhsa_user_sgpr_private_segment_buffer 1
		.amdhsa_user_sgpr_dispatch_ptr 0
		.amdhsa_user_sgpr_queue_ptr 0
		.amdhsa_user_sgpr_kernarg_segment_ptr 1
		.amdhsa_user_sgpr_dispatch_id 0
		.amdhsa_user_sgpr_flat_scratch_init 0
		.amdhsa_user_sgpr_private_segment_size 0
		.amdhsa_wavefront_size32 1
		.amdhsa_uses_dynamic_stack 0
		.amdhsa_system_sgpr_private_segment_wavefront_offset 0
		.amdhsa_system_sgpr_workgroup_id_x 1
		.amdhsa_system_sgpr_workgroup_id_y 0
		.amdhsa_system_sgpr_workgroup_id_z 1
		.amdhsa_system_sgpr_workgroup_info 0
		.amdhsa_system_vgpr_workitem_id 0
		.amdhsa_next_free_vgpr 53
		.amdhsa_next_free_sgpr 46
		.amdhsa_reserve_vcc 1
		.amdhsa_reserve_flat_scratch 1
		.amdhsa_float_round_mode_32 0
		.amdhsa_float_round_mode_16_64 0
		.amdhsa_float_denorm_mode_32 3
		.amdhsa_float_denorm_mode_16_64 3
		.amdhsa_dx10_clamp 1
		.amdhsa_ieee_mode 1
		.amdhsa_fp16_overflow 0
		.amdhsa_workgroup_processor_mode 1
		.amdhsa_memory_ordered 1
		.amdhsa_forward_progress 1
		.amdhsa_shared_vgpr_count 0
		.amdhsa_exception_fp_ieee_invalid_op 0
		.amdhsa_exception_fp_denorm_src 0
		.amdhsa_exception_fp_ieee_div_zero 0
		.amdhsa_exception_fp_ieee_overflow 0
		.amdhsa_exception_fp_ieee_underflow 0
		.amdhsa_exception_fp_ieee_inexact 0
		.amdhsa_exception_int_div_zero 0
	.end_amdhsa_kernel
	.section	.text._ZL23rocblas_gemvt_sn_kernelILb1ELi256ELi4ElPK16rocblas_bfloat16PKffEviiT4_lPKT3_lilS8_lilPT5_i,"axG",@progbits,_ZL23rocblas_gemvt_sn_kernelILb1ELi256ELi4ElPK16rocblas_bfloat16PKffEviiT4_lPKT3_lilS8_lilPT5_i,comdat
.Lfunc_end619:
	.size	_ZL23rocblas_gemvt_sn_kernelILb1ELi256ELi4ElPK16rocblas_bfloat16PKffEviiT4_lPKT3_lilS8_lilPT5_i, .Lfunc_end619-_ZL23rocblas_gemvt_sn_kernelILb1ELi256ELi4ElPK16rocblas_bfloat16PKffEviiT4_lPKT3_lilS8_lilPT5_i
                                        ; -- End function
	.set _ZL23rocblas_gemvt_sn_kernelILb1ELi256ELi4ElPK16rocblas_bfloat16PKffEviiT4_lPKT3_lilS8_lilPT5_i.num_vgpr, 53
	.set _ZL23rocblas_gemvt_sn_kernelILb1ELi256ELi4ElPK16rocblas_bfloat16PKffEviiT4_lPKT3_lilS8_lilPT5_i.num_agpr, 0
	.set _ZL23rocblas_gemvt_sn_kernelILb1ELi256ELi4ElPK16rocblas_bfloat16PKffEviiT4_lPKT3_lilS8_lilPT5_i.numbered_sgpr, 46
	.set _ZL23rocblas_gemvt_sn_kernelILb1ELi256ELi4ElPK16rocblas_bfloat16PKffEviiT4_lPKT3_lilS8_lilPT5_i.num_named_barrier, 0
	.set _ZL23rocblas_gemvt_sn_kernelILb1ELi256ELi4ElPK16rocblas_bfloat16PKffEviiT4_lPKT3_lilS8_lilPT5_i.private_seg_size, 0
	.set _ZL23rocblas_gemvt_sn_kernelILb1ELi256ELi4ElPK16rocblas_bfloat16PKffEviiT4_lPKT3_lilS8_lilPT5_i.uses_vcc, 1
	.set _ZL23rocblas_gemvt_sn_kernelILb1ELi256ELi4ElPK16rocblas_bfloat16PKffEviiT4_lPKT3_lilS8_lilPT5_i.uses_flat_scratch, 1
	.set _ZL23rocblas_gemvt_sn_kernelILb1ELi256ELi4ElPK16rocblas_bfloat16PKffEviiT4_lPKT3_lilS8_lilPT5_i.has_dyn_sized_stack, 0
	.set _ZL23rocblas_gemvt_sn_kernelILb1ELi256ELi4ElPK16rocblas_bfloat16PKffEviiT4_lPKT3_lilS8_lilPT5_i.has_recursion, 0
	.set _ZL23rocblas_gemvt_sn_kernelILb1ELi256ELi4ElPK16rocblas_bfloat16PKffEviiT4_lPKT3_lilS8_lilPT5_i.has_indirect_call, 0
	.section	.AMDGPU.csdata,"",@progbits
; Kernel info:
; codeLenInByte = 4332
; TotalNumSgprs: 48
; NumVgprs: 53
; ScratchSize: 0
; MemoryBound: 0
; FloatMode: 240
; IeeeMode: 1
; LDSByteSize: 128 bytes/workgroup (compile time only)
; SGPRBlocks: 0
; VGPRBlocks: 6
; NumSGPRsForWavesPerEU: 48
; NumVGPRsForWavesPerEU: 53
; Occupancy: 16
; WaveLimiterHint : 0
; COMPUTE_PGM_RSRC2:SCRATCH_EN: 0
; COMPUTE_PGM_RSRC2:USER_SGPR: 6
; COMPUTE_PGM_RSRC2:TRAP_HANDLER: 0
; COMPUTE_PGM_RSRC2:TGID_X_EN: 1
; COMPUTE_PGM_RSRC2:TGID_Y_EN: 0
; COMPUTE_PGM_RSRC2:TGID_Z_EN: 1
; COMPUTE_PGM_RSRC2:TIDIG_COMP_CNT: 0
	.section	.text._ZL23rocblas_gemvt_sn_kernelILb1ELi256ELi4EiPK16rocblas_bfloat16ffEviiT4_lPKT3_lilS6_lilPT5_i,"axG",@progbits,_ZL23rocblas_gemvt_sn_kernelILb1ELi256ELi4EiPK16rocblas_bfloat16ffEviiT4_lPKT3_lilS6_lilPT5_i,comdat
	.globl	_ZL23rocblas_gemvt_sn_kernelILb1ELi256ELi4EiPK16rocblas_bfloat16ffEviiT4_lPKT3_lilS6_lilPT5_i ; -- Begin function _ZL23rocblas_gemvt_sn_kernelILb1ELi256ELi4EiPK16rocblas_bfloat16ffEviiT4_lPKT3_lilS6_lilPT5_i
	.p2align	8
	.type	_ZL23rocblas_gemvt_sn_kernelILb1ELi256ELi4EiPK16rocblas_bfloat16ffEviiT4_lPKT3_lilS6_lilPT5_i,@function
_ZL23rocblas_gemvt_sn_kernelILb1ELi256ELi4EiPK16rocblas_bfloat16ffEviiT4_lPKT3_lilS6_lilPT5_i: ; @_ZL23rocblas_gemvt_sn_kernelILb1ELi256ELi4EiPK16rocblas_bfloat16ffEviiT4_lPKT3_lilS6_lilPT5_i
; %bb.0:
	s_load_dwordx4 s[12:15], s[4:5], 0x0
	s_mov_b32 s2, s7
	s_mov_b32 s3, 0
	s_waitcnt lgkmcnt(0)
	v_cmp_neq_f32_e64 s8, s14, 0
	v_cmp_eq_f32_e64 s7, s14, 0
	s_and_b32 vcc_lo, exec_lo, s8
	s_cbranch_vccnz .LBB620_2
; %bb.1:
	s_mov_b32 s0, s3
	s_mov_b64 s[10:11], 0
	s_andn2_b32 vcc_lo, exec_lo, s0
	s_mov_b64 s[0:1], 0
	s_cbranch_vccz .LBB620_3
	s_branch .LBB620_4
.LBB620_2:
	s_mov_b64 s[10:11], 0
	s_mov_b64 s[0:1], 0
.LBB620_3:
	s_load_dwordx4 s[16:19], s[4:5], 0x18
	s_lshl_b64 s[0:1], s[2:3], 3
	s_waitcnt lgkmcnt(0)
	s_add_u32 s0, s16, s0
	s_addc_u32 s1, s17, s1
	s_lshl_b64 s[16:17], s[18:19], 1
	s_load_dwordx2 s[0:1], s[0:1], 0x0
	s_waitcnt lgkmcnt(0)
	s_add_u32 s0, s0, s16
	s_addc_u32 s1, s1, s17
.LBB620_4:
	s_andn2_b32 vcc_lo, exec_lo, s8
	s_cbranch_vccnz .LBB620_6
; %bb.5:
	s_load_dwordx4 s[8:11], s[4:5], 0x38
	s_lshl_b64 s[16:17], s[2:3], 3
	s_waitcnt lgkmcnt(0)
	s_add_u32 s8, s8, s16
	s_addc_u32 s9, s9, s17
	s_lshl_b64 s[10:11], s[10:11], 1
	s_load_dwordx2 s[8:9], s[8:9], 0x0
	s_waitcnt lgkmcnt(0)
	s_add_u32 s10, s8, s10
	s_addc_u32 s11, s9, s11
.LBB620_6:
	s_clause 0x1
	s_load_dword s16, s[4:5], 0x68
	s_load_dwordx2 s[8:9], s[4:5], 0x58
	s_ashr_i32 s19, s13, 31
	s_mul_hi_u32 s3, s2, s13
	s_mul_i32 s15, s2, s19
	s_mul_i32 s2, s2, s13
	s_add_i32 s3, s3, s15
	s_mov_b32 s17, 0
	s_waitcnt lgkmcnt(0)
	s_mul_i32 s3, s3, s16
	s_mul_hi_u32 s15, s2, s16
	s_mul_i32 s2, s2, s16
	s_add_i32 s3, s15, s3
	s_lshl_b64 s[2:3], s[2:3], 2
	s_add_u32 s28, s8, s2
	s_addc_u32 s29, s9, s3
	s_andn2_b32 vcc_lo, exec_lo, s7
	s_mov_b32 s2, -1
	s_cbranch_vccnz .LBB620_11
; %bb.7:
	v_cmp_eq_u32_e32 vcc_lo, 0, v0
	s_cmp_gt_i32 s13, 0
	s_cselect_b32 s2, -1, 0
	s_and_b32 s2, vcc_lo, s2
	s_and_saveexec_b32 s15, s2
	s_cbranch_execz .LBB620_10
; %bb.8:
	s_mov_b32 s7, 0
	v_mov_b32_e32 v1, 0
	s_lshl_b64 s[2:3], s[6:7], 2
	s_mov_b32 s7, s13
	s_add_u32 s2, s28, s2
	s_addc_u32 s3, s29, s3
	s_lshl_b64 s[8:9], s[16:17], 2
.LBB620_9:                              ; =>This Inner Loop Header: Depth=1
	s_add_i32 s7, s7, -1
	global_store_dword v1, v1, s[2:3]
	s_add_u32 s2, s2, s8
	s_addc_u32 s3, s3, s9
	s_cmp_eq_u32 s7, 0
	s_cbranch_scc0 .LBB620_9
.LBB620_10:
	s_or_b32 exec_lo, exec_lo, s15
	s_mov_b32 s2, 0
.LBB620_11:
	s_andn2_b32 vcc_lo, exec_lo, s2
	s_cbranch_vccnz .LBB620_86
; %bb.12:
	s_clause 0x1
	s_load_dword s18, s[4:5], 0x28
	s_load_dword s15, s[4:5], 0x48
	s_lshl_b32 s2, s6, 10
	s_lshr_b32 s3, s19, 30
	v_lshl_or_b32 v1, v0, 2, s2
	s_ashr_i32 s2, s12, 31
	s_add_i32 s3, s13, s3
	s_lshr_b32 s2, s2, 30
	v_and_b32_e32 v21, 31, v0
	v_ashrrev_i32_e32 v2, 31, v1
	s_add_i32 s2, s12, s2
	v_add_nc_u32_e32 v24, 4, v1
	s_and_b32 s2, s2, -4
	v_mbcnt_lo_u32_b32 v23, -1, 0
	v_lshlrev_b64 v[2:3], 1, v[1:2]
	s_sub_i32 s17, s12, s2
	v_lshrrev_b32_e32 v22, 3, v0
	v_add_nc_u32_e32 v25, s17, v1
	v_cmp_eq_u32_e64 s2, 0, v0
	s_and_b32 s30, s3, -4
	v_add_co_u32 v19, vcc_lo, s0, v2
	s_waitcnt lgkmcnt(0)
	v_mul_lo_u32 v9, s15, v1
	v_add_co_ci_u32_e64 v20, null, s1, v3, vcc_lo
	v_cmp_gt_u32_e64 s0, 32, v0
	v_cmp_gt_u32_e64 s1, 8, v0
	s_cmp_lt_i32 s30, 1
	s_cbranch_scc1 .LBB620_61
; %bb.13:
	v_cmp_gt_u32_e32 vcc_lo, 24, v23
	v_mul_lo_u32 v10, s15, v1
	s_cmp_gt_i32 s17, 0
	s_mov_b32 s9, 0
	v_cmp_ge_i32_e64 s3, s12, v24
	v_cndmask_b32_e64 v2, 0, 8, vcc_lo
	v_cmp_gt_u32_e32 vcc_lo, 28, v23
	v_cmp_ge_i32_e64 s4, s12, v25
	v_lshl_or_b32 v26, v23, 2, 64
	v_add_nc_u32_e32 v1, s15, v10
	v_ashrrev_i32_e32 v11, 31, v10
	v_cndmask_b32_e64 v3, 0, 4, vcc_lo
	v_cmp_gt_u32_e32 vcc_lo, 30, v23
	v_add_lshl_u32 v27, v2, v23, 2
	v_ashrrev_i32_e32 v2, 31, v1
	v_cmp_eq_u32_e64 s5, 0, v21
	v_add_lshl_u32 v28, v3, v23, 2
	v_cndmask_b32_e64 v4, 0, 2, vcc_lo
	v_cmp_ne_u32_e32 vcc_lo, 31, v23
	v_add_nc_u32_e32 v3, s15, v1
	v_lshlrev_b64 v[1:2], 1, v[1:2]
	v_lshlrev_b32_e32 v31, 2, v21
	v_add_lshl_u32 v29, v4, v23, 2
	v_add_co_ci_u32_e64 v5, null, 0, v23, vcc_lo
	v_add_nc_u32_e32 v7, s15, v3
	v_ashrrev_i32_e32 v4, 31, v3
	v_and_b32_e32 v32, 28, v22
	v_lshlrev_b32_e32 v30, 2, v5
	v_lshlrev_b64 v[5:6], 1, v[10:11]
	v_ashrrev_i32_e32 v8, 31, v7
	v_lshlrev_b64 v[3:4], 1, v[3:4]
	s_cselect_b32 s31, -1, 0
	s_mov_b32 s19, s9
	s_lshl_b32 s8, s18, 1
	v_add_co_u32 v11, vcc_lo, s10, v5
	v_add_co_ci_u32_e64 v12, null, s11, v6, vcc_lo
	v_add_co_u32 v13, vcc_lo, s10, v1
	v_mov_b32_e32 v5, 0
	v_add_co_ci_u32_e64 v14, null, s11, v2, vcc_lo
	v_lshlrev_b64 v[1:2], 1, v[7:8]
	v_add_co_u32 v15, vcc_lo, s10, v3
	v_mov_b32_e32 v6, v5
	v_mov_b32_e32 v7, v5
	;; [unrolled: 1-line block ×3, first 2 shown]
	v_add_co_ci_u32_e64 v16, null, s11, v4, vcc_lo
	v_add_co_u32 v17, vcc_lo, s10, v1
	v_add_co_ci_u32_e64 v18, null, s11, v2, vcc_lo
	v_mov_b32_e32 v1, v5
	v_mov_b32_e32 v2, v6
	;; [unrolled: 1-line block ×4, first 2 shown]
	s_lshl_b32 s33, s18, 2
	s_mul_i32 s34, s18, 3
	s_mov_b32 s35, s9
	s_mov_b32 s20, s9
	s_mov_b64 s[22:23], s[8:9]
	s_mov_b64 s[24:25], s[18:19]
	s_mov_b32 s19, 0
	s_branch .LBB620_15
.LBB620_14:                             ;   in Loop: Header=BB620_15 Depth=1
	s_or_b32 exec_lo, exec_lo, s7
	s_add_i32 s19, s19, 4
	s_add_u32 s24, s24, s33
	s_addc_u32 s25, s25, 0
	s_add_u32 s22, s22, s33
	s_addc_u32 s23, s23, 0
	;; [unrolled: 2-line block ×3, first 2 shown]
	s_add_i32 s20, s20, s33
	s_cmp_ge_i32 s19, s30
	s_cbranch_scc1 .LBB620_62
.LBB620_15:                             ; =>This Loop Header: Depth=1
                                        ;     Child Loop BB620_46 Depth 2
                                        ;     Child Loop BB620_49 Depth 2
                                        ; implicit-def: $vgpr8
                                        ; implicit-def: $vgpr33
                                        ; implicit-def: $vgpr34
                                        ; implicit-def: $vgpr35
	s_and_saveexec_b32 s7, s3
	s_xor_b32 s7, exec_lo, s7
	s_cbranch_execnz .LBB620_42
; %bb.16:                               ;   in Loop: Header=BB620_15 Depth=1
	s_andn2_saveexec_b32 s36, s7
	s_cbranch_execnz .LBB620_43
.LBB620_17:                             ;   in Loop: Header=BB620_15 Depth=1
	s_or_b32 exec_lo, exec_lo, s36
	s_and_saveexec_b32 s7, s0
.LBB620_18:                             ;   in Loop: Header=BB620_15 Depth=1
	ds_write_b32 v31, v5
.LBB620_19:                             ;   in Loop: Header=BB620_15 Depth=1
	s_or_b32 exec_lo, exec_lo, s7
	ds_bpermute_b32 v6, v26, v35
	s_waitcnt lgkmcnt(0)
	s_waitcnt_vscnt null, 0x0
	s_barrier
	buffer_gl0_inv
	v_add_f32_e32 v6, v35, v6
	ds_bpermute_b32 v7, v27, v6
	s_waitcnt lgkmcnt(0)
	v_add_f32_e32 v6, v6, v7
	ds_bpermute_b32 v7, v28, v6
	s_waitcnt lgkmcnt(0)
	;; [unrolled: 3-line block ×3, first 2 shown]
	v_add_f32_e32 v6, v6, v7
	ds_bpermute_b32 v7, v30, v6
	s_and_saveexec_b32 s7, s5
	s_cbranch_execz .LBB620_21
; %bb.20:                               ;   in Loop: Header=BB620_15 Depth=1
	s_waitcnt lgkmcnt(0)
	v_add_f32_e32 v6, v6, v7
	ds_write_b32 v32, v6
.LBB620_21:                             ;   in Loop: Header=BB620_15 Depth=1
	s_or_b32 exec_lo, exec_lo, s7
	v_mov_b32_e32 v6, 0
	s_waitcnt lgkmcnt(0)
	s_barrier
	buffer_gl0_inv
	s_and_saveexec_b32 s7, s1
	s_cbranch_execnz .LBB620_50
; %bb.22:                               ;   in Loop: Header=BB620_15 Depth=1
	s_or_b32 exec_lo, exec_lo, s7
	s_and_saveexec_b32 s7, s0
	s_cbranch_execnz .LBB620_51
.LBB620_23:                             ;   in Loop: Header=BB620_15 Depth=1
	s_or_b32 exec_lo, exec_lo, s7
	s_and_saveexec_b32 s7, s0
.LBB620_24:                             ;   in Loop: Header=BB620_15 Depth=1
	ds_write_b32 v31, v5
.LBB620_25:                             ;   in Loop: Header=BB620_15 Depth=1
	s_or_b32 exec_lo, exec_lo, s7
	ds_bpermute_b32 v7, v26, v34
	s_waitcnt lgkmcnt(0)
	s_barrier
	buffer_gl0_inv
	v_add_f32_e32 v7, v34, v7
	ds_bpermute_b32 v34, v27, v7
	s_waitcnt lgkmcnt(0)
	v_add_f32_e32 v7, v7, v34
	ds_bpermute_b32 v34, v28, v7
	s_waitcnt lgkmcnt(0)
	;; [unrolled: 3-line block ×3, first 2 shown]
	v_add_f32_e32 v7, v7, v34
	ds_bpermute_b32 v34, v30, v7
	s_and_saveexec_b32 s7, s5
	s_cbranch_execz .LBB620_27
; %bb.26:                               ;   in Loop: Header=BB620_15 Depth=1
	s_waitcnt lgkmcnt(0)
	v_add_f32_e32 v7, v7, v34
	ds_write_b32 v32, v7
.LBB620_27:                             ;   in Loop: Header=BB620_15 Depth=1
	s_or_b32 exec_lo, exec_lo, s7
	v_mov_b32_e32 v7, 0
	s_waitcnt lgkmcnt(0)
	s_barrier
	buffer_gl0_inv
	s_and_saveexec_b32 s7, s1
	s_cbranch_execnz .LBB620_52
; %bb.28:                               ;   in Loop: Header=BB620_15 Depth=1
	s_or_b32 exec_lo, exec_lo, s7
	s_and_saveexec_b32 s7, s0
	s_cbranch_execnz .LBB620_53
.LBB620_29:                             ;   in Loop: Header=BB620_15 Depth=1
	s_or_b32 exec_lo, exec_lo, s7
	s_and_saveexec_b32 s7, s0
.LBB620_30:                             ;   in Loop: Header=BB620_15 Depth=1
	ds_write_b32 v31, v5
.LBB620_31:                             ;   in Loop: Header=BB620_15 Depth=1
	s_or_b32 exec_lo, exec_lo, s7
	ds_bpermute_b32 v34, v26, v33
	s_waitcnt lgkmcnt(0)
	s_barrier
	buffer_gl0_inv
	v_add_f32_e32 v33, v33, v34
	ds_bpermute_b32 v34, v27, v33
	s_waitcnt lgkmcnt(0)
	v_add_f32_e32 v33, v33, v34
	ds_bpermute_b32 v34, v28, v33
	s_waitcnt lgkmcnt(0)
	;; [unrolled: 3-line block ×3, first 2 shown]
	v_add_f32_e32 v33, v33, v34
	ds_bpermute_b32 v34, v30, v33
	s_and_saveexec_b32 s7, s5
	s_cbranch_execz .LBB620_33
; %bb.32:                               ;   in Loop: Header=BB620_15 Depth=1
	s_waitcnt lgkmcnt(0)
	v_add_f32_e32 v33, v33, v34
	ds_write_b32 v32, v33
.LBB620_33:                             ;   in Loop: Header=BB620_15 Depth=1
	s_or_b32 exec_lo, exec_lo, s7
	v_mov_b32_e32 v33, 0
	s_waitcnt lgkmcnt(0)
	s_barrier
	buffer_gl0_inv
	s_and_saveexec_b32 s7, s1
	s_cbranch_execnz .LBB620_54
; %bb.34:                               ;   in Loop: Header=BB620_15 Depth=1
	s_or_b32 exec_lo, exec_lo, s7
	s_and_saveexec_b32 s7, s0
	s_cbranch_execnz .LBB620_55
.LBB620_35:                             ;   in Loop: Header=BB620_15 Depth=1
	s_or_b32 exec_lo, exec_lo, s7
	s_and_saveexec_b32 s7, s0
.LBB620_36:                             ;   in Loop: Header=BB620_15 Depth=1
	ds_write_b32 v31, v5
.LBB620_37:                             ;   in Loop: Header=BB620_15 Depth=1
	s_or_b32 exec_lo, exec_lo, s7
	ds_bpermute_b32 v34, v26, v8
	s_waitcnt lgkmcnt(0)
	s_barrier
	buffer_gl0_inv
	v_add_f32_e32 v8, v8, v34
	ds_bpermute_b32 v34, v27, v8
	s_waitcnt lgkmcnt(0)
	v_add_f32_e32 v8, v8, v34
	ds_bpermute_b32 v34, v28, v8
	s_waitcnt lgkmcnt(0)
	;; [unrolled: 3-line block ×3, first 2 shown]
	v_add_f32_e32 v8, v8, v34
	ds_bpermute_b32 v34, v30, v8
	s_and_saveexec_b32 s7, s5
	s_cbranch_execz .LBB620_39
; %bb.38:                               ;   in Loop: Header=BB620_15 Depth=1
	s_waitcnt lgkmcnt(0)
	v_add_f32_e32 v8, v8, v34
	ds_write_b32 v32, v8
.LBB620_39:                             ;   in Loop: Header=BB620_15 Depth=1
	s_or_b32 exec_lo, exec_lo, s7
	v_mov_b32_e32 v8, 0
	s_waitcnt lgkmcnt(0)
	s_barrier
	buffer_gl0_inv
	s_and_saveexec_b32 s7, s1
	s_cbranch_execnz .LBB620_56
; %bb.40:                               ;   in Loop: Header=BB620_15 Depth=1
	s_or_b32 exec_lo, exec_lo, s7
	s_and_saveexec_b32 s7, s0
	s_cbranch_execnz .LBB620_57
.LBB620_41:                             ;   in Loop: Header=BB620_15 Depth=1
	s_or_b32 exec_lo, exec_lo, s7
	s_and_saveexec_b32 s7, s2
	s_cbranch_execz .LBB620_14
	s_branch .LBB620_58
.LBB620_42:                             ;   in Loop: Header=BB620_15 Depth=1
	s_mul_i32 s26, s19, s18
	s_ashr_i32 s27, s26, 31
	s_add_i32 s36, s26, s18
	s_lshl_b64 s[26:27], s[26:27], 1
	s_ashr_i32 s37, s36, 31
	v_add_co_u32 v1, vcc_lo, v19, s26
	v_add_co_ci_u32_e64 v2, null, s27, v20, vcc_lo
	s_lshl_b64 s[26:27], s[36:37], 1
	v_add_co_u32 v3, vcc_lo, v19, s26
	s_add_i32 s26, s36, s18
	v_add_co_ci_u32_e64 v4, null, s27, v20, vcc_lo
	s_ashr_i32 s27, s26, 31
	s_add_i32 s36, s26, s18
	s_lshl_b64 s[26:27], s[26:27], 1
	s_clause 0x1
	flat_load_dwordx2 v[6:7], v[1:2]
	flat_load_dwordx2 v[33:34], v[3:4]
	s_ashr_i32 s37, s36, 31
	v_add_co_u32 v1, vcc_lo, v19, s26
	v_add_co_ci_u32_e64 v2, null, s27, v20, vcc_lo
	s_lshl_b64 s[26:27], s[36:37], 1
	s_waitcnt lgkmcnt(2)
	s_clause 0x2
	flat_load_ushort v8, v[11:12]
	flat_load_ushort v39, v[13:14]
	;; [unrolled: 1-line block ×3, first 2 shown]
	v_add_co_u32 v3, vcc_lo, v19, s26
	v_add_co_ci_u32_e64 v4, null, s27, v20, vcc_lo
	s_clause 0x1
	flat_load_dwordx2 v[35:36], v[1:2]
	flat_load_dwordx2 v[37:38], v[3:4]
	flat_load_ushort v4, v[17:18]
	s_waitcnt vmcnt(6) lgkmcnt(6)
	v_and_b32_e32 v41, 0xffff0000, v33
	v_lshlrev_b32_e32 v42, 16, v34
	v_and_b32_e32 v43, 0xffff0000, v34
	s_waitcnt vmcnt(5) lgkmcnt(5)
	v_lshlrev_b32_e32 v1, 16, v8
	v_lshlrev_b32_e32 v8, 16, v6
	s_waitcnt vmcnt(3) lgkmcnt(3)
	v_lshlrev_b32_e32 v3, 16, v40
	v_lshlrev_b32_e32 v40, 16, v33
	;; [unrolled: 1-line block ×3, first 2 shown]
	v_and_b32_e32 v6, 0xffff0000, v6
	v_lshlrev_b32_e32 v39, 16, v7
	s_waitcnt vmcnt(2) lgkmcnt(2)
	v_lshlrev_b32_e32 v33, 16, v35
	s_waitcnt vmcnt(1) lgkmcnt(1)
	v_lshlrev_b32_e32 v46, 16, v37
	v_and_b32_e32 v44, 0xffff0000, v35
	v_fma_f32 v35, v1, v8, 0
	v_and_b32_e32 v37, 0xffff0000, v37
	v_fma_f32 v34, v1, v40, 0
	v_fma_f32 v33, v1, v33, 0
	;; [unrolled: 1-line block ×3, first 2 shown]
	v_lshlrev_b32_e32 v45, 16, v36
	v_fmac_f32_e32 v35, v2, v6
	v_fmac_f32_e32 v34, v2, v41
	;; [unrolled: 1-line block ×4, first 2 shown]
	v_lshlrev_b32_e32 v6, 16, v38
	v_and_b32_e32 v7, 0xffff0000, v7
	v_and_b32_e32 v36, 0xffff0000, v36
	;; [unrolled: 1-line block ×3, first 2 shown]
	s_waitcnt vmcnt(0) lgkmcnt(0)
	v_lshlrev_b32_e32 v4, 16, v4
	v_fmac_f32_e32 v35, v3, v39
	v_fmac_f32_e32 v34, v3, v42
	;; [unrolled: 1-line block ×8, first 2 shown]
	s_andn2_saveexec_b32 s36, s7
	s_cbranch_execz .LBB620_17
.LBB620_43:                             ;   in Loop: Header=BB620_15 Depth=1
	s_waitcnt lgkmcnt(0)
	v_mov_b32_e32 v8, 0
	v_mov_b32_e32 v33, 0
	;; [unrolled: 1-line block ×4, first 2 shown]
	s_and_saveexec_b32 s37, s4
	s_cbranch_execz .LBB620_60
; %bb.44:                               ;   in Loop: Header=BB620_15 Depth=1
	s_andn2_b32 vcc_lo, exec_lo, s31
	s_cbranch_vccnz .LBB620_47
; %bb.45:                               ;   in Loop: Header=BB620_15 Depth=1
	v_mov_b32_e32 v6, v10
	s_mov_b64 s[26:27], 0
	.p2align	6
.LBB620_46:                             ;   Parent Loop BB620_15 Depth=1
                                        ; =>  This Inner Loop Header: Depth=2
	v_ashrrev_i32_e32 v7, 31, v6
	s_cmp_eq_u32 s26, 3
	v_lshlrev_b64 v[7:8], 1, v[6:7]
	v_add_nc_u32_e32 v6, s15, v6
	v_add_co_u32 v7, vcc_lo, s10, v7
	v_add_co_ci_u32_e64 v8, null, s11, v8, vcc_lo
	s_cselect_b32 vcc_lo, -1, 0
	s_cmp_eq_u32 s26, 2
	s_cselect_b32 s7, -1, 0
	flat_load_ushort v7, v[7:8]
	s_cmp_eq_u32 s26, 1
	s_cselect_b32 s8, -1, 0
	s_cmp_eq_u32 s26, 0
	s_waitcnt vmcnt(0) lgkmcnt(0)
	v_lshlrev_b32_e32 v7, 16, v7
	v_cndmask_b32_e32 v4, v4, v7, vcc_lo
	s_cselect_b32 vcc_lo, -1, 0
	v_cndmask_b32_e64 v3, v3, v7, s7
	v_cndmask_b32_e64 v2, v2, v7, s8
	v_cndmask_b32_e32 v1, v1, v7, vcc_lo
	s_add_u32 s26, s26, 1
	s_addc_u32 s27, s27, 0
	s_cmp_eq_u32 s17, s26
	s_cbranch_scc0 .LBB620_46
.LBB620_47:                             ;   in Loop: Header=BB620_15 Depth=1
	s_andn2_b32 vcc_lo, exec_lo, s31
	s_cbranch_vccnz .LBB620_59
; %bb.48:                               ;   in Loop: Header=BB620_15 Depth=1
	s_ashr_i32 s21, s20, 31
	v_mov_b32_e32 v35, 0
	s_lshl_b64 s[26:27], s[20:21], 1
	v_mov_b32_e32 v34, 0
	v_add_co_u32 v6, vcc_lo, v19, s26
	v_add_co_ci_u32_e64 v7, null, s27, v20, vcc_lo
	v_mov_b32_e32 v33, 0
	v_mov_b32_e32 v8, 0
	s_mov_b64 s[26:27], 0
.LBB620_49:                             ;   Parent Loop BB620_15 Depth=1
                                        ; =>  This Inner Loop Header: Depth=2
	s_cmp_eq_u32 s26, 1
	s_cselect_b32 vcc_lo, -1, 0
	s_cmp_eq_u32 s26, 2
	v_cndmask_b32_e32 v36, v1, v2, vcc_lo
	s_cselect_b32 vcc_lo, -1, 0
	s_cmp_eq_u32 s26, 3
	v_cndmask_b32_e32 v42, v36, v3, vcc_lo
	s_cselect_b32 vcc_lo, -1, 0
	s_add_i32 s38, s24, s26
	s_add_i32 s40, s22, s26
	s_ashr_i32 s39, s38, 31
	s_add_i32 s42, s34, s26
	s_ashr_i32 s41, s40, 31
	s_lshl_b64 s[38:39], s[38:39], 1
	s_ashr_i32 s43, s42, 31
	s_lshl_b64 s[40:41], s[40:41], 1
	v_add_co_u32 v36, s7, v19, s38
	s_lshl_b64 s[42:43], s[42:43], 1
	v_add_co_ci_u32_e64 v37, null, s39, v20, s7
	v_add_co_u32 v38, s7, v19, s40
	v_add_co_ci_u32_e64 v39, null, s41, v20, s7
	v_add_co_u32 v40, s7, v19, s42
	v_add_co_ci_u32_e64 v41, null, s43, v20, s7
	flat_load_ushort v43, v[6:7]
	s_clause 0x2
	flat_load_ushort v36, v[36:37]
	flat_load_ushort v37, v[38:39]
	;; [unrolled: 1-line block ×3, first 2 shown]
	v_cndmask_b32_e32 v39, v42, v4, vcc_lo
	v_add_co_u32 v6, s7, v6, 2
	v_add_co_ci_u32_e64 v7, null, 0, v7, s7
	s_add_u32 s26, s26, 1
	s_addc_u32 s27, s27, 0
	s_cmp_lg_u32 s17, s26
	s_waitcnt vmcnt(3) lgkmcnt(3)
	v_lshlrev_b32_e32 v40, 16, v43
	s_waitcnt vmcnt(2) lgkmcnt(2)
	v_lshlrev_b32_e32 v36, 16, v36
	;; [unrolled: 2-line block ×4, first 2 shown]
	v_fmac_f32_e32 v35, v39, v40
	v_fmac_f32_e32 v34, v39, v36
	;; [unrolled: 1-line block ×4, first 2 shown]
	s_cbranch_scc1 .LBB620_49
	s_branch .LBB620_60
.LBB620_50:                             ;   in Loop: Header=BB620_15 Depth=1
	ds_read_b32 v6, v31
	s_or_b32 exec_lo, exec_lo, s7
	s_and_saveexec_b32 s7, s0
	s_cbranch_execz .LBB620_23
.LBB620_51:                             ;   in Loop: Header=BB620_15 Depth=1
	s_waitcnt lgkmcnt(0)
	ds_bpermute_b32 v7, v28, v6
	s_waitcnt lgkmcnt(0)
	v_add_f32_e32 v6, v6, v7
	ds_bpermute_b32 v7, v29, v6
	s_waitcnt lgkmcnt(0)
	v_add_f32_e32 v6, v6, v7
	;; [unrolled: 3-line block ×3, first 2 shown]
	s_or_b32 exec_lo, exec_lo, s7
	s_and_saveexec_b32 s7, s0
	s_cbranch_execnz .LBB620_24
	s_branch .LBB620_25
.LBB620_52:                             ;   in Loop: Header=BB620_15 Depth=1
	ds_read_b32 v7, v31
	s_or_b32 exec_lo, exec_lo, s7
	s_and_saveexec_b32 s7, s0
	s_cbranch_execz .LBB620_29
.LBB620_53:                             ;   in Loop: Header=BB620_15 Depth=1
	s_waitcnt lgkmcnt(0)
	ds_bpermute_b32 v34, v28, v7
	s_waitcnt lgkmcnt(0)
	v_add_f32_e32 v7, v7, v34
	ds_bpermute_b32 v34, v29, v7
	s_waitcnt lgkmcnt(0)
	v_add_f32_e32 v7, v7, v34
	;; [unrolled: 3-line block ×3, first 2 shown]
	s_or_b32 exec_lo, exec_lo, s7
	s_and_saveexec_b32 s7, s0
	s_cbranch_execnz .LBB620_30
	s_branch .LBB620_31
.LBB620_54:                             ;   in Loop: Header=BB620_15 Depth=1
	ds_read_b32 v33, v31
	s_or_b32 exec_lo, exec_lo, s7
	s_and_saveexec_b32 s7, s0
	s_cbranch_execz .LBB620_35
.LBB620_55:                             ;   in Loop: Header=BB620_15 Depth=1
	s_waitcnt lgkmcnt(0)
	ds_bpermute_b32 v34, v28, v33
	s_waitcnt lgkmcnt(0)
	v_add_f32_e32 v33, v33, v34
	ds_bpermute_b32 v34, v29, v33
	s_waitcnt lgkmcnt(0)
	v_add_f32_e32 v33, v33, v34
	;; [unrolled: 3-line block ×3, first 2 shown]
	s_or_b32 exec_lo, exec_lo, s7
	s_and_saveexec_b32 s7, s0
	s_cbranch_execnz .LBB620_36
	s_branch .LBB620_37
.LBB620_56:                             ;   in Loop: Header=BB620_15 Depth=1
	ds_read_b32 v8, v31
	s_or_b32 exec_lo, exec_lo, s7
	s_and_saveexec_b32 s7, s0
	s_cbranch_execz .LBB620_41
.LBB620_57:                             ;   in Loop: Header=BB620_15 Depth=1
	s_waitcnt lgkmcnt(0)
	ds_bpermute_b32 v34, v28, v8
	s_waitcnt lgkmcnt(0)
	v_add_f32_e32 v8, v8, v34
	ds_bpermute_b32 v34, v29, v8
	s_waitcnt lgkmcnt(0)
	v_add_f32_e32 v8, v8, v34
	;; [unrolled: 3-line block ×3, first 2 shown]
	s_or_b32 exec_lo, exec_lo, s7
	s_and_saveexec_b32 s7, s2
	s_cbranch_execz .LBB620_14
.LBB620_58:                             ;   in Loop: Header=BB620_15 Depth=1
	s_mul_i32 s8, s19, s16
	v_mul_f32_e32 v6, s14, v6
	s_add_i32 s8, s8, s6
	v_mul_f32_e32 v7, s14, v7
	s_lshl_b64 s[26:27], s[8:9], 2
	v_mul_f32_e32 v33, s14, v33
	s_add_u32 s26, s28, s26
	s_addc_u32 s27, s29, s27
	s_add_i32 s8, s8, s16
	global_store_dword v5, v6, s[26:27]
	s_lshl_b64 s[36:37], s[8:9], 2
	s_waitcnt lgkmcnt(0)
	v_mul_f32_e32 v6, s14, v8
	s_add_u32 s36, s28, s36
	s_addc_u32 s37, s29, s37
	s_add_i32 s8, s8, s16
	global_store_dword v5, v7, s[36:37]
	s_lshl_b64 s[38:39], s[8:9], 2
	s_add_u32 s26, s28, s38
	s_addc_u32 s27, s29, s39
	s_add_i32 s8, s8, s16
	s_lshl_b64 s[38:39], s[8:9], 2
	s_add_u32 s36, s28, s38
	s_addc_u32 s37, s29, s39
	global_store_dword v5, v33, s[26:27]
	global_store_dword v5, v6, s[36:37]
	s_branch .LBB620_14
.LBB620_59:                             ;   in Loop: Header=BB620_15 Depth=1
	v_mov_b32_e32 v8, 0
	v_mov_b32_e32 v33, 0
	;; [unrolled: 1-line block ×4, first 2 shown]
.LBB620_60:                             ;   in Loop: Header=BB620_15 Depth=1
	s_or_b32 exec_lo, exec_lo, s37
	s_or_b32 exec_lo, exec_lo, s36
	s_and_saveexec_b32 s7, s0
	s_cbranch_execnz .LBB620_18
	s_branch .LBB620_19
.LBB620_61:
	v_mov_b32_e32 v1, 0
	s_mov_b32 s19, 0
	v_mov_b32_e32 v2, v1
	v_mov_b32_e32 v3, v1
	;; [unrolled: 1-line block ×3, first 2 shown]
.LBB620_62:
	s_cmp_ge_i32 s19, s13
	s_cbranch_scc1 .LBB620_86
; %bb.63:
	v_cmp_gt_u32_e32 vcc_lo, 24, v23
	v_cmp_ge_i32_e64 s0, s12, v24
	v_lshl_or_b32 v17, v23, 2, 64
	v_ashrrev_i32_e32 v10, 31, v9
	v_cmp_ge_i32_e64 s1, s12, v25
	v_cndmask_b32_e64 v5, 0, 8, vcc_lo
	v_cmp_gt_u32_e32 vcc_lo, 28, v23
	s_cmp_gt_i32 s17, 0
	v_lshlrev_b64 v[10:11], 1, v[9:10]
	s_mov_b32 s7, 0
	v_add_lshl_u32 v18, v5, v23, 2
	v_cndmask_b32_e64 v6, 0, 4, vcc_lo
	v_cmp_gt_u32_e32 vcc_lo, 30, v23
	v_add_nc_u32_e32 v5, s15, v9
	s_cselect_b32 s12, -1, 0
	v_cmp_gt_u32_e64 s2, 32, v0
	v_add_lshl_u32 v24, v6, v23, 2
	v_cndmask_b32_e64 v7, 0, 2, vcc_lo
	v_cmp_ne_u32_e32 vcc_lo, 31, v23
	v_ashrrev_i32_e32 v6, 31, v5
	v_lshlrev_b32_e32 v16, 2, v21
	v_cmp_eq_u32_e64 s3, 0, v21
	v_and_b32_e32 v21, 28, v22
	s_waitcnt lgkmcnt(0)
	v_add_co_ci_u32_e64 v8, null, 0, v23, vcc_lo
	v_add_lshl_u32 v23, v7, v23, 2
	v_add_nc_u32_e32 v7, s15, v5
	v_lshlrev_b64 v[12:13], 1, v[5:6]
	v_lshlrev_b32_e32 v25, 2, v8
	v_add_co_u32 v5, vcc_lo, s10, v10
	v_add_nc_u32_e32 v14, s15, v7
	v_ashrrev_i32_e32 v8, 31, v7
	v_add_co_ci_u32_e64 v6, null, s11, v11, vcc_lo
	v_cmp_gt_u32_e64 s4, 8, v0
	v_ashrrev_i32_e32 v15, 31, v14
	v_lshlrev_b64 v[10:11], 1, v[7:8]
	v_add_co_u32 v7, vcc_lo, s10, v12
	v_add_co_ci_u32_e64 v8, null, s11, v13, vcc_lo
	v_lshlrev_b64 v[12:13], 1, v[14:15]
	v_add_co_u32 v10, vcc_lo, s10, v10
	v_add_co_ci_u32_e64 v11, null, s11, v11, vcc_lo
	v_cmp_eq_u32_e64 s5, 0, v0
	v_add_co_u32 v12, vcc_lo, s10, v12
	s_lshl_b64 s[8:9], s[6:7], 2
	v_add_co_ci_u32_e64 v13, null, s11, v13, vcc_lo
	v_mov_b32_e32 v0, 0
	s_add_u32 s24, s28, s8
	s_addc_u32 s25, s29, s9
	s_mul_i32 s20, s19, s18
	s_branch .LBB620_65
.LBB620_64:                             ;   in Loop: Header=BB620_65 Depth=1
	s_or_b32 exec_lo, exec_lo, s6
	s_add_i32 s19, s19, 1
	s_add_i32 s20, s20, s18
	s_cmp_ge_i32 s19, s13
	s_cbranch_scc1 .LBB620_86
.LBB620_65:                             ; =>This Loop Header: Depth=1
                                        ;     Child Loop BB620_78 Depth 2
                                        ;     Child Loop BB620_81 Depth 2
	v_mov_b32_e32 v22, s7
	s_and_saveexec_b32 s6, s0
	s_xor_b32 s6, exec_lo, s6
	s_cbranch_execnz .LBB620_74
; %bb.66:                               ;   in Loop: Header=BB620_65 Depth=1
	s_andn2_saveexec_b32 s26, s6
	s_cbranch_execnz .LBB620_75
.LBB620_67:                             ;   in Loop: Header=BB620_65 Depth=1
	s_or_b32 exec_lo, exec_lo, s26
	s_and_saveexec_b32 s6, s2
.LBB620_68:                             ;   in Loop: Header=BB620_65 Depth=1
	ds_write_b32 v16, v0
.LBB620_69:                             ;   in Loop: Header=BB620_65 Depth=1
	s_or_b32 exec_lo, exec_lo, s6
	s_waitcnt lgkmcnt(0)
	ds_bpermute_b32 v14, v17, v22
	s_waitcnt lgkmcnt(0)
	s_waitcnt_vscnt null, 0x0
	s_barrier
	buffer_gl0_inv
	v_add_f32_e32 v14, v22, v14
	ds_bpermute_b32 v15, v18, v14
	s_waitcnt lgkmcnt(0)
	v_add_f32_e32 v14, v14, v15
	ds_bpermute_b32 v15, v24, v14
	s_waitcnt lgkmcnt(0)
	;; [unrolled: 3-line block ×3, first 2 shown]
	v_add_f32_e32 v14, v14, v15
	ds_bpermute_b32 v15, v25, v14
	s_and_saveexec_b32 s6, s3
	s_cbranch_execz .LBB620_71
; %bb.70:                               ;   in Loop: Header=BB620_65 Depth=1
	s_waitcnt lgkmcnt(0)
	v_add_f32_e32 v14, v14, v15
	ds_write_b32 v21, v14
.LBB620_71:                             ;   in Loop: Header=BB620_65 Depth=1
	s_or_b32 exec_lo, exec_lo, s6
	v_mov_b32_e32 v14, 0
	s_waitcnt lgkmcnt(0)
	s_barrier
	buffer_gl0_inv
	s_and_saveexec_b32 s6, s4
	s_cbranch_execnz .LBB620_83
; %bb.72:                               ;   in Loop: Header=BB620_65 Depth=1
	s_or_b32 exec_lo, exec_lo, s6
	s_and_saveexec_b32 s6, s2
	s_cbranch_execnz .LBB620_84
.LBB620_73:                             ;   in Loop: Header=BB620_65 Depth=1
	s_or_b32 exec_lo, exec_lo, s6
	s_and_saveexec_b32 s6, s5
	s_cbranch_execz .LBB620_64
	s_branch .LBB620_85
.LBB620_74:                             ;   in Loop: Header=BB620_65 Depth=1
	s_mul_i32 s8, s19, s18
	s_ashr_i32 s9, s8, 31
	s_lshl_b64 s[8:9], s[8:9], 1
	v_add_co_u32 v1, vcc_lo, v19, s8
	v_add_co_ci_u32_e64 v2, null, s9, v20, vcc_lo
	flat_load_ushort v3, v[5:6]
	s_waitcnt lgkmcnt(1)
	flat_load_dwordx2 v[14:15], v[1:2]
	s_clause 0x2
	flat_load_ushort v2, v[7:8]
	flat_load_ushort v4, v[10:11]
	;; [unrolled: 1-line block ×3, first 2 shown]
	s_waitcnt vmcnt(4) lgkmcnt(4)
	v_lshlrev_b32_e32 v1, 16, v3
	s_waitcnt vmcnt(3) lgkmcnt(3)
	v_lshlrev_b32_e32 v3, 16, v14
	;; [unrolled: 2-line block ×3, first 2 shown]
	v_and_b32_e32 v14, 0xffff0000, v14
	v_fma_f32 v22, v1, v3, 0
	s_waitcnt vmcnt(1) lgkmcnt(1)
	v_lshlrev_b32_e32 v3, 16, v4
	s_waitcnt vmcnt(0) lgkmcnt(0)
	v_lshlrev_b32_e32 v4, 16, v26
	v_fmac_f32_e32 v22, v2, v14
	v_lshlrev_b32_e32 v14, 16, v15
	v_and_b32_e32 v15, 0xffff0000, v15
	v_fmac_f32_e32 v22, v3, v14
	v_fmac_f32_e32 v22, v4, v15
	s_andn2_saveexec_b32 s26, s6
	s_cbranch_execz .LBB620_67
.LBB620_75:                             ;   in Loop: Header=BB620_65 Depth=1
	s_and_saveexec_b32 s27, s1
	s_cbranch_execz .LBB620_82
; %bb.76:                               ;   in Loop: Header=BB620_65 Depth=1
	s_andn2_b32 vcc_lo, exec_lo, s12
	s_cbranch_vccnz .LBB620_79
; %bb.77:                               ;   in Loop: Header=BB620_65 Depth=1
	s_waitcnt lgkmcnt(0)
	v_mov_b32_e32 v14, v9
	s_mov_b64 s[22:23], 0
	.p2align	6
.LBB620_78:                             ;   Parent Loop BB620_65 Depth=1
                                        ; =>  This Inner Loop Header: Depth=2
	v_ashrrev_i32_e32 v15, 31, v14
	s_cmp_eq_u32 s22, 3
	v_lshlrev_b64 v[26:27], 1, v[14:15]
	v_add_nc_u32_e32 v14, s15, v14
	v_add_co_u32 v26, vcc_lo, s10, v26
	v_add_co_ci_u32_e64 v27, null, s11, v27, vcc_lo
	s_cselect_b32 vcc_lo, -1, 0
	s_cmp_eq_u32 s22, 2
	s_cselect_b32 s6, -1, 0
	flat_load_ushort v15, v[26:27]
	s_cmp_eq_u32 s22, 1
	s_cselect_b32 s8, -1, 0
	s_cmp_eq_u32 s22, 0
	s_waitcnt vmcnt(0) lgkmcnt(0)
	v_lshlrev_b32_e32 v15, 16, v15
	v_cndmask_b32_e32 v4, v4, v15, vcc_lo
	s_cselect_b32 vcc_lo, -1, 0
	v_cndmask_b32_e64 v3, v3, v15, s6
	v_cndmask_b32_e64 v2, v2, v15, s8
	v_cndmask_b32_e32 v1, v1, v15, vcc_lo
	s_add_u32 s22, s22, 1
	s_addc_u32 s23, s23, 0
	s_cmp_eq_u32 s17, s22
	s_cbranch_scc0 .LBB620_78
.LBB620_79:                             ;   in Loop: Header=BB620_65 Depth=1
	s_andn2_b32 vcc_lo, exec_lo, s12
	s_cbranch_vccnz .LBB620_82
; %bb.80:                               ;   in Loop: Header=BB620_65 Depth=1
	s_ashr_i32 s21, s20, 31
	s_lshl_b64 s[8:9], s[20:21], 1
	s_waitcnt lgkmcnt(0)
	v_add_co_u32 v14, vcc_lo, v19, s8
	v_add_co_ci_u32_e64 v15, null, s9, v20, vcc_lo
	s_mov_b64 s[8:9], 0
	.p2align	6
.LBB620_81:                             ;   Parent Loop BB620_65 Depth=1
                                        ; =>  This Inner Loop Header: Depth=2
	flat_load_ushort v26, v[14:15]
	s_cmp_eq_u32 s8, 1
	s_cselect_b32 vcc_lo, -1, 0
	s_cmp_eq_u32 s8, 2
	v_cndmask_b32_e32 v27, v1, v2, vcc_lo
	s_cselect_b32 vcc_lo, -1, 0
	s_cmp_eq_u32 s8, 3
	v_cndmask_b32_e32 v27, v27, v3, vcc_lo
	s_cselect_b32 vcc_lo, -1, 0
	s_add_u32 s8, s8, 1
	s_addc_u32 s9, s9, 0
	s_cmp_lg_u32 s17, s8
	v_cndmask_b32_e32 v27, v27, v4, vcc_lo
	v_add_co_u32 v14, vcc_lo, v14, 2
	v_add_co_ci_u32_e64 v15, null, 0, v15, vcc_lo
	s_waitcnt vmcnt(0) lgkmcnt(0)
	v_lshlrev_b32_e32 v26, 16, v26
	v_fmac_f32_e32 v22, v27, v26
	s_cbranch_scc1 .LBB620_81
.LBB620_82:                             ;   in Loop: Header=BB620_65 Depth=1
	s_or_b32 exec_lo, exec_lo, s27
	s_or_b32 exec_lo, exec_lo, s26
	s_and_saveexec_b32 s6, s2
	s_cbranch_execnz .LBB620_68
	s_branch .LBB620_69
.LBB620_83:                             ;   in Loop: Header=BB620_65 Depth=1
	ds_read_b32 v14, v16
	s_or_b32 exec_lo, exec_lo, s6
	s_and_saveexec_b32 s6, s2
	s_cbranch_execz .LBB620_73
.LBB620_84:                             ;   in Loop: Header=BB620_65 Depth=1
	s_waitcnt lgkmcnt(0)
	ds_bpermute_b32 v15, v24, v14
	s_waitcnt lgkmcnt(0)
	v_add_f32_e32 v14, v14, v15
	ds_bpermute_b32 v15, v23, v14
	s_waitcnt lgkmcnt(0)
	v_add_f32_e32 v14, v14, v15
	;; [unrolled: 3-line block ×3, first 2 shown]
	s_or_b32 exec_lo, exec_lo, s6
	s_and_saveexec_b32 s6, s5
	s_cbranch_execz .LBB620_64
.LBB620_85:                             ;   in Loop: Header=BB620_65 Depth=1
	s_mul_hi_u32 s9, s19, s16
	s_mul_i32 s8, s19, s16
	s_waitcnt lgkmcnt(0)
	v_mul_f32_e32 v14, s14, v14
	s_lshl_b64 s[8:9], s[8:9], 2
	s_add_u32 s8, s24, s8
	s_addc_u32 s9, s25, s9
	global_store_dword v0, v14, s[8:9]
	s_branch .LBB620_64
.LBB620_86:
	s_endpgm
	.section	.rodata,"a",@progbits
	.p2align	6, 0x0
	.amdhsa_kernel _ZL23rocblas_gemvt_sn_kernelILb1ELi256ELi4EiPK16rocblas_bfloat16ffEviiT4_lPKT3_lilS6_lilPT5_i
		.amdhsa_group_segment_fixed_size 128
		.amdhsa_private_segment_fixed_size 0
		.amdhsa_kernarg_size 360
		.amdhsa_user_sgpr_count 6
		.amdhsa_user_sgpr_private_segment_buffer 1
		.amdhsa_user_sgpr_dispatch_ptr 0
		.amdhsa_user_sgpr_queue_ptr 0
		.amdhsa_user_sgpr_kernarg_segment_ptr 1
		.amdhsa_user_sgpr_dispatch_id 0
		.amdhsa_user_sgpr_flat_scratch_init 0
		.amdhsa_user_sgpr_private_segment_size 0
		.amdhsa_wavefront_size32 1
		.amdhsa_uses_dynamic_stack 0
		.amdhsa_system_sgpr_private_segment_wavefront_offset 0
		.amdhsa_system_sgpr_workgroup_id_x 1
		.amdhsa_system_sgpr_workgroup_id_y 0
		.amdhsa_system_sgpr_workgroup_id_z 1
		.amdhsa_system_sgpr_workgroup_info 0
		.amdhsa_system_vgpr_workitem_id 0
		.amdhsa_next_free_vgpr 47
		.amdhsa_next_free_sgpr 44
		.amdhsa_reserve_vcc 1
		.amdhsa_reserve_flat_scratch 1
		.amdhsa_float_round_mode_32 0
		.amdhsa_float_round_mode_16_64 0
		.amdhsa_float_denorm_mode_32 3
		.amdhsa_float_denorm_mode_16_64 3
		.amdhsa_dx10_clamp 1
		.amdhsa_ieee_mode 1
		.amdhsa_fp16_overflow 0
		.amdhsa_workgroup_processor_mode 1
		.amdhsa_memory_ordered 1
		.amdhsa_forward_progress 1
		.amdhsa_shared_vgpr_count 0
		.amdhsa_exception_fp_ieee_invalid_op 0
		.amdhsa_exception_fp_denorm_src 0
		.amdhsa_exception_fp_ieee_div_zero 0
		.amdhsa_exception_fp_ieee_overflow 0
		.amdhsa_exception_fp_ieee_underflow 0
		.amdhsa_exception_fp_ieee_inexact 0
		.amdhsa_exception_int_div_zero 0
	.end_amdhsa_kernel
	.section	.text._ZL23rocblas_gemvt_sn_kernelILb1ELi256ELi4EiPK16rocblas_bfloat16ffEviiT4_lPKT3_lilS6_lilPT5_i,"axG",@progbits,_ZL23rocblas_gemvt_sn_kernelILb1ELi256ELi4EiPK16rocblas_bfloat16ffEviiT4_lPKT3_lilS6_lilPT5_i,comdat
.Lfunc_end620:
	.size	_ZL23rocblas_gemvt_sn_kernelILb1ELi256ELi4EiPK16rocblas_bfloat16ffEviiT4_lPKT3_lilS6_lilPT5_i, .Lfunc_end620-_ZL23rocblas_gemvt_sn_kernelILb1ELi256ELi4EiPK16rocblas_bfloat16ffEviiT4_lPKT3_lilS6_lilPT5_i
                                        ; -- End function
	.set _ZL23rocblas_gemvt_sn_kernelILb1ELi256ELi4EiPK16rocblas_bfloat16ffEviiT4_lPKT3_lilS6_lilPT5_i.num_vgpr, 47
	.set _ZL23rocblas_gemvt_sn_kernelILb1ELi256ELi4EiPK16rocblas_bfloat16ffEviiT4_lPKT3_lilS6_lilPT5_i.num_agpr, 0
	.set _ZL23rocblas_gemvt_sn_kernelILb1ELi256ELi4EiPK16rocblas_bfloat16ffEviiT4_lPKT3_lilS6_lilPT5_i.numbered_sgpr, 44
	.set _ZL23rocblas_gemvt_sn_kernelILb1ELi256ELi4EiPK16rocblas_bfloat16ffEviiT4_lPKT3_lilS6_lilPT5_i.num_named_barrier, 0
	.set _ZL23rocblas_gemvt_sn_kernelILb1ELi256ELi4EiPK16rocblas_bfloat16ffEviiT4_lPKT3_lilS6_lilPT5_i.private_seg_size, 0
	.set _ZL23rocblas_gemvt_sn_kernelILb1ELi256ELi4EiPK16rocblas_bfloat16ffEviiT4_lPKT3_lilS6_lilPT5_i.uses_vcc, 1
	.set _ZL23rocblas_gemvt_sn_kernelILb1ELi256ELi4EiPK16rocblas_bfloat16ffEviiT4_lPKT3_lilS6_lilPT5_i.uses_flat_scratch, 1
	.set _ZL23rocblas_gemvt_sn_kernelILb1ELi256ELi4EiPK16rocblas_bfloat16ffEviiT4_lPKT3_lilS6_lilPT5_i.has_dyn_sized_stack, 0
	.set _ZL23rocblas_gemvt_sn_kernelILb1ELi256ELi4EiPK16rocblas_bfloat16ffEviiT4_lPKT3_lilS6_lilPT5_i.has_recursion, 0
	.set _ZL23rocblas_gemvt_sn_kernelILb1ELi256ELi4EiPK16rocblas_bfloat16ffEviiT4_lPKT3_lilS6_lilPT5_i.has_indirect_call, 0
	.section	.AMDGPU.csdata,"",@progbits
; Kernel info:
; codeLenInByte = 4268
; TotalNumSgprs: 46
; NumVgprs: 47
; ScratchSize: 0
; MemoryBound: 0
; FloatMode: 240
; IeeeMode: 1
; LDSByteSize: 128 bytes/workgroup (compile time only)
; SGPRBlocks: 0
; VGPRBlocks: 5
; NumSGPRsForWavesPerEU: 46
; NumVGPRsForWavesPerEU: 47
; Occupancy: 16
; WaveLimiterHint : 0
; COMPUTE_PGM_RSRC2:SCRATCH_EN: 0
; COMPUTE_PGM_RSRC2:USER_SGPR: 6
; COMPUTE_PGM_RSRC2:TRAP_HANDLER: 0
; COMPUTE_PGM_RSRC2:TGID_X_EN: 1
; COMPUTE_PGM_RSRC2:TGID_Y_EN: 0
; COMPUTE_PGM_RSRC2:TGID_Z_EN: 1
; COMPUTE_PGM_RSRC2:TIDIG_COMP_CNT: 0
	.section	.text._ZL23rocblas_gemvt_sn_kernelILb1ELi256ELi4ElPK16rocblas_bfloat16ffEviiT4_lPKT3_lilS6_lilPT5_i,"axG",@progbits,_ZL23rocblas_gemvt_sn_kernelILb1ELi256ELi4ElPK16rocblas_bfloat16ffEviiT4_lPKT3_lilS6_lilPT5_i,comdat
	.globl	_ZL23rocblas_gemvt_sn_kernelILb1ELi256ELi4ElPK16rocblas_bfloat16ffEviiT4_lPKT3_lilS6_lilPT5_i ; -- Begin function _ZL23rocblas_gemvt_sn_kernelILb1ELi256ELi4ElPK16rocblas_bfloat16ffEviiT4_lPKT3_lilS6_lilPT5_i
	.p2align	8
	.type	_ZL23rocblas_gemvt_sn_kernelILb1ELi256ELi4ElPK16rocblas_bfloat16ffEviiT4_lPKT3_lilS6_lilPT5_i,@function
_ZL23rocblas_gemvt_sn_kernelILb1ELi256ELi4ElPK16rocblas_bfloat16ffEviiT4_lPKT3_lilS6_lilPT5_i: ; @_ZL23rocblas_gemvt_sn_kernelILb1ELi256ELi4ElPK16rocblas_bfloat16ffEviiT4_lPKT3_lilS6_lilPT5_i
; %bb.0:
	s_load_dwordx4 s[12:15], s[4:5], 0x0
	s_mov_b32 s0, s7
	s_mov_b32 s1, 0
	s_waitcnt lgkmcnt(0)
	v_cmp_neq_f32_e64 s3, s14, 0
	v_cmp_eq_f32_e64 s2, s14, 0
	s_and_b32 vcc_lo, exec_lo, s3
	s_cbranch_vccnz .LBB621_2
; %bb.1:
	s_mov_b32 s7, s1
	s_mov_b64 s[20:21], 0
	s_andn2_b32 vcc_lo, exec_lo, s7
	s_mov_b64 s[18:19], 0
	s_cbranch_vccz .LBB621_3
	s_branch .LBB621_4
.LBB621_2:
	s_mov_b64 s[20:21], 0
	s_mov_b64 s[18:19], 0
.LBB621_3:
	s_load_dwordx4 s[8:11], s[4:5], 0x18
	s_lshl_b64 s[16:17], s[0:1], 3
	s_waitcnt lgkmcnt(0)
	s_add_u32 s8, s8, s16
	s_addc_u32 s9, s9, s17
	s_lshl_b64 s[10:11], s[10:11], 1
	s_load_dwordx2 s[8:9], s[8:9], 0x0
	s_waitcnt lgkmcnt(0)
	s_add_u32 s18, s8, s10
	s_addc_u32 s19, s9, s11
.LBB621_4:
	s_andn2_b32 vcc_lo, exec_lo, s3
	s_cbranch_vccnz .LBB621_6
; %bb.5:
	s_load_dwordx4 s[8:11], s[4:5], 0x38
	s_lshl_b64 s[16:17], s[0:1], 3
	s_waitcnt lgkmcnt(0)
	s_add_u32 s8, s8, s16
	s_addc_u32 s9, s9, s17
	s_lshl_b64 s[10:11], s[10:11], 1
	s_load_dwordx2 s[8:9], s[8:9], 0x0
	s_waitcnt lgkmcnt(0)
	s_add_u32 s20, s8, s10
	s_addc_u32 s21, s9, s11
.LBB621_6:
	s_clause 0x1
	s_load_dword s10, s[4:5], 0x68
	s_load_dwordx2 s[16:17], s[4:5], 0x58
	s_ashr_i32 s8, s13, 31
	s_mul_hi_u32 s1, s0, s13
	s_mul_i32 s3, s0, s8
	s_mul_i32 s0, s0, s13
	s_add_i32 s1, s1, s3
	s_mov_b32 s11, 0
	s_waitcnt lgkmcnt(0)
	s_mul_i32 s1, s1, s10
	s_mul_hi_u32 s3, s0, s10
	s_mul_i32 s0, s0, s10
	s_add_i32 s1, s3, s1
	s_lshl_b64 s[0:1], s[0:1], 2
	s_add_u32 s15, s16, s0
	s_addc_u32 s33, s17, s1
	s_andn2_b32 vcc_lo, exec_lo, s2
	s_mov_b32 s0, -1
	s_cbranch_vccnz .LBB621_11
; %bb.7:
	v_cmp_eq_u32_e32 vcc_lo, 0, v0
	s_cmp_gt_i32 s13, 0
	s_cselect_b32 s0, -1, 0
	s_and_b32 s0, vcc_lo, s0
	s_and_saveexec_b32 s9, s0
	s_cbranch_execz .LBB621_10
; %bb.8:
	s_mov_b32 s7, 0
	v_mov_b32_e32 v1, 0
	s_lshl_b64 s[0:1], s[6:7], 2
	s_mov_b32 s7, s13
	s_add_u32 s0, s15, s0
	s_addc_u32 s1, s33, s1
	s_lshl_b64 s[2:3], s[10:11], 2
.LBB621_9:                              ; =>This Inner Loop Header: Depth=1
	s_add_i32 s7, s7, -1
	global_store_dword v1, v1, s[0:1]
	s_add_u32 s0, s0, s2
	s_addc_u32 s1, s1, s3
	s_cmp_eq_u32 s7, 0
	s_cbranch_scc0 .LBB621_9
.LBB621_10:
	s_or_b32 exec_lo, exec_lo, s9
	s_mov_b32 s0, 0
.LBB621_11:
	s_andn2_b32 vcc_lo, exec_lo, s0
	s_cbranch_vccnz .LBB621_86
; %bb.12:
	s_lshl_b32 s0, s6, 10
	s_clause 0x1
	s_load_dword s16, s[4:5], 0x28
	s_load_dword s22, s[4:5], 0x48
	v_lshl_or_b32 v13, v0, 2, s0
	s_ashr_i32 s0, s12, 31
	s_lshr_b32 s1, s8, 30
	s_lshr_b32 s0, s0, 30
	s_add_i32 s1, s13, s1
	v_ashrrev_i32_e32 v14, 31, v13
	s_add_i32 s0, s12, s0
	s_and_b32 s36, s1, -4
	s_and_b32 s0, s0, -4
	v_add_nc_u32_e32 v30, 4, v13
	v_lshlrev_b64 v[11:12], 1, v[13:14]
	s_sub_i32 s11, s12, s0
	v_and_b32_e32 v27, 31, v0
	v_add_nc_u32_e32 v31, s11, v13
	v_cmp_gt_u32_e64 s0, 32, v0
	v_mbcnt_lo_u32_b32 v29, -1, 0
	v_add_co_u32 v9, vcc_lo, s18, v11
	v_add_co_ci_u32_e64 v10, null, s19, v12, vcc_lo
	v_cmp_gt_u32_e64 s1, 8, v0
	v_lshrrev_b32_e32 v28, 3, v0
	v_cmp_eq_u32_e64 s2, 0, v0
	v_or_b32_e32 v26, 1, v13
	v_or_b32_e32 v25, 2, v13
	;; [unrolled: 1-line block ×3, first 2 shown]
	s_waitcnt lgkmcnt(0)
	s_ashr_i32 s17, s16, 31
	s_ashr_i32 s23, s22, 31
	s_cmp_lt_i32 s36, 1
	s_cbranch_scc1 .LBB621_61
; %bb.13:
	v_cmp_gt_u32_e32 vcc_lo, 24, v29
	v_mad_i64_i32 v[5:6], null, s22, v25, 0
	v_mad_i64_i32 v[7:8], null, s22, v24, 0
	v_cndmask_b32_e64 v1, 0, 8, vcc_lo
	v_cmp_gt_u32_e32 vcc_lo, 28, v29
	s_cmp_gt_i32 s11, 0
	s_mov_b32 s7, 0
	v_mov_b32_e32 v23, v10
	v_add_lshl_u32 v33, v1, v29, 2
	v_cndmask_b32_e64 v2, 0, 4, vcc_lo
	v_cmp_gt_u32_e32 vcc_lo, 30, v29
	v_cmp_ge_i32_e64 s3, s12, v30
	v_cmp_ge_i32_e64 s4, s12, v31
	s_cselect_b32 s37, -1, 0
	v_add_lshl_u32 v34, v2, v29, 2
	v_cndmask_b32_e64 v3, 0, 2, vcc_lo
	v_cmp_ne_u32_e32 vcc_lo, 31, v29
	v_mad_i64_i32 v[1:2], null, s22, v13, 0
	v_lshl_or_b32 v32, v29, 2, 64
	v_add_lshl_u32 v35, v3, v29, 2
	v_add_co_ci_u32_e64 v4, null, 0, v29, vcc_lo
	v_cmp_eq_u32_e64 s5, 0, v27
	v_lshlrev_b32_e32 v37, 2, v27
	v_lshlrev_b64 v[1:2], 1, v[1:2]
	v_lshlrev_b32_e32 v36, 2, v4
	v_mad_i64_i32 v[3:4], null, s22, v26, 0
	s_lshl_b64 s[8:9], s[6:7], 2
	v_and_b32_e32 v38, 28, v28
	v_add_co_u32 v14, vcc_lo, s20, v1
	v_add_co_ci_u32_e64 v15, null, s21, v2, vcc_lo
	v_lshlrev_b64 v[3:4], 1, v[3:4]
	v_lshlrev_b64 v[1:2], 1, v[5:6]
	v_mov_b32_e32 v5, 0
	v_mov_b32_e32 v22, v9
	s_add_u32 s38, s15, s8
	s_addc_u32 s39, s33, s9
	v_add_co_u32 v16, vcc_lo, s20, v3
	v_add_co_ci_u32_e64 v17, null, s21, v4, vcc_lo
	v_lshlrev_b64 v[3:4], 1, v[7:8]
	v_add_co_u32 v18, vcc_lo, s20, v1
	v_mov_b32_e32 v6, v5
	v_mov_b32_e32 v7, v5
	;; [unrolled: 1-line block ×3, first 2 shown]
	v_add_co_ci_u32_e64 v19, null, s21, v2, vcc_lo
	v_add_co_u32 v20, vcc_lo, s20, v3
	v_add_co_ci_u32_e64 v21, null, s21, v4, vcc_lo
	v_mov_b32_e32 v1, v5
	v_mov_b32_e32 v2, v6
	;; [unrolled: 1-line block ×4, first 2 shown]
	s_lshl_b64 s[24:25], s[22:23], 1
	s_mul_hi_i32 s40, s16, 6
	s_mul_i32 s41, s16, 6
	s_lshl_b64 s[26:27], s[16:17], 3
	s_lshl_b64 s[28:29], s[16:17], 2
	;; [unrolled: 1-line block ×3, first 2 shown]
	s_branch .LBB621_15
.LBB621_14:                             ;   in Loop: Header=BB621_15 Depth=1
	s_or_b32 exec_lo, exec_lo, s8
	v_add_co_u32 v22, vcc_lo, v22, s26
	v_add_co_ci_u32_e64 v23, null, s27, v23, vcc_lo
	s_add_i32 s7, s7, 4
	s_cmp_ge_i32 s7, s36
	s_cbranch_scc1 .LBB621_62
.LBB621_15:                             ; =>This Loop Header: Depth=1
                                        ;     Child Loop BB621_46 Depth 2
                                        ;     Child Loop BB621_49 Depth 2
                                        ; implicit-def: $vgpr8
                                        ; implicit-def: $vgpr39
                                        ; implicit-def: $vgpr40
                                        ; implicit-def: $vgpr41
	s_and_saveexec_b32 s8, s3
	s_xor_b32 s8, exec_lo, s8
	s_cbranch_execnz .LBB621_42
; %bb.16:                               ;   in Loop: Header=BB621_15 Depth=1
	s_andn2_saveexec_b32 s42, s8
	s_cbranch_execnz .LBB621_43
.LBB621_17:                             ;   in Loop: Header=BB621_15 Depth=1
	s_or_b32 exec_lo, exec_lo, s42
	s_and_saveexec_b32 s8, s0
.LBB621_18:                             ;   in Loop: Header=BB621_15 Depth=1
	ds_write_b32 v37, v5
.LBB621_19:                             ;   in Loop: Header=BB621_15 Depth=1
	s_or_b32 exec_lo, exec_lo, s8
	ds_bpermute_b32 v6, v32, v41
	s_waitcnt lgkmcnt(0)
	s_waitcnt_vscnt null, 0x0
	s_barrier
	buffer_gl0_inv
	v_add_f32_e32 v6, v41, v6
	ds_bpermute_b32 v7, v33, v6
	s_waitcnt lgkmcnt(0)
	v_add_f32_e32 v6, v6, v7
	ds_bpermute_b32 v7, v34, v6
	s_waitcnt lgkmcnt(0)
	;; [unrolled: 3-line block ×3, first 2 shown]
	v_add_f32_e32 v6, v6, v7
	ds_bpermute_b32 v7, v36, v6
	s_and_saveexec_b32 s8, s5
	s_cbranch_execz .LBB621_21
; %bb.20:                               ;   in Loop: Header=BB621_15 Depth=1
	s_waitcnt lgkmcnt(0)
	v_add_f32_e32 v6, v6, v7
	ds_write_b32 v38, v6
.LBB621_21:                             ;   in Loop: Header=BB621_15 Depth=1
	s_or_b32 exec_lo, exec_lo, s8
	v_mov_b32_e32 v6, 0
	s_waitcnt lgkmcnt(0)
	s_barrier
	buffer_gl0_inv
	s_and_saveexec_b32 s8, s1
	s_cbranch_execnz .LBB621_50
; %bb.22:                               ;   in Loop: Header=BB621_15 Depth=1
	s_or_b32 exec_lo, exec_lo, s8
	s_and_saveexec_b32 s8, s0
	s_cbranch_execnz .LBB621_51
.LBB621_23:                             ;   in Loop: Header=BB621_15 Depth=1
	s_or_b32 exec_lo, exec_lo, s8
	s_and_saveexec_b32 s8, s0
.LBB621_24:                             ;   in Loop: Header=BB621_15 Depth=1
	ds_write_b32 v37, v5
.LBB621_25:                             ;   in Loop: Header=BB621_15 Depth=1
	s_or_b32 exec_lo, exec_lo, s8
	ds_bpermute_b32 v7, v32, v40
	s_waitcnt lgkmcnt(0)
	s_barrier
	buffer_gl0_inv
	v_add_f32_e32 v7, v40, v7
	ds_bpermute_b32 v40, v33, v7
	s_waitcnt lgkmcnt(0)
	v_add_f32_e32 v7, v7, v40
	ds_bpermute_b32 v40, v34, v7
	s_waitcnt lgkmcnt(0)
	;; [unrolled: 3-line block ×3, first 2 shown]
	v_add_f32_e32 v7, v7, v40
	ds_bpermute_b32 v40, v36, v7
	s_and_saveexec_b32 s8, s5
	s_cbranch_execz .LBB621_27
; %bb.26:                               ;   in Loop: Header=BB621_15 Depth=1
	s_waitcnt lgkmcnt(0)
	v_add_f32_e32 v7, v7, v40
	ds_write_b32 v38, v7
.LBB621_27:                             ;   in Loop: Header=BB621_15 Depth=1
	s_or_b32 exec_lo, exec_lo, s8
	v_mov_b32_e32 v7, 0
	s_waitcnt lgkmcnt(0)
	s_barrier
	buffer_gl0_inv
	s_and_saveexec_b32 s8, s1
	s_cbranch_execnz .LBB621_52
; %bb.28:                               ;   in Loop: Header=BB621_15 Depth=1
	s_or_b32 exec_lo, exec_lo, s8
	s_and_saveexec_b32 s8, s0
	s_cbranch_execnz .LBB621_53
.LBB621_29:                             ;   in Loop: Header=BB621_15 Depth=1
	s_or_b32 exec_lo, exec_lo, s8
	s_and_saveexec_b32 s8, s0
.LBB621_30:                             ;   in Loop: Header=BB621_15 Depth=1
	ds_write_b32 v37, v5
.LBB621_31:                             ;   in Loop: Header=BB621_15 Depth=1
	s_or_b32 exec_lo, exec_lo, s8
	ds_bpermute_b32 v40, v32, v39
	s_waitcnt lgkmcnt(0)
	s_barrier
	buffer_gl0_inv
	v_add_f32_e32 v39, v39, v40
	ds_bpermute_b32 v40, v33, v39
	s_waitcnt lgkmcnt(0)
	v_add_f32_e32 v39, v39, v40
	ds_bpermute_b32 v40, v34, v39
	s_waitcnt lgkmcnt(0)
	;; [unrolled: 3-line block ×3, first 2 shown]
	v_add_f32_e32 v39, v39, v40
	ds_bpermute_b32 v40, v36, v39
	s_and_saveexec_b32 s8, s5
	s_cbranch_execz .LBB621_33
; %bb.32:                               ;   in Loop: Header=BB621_15 Depth=1
	s_waitcnt lgkmcnt(0)
	v_add_f32_e32 v39, v39, v40
	ds_write_b32 v38, v39
.LBB621_33:                             ;   in Loop: Header=BB621_15 Depth=1
	s_or_b32 exec_lo, exec_lo, s8
	v_mov_b32_e32 v39, 0
	s_waitcnt lgkmcnt(0)
	s_barrier
	buffer_gl0_inv
	s_and_saveexec_b32 s8, s1
	s_cbranch_execnz .LBB621_54
; %bb.34:                               ;   in Loop: Header=BB621_15 Depth=1
	s_or_b32 exec_lo, exec_lo, s8
	s_and_saveexec_b32 s8, s0
	s_cbranch_execnz .LBB621_55
.LBB621_35:                             ;   in Loop: Header=BB621_15 Depth=1
	s_or_b32 exec_lo, exec_lo, s8
	s_and_saveexec_b32 s8, s0
.LBB621_36:                             ;   in Loop: Header=BB621_15 Depth=1
	ds_write_b32 v37, v5
.LBB621_37:                             ;   in Loop: Header=BB621_15 Depth=1
	s_or_b32 exec_lo, exec_lo, s8
	ds_bpermute_b32 v40, v32, v8
	s_waitcnt lgkmcnt(0)
	s_barrier
	buffer_gl0_inv
	v_add_f32_e32 v8, v8, v40
	ds_bpermute_b32 v40, v33, v8
	s_waitcnt lgkmcnt(0)
	v_add_f32_e32 v8, v8, v40
	ds_bpermute_b32 v40, v34, v8
	s_waitcnt lgkmcnt(0)
	;; [unrolled: 3-line block ×3, first 2 shown]
	v_add_f32_e32 v8, v8, v40
	ds_bpermute_b32 v40, v36, v8
	s_and_saveexec_b32 s8, s5
	s_cbranch_execz .LBB621_39
; %bb.38:                               ;   in Loop: Header=BB621_15 Depth=1
	s_waitcnt lgkmcnt(0)
	v_add_f32_e32 v8, v8, v40
	ds_write_b32 v38, v8
.LBB621_39:                             ;   in Loop: Header=BB621_15 Depth=1
	s_or_b32 exec_lo, exec_lo, s8
	v_mov_b32_e32 v8, 0
	s_waitcnt lgkmcnt(0)
	s_barrier
	buffer_gl0_inv
	s_and_saveexec_b32 s8, s1
	s_cbranch_execnz .LBB621_56
; %bb.40:                               ;   in Loop: Header=BB621_15 Depth=1
	s_or_b32 exec_lo, exec_lo, s8
	s_and_saveexec_b32 s8, s0
	s_cbranch_execnz .LBB621_57
.LBB621_41:                             ;   in Loop: Header=BB621_15 Depth=1
	s_or_b32 exec_lo, exec_lo, s8
	s_and_saveexec_b32 s8, s2
	s_cbranch_execz .LBB621_14
	s_branch .LBB621_58
.LBB621_42:                             ;   in Loop: Header=BB621_15 Depth=1
	s_mul_i32 s9, s7, s17
	s_mul_hi_u32 s35, s7, s16
	s_mul_i32 s34, s7, s16
	s_add_i32 s35, s35, s9
	s_or_b32 s9, s7, 1
	s_lshl_b64 s[34:35], s[34:35], 1
	v_add_co_u32 v1, vcc_lo, v9, s34
	v_add_co_ci_u32_e64 v2, null, s35, v10, vcc_lo
	s_mul_i32 s34, s9, s17
	s_mul_hi_u32 s35, s9, s16
	s_add_i32 s35, s35, s34
	s_mul_i32 s34, s9, s16
	s_or_b32 s9, s7, 2
	s_lshl_b64 s[34:35], s[34:35], 1
	flat_load_dwordx2 v[6:7], v[1:2]
	s_mul_i32 s42, s9, s17
	s_mul_hi_u32 s43, s9, s16
	v_add_co_u32 v1, vcc_lo, v9, s34
	v_add_co_ci_u32_e64 v2, null, s35, v10, vcc_lo
	s_add_i32 s35, s43, s42
	s_or_b32 s42, s7, 3
	s_mul_i32 s34, s9, s16
	s_mul_i32 s9, s42, s17
	s_mul_hi_u32 s43, s42, s16
	s_lshl_b64 s[34:35], s[34:35], 1
	s_add_i32 s43, s43, s9
	s_mul_i32 s42, s42, s16
	v_add_co_u32 v3, vcc_lo, v9, s34
	v_add_co_ci_u32_e64 v4, null, s35, v10, vcc_lo
	s_lshl_b64 s[34:35], s[42:43], 1
	s_waitcnt lgkmcnt(1)
	s_clause 0x3
	flat_load_ushort v8, v[14:15]
	flat_load_ushort v47, v[16:17]
	;; [unrolled: 1-line block ×4, first 2 shown]
	v_add_co_u32 v39, vcc_lo, v9, s34
	v_add_co_ci_u32_e64 v40, null, s35, v10, vcc_lo
	s_clause 0x2
	flat_load_dwordx2 v[41:42], v[1:2]
	flat_load_dwordx2 v[43:44], v[3:4]
	;; [unrolled: 1-line block ×3, first 2 shown]
	s_waitcnt vmcnt(6) lgkmcnt(6)
	v_lshlrev_b32_e32 v1, 16, v8
	v_lshlrev_b32_e32 v8, 16, v6
	s_waitcnt vmcnt(4) lgkmcnt(4)
	v_lshlrev_b32_e32 v3, 16, v48
	v_lshlrev_b32_e32 v2, 16, v47
	s_waitcnt vmcnt(3) lgkmcnt(3)
	v_lshlrev_b32_e32 v4, 16, v49
	v_and_b32_e32 v6, 0xffff0000, v6
	v_lshlrev_b32_e32 v47, 16, v7
	s_waitcnt vmcnt(2) lgkmcnt(2)
	v_lshlrev_b32_e32 v39, 16, v41
	s_waitcnt vmcnt(1) lgkmcnt(1)
	;; [unrolled: 2-line block ×3, first 2 shown]
	v_and_b32_e32 v50, 0xffff0000, v45
	v_lshlrev_b32_e32 v45, 16, v45
	v_and_b32_e32 v49, 0xffff0000, v41
	v_and_b32_e32 v43, 0xffff0000, v43
	v_fma_f32 v41, v1, v8, 0
	v_fma_f32 v40, v1, v39, 0
	;; [unrolled: 1-line block ×4, first 2 shown]
	v_lshlrev_b32_e32 v51, 16, v42
	v_lshlrev_b32_e32 v52, 16, v44
	;; [unrolled: 1-line block ×3, first 2 shown]
	v_fmac_f32_e32 v41, v2, v6
	v_fmac_f32_e32 v40, v2, v49
	;; [unrolled: 1-line block ×4, first 2 shown]
	v_and_b32_e32 v7, 0xffff0000, v7
	v_and_b32_e32 v42, 0xffff0000, v42
	;; [unrolled: 1-line block ×4, first 2 shown]
	v_fmac_f32_e32 v41, v3, v47
	v_fmac_f32_e32 v40, v3, v51
	;; [unrolled: 1-line block ×8, first 2 shown]
	s_andn2_saveexec_b32 s42, s8
	s_cbranch_execz .LBB621_17
.LBB621_43:                             ;   in Loop: Header=BB621_15 Depth=1
	s_waitcnt lgkmcnt(0)
	v_mov_b32_e32 v8, 0
	v_mov_b32_e32 v39, 0
	;; [unrolled: 1-line block ×4, first 2 shown]
	s_and_saveexec_b32 s43, s4
	s_cbranch_execz .LBB621_60
; %bb.44:                               ;   in Loop: Header=BB621_15 Depth=1
	s_andn2_b32 vcc_lo, exec_lo, s37
	s_cbranch_vccnz .LBB621_47
; %bb.45:                               ;   in Loop: Header=BB621_15 Depth=1
	v_mov_b32_e32 v6, v14
	v_mov_b32_e32 v7, v15
	s_mov_b64 s[34:35], 0
	.p2align	6
.LBB621_46:                             ;   Parent Loop BB621_15 Depth=1
                                        ; =>  This Inner Loop Header: Depth=2
	flat_load_ushort v8, v[6:7]
	s_cmp_eq_u32 s34, 3
	v_add_co_u32 v6, vcc_lo, v6, s24
	v_add_co_ci_u32_e64 v7, null, s25, v7, vcc_lo
	s_cselect_b32 vcc_lo, -1, 0
	s_cmp_eq_u32 s34, 2
	s_cselect_b32 s8, -1, 0
	s_cmp_eq_u32 s34, 1
	s_cselect_b32 s9, -1, 0
	s_cmp_eq_u32 s34, 0
	s_waitcnt vmcnt(0) lgkmcnt(0)
	v_lshlrev_b32_e32 v8, 16, v8
	v_cndmask_b32_e32 v4, v4, v8, vcc_lo
	s_cselect_b32 vcc_lo, -1, 0
	v_cndmask_b32_e64 v3, v3, v8, s8
	v_cndmask_b32_e64 v2, v2, v8, s9
	v_cndmask_b32_e32 v1, v1, v8, vcc_lo
	s_add_u32 s34, s34, 1
	s_addc_u32 s35, s35, 0
	s_cmp_eq_u32 s11, s34
	s_cbranch_scc0 .LBB621_46
.LBB621_47:                             ;   in Loop: Header=BB621_15 Depth=1
	s_andn2_b32 vcc_lo, exec_lo, s37
	s_cbranch_vccnz .LBB621_59
; %bb.48:                               ;   in Loop: Header=BB621_15 Depth=1
	v_mov_b32_e32 v6, v22
	v_mov_b32_e32 v41, 0
	;; [unrolled: 1-line block ×6, first 2 shown]
	s_mov_b64 s[34:35], 0
	s_inst_prefetch 0x1
	.p2align	6
.LBB621_49:                             ;   Parent Loop BB621_15 Depth=1
                                        ; =>  This Inner Loop Header: Depth=2
	v_add_co_u32 v42, vcc_lo, v6, s30
	v_add_co_ci_u32_e64 v43, null, s31, v7, vcc_lo
	v_add_co_u32 v44, vcc_lo, v6, s28
	v_add_co_ci_u32_e64 v45, null, s29, v7, vcc_lo
	;; [unrolled: 2-line block ×3, first 2 shown]
	s_clause 0x3
	flat_load_ushort v48, v[6:7]
	flat_load_ushort v42, v[42:43]
	;; [unrolled: 1-line block ×4, first 2 shown]
	s_cmp_eq_u32 s34, 1
	v_add_co_u32 v6, s8, v6, 2
	s_cselect_b32 vcc_lo, -1, 0
	s_cmp_eq_u32 s34, 2
	v_cndmask_b32_e32 v45, v1, v2, vcc_lo
	s_cselect_b32 vcc_lo, -1, 0
	s_cmp_eq_u32 s34, 3
	v_add_co_ci_u32_e64 v7, null, 0, v7, s8
	v_cndmask_b32_e32 v45, v45, v3, vcc_lo
	s_cselect_b32 vcc_lo, -1, 0
	s_add_u32 s34, s34, 1
	s_addc_u32 s35, s35, 0
	s_cmp_lg_u32 s11, s34
	v_cndmask_b32_e32 v45, v45, v4, vcc_lo
	s_waitcnt vmcnt(3) lgkmcnt(3)
	v_lshlrev_b32_e32 v46, 16, v48
	s_waitcnt vmcnt(2) lgkmcnt(2)
	v_lshlrev_b32_e32 v42, 16, v42
	;; [unrolled: 2-line block ×4, first 2 shown]
	v_fmac_f32_e32 v41, v45, v46
	v_fmac_f32_e32 v40, v45, v42
	;; [unrolled: 1-line block ×4, first 2 shown]
	s_cbranch_scc1 .LBB621_49
	s_branch .LBB621_60
.LBB621_50:                             ;   in Loop: Header=BB621_15 Depth=1
	ds_read_b32 v6, v37
	s_or_b32 exec_lo, exec_lo, s8
	s_and_saveexec_b32 s8, s0
	s_cbranch_execz .LBB621_23
.LBB621_51:                             ;   in Loop: Header=BB621_15 Depth=1
	s_waitcnt lgkmcnt(0)
	ds_bpermute_b32 v7, v34, v6
	s_waitcnt lgkmcnt(0)
	v_add_f32_e32 v6, v6, v7
	ds_bpermute_b32 v7, v35, v6
	s_waitcnt lgkmcnt(0)
	v_add_f32_e32 v6, v6, v7
	;; [unrolled: 3-line block ×3, first 2 shown]
	s_or_b32 exec_lo, exec_lo, s8
	s_and_saveexec_b32 s8, s0
	s_cbranch_execnz .LBB621_24
	s_branch .LBB621_25
.LBB621_52:                             ;   in Loop: Header=BB621_15 Depth=1
	ds_read_b32 v7, v37
	s_or_b32 exec_lo, exec_lo, s8
	s_and_saveexec_b32 s8, s0
	s_cbranch_execz .LBB621_29
.LBB621_53:                             ;   in Loop: Header=BB621_15 Depth=1
	s_waitcnt lgkmcnt(0)
	ds_bpermute_b32 v40, v34, v7
	s_waitcnt lgkmcnt(0)
	v_add_f32_e32 v7, v7, v40
	ds_bpermute_b32 v40, v35, v7
	s_waitcnt lgkmcnt(0)
	v_add_f32_e32 v7, v7, v40
	;; [unrolled: 3-line block ×3, first 2 shown]
	s_or_b32 exec_lo, exec_lo, s8
	s_and_saveexec_b32 s8, s0
	s_cbranch_execnz .LBB621_30
	s_branch .LBB621_31
.LBB621_54:                             ;   in Loop: Header=BB621_15 Depth=1
	ds_read_b32 v39, v37
	s_or_b32 exec_lo, exec_lo, s8
	s_and_saveexec_b32 s8, s0
	s_cbranch_execz .LBB621_35
.LBB621_55:                             ;   in Loop: Header=BB621_15 Depth=1
	s_waitcnt lgkmcnt(0)
	ds_bpermute_b32 v40, v34, v39
	s_waitcnt lgkmcnt(0)
	v_add_f32_e32 v39, v39, v40
	ds_bpermute_b32 v40, v35, v39
	s_waitcnt lgkmcnt(0)
	v_add_f32_e32 v39, v39, v40
	;; [unrolled: 3-line block ×3, first 2 shown]
	s_or_b32 exec_lo, exec_lo, s8
	s_and_saveexec_b32 s8, s0
	s_cbranch_execnz .LBB621_36
	s_branch .LBB621_37
.LBB621_56:                             ;   in Loop: Header=BB621_15 Depth=1
	ds_read_b32 v8, v37
	s_or_b32 exec_lo, exec_lo, s8
	s_and_saveexec_b32 s8, s0
	s_cbranch_execz .LBB621_41
.LBB621_57:                             ;   in Loop: Header=BB621_15 Depth=1
	s_waitcnt lgkmcnt(0)
	ds_bpermute_b32 v40, v34, v8
	s_waitcnt lgkmcnt(0)
	v_add_f32_e32 v8, v8, v40
	ds_bpermute_b32 v40, v35, v8
	s_waitcnt lgkmcnt(0)
	v_add_f32_e32 v8, v8, v40
	;; [unrolled: 3-line block ×3, first 2 shown]
	s_or_b32 exec_lo, exec_lo, s8
	s_and_saveexec_b32 s8, s2
	s_cbranch_execz .LBB621_14
.LBB621_58:                             ;   in Loop: Header=BB621_15 Depth=1
	s_mul_hi_u32 s35, s7, s10
	s_mul_i32 s34, s7, s10
	v_mul_f32_e32 v6, s14, v6
	s_lshl_b64 s[34:35], s[34:35], 2
	v_mul_f32_e32 v7, s14, v7
	s_add_u32 s34, s38, s34
	s_addc_u32 s35, s39, s35
	s_or_b32 s9, s7, 1
	global_store_dword v5, v6, s[34:35]
	s_mul_hi_u32 s43, s9, s10
	s_mul_i32 s42, s9, s10
	v_mul_f32_e32 v6, s14, v39
	s_lshl_b64 s[42:43], s[42:43], 2
	s_waitcnt lgkmcnt(0)
	v_mul_f32_e32 v8, s14, v8
	s_add_u32 s42, s38, s42
	s_addc_u32 s43, s39, s43
	s_or_b32 s9, s7, 2
	global_store_dword v5, v7, s[42:43]
	s_mul_hi_u32 s45, s9, s10
	s_mul_i32 s44, s9, s10
	s_lshl_b64 s[44:45], s[44:45], 2
	s_add_u32 s34, s38, s44
	s_addc_u32 s35, s39, s45
	s_or_b32 s9, s7, 3
	s_mul_hi_u32 s45, s9, s10
	s_mul_i32 s44, s9, s10
	s_lshl_b64 s[44:45], s[44:45], 2
	s_add_u32 s42, s38, s44
	s_addc_u32 s43, s39, s45
	global_store_dword v5, v6, s[34:35]
	global_store_dword v5, v8, s[42:43]
	s_branch .LBB621_14
.LBB621_59:                             ;   in Loop: Header=BB621_15 Depth=1
	v_mov_b32_e32 v8, 0
	v_mov_b32_e32 v39, 0
	;; [unrolled: 1-line block ×4, first 2 shown]
.LBB621_60:                             ;   in Loop: Header=BB621_15 Depth=1
	s_inst_prefetch 0x2
	s_or_b32 exec_lo, exec_lo, s43
	s_or_b32 exec_lo, exec_lo, s42
	s_and_saveexec_b32 s8, s0
	s_cbranch_execnz .LBB621_18
	s_branch .LBB621_19
.LBB621_61:
	v_mov_b32_e32 v1, 0
	s_mov_b32 s7, 0
	v_mov_b32_e32 v2, v1
	v_mov_b32_e32 v3, v1
	v_mov_b32_e32 v4, v1
.LBB621_62:
	s_cmp_ge_i32 s7, s13
	s_cbranch_scc1 .LBB621_86
; %bb.63:
	v_cmp_gt_u32_e32 vcc_lo, 24, v29
	v_lshl_or_b32 v20, v29, 2, 64
	v_mad_i64_i32 v[15:16], null, s22, v24, 0
	s_cmp_gt_i32 s11, 0
	v_cndmask_b32_e64 v5, 0, 8, vcc_lo
	v_cmp_gt_u32_e32 vcc_lo, 28, v29
	s_mov_b32 s9, 0
	s_mov_b32 s8, s6
	v_cmp_ge_i32_e64 s0, s12, v30
	v_add_lshl_u32 v21, v5, v29, 2
	v_cndmask_b32_e64 v6, 0, 4, vcc_lo
	v_cmp_gt_u32_e32 vcc_lo, 30, v29
	v_lshlrev_b64 v[15:16], 1, v[15:16]
	v_cmp_ge_i32_e64 s1, s12, v31
	s_cselect_b32 s12, -1, 0
	v_add_lshl_u32 v22, v6, v29, 2
	v_cndmask_b32_e64 v7, 0, 2, vcc_lo
	v_cmp_ne_u32_e32 vcc_lo, 31, v29
	v_mad_i64_i32 v[5:6], null, s22, v13, 0
	v_mad_i64_i32 v[13:14], null, s22, v25, 0
	s_waitcnt lgkmcnt(0)
	v_add_co_ci_u32_e64 v8, null, 0, v29, vcc_lo
	v_add_lshl_u32 v23, v7, v29, 2
	s_lshl_b64 s[24:25], s[8:9], 2
	v_lshlrev_b64 v[5:6], 1, v[5:6]
	v_lshlrev_b32_e32 v29, 2, v8
	v_mad_i64_i32 v[7:8], null, s22, v26, 0
	v_lshlrev_b64 v[13:14], 1, v[13:14]
	s_mul_i32 s6, s17, s7
	v_add_co_u32 v5, vcc_lo, s20, v5
	v_add_co_ci_u32_e64 v6, null, s21, v6, vcc_lo
	v_lshlrev_b64 v[7:8], 1, v[7:8]
	s_mul_hi_u32 s8, s16, s7
	s_add_u32 s15, s15, s24
	s_addc_u32 s24, s33, s25
	s_add_i32 s27, s8, s6
	s_mul_i32 s26, s16, s7
	v_add_co_u32 v7, vcc_lo, s20, v7
	v_add_co_ci_u32_e64 v8, null, s21, v8, vcc_lo
	v_add_co_u32 v13, vcc_lo, s20, v13
	v_add_co_ci_u32_e64 v14, null, s21, v14, vcc_lo
	v_add_co_u32 v15, vcc_lo, s20, v15
	s_lshl_b64 s[26:27], s[26:27], 1
	v_add_co_ci_u32_e64 v16, null, s21, v16, vcc_lo
	s_lshl_b64 s[20:21], s[22:23], 1
	s_add_u32 s6, s18, s26
	s_addc_u32 s8, s19, s27
	v_add_co_u32 v11, vcc_lo, s6, v11
	v_cmp_gt_u32_e64 s2, 32, v0
	v_lshlrev_b32_e32 v19, 2, v27
	v_cmp_eq_u32_e64 s3, 0, v27
	v_and_b32_e32 v27, 28, v28
	v_cmp_gt_u32_e64 s4, 8, v0
	v_cmp_eq_u32_e64 s5, 0, v0
	v_add_co_ci_u32_e64 v12, null, s8, v12, vcc_lo
	v_mov_b32_e32 v0, 0
	s_lshl_b64 s[18:19], s[16:17], 1
	s_branch .LBB621_65
.LBB621_64:                             ;   in Loop: Header=BB621_65 Depth=1
	s_or_b32 exec_lo, exec_lo, s6
	v_add_co_u32 v11, vcc_lo, v11, s18
	v_add_co_ci_u32_e64 v12, null, s19, v12, vcc_lo
	s_add_i32 s7, s7, 1
	s_cmp_ge_i32 s7, s13
	s_cbranch_scc1 .LBB621_86
.LBB621_65:                             ; =>This Loop Header: Depth=1
                                        ;     Child Loop BB621_78 Depth 2
                                        ;     Child Loop BB621_81 Depth 2
	v_mov_b32_e32 v24, s9
	s_and_saveexec_b32 s6, s0
	s_xor_b32 s6, exec_lo, s6
	s_cbranch_execnz .LBB621_74
; %bb.66:                               ;   in Loop: Header=BB621_65 Depth=1
	s_andn2_saveexec_b32 s25, s6
	s_cbranch_execnz .LBB621_75
.LBB621_67:                             ;   in Loop: Header=BB621_65 Depth=1
	s_or_b32 exec_lo, exec_lo, s25
	s_and_saveexec_b32 s6, s2
.LBB621_68:                             ;   in Loop: Header=BB621_65 Depth=1
	ds_write_b32 v19, v0
.LBB621_69:                             ;   in Loop: Header=BB621_65 Depth=1
	s_or_b32 exec_lo, exec_lo, s6
	s_waitcnt lgkmcnt(0)
	ds_bpermute_b32 v17, v20, v24
	s_waitcnt lgkmcnt(0)
	s_waitcnt_vscnt null, 0x0
	s_barrier
	buffer_gl0_inv
	v_add_f32_e32 v17, v24, v17
	ds_bpermute_b32 v18, v21, v17
	s_waitcnt lgkmcnt(0)
	v_add_f32_e32 v17, v17, v18
	ds_bpermute_b32 v18, v22, v17
	s_waitcnt lgkmcnt(0)
	;; [unrolled: 3-line block ×3, first 2 shown]
	v_add_f32_e32 v17, v17, v18
	ds_bpermute_b32 v18, v29, v17
	s_and_saveexec_b32 s6, s3
	s_cbranch_execz .LBB621_71
; %bb.70:                               ;   in Loop: Header=BB621_65 Depth=1
	s_waitcnt lgkmcnt(0)
	v_add_f32_e32 v17, v17, v18
	ds_write_b32 v27, v17
.LBB621_71:                             ;   in Loop: Header=BB621_65 Depth=1
	s_or_b32 exec_lo, exec_lo, s6
	v_mov_b32_e32 v17, 0
	s_waitcnt lgkmcnt(0)
	s_barrier
	buffer_gl0_inv
	s_and_saveexec_b32 s6, s4
	s_cbranch_execnz .LBB621_83
; %bb.72:                               ;   in Loop: Header=BB621_65 Depth=1
	s_or_b32 exec_lo, exec_lo, s6
	s_and_saveexec_b32 s6, s2
	s_cbranch_execnz .LBB621_84
.LBB621_73:                             ;   in Loop: Header=BB621_65 Depth=1
	s_or_b32 exec_lo, exec_lo, s6
	s_and_saveexec_b32 s6, s5
	s_cbranch_execz .LBB621_64
	s_branch .LBB621_85
.LBB621_74:                             ;   in Loop: Header=BB621_65 Depth=1
	s_mul_i32 s8, s7, s17
	s_mul_hi_u32 s23, s7, s16
	s_mul_i32 s22, s7, s16
	s_add_i32 s23, s23, s8
	s_lshl_b64 s[22:23], s[22:23], 1
	v_add_co_u32 v1, vcc_lo, v9, s22
	v_add_co_ci_u32_e64 v2, null, s23, v10, vcc_lo
	flat_load_ushort v3, v[5:6]
	s_waitcnt lgkmcnt(1)
	flat_load_dwordx2 v[17:18], v[1:2]
	s_clause 0x2
	flat_load_ushort v2, v[7:8]
	flat_load_ushort v4, v[13:14]
	;; [unrolled: 1-line block ×3, first 2 shown]
	s_waitcnt vmcnt(4) lgkmcnt(4)
	v_lshlrev_b32_e32 v1, 16, v3
	s_waitcnt vmcnt(3) lgkmcnt(3)
	v_lshlrev_b32_e32 v3, 16, v17
	s_waitcnt vmcnt(2) lgkmcnt(2)
	v_lshlrev_b32_e32 v2, 16, v2
	v_and_b32_e32 v17, 0xffff0000, v17
	v_fma_f32 v24, v1, v3, 0
	s_waitcnt vmcnt(1) lgkmcnt(1)
	v_lshlrev_b32_e32 v3, 16, v4
	s_waitcnt vmcnt(0) lgkmcnt(0)
	v_lshlrev_b32_e32 v4, 16, v25
	v_fmac_f32_e32 v24, v2, v17
	v_lshlrev_b32_e32 v17, 16, v18
	v_and_b32_e32 v18, 0xffff0000, v18
	v_fmac_f32_e32 v24, v3, v17
	v_fmac_f32_e32 v24, v4, v18
	s_andn2_saveexec_b32 s25, s6
	s_cbranch_execz .LBB621_67
.LBB621_75:                             ;   in Loop: Header=BB621_65 Depth=1
	s_and_saveexec_b32 s26, s1
	s_cbranch_execz .LBB621_82
; %bb.76:                               ;   in Loop: Header=BB621_65 Depth=1
	s_andn2_b32 vcc_lo, exec_lo, s12
	s_cbranch_vccnz .LBB621_79
; %bb.77:                               ;   in Loop: Header=BB621_65 Depth=1
	s_waitcnt lgkmcnt(0)
	v_mov_b32_e32 v18, v6
	v_mov_b32_e32 v17, v5
	s_mov_b64 s[22:23], 0
	.p2align	6
.LBB621_78:                             ;   Parent Loop BB621_65 Depth=1
                                        ; =>  This Inner Loop Header: Depth=2
	flat_load_ushort v25, v[17:18]
	s_cmp_eq_u32 s22, 3
	v_add_co_u32 v17, vcc_lo, v17, s20
	v_add_co_ci_u32_e64 v18, null, s21, v18, vcc_lo
	s_cselect_b32 vcc_lo, -1, 0
	s_cmp_eq_u32 s22, 2
	s_cselect_b32 s6, -1, 0
	s_cmp_eq_u32 s22, 1
	s_cselect_b32 s8, -1, 0
	s_cmp_eq_u32 s22, 0
	s_waitcnt vmcnt(0) lgkmcnt(0)
	v_lshlrev_b32_e32 v25, 16, v25
	v_cndmask_b32_e32 v4, v4, v25, vcc_lo
	s_cselect_b32 vcc_lo, -1, 0
	v_cndmask_b32_e64 v3, v3, v25, s6
	v_cndmask_b32_e64 v2, v2, v25, s8
	v_cndmask_b32_e32 v1, v1, v25, vcc_lo
	s_add_u32 s22, s22, 1
	s_addc_u32 s23, s23, 0
	s_cmp_eq_u32 s11, s22
	s_cbranch_scc0 .LBB621_78
.LBB621_79:                             ;   in Loop: Header=BB621_65 Depth=1
	s_andn2_b32 vcc_lo, exec_lo, s12
	s_cbranch_vccnz .LBB621_82
; %bb.80:                               ;   in Loop: Header=BB621_65 Depth=1
	s_waitcnt lgkmcnt(0)
	v_mov_b32_e32 v18, v12
	v_mov_b32_e32 v17, v11
	s_mov_b64 s[22:23], 0
	.p2align	6
.LBB621_81:                             ;   Parent Loop BB621_65 Depth=1
                                        ; =>  This Inner Loop Header: Depth=2
	flat_load_ushort v25, v[17:18]
	s_cmp_eq_u32 s22, 1
	s_cselect_b32 vcc_lo, -1, 0
	s_cmp_eq_u32 s22, 2
	v_cndmask_b32_e32 v26, v1, v2, vcc_lo
	s_cselect_b32 vcc_lo, -1, 0
	s_cmp_eq_u32 s22, 3
	v_cndmask_b32_e32 v26, v26, v3, vcc_lo
	s_cselect_b32 vcc_lo, -1, 0
	s_add_u32 s22, s22, 1
	s_addc_u32 s23, s23, 0
	s_cmp_lg_u32 s11, s22
	v_cndmask_b32_e32 v26, v26, v4, vcc_lo
	v_add_co_u32 v17, vcc_lo, v17, 2
	v_add_co_ci_u32_e64 v18, null, 0, v18, vcc_lo
	s_waitcnt vmcnt(0) lgkmcnt(0)
	v_lshlrev_b32_e32 v25, 16, v25
	v_fmac_f32_e32 v24, v26, v25
	s_cbranch_scc1 .LBB621_81
.LBB621_82:                             ;   in Loop: Header=BB621_65 Depth=1
	s_or_b32 exec_lo, exec_lo, s26
	s_or_b32 exec_lo, exec_lo, s25
	s_and_saveexec_b32 s6, s2
	s_cbranch_execnz .LBB621_68
	s_branch .LBB621_69
.LBB621_83:                             ;   in Loop: Header=BB621_65 Depth=1
	ds_read_b32 v17, v19
	s_or_b32 exec_lo, exec_lo, s6
	s_and_saveexec_b32 s6, s2
	s_cbranch_execz .LBB621_73
.LBB621_84:                             ;   in Loop: Header=BB621_65 Depth=1
	s_waitcnt lgkmcnt(0)
	ds_bpermute_b32 v18, v22, v17
	s_waitcnt lgkmcnt(0)
	v_add_f32_e32 v17, v17, v18
	ds_bpermute_b32 v18, v23, v17
	s_waitcnt lgkmcnt(0)
	v_add_f32_e32 v17, v17, v18
	;; [unrolled: 3-line block ×3, first 2 shown]
	s_or_b32 exec_lo, exec_lo, s6
	s_and_saveexec_b32 s6, s5
	s_cbranch_execz .LBB621_64
.LBB621_85:                             ;   in Loop: Header=BB621_65 Depth=1
	s_mul_hi_u32 s23, s7, s10
	s_mul_i32 s22, s7, s10
	s_waitcnt lgkmcnt(0)
	v_mul_f32_e32 v17, s14, v17
	s_lshl_b64 s[22:23], s[22:23], 2
	s_add_u32 s22, s15, s22
	s_addc_u32 s23, s24, s23
	global_store_dword v0, v17, s[22:23]
	s_branch .LBB621_64
.LBB621_86:
	s_endpgm
	.section	.rodata,"a",@progbits
	.p2align	6, 0x0
	.amdhsa_kernel _ZL23rocblas_gemvt_sn_kernelILb1ELi256ELi4ElPK16rocblas_bfloat16ffEviiT4_lPKT3_lilS6_lilPT5_i
		.amdhsa_group_segment_fixed_size 128
		.amdhsa_private_segment_fixed_size 0
		.amdhsa_kernarg_size 360
		.amdhsa_user_sgpr_count 6
		.amdhsa_user_sgpr_private_segment_buffer 1
		.amdhsa_user_sgpr_dispatch_ptr 0
		.amdhsa_user_sgpr_queue_ptr 0
		.amdhsa_user_sgpr_kernarg_segment_ptr 1
		.amdhsa_user_sgpr_dispatch_id 0
		.amdhsa_user_sgpr_flat_scratch_init 0
		.amdhsa_user_sgpr_private_segment_size 0
		.amdhsa_wavefront_size32 1
		.amdhsa_uses_dynamic_stack 0
		.amdhsa_system_sgpr_private_segment_wavefront_offset 0
		.amdhsa_system_sgpr_workgroup_id_x 1
		.amdhsa_system_sgpr_workgroup_id_y 0
		.amdhsa_system_sgpr_workgroup_id_z 1
		.amdhsa_system_sgpr_workgroup_info 0
		.amdhsa_system_vgpr_workitem_id 0
		.amdhsa_next_free_vgpr 53
		.amdhsa_next_free_sgpr 46
		.amdhsa_reserve_vcc 1
		.amdhsa_reserve_flat_scratch 1
		.amdhsa_float_round_mode_32 0
		.amdhsa_float_round_mode_16_64 0
		.amdhsa_float_denorm_mode_32 3
		.amdhsa_float_denorm_mode_16_64 3
		.amdhsa_dx10_clamp 1
		.amdhsa_ieee_mode 1
		.amdhsa_fp16_overflow 0
		.amdhsa_workgroup_processor_mode 1
		.amdhsa_memory_ordered 1
		.amdhsa_forward_progress 1
		.amdhsa_shared_vgpr_count 0
		.amdhsa_exception_fp_ieee_invalid_op 0
		.amdhsa_exception_fp_denorm_src 0
		.amdhsa_exception_fp_ieee_div_zero 0
		.amdhsa_exception_fp_ieee_overflow 0
		.amdhsa_exception_fp_ieee_underflow 0
		.amdhsa_exception_fp_ieee_inexact 0
		.amdhsa_exception_int_div_zero 0
	.end_amdhsa_kernel
	.section	.text._ZL23rocblas_gemvt_sn_kernelILb1ELi256ELi4ElPK16rocblas_bfloat16ffEviiT4_lPKT3_lilS6_lilPT5_i,"axG",@progbits,_ZL23rocblas_gemvt_sn_kernelILb1ELi256ELi4ElPK16rocblas_bfloat16ffEviiT4_lPKT3_lilS6_lilPT5_i,comdat
.Lfunc_end621:
	.size	_ZL23rocblas_gemvt_sn_kernelILb1ELi256ELi4ElPK16rocblas_bfloat16ffEviiT4_lPKT3_lilS6_lilPT5_i, .Lfunc_end621-_ZL23rocblas_gemvt_sn_kernelILb1ELi256ELi4ElPK16rocblas_bfloat16ffEviiT4_lPKT3_lilS6_lilPT5_i
                                        ; -- End function
	.set _ZL23rocblas_gemvt_sn_kernelILb1ELi256ELi4ElPK16rocblas_bfloat16ffEviiT4_lPKT3_lilS6_lilPT5_i.num_vgpr, 53
	.set _ZL23rocblas_gemvt_sn_kernelILb1ELi256ELi4ElPK16rocblas_bfloat16ffEviiT4_lPKT3_lilS6_lilPT5_i.num_agpr, 0
	.set _ZL23rocblas_gemvt_sn_kernelILb1ELi256ELi4ElPK16rocblas_bfloat16ffEviiT4_lPKT3_lilS6_lilPT5_i.numbered_sgpr, 46
	.set _ZL23rocblas_gemvt_sn_kernelILb1ELi256ELi4ElPK16rocblas_bfloat16ffEviiT4_lPKT3_lilS6_lilPT5_i.num_named_barrier, 0
	.set _ZL23rocblas_gemvt_sn_kernelILb1ELi256ELi4ElPK16rocblas_bfloat16ffEviiT4_lPKT3_lilS6_lilPT5_i.private_seg_size, 0
	.set _ZL23rocblas_gemvt_sn_kernelILb1ELi256ELi4ElPK16rocblas_bfloat16ffEviiT4_lPKT3_lilS6_lilPT5_i.uses_vcc, 1
	.set _ZL23rocblas_gemvt_sn_kernelILb1ELi256ELi4ElPK16rocblas_bfloat16ffEviiT4_lPKT3_lilS6_lilPT5_i.uses_flat_scratch, 1
	.set _ZL23rocblas_gemvt_sn_kernelILb1ELi256ELi4ElPK16rocblas_bfloat16ffEviiT4_lPKT3_lilS6_lilPT5_i.has_dyn_sized_stack, 0
	.set _ZL23rocblas_gemvt_sn_kernelILb1ELi256ELi4ElPK16rocblas_bfloat16ffEviiT4_lPKT3_lilS6_lilPT5_i.has_recursion, 0
	.set _ZL23rocblas_gemvt_sn_kernelILb1ELi256ELi4ElPK16rocblas_bfloat16ffEviiT4_lPKT3_lilS6_lilPT5_i.has_indirect_call, 0
	.section	.AMDGPU.csdata,"",@progbits
; Kernel info:
; codeLenInByte = 4332
; TotalNumSgprs: 48
; NumVgprs: 53
; ScratchSize: 0
; MemoryBound: 0
; FloatMode: 240
; IeeeMode: 1
; LDSByteSize: 128 bytes/workgroup (compile time only)
; SGPRBlocks: 0
; VGPRBlocks: 6
; NumSGPRsForWavesPerEU: 48
; NumVGPRsForWavesPerEU: 53
; Occupancy: 16
; WaveLimiterHint : 0
; COMPUTE_PGM_RSRC2:SCRATCH_EN: 0
; COMPUTE_PGM_RSRC2:USER_SGPR: 6
; COMPUTE_PGM_RSRC2:TRAP_HANDLER: 0
; COMPUTE_PGM_RSRC2:TGID_X_EN: 1
; COMPUTE_PGM_RSRC2:TGID_Y_EN: 0
; COMPUTE_PGM_RSRC2:TGID_Z_EN: 1
; COMPUTE_PGM_RSRC2:TIDIG_COMP_CNT: 0
	.section	.text._ZL20rocblas_gemvt_kernelILb1ELi256EPK16rocblas_bfloat16PKfKPS0_EviiT2_lPKT1_lilSA_lilS7_lPT3_lili,"axG",@progbits,_ZL20rocblas_gemvt_kernelILb1ELi256EPK16rocblas_bfloat16PKfKPS0_EviiT2_lPKT1_lilSA_lilS7_lPT3_lili,comdat
	.globl	_ZL20rocblas_gemvt_kernelILb1ELi256EPK16rocblas_bfloat16PKfKPS0_EviiT2_lPKT1_lilSA_lilS7_lPT3_lili ; -- Begin function _ZL20rocblas_gemvt_kernelILb1ELi256EPK16rocblas_bfloat16PKfKPS0_EviiT2_lPKT1_lilSA_lilS7_lPT3_lili
	.p2align	8
	.type	_ZL20rocblas_gemvt_kernelILb1ELi256EPK16rocblas_bfloat16PKfKPS0_EviiT2_lPKT1_lilSA_lilS7_lPT3_lili,@function
_ZL20rocblas_gemvt_kernelILb1ELi256EPK16rocblas_bfloat16PKfKPS0_EviiT2_lPKT1_lilSA_lilS7_lPT3_lili: ; @_ZL20rocblas_gemvt_kernelILb1ELi256EPK16rocblas_bfloat16PKfKPS0_EviiT2_lPKT1_lilSA_lilS7_lPT3_lili
; %bb.0:
	s_clause 0x1
	s_load_dwordx8 s[16:23], s[4:5], 0x8
	s_load_dwordx8 s[8:15], s[4:5], 0x58
	s_mov_b32 s0, s7
	s_waitcnt lgkmcnt(0)
	s_mul_i32 s1, s19, s7
	s_mul_hi_u32 s3, s18, s7
	s_mul_i32 s2, s18, s7
	s_add_i32 s3, s3, s1
	s_mul_i32 s1, s11, s7
	s_lshl_b64 s[2:3], s[2:3], 2
	s_mul_hi_u32 s7, s10, s7
	s_add_u32 s2, s16, s2
	s_addc_u32 s3, s17, s3
	s_add_i32 s11, s7, s1
	s_mul_i32 s10, s10, s0
	s_lshl_b64 s[10:11], s[10:11], 2
	s_add_u32 s8, s8, s10
	s_addc_u32 s9, s9, s11
	s_load_dword s17, s[2:3], 0x0
	s_load_dword s16, s[8:9], 0x0
	s_waitcnt lgkmcnt(0)
	v_cmp_eq_f32_e64 s8, s17, 0
	v_cmp_eq_f32_e64 s1, s16, 1.0
	s_and_b32 s1, s8, s1
	s_and_b32 vcc_lo, exec_lo, s1
	s_mov_b32 s1, 0
	s_cbranch_vccnz .LBB622_68
; %bb.1:
	v_cmp_neq_f32_e64 s7, s17, 0
	s_mov_b64 s[2:3], 0
	s_and_b32 vcc_lo, exec_lo, s8
	s_mov_b64 s[10:11], 0
	s_cbranch_vccnz .LBB622_3
; %bb.2:
	s_lshl_b64 s[10:11], s[0:1], 3
	s_add_u32 s10, s20, s10
	s_addc_u32 s11, s21, s11
	s_lshl_b64 s[18:19], s[22:23], 1
	s_load_dwordx2 s[10:11], s[10:11], 0x0
	s_waitcnt lgkmcnt(0)
	s_add_u32 s10, s10, s18
	s_addc_u32 s11, s11, s19
.LBB622_3:
	s_andn2_b32 vcc_lo, exec_lo, s7
	s_cbranch_vccnz .LBB622_5
; %bb.4:
	s_load_dwordx4 s[20:23], s[4:5], 0x38
	s_lshl_b64 s[2:3], s[0:1], 3
	s_waitcnt lgkmcnt(0)
	s_add_u32 s2, s20, s2
	s_addc_u32 s3, s21, s3
	s_lshl_b64 s[18:19], s[22:23], 1
	s_load_dwordx2 s[2:3], s[2:3], 0x0
	s_waitcnt lgkmcnt(0)
	s_add_u32 s2, s2, s18
	s_addc_u32 s3, s3, s19
.LBB622_5:
	s_lshl_b64 s[0:1], s[0:1], 3
	s_add_u32 s0, s12, s0
	s_addc_u32 s1, s13, s1
	s_lshl_b64 s[14:15], s[14:15], 1
	s_load_dwordx2 s[12:13], s[0:1], 0x0
	s_load_dword s18, s[4:5], 0x78
	v_cmp_eq_u32_e64 s0, 0, v0
	s_waitcnt lgkmcnt(0)
	s_add_u32 s7, s12, s14
	s_addc_u32 s12, s13, s15
	s_andn2_b32 vcc_lo, exec_lo, s8
	s_cbranch_vccnz .LBB622_13
; %bb.6:
	s_mov_b32 s1, 0
	s_mov_b32 s13, 0
                                        ; implicit-def: $vgpr1
                                        ; implicit-def: $sgpr8_sgpr9
	s_and_saveexec_b32 s14, s0
	s_cbranch_execz .LBB622_14
; %bb.7:
	v_cmp_eq_f32_e64 s0, s16, 0
	s_mul_hi_i32 s9, s18, s6
	s_mul_i32 s8, s18, s6
	s_and_b32 vcc_lo, exec_lo, s0
	s_cbranch_vccnz .LBB622_15
; %bb.8:
	s_lshl_b64 s[20:21], s[8:9], 1
	s_add_u32 s20, s7, s20
	s_addc_u32 s21, s12, s21
	v_mov_b32_e32 v1, s20
	v_mov_b32_e32 v2, s21
	flat_load_ushort v1, v[1:2]
	s_waitcnt vmcnt(0) lgkmcnt(0)
	v_lshlrev_b32_e32 v1, 16, v1
	v_mul_f32_e32 v1, s16, v1
	v_and_b32_e32 v2, 0x7f800000, v1
	v_cmp_ne_u32_e32 vcc_lo, 0x7f800000, v2
                                        ; implicit-def: $vgpr2
	s_and_saveexec_b32 s0, vcc_lo
	s_xor_b32 s0, exec_lo, s0
; %bb.9:
	v_bfe_u32 v2, v1, 16, 1
	v_add3_u32 v2, v1, v2, 0x7fff
                                        ; implicit-def: $vgpr1
; %bb.10:
	s_andn2_saveexec_b32 s0, s0
; %bb.11:
	v_mov_b32_e32 v2, 0
	v_or_b32_e32 v3, 0x10000, v1
	v_cmp_eq_u32_sdwa vcc_lo, v1, v2 src0_sel:WORD_0 src1_sel:DWORD
	v_cndmask_b32_e32 v2, v3, v1, vcc_lo
; %bb.12:
	s_or_b32 exec_lo, exec_lo, s0
	v_lshrrev_b32_e32 v1, 16, v2
	s_mov_b32 s13, exec_lo
	s_or_b32 exec_lo, exec_lo, s14
	s_and_b32 vcc_lo, exec_lo, s1
	s_cbranch_vccnz .LBB622_16
	s_branch .LBB622_66
.LBB622_13:
	s_mov_b32 s13, 0
                                        ; implicit-def: $vgpr1
                                        ; implicit-def: $sgpr8_sgpr9
	s_cbranch_execnz .LBB622_16
	s_branch .LBB622_66
.LBB622_14:
	s_or_b32 exec_lo, exec_lo, s14
	s_and_b32 vcc_lo, exec_lo, s1
	s_cbranch_vccnz .LBB622_16
	s_branch .LBB622_66
.LBB622_15:
	v_mov_b32_e32 v1, 0
	s_mov_b32 s13, exec_lo
	s_or_b32 exec_lo, exec_lo, s14
	s_and_b32 vcc_lo, exec_lo, s1
	s_cbranch_vccz .LBB622_66
.LBB622_16:
	s_clause 0x2
	s_load_dword s14, s[4:5], 0x0
	s_load_dword s1, s[4:5], 0x28
	;; [unrolled: 1-line block ×3, first 2 shown]
	v_mov_b32_e32 v7, 0
	s_waitcnt lgkmcnt(0)
	v_cmp_gt_i32_e32 vcc_lo, s14, v0
	s_mul_hi_i32 s5, s1, s6
	s_mul_i32 s4, s1, s6
	s_ashr_i32 s1, s14, 31
	s_lshl_b64 s[4:5], s[4:5], 1
	v_cndmask_b32_e32 v1, 0, v0, vcc_lo
	s_lshr_b32 s1, s1, 24
	s_add_i32 s1, s14, s1
	v_lshlrev_b32_e32 v1, 1, v1
	v_add_co_u32 v1, s8, s10, v1
	v_add_co_ci_u32_e64 v2, null, s11, 0, s8
	v_add_co_u32 v1, vcc_lo, v1, s4
	v_add_co_ci_u32_e64 v2, null, s5, v2, vcc_lo
	s_and_b32 s4, s1, 0xffffff00
	s_cmpk_lt_i32 s14, 0x100
	s_mov_b32 s5, 0
	s_cbranch_scc1 .LBB622_23
; %bb.17:
	v_mad_i64_i32 v[3:4], null, s0, v0, 0
	v_mov_b32_e32 v8, 0
	v_mov_b32_e32 v7, 0
	s_ashr_i32 s1, s0, 31
	s_lshl_b64 s[8:9], s[0:1], 9
	v_lshlrev_b64 v[5:6], 1, v[3:4]
	v_mov_b32_e32 v4, v2
	v_mov_b32_e32 v3, v1
	v_add_co_u32 v5, vcc_lo, s2, v5
	v_add_co_ci_u32_e64 v6, null, s3, v6, vcc_lo
	s_inst_prefetch 0x1
	s_branch .LBB622_19
	.p2align	6
.LBB622_18:                             ;   in Loop: Header=BB622_19 Depth=1
	s_or_b32 exec_lo, exec_lo, s1
	v_and_b32_e32 v9, 0xffff0000, v10
	v_add_co_u32 v5, vcc_lo, v5, s8
	v_add_co_ci_u32_e64 v6, null, s9, v6, vcc_lo
	v_add_co_u32 v3, vcc_lo, 0x200, v3
	v_add_f32_e32 v7, v7, v9
	v_add_co_ci_u32_e64 v4, null, 0, v4, vcc_lo
	s_addk_i32 s5, 0x100
	s_cmp_ge_i32 s5, s4
	s_cbranch_scc1 .LBB622_23
.LBB622_19:                             ; =>This Inner Loop Header: Depth=1
	flat_load_ushort v9, v[5:6]
	flat_load_ushort v10, v[3:4]
	s_waitcnt vmcnt(1) lgkmcnt(1)
	v_lshlrev_b32_e32 v9, 16, v9
	s_waitcnt vmcnt(0) lgkmcnt(0)
	v_lshlrev_b32_e32 v10, 16, v10
	v_mul_f32_e32 v9, v10, v9
	v_and_b32_e32 v10, 0x7f800000, v9
	v_cmp_ne_u32_e32 vcc_lo, 0x7f800000, v10
                                        ; implicit-def: $vgpr10
	s_and_saveexec_b32 s1, vcc_lo
	s_xor_b32 s1, exec_lo, s1
; %bb.20:                               ;   in Loop: Header=BB622_19 Depth=1
	v_bfe_u32 v10, v9, 16, 1
	v_add3_u32 v10, v9, v10, 0x7fff
                                        ; implicit-def: $vgpr9
; %bb.21:                               ;   in Loop: Header=BB622_19 Depth=1
	s_andn2_saveexec_b32 s1, s1
	s_cbranch_execz .LBB622_18
; %bb.22:                               ;   in Loop: Header=BB622_19 Depth=1
	v_or_b32_e32 v10, 0x10000, v9
	v_cmp_eq_u32_sdwa vcc_lo, v9, v8 src0_sel:WORD_0 src1_sel:DWORD
	v_cndmask_b32_e32 v10, v10, v9, vcc_lo
	s_branch .LBB622_18
.LBB622_23:
	s_inst_prefetch 0x2
	v_add_nc_u32_e32 v3, s4, v0
	s_mov_b32 s1, exec_lo
	v_cmpx_gt_i32_e64 s14, v3
	s_cbranch_execz .LBB622_29
; %bb.24:
	v_mad_i64_i32 v[3:4], null, s0, v3, 0
	s_ashr_i32 s5, s4, 31
	s_lshl_b64 s[4:5], s[4:5], 1
	v_lshlrev_b64 v[3:4], 1, v[3:4]
	v_add_co_u32 v3, vcc_lo, s2, v3
	v_add_co_ci_u32_e64 v4, null, s3, v4, vcc_lo
	v_add_co_u32 v1, vcc_lo, v1, s4
	v_add_co_ci_u32_e64 v2, null, s5, v2, vcc_lo
	flat_load_ushort v3, v[3:4]
	flat_load_ushort v1, v[1:2]
	s_waitcnt vmcnt(1) lgkmcnt(1)
	v_lshlrev_b32_e32 v2, 16, v3
	s_waitcnt vmcnt(0) lgkmcnt(0)
	v_lshlrev_b32_e32 v1, 16, v1
	v_mul_f32_e32 v1, v1, v2
	v_and_b32_e32 v2, 0x7f800000, v1
	v_cmp_ne_u32_e32 vcc_lo, 0x7f800000, v2
                                        ; implicit-def: $vgpr2
	s_and_saveexec_b32 s0, vcc_lo
	s_xor_b32 s0, exec_lo, s0
; %bb.25:
	v_bfe_u32 v2, v1, 16, 1
	v_add3_u32 v2, v1, v2, 0x7fff
                                        ; implicit-def: $vgpr1
; %bb.26:
	s_andn2_saveexec_b32 s0, s0
; %bb.27:
	v_mov_b32_e32 v2, 0
	v_or_b32_e32 v3, 0x10000, v1
	v_cmp_eq_u32_sdwa vcc_lo, v1, v2 src0_sel:WORD_0 src1_sel:DWORD
	v_cndmask_b32_e32 v2, v3, v1, vcc_lo
; %bb.28:
	s_or_b32 exec_lo, exec_lo, s0
	v_and_b32_e32 v1, 0xffff0000, v2
	v_add_f32_e32 v7, v7, v1
.LBB622_29:
	s_or_b32 exec_lo, exec_lo, s1
	v_lshlrev_b32_e32 v1, 2, v0
	s_mov_b32 s0, exec_lo
	ds_write_b32 v1, v7
	s_waitcnt lgkmcnt(0)
	s_barrier
	buffer_gl0_inv
	v_cmpx_gt_u32_e32 0x80, v0
	s_cbranch_execz .LBB622_31
; %bb.30:
	ds_read2st64_b32 v[2:3], v1 offset1:2
	s_waitcnt lgkmcnt(0)
	v_add_f32_e32 v2, v3, v2
	ds_write_b32 v1, v2
.LBB622_31:
	s_or_b32 exec_lo, exec_lo, s0
	s_mov_b32 s0, exec_lo
	s_waitcnt lgkmcnt(0)
	s_barrier
	buffer_gl0_inv
	v_cmpx_gt_u32_e32 64, v0
	s_cbranch_execz .LBB622_33
; %bb.32:
	ds_read2st64_b32 v[2:3], v1 offset1:1
	s_waitcnt lgkmcnt(0)
	v_add_f32_e32 v2, v3, v2
	ds_write_b32 v1, v2
.LBB622_33:
	s_or_b32 exec_lo, exec_lo, s0
	s_mov_b32 s0, exec_lo
	s_waitcnt lgkmcnt(0)
	s_barrier
	buffer_gl0_inv
	v_cmpx_gt_u32_e32 32, v0
	s_cbranch_execz .LBB622_35
; %bb.34:
	ds_read2_b32 v[2:3], v1 offset1:32
	s_waitcnt lgkmcnt(0)
	v_add_f32_e32 v2, v3, v2
	ds_write_b32 v1, v2
.LBB622_35:
	s_or_b32 exec_lo, exec_lo, s0
	s_mov_b32 s0, exec_lo
	s_waitcnt lgkmcnt(0)
	s_barrier
	buffer_gl0_inv
	v_cmpx_gt_u32_e32 16, v0
	s_cbranch_execz .LBB622_37
; %bb.36:
	ds_read2_b32 v[2:3], v1 offset1:16
	s_waitcnt lgkmcnt(0)
	v_add_f32_e32 v2, v3, v2
	ds_write_b32 v1, v2
.LBB622_37:
	;; [unrolled: 13-line block ×5, first 2 shown]
	s_or_b32 exec_lo, exec_lo, s0
	v_cmp_eq_u32_e32 vcc_lo, 0, v0
	s_waitcnt lgkmcnt(0)
	s_barrier
	buffer_gl0_inv
	s_and_saveexec_b32 s0, vcc_lo
	s_cbranch_execz .LBB622_45
; %bb.44:
	v_mov_b32_e32 v2, 0
	ds_read_b64 v[0:1], v2
	s_waitcnt lgkmcnt(0)
	v_add_f32_e32 v0, v1, v0
	ds_write_b32 v2, v0
.LBB622_45:
	s_or_b32 exec_lo, exec_lo, s0
	s_waitcnt lgkmcnt(0)
	s_barrier
	buffer_gl0_inv
                                        ; implicit-def: $vgpr1
                                        ; implicit-def: $sgpr8_sgpr9
	s_and_saveexec_b32 s0, vcc_lo
	s_cbranch_execz .LBB622_65
; %bb.46:
	v_mov_b32_e32 v0, 0
	v_cmp_eq_f32_e64 s2, s16, 0
	ds_read_b32 v0, v0
	s_and_b32 vcc_lo, exec_lo, s2
	s_waitcnt lgkmcnt(0)
	v_mul_f32_e32 v0, s17, v0
	v_readfirstlane_b32 s1, v0
	s_cbranch_vccz .LBB622_49
; %bb.47:
	s_and_b32 s2, s1, 0x7f800000
	s_cmp_eq_u32 s2, 0x7f800000
	s_cbranch_scc1 .LBB622_50
; %bb.48:
	s_bfe_u32 s2, s1, 0x10010
	s_mov_b32 s3, 0
	s_add_i32 s2, s1, s2
	s_addk_i32 s2, 0x7fff
	s_branch .LBB622_51
.LBB622_49:
	s_mov_b32 s3, -1
                                        ; implicit-def: $sgpr2
	s_branch .LBB622_54
.LBB622_50:
	s_mov_b32 s3, -1
                                        ; implicit-def: $sgpr2
.LBB622_51:
	s_andn2_b32 vcc_lo, exec_lo, s3
	s_cbranch_vccnz .LBB622_53
; %bb.52:
	s_and_b32 s2, s1, 0xffff
	s_or_b32 s3, s1, 0x10000
	s_cmp_eq_u32 s2, 0
	s_cselect_b32 s2, s1, s3
.LBB622_53:
	s_mov_b32 s3, 0
.LBB622_54:
	v_mov_b32_e32 v0, s2
	s_andn2_b32 vcc_lo, exec_lo, s3
	s_mul_hi_i32 s9, s18, s6
	s_mul_i32 s8, s18, s6
	s_cbranch_vccnz .LBB622_64
; %bb.55:
	s_lshl_b64 s[2:3], s[8:9], 1
	s_add_u32 s2, s7, s2
	s_addc_u32 s3, s12, s3
	v_mov_b32_e32 v0, s2
	v_mov_b32_e32 v1, s3
	flat_load_ushort v0, v[0:1]
	s_waitcnt vmcnt(0) lgkmcnt(0)
	v_lshlrev_b32_e32 v0, 16, v0
	v_mul_f32_e32 v0, s16, v0
	v_and_b32_e32 v1, 0x7f800000, v0
	v_cmp_ne_u32_e32 vcc_lo, 0x7f800000, v1
                                        ; implicit-def: $vgpr1
	s_and_saveexec_b32 s2, vcc_lo
	s_xor_b32 s2, exec_lo, s2
; %bb.56:
	v_bfe_u32 v1, v0, 16, 1
	v_add3_u32 v1, v0, v1, 0x7fff
                                        ; implicit-def: $vgpr0
; %bb.57:
	s_andn2_saveexec_b32 s2, s2
; %bb.58:
	v_mov_b32_e32 v1, 0
	v_or_b32_e32 v2, 0x10000, v0
	v_cmp_eq_u32_sdwa vcc_lo, v0, v1 src0_sel:WORD_0 src1_sel:DWORD
	v_cndmask_b32_e32 v1, v2, v0, vcc_lo
; %bb.59:
	s_or_b32 exec_lo, exec_lo, s2
	v_and_b32_e32 v0, 0xffff0000, v1
	v_add_f32_e32 v1, s1, v0
	v_and_b32_e32 v0, 0x7f800000, v1
	v_cmp_ne_u32_e32 vcc_lo, 0x7f800000, v0
                                        ; implicit-def: $vgpr0
	s_and_saveexec_b32 s1, vcc_lo
	s_xor_b32 s1, exec_lo, s1
; %bb.60:
	v_bfe_u32 v0, v1, 16, 1
	v_add3_u32 v0, v1, v0, 0x7fff
                                        ; implicit-def: $vgpr1
; %bb.61:
	s_andn2_saveexec_b32 s1, s1
; %bb.62:
	v_mov_b32_e32 v0, 0
	v_or_b32_e32 v2, 0x10000, v1
	v_cmp_eq_u32_sdwa vcc_lo, v1, v0 src0_sel:WORD_0 src1_sel:DWORD
	v_cndmask_b32_e32 v0, v2, v1, vcc_lo
; %bb.63:
	s_or_b32 exec_lo, exec_lo, s1
.LBB622_64:
	v_lshrrev_b32_e32 v1, 16, v0
	s_or_b32 s13, s13, exec_lo
.LBB622_65:
	s_or_b32 exec_lo, exec_lo, s0
.LBB622_66:
	s_and_saveexec_b32 s0, s13
	s_cbranch_execz .LBB622_68
; %bb.67:
	s_lshl_b64 s[0:1], s[8:9], 1
	s_add_u32 s0, s7, s0
	s_addc_u32 s1, s12, s1
	v_mov_b32_e32 v3, s1
	v_mov_b32_e32 v2, s0
	flat_store_short v[2:3], v1
.LBB622_68:
	s_endpgm
	.section	.rodata,"a",@progbits
	.p2align	6, 0x0
	.amdhsa_kernel _ZL20rocblas_gemvt_kernelILb1ELi256EPK16rocblas_bfloat16PKfKPS0_EviiT2_lPKT1_lilSA_lilS7_lPT3_lili
		.amdhsa_group_segment_fixed_size 1024
		.amdhsa_private_segment_fixed_size 0
		.amdhsa_kernarg_size 140
		.amdhsa_user_sgpr_count 6
		.amdhsa_user_sgpr_private_segment_buffer 1
		.amdhsa_user_sgpr_dispatch_ptr 0
		.amdhsa_user_sgpr_queue_ptr 0
		.amdhsa_user_sgpr_kernarg_segment_ptr 1
		.amdhsa_user_sgpr_dispatch_id 0
		.amdhsa_user_sgpr_flat_scratch_init 0
		.amdhsa_user_sgpr_private_segment_size 0
		.amdhsa_wavefront_size32 1
		.amdhsa_uses_dynamic_stack 0
		.amdhsa_system_sgpr_private_segment_wavefront_offset 0
		.amdhsa_system_sgpr_workgroup_id_x 1
		.amdhsa_system_sgpr_workgroup_id_y 0
		.amdhsa_system_sgpr_workgroup_id_z 1
		.amdhsa_system_sgpr_workgroup_info 0
		.amdhsa_system_vgpr_workitem_id 0
		.amdhsa_next_free_vgpr 11
		.amdhsa_next_free_sgpr 24
		.amdhsa_reserve_vcc 1
		.amdhsa_reserve_flat_scratch 0
		.amdhsa_float_round_mode_32 0
		.amdhsa_float_round_mode_16_64 0
		.amdhsa_float_denorm_mode_32 3
		.amdhsa_float_denorm_mode_16_64 3
		.amdhsa_dx10_clamp 1
		.amdhsa_ieee_mode 1
		.amdhsa_fp16_overflow 0
		.amdhsa_workgroup_processor_mode 1
		.amdhsa_memory_ordered 1
		.amdhsa_forward_progress 1
		.amdhsa_shared_vgpr_count 0
		.amdhsa_exception_fp_ieee_invalid_op 0
		.amdhsa_exception_fp_denorm_src 0
		.amdhsa_exception_fp_ieee_div_zero 0
		.amdhsa_exception_fp_ieee_overflow 0
		.amdhsa_exception_fp_ieee_underflow 0
		.amdhsa_exception_fp_ieee_inexact 0
		.amdhsa_exception_int_div_zero 0
	.end_amdhsa_kernel
	.section	.text._ZL20rocblas_gemvt_kernelILb1ELi256EPK16rocblas_bfloat16PKfKPS0_EviiT2_lPKT1_lilSA_lilS7_lPT3_lili,"axG",@progbits,_ZL20rocblas_gemvt_kernelILb1ELi256EPK16rocblas_bfloat16PKfKPS0_EviiT2_lPKT1_lilSA_lilS7_lPT3_lili,comdat
.Lfunc_end622:
	.size	_ZL20rocblas_gemvt_kernelILb1ELi256EPK16rocblas_bfloat16PKfKPS0_EviiT2_lPKT1_lilSA_lilS7_lPT3_lili, .Lfunc_end622-_ZL20rocblas_gemvt_kernelILb1ELi256EPK16rocblas_bfloat16PKfKPS0_EviiT2_lPKT1_lilSA_lilS7_lPT3_lili
                                        ; -- End function
	.set _ZL20rocblas_gemvt_kernelILb1ELi256EPK16rocblas_bfloat16PKfKPS0_EviiT2_lPKT1_lilSA_lilS7_lPT3_lili.num_vgpr, 11
	.set _ZL20rocblas_gemvt_kernelILb1ELi256EPK16rocblas_bfloat16PKfKPS0_EviiT2_lPKT1_lilSA_lilS7_lPT3_lili.num_agpr, 0
	.set _ZL20rocblas_gemvt_kernelILb1ELi256EPK16rocblas_bfloat16PKfKPS0_EviiT2_lPKT1_lilSA_lilS7_lPT3_lili.numbered_sgpr, 24
	.set _ZL20rocblas_gemvt_kernelILb1ELi256EPK16rocblas_bfloat16PKfKPS0_EviiT2_lPKT1_lilSA_lilS7_lPT3_lili.num_named_barrier, 0
	.set _ZL20rocblas_gemvt_kernelILb1ELi256EPK16rocblas_bfloat16PKfKPS0_EviiT2_lPKT1_lilSA_lilS7_lPT3_lili.private_seg_size, 0
	.set _ZL20rocblas_gemvt_kernelILb1ELi256EPK16rocblas_bfloat16PKfKPS0_EviiT2_lPKT1_lilSA_lilS7_lPT3_lili.uses_vcc, 1
	.set _ZL20rocblas_gemvt_kernelILb1ELi256EPK16rocblas_bfloat16PKfKPS0_EviiT2_lPKT1_lilSA_lilS7_lPT3_lili.uses_flat_scratch, 0
	.set _ZL20rocblas_gemvt_kernelILb1ELi256EPK16rocblas_bfloat16PKfKPS0_EviiT2_lPKT1_lilSA_lilS7_lPT3_lili.has_dyn_sized_stack, 0
	.set _ZL20rocblas_gemvt_kernelILb1ELi256EPK16rocblas_bfloat16PKfKPS0_EviiT2_lPKT1_lilSA_lilS7_lPT3_lili.has_recursion, 0
	.set _ZL20rocblas_gemvt_kernelILb1ELi256EPK16rocblas_bfloat16PKfKPS0_EviiT2_lPKT1_lilSA_lilS7_lPT3_lili.has_indirect_call, 0
	.section	.AMDGPU.csdata,"",@progbits
; Kernel info:
; codeLenInByte = 2052
; TotalNumSgprs: 26
; NumVgprs: 11
; ScratchSize: 0
; MemoryBound: 0
; FloatMode: 240
; IeeeMode: 1
; LDSByteSize: 1024 bytes/workgroup (compile time only)
; SGPRBlocks: 0
; VGPRBlocks: 1
; NumSGPRsForWavesPerEU: 26
; NumVGPRsForWavesPerEU: 11
; Occupancy: 16
; WaveLimiterHint : 1
; COMPUTE_PGM_RSRC2:SCRATCH_EN: 0
; COMPUTE_PGM_RSRC2:USER_SGPR: 6
; COMPUTE_PGM_RSRC2:TRAP_HANDLER: 0
; COMPUTE_PGM_RSRC2:TGID_X_EN: 1
; COMPUTE_PGM_RSRC2:TGID_Y_EN: 0
; COMPUTE_PGM_RSRC2:TGID_Z_EN: 1
; COMPUTE_PGM_RSRC2:TIDIG_COMP_CNT: 0
	.section	.text._ZL20rocblas_gemvt_kernelILb1ELi256EPK16rocblas_bfloat16fKPS0_EviiT2_lPKT1_lilS8_lilS5_lPT3_lili,"axG",@progbits,_ZL20rocblas_gemvt_kernelILb1ELi256EPK16rocblas_bfloat16fKPS0_EviiT2_lPKT1_lilS8_lilS5_lPT3_lili,comdat
	.globl	_ZL20rocblas_gemvt_kernelILb1ELi256EPK16rocblas_bfloat16fKPS0_EviiT2_lPKT1_lilS8_lilS5_lPT3_lili ; -- Begin function _ZL20rocblas_gemvt_kernelILb1ELi256EPK16rocblas_bfloat16fKPS0_EviiT2_lPKT1_lilS8_lilS5_lPT3_lili
	.p2align	8
	.type	_ZL20rocblas_gemvt_kernelILb1ELi256EPK16rocblas_bfloat16fKPS0_EviiT2_lPKT1_lilS8_lilS5_lPT3_lili,@function
_ZL20rocblas_gemvt_kernelILb1ELi256EPK16rocblas_bfloat16fKPS0_EviiT2_lPKT1_lilS8_lilS5_lPT3_lili: ; @_ZL20rocblas_gemvt_kernelILb1ELi256EPK16rocblas_bfloat16fKPS0_EviiT2_lPKT1_lilS8_lilS5_lPT3_lili
; %bb.0:
	s_clause 0x1
	s_load_dword s15, s[4:5], 0x8
	s_load_dword s13, s[4:5], 0x58
	s_mov_b32 s9, 0
	s_waitcnt lgkmcnt(0)
	v_cmp_eq_f32_e64 s14, s15, 0
	v_cmp_eq_f32_e64 s0, s13, 1.0
	s_and_b32 s0, s14, s0
	s_and_b32 vcc_lo, exec_lo, s0
	s_cbranch_vccnz .LBB623_70
; %bb.1:
	s_mov_b32 s8, s7
	v_cmp_neq_f32_e64 s7, s15, 0
	s_and_b32 vcc_lo, exec_lo, s7
	s_cbranch_vccnz .LBB623_3
; %bb.2:
	s_mov_b32 s1, 0
	s_mov_b32 s0, s8
	;; [unrolled: 1-line block ×3, first 2 shown]
	s_mov_b64 s[2:3], 0
	s_andn2_b32 vcc_lo, exec_lo, s10
	s_mov_b64 s[10:11], 0
	s_cbranch_vccz .LBB623_4
	s_branch .LBB623_5
.LBB623_3:
	s_mov_b64 s[0:1], s[8:9]
	s_mov_b64 s[2:3], 0
	;; [unrolled: 1-line block ×3, first 2 shown]
.LBB623_4:
	s_load_dwordx4 s[16:19], s[4:5], 0x18
	s_lshl_b64 s[8:9], s[8:9], 3
	s_waitcnt lgkmcnt(0)
	s_add_u32 s8, s16, s8
	s_addc_u32 s9, s17, s9
	s_lshl_b64 s[10:11], s[18:19], 1
	s_load_dwordx2 s[8:9], s[8:9], 0x0
	s_waitcnt lgkmcnt(0)
	s_add_u32 s10, s8, s10
	s_addc_u32 s11, s9, s11
.LBB623_5:
	s_andn2_b32 vcc_lo, exec_lo, s7
	s_cbranch_vccnz .LBB623_7
; %bb.6:
	s_load_dwordx4 s[16:19], s[4:5], 0x38
	s_lshl_b64 s[2:3], s[0:1], 3
	s_waitcnt lgkmcnt(0)
	s_add_u32 s2, s16, s2
	s_addc_u32 s3, s17, s3
	s_lshl_b64 s[8:9], s[18:19], 1
	s_load_dwordx2 s[2:3], s[2:3], 0x0
	s_waitcnt lgkmcnt(0)
	s_add_u32 s2, s2, s8
	s_addc_u32 s3, s3, s9
.LBB623_7:
	s_clause 0x1
	s_load_dwordx4 s[20:23], s[4:5], 0x68
	s_load_dword s16, s[4:5], 0x78
	s_lshl_b64 s[0:1], s[0:1], 3
	s_waitcnt lgkmcnt(0)
	s_add_u32 s0, s20, s0
	s_addc_u32 s1, s21, s1
	s_lshl_b64 s[18:19], s[22:23], 1
	s_load_dwordx2 s[8:9], s[0:1], 0x0
	v_cmp_eq_u32_e64 s0, 0, v0
	s_waitcnt lgkmcnt(0)
	s_add_u32 s7, s8, s18
	s_addc_u32 s12, s9, s19
	s_andn2_b32 vcc_lo, exec_lo, s14
	s_cbranch_vccnz .LBB623_15
; %bb.8:
	s_mov_b32 s1, 0
	s_mov_b32 s14, 0
                                        ; implicit-def: $vgpr1
                                        ; implicit-def: $sgpr8_sgpr9
	s_and_saveexec_b32 s17, s0
	s_cbranch_execz .LBB623_16
; %bb.9:
	v_cmp_eq_f32_e64 s0, s13, 0
	s_mul_hi_i32 s9, s16, s6
	s_mul_i32 s8, s16, s6
	s_and_b32 vcc_lo, exec_lo, s0
	s_cbranch_vccnz .LBB623_17
; %bb.10:
	s_lshl_b64 s[18:19], s[8:9], 1
	s_add_u32 s18, s7, s18
	s_addc_u32 s19, s12, s19
	v_mov_b32_e32 v1, s18
	v_mov_b32_e32 v2, s19
	flat_load_ushort v1, v[1:2]
	s_waitcnt vmcnt(0) lgkmcnt(0)
	v_lshlrev_b32_e32 v1, 16, v1
	v_mul_f32_e32 v1, s13, v1
	v_and_b32_e32 v2, 0x7f800000, v1
	v_cmp_ne_u32_e32 vcc_lo, 0x7f800000, v2
                                        ; implicit-def: $vgpr2
	s_and_saveexec_b32 s0, vcc_lo
	s_xor_b32 s0, exec_lo, s0
; %bb.11:
	v_bfe_u32 v2, v1, 16, 1
	v_add3_u32 v2, v1, v2, 0x7fff
                                        ; implicit-def: $vgpr1
; %bb.12:
	s_andn2_saveexec_b32 s0, s0
; %bb.13:
	v_mov_b32_e32 v2, 0
	v_or_b32_e32 v3, 0x10000, v1
	v_cmp_eq_u32_sdwa vcc_lo, v1, v2 src0_sel:WORD_0 src1_sel:DWORD
	v_cndmask_b32_e32 v2, v3, v1, vcc_lo
; %bb.14:
	s_or_b32 exec_lo, exec_lo, s0
	v_lshrrev_b32_e32 v1, 16, v2
	s_mov_b32 s14, exec_lo
	s_or_b32 exec_lo, exec_lo, s17
	s_and_b32 vcc_lo, exec_lo, s1
	s_cbranch_vccnz .LBB623_18
	s_branch .LBB623_68
.LBB623_15:
	s_mov_b32 s14, 0
                                        ; implicit-def: $vgpr1
                                        ; implicit-def: $sgpr8_sgpr9
	s_cbranch_execnz .LBB623_18
	s_branch .LBB623_68
.LBB623_16:
	s_or_b32 exec_lo, exec_lo, s17
	s_and_b32 vcc_lo, exec_lo, s1
	s_cbranch_vccnz .LBB623_18
	s_branch .LBB623_68
.LBB623_17:
	v_mov_b32_e32 v1, 0
	s_mov_b32 s14, exec_lo
	s_or_b32 exec_lo, exec_lo, s17
	s_and_b32 vcc_lo, exec_lo, s1
	s_cbranch_vccz .LBB623_68
.LBB623_18:
	s_clause 0x2
	s_load_dword s17, s[4:5], 0x0
	s_load_dword s1, s[4:5], 0x28
	;; [unrolled: 1-line block ×3, first 2 shown]
	v_mov_b32_e32 v7, 0
	s_waitcnt lgkmcnt(0)
	v_cmp_gt_i32_e32 vcc_lo, s17, v0
	s_mul_hi_i32 s5, s1, s6
	s_mul_i32 s4, s1, s6
	s_ashr_i32 s1, s17, 31
	s_lshl_b64 s[4:5], s[4:5], 1
	v_cndmask_b32_e32 v1, 0, v0, vcc_lo
	s_lshr_b32 s1, s1, 24
	s_add_i32 s1, s17, s1
	v_lshlrev_b32_e32 v1, 1, v1
	v_add_co_u32 v1, s8, s10, v1
	v_add_co_ci_u32_e64 v2, null, s11, 0, s8
	v_add_co_u32 v1, vcc_lo, v1, s4
	v_add_co_ci_u32_e64 v2, null, s5, v2, vcc_lo
	s_and_b32 s4, s1, 0xffffff00
	s_cmpk_lt_i32 s17, 0x100
	s_mov_b32 s5, 0
	s_cbranch_scc1 .LBB623_25
; %bb.19:
	v_mad_i64_i32 v[3:4], null, s0, v0, 0
	v_mov_b32_e32 v8, 0
	v_mov_b32_e32 v7, 0
	s_ashr_i32 s1, s0, 31
	s_lshl_b64 s[8:9], s[0:1], 9
	v_lshlrev_b64 v[5:6], 1, v[3:4]
	v_mov_b32_e32 v4, v2
	v_mov_b32_e32 v3, v1
	v_add_co_u32 v5, vcc_lo, s2, v5
	v_add_co_ci_u32_e64 v6, null, s3, v6, vcc_lo
	s_inst_prefetch 0x1
	s_branch .LBB623_21
	.p2align	6
.LBB623_20:                             ;   in Loop: Header=BB623_21 Depth=1
	s_or_b32 exec_lo, exec_lo, s1
	v_and_b32_e32 v9, 0xffff0000, v10
	v_add_co_u32 v5, vcc_lo, v5, s8
	v_add_co_ci_u32_e64 v6, null, s9, v6, vcc_lo
	v_add_co_u32 v3, vcc_lo, 0x200, v3
	v_add_f32_e32 v7, v7, v9
	v_add_co_ci_u32_e64 v4, null, 0, v4, vcc_lo
	s_addk_i32 s5, 0x100
	s_cmp_ge_i32 s5, s4
	s_cbranch_scc1 .LBB623_25
.LBB623_21:                             ; =>This Inner Loop Header: Depth=1
	flat_load_ushort v9, v[5:6]
	flat_load_ushort v10, v[3:4]
	s_waitcnt vmcnt(1) lgkmcnt(1)
	v_lshlrev_b32_e32 v9, 16, v9
	s_waitcnt vmcnt(0) lgkmcnt(0)
	v_lshlrev_b32_e32 v10, 16, v10
	v_mul_f32_e32 v9, v10, v9
	v_and_b32_e32 v10, 0x7f800000, v9
	v_cmp_ne_u32_e32 vcc_lo, 0x7f800000, v10
                                        ; implicit-def: $vgpr10
	s_and_saveexec_b32 s1, vcc_lo
	s_xor_b32 s1, exec_lo, s1
; %bb.22:                               ;   in Loop: Header=BB623_21 Depth=1
	v_bfe_u32 v10, v9, 16, 1
	v_add3_u32 v10, v9, v10, 0x7fff
                                        ; implicit-def: $vgpr9
; %bb.23:                               ;   in Loop: Header=BB623_21 Depth=1
	s_andn2_saveexec_b32 s1, s1
	s_cbranch_execz .LBB623_20
; %bb.24:                               ;   in Loop: Header=BB623_21 Depth=1
	v_or_b32_e32 v10, 0x10000, v9
	v_cmp_eq_u32_sdwa vcc_lo, v9, v8 src0_sel:WORD_0 src1_sel:DWORD
	v_cndmask_b32_e32 v10, v10, v9, vcc_lo
	s_branch .LBB623_20
.LBB623_25:
	s_inst_prefetch 0x2
	v_add_nc_u32_e32 v3, s4, v0
	s_mov_b32 s1, exec_lo
	v_cmpx_gt_i32_e64 s17, v3
	s_cbranch_execz .LBB623_31
; %bb.26:
	v_mad_i64_i32 v[3:4], null, s0, v3, 0
	s_ashr_i32 s5, s4, 31
	s_lshl_b64 s[4:5], s[4:5], 1
	v_lshlrev_b64 v[3:4], 1, v[3:4]
	v_add_co_u32 v3, vcc_lo, s2, v3
	v_add_co_ci_u32_e64 v4, null, s3, v4, vcc_lo
	v_add_co_u32 v1, vcc_lo, v1, s4
	v_add_co_ci_u32_e64 v2, null, s5, v2, vcc_lo
	flat_load_ushort v3, v[3:4]
	flat_load_ushort v1, v[1:2]
	s_waitcnt vmcnt(1) lgkmcnt(1)
	v_lshlrev_b32_e32 v2, 16, v3
	s_waitcnt vmcnt(0) lgkmcnt(0)
	v_lshlrev_b32_e32 v1, 16, v1
	v_mul_f32_e32 v1, v1, v2
	v_and_b32_e32 v2, 0x7f800000, v1
	v_cmp_ne_u32_e32 vcc_lo, 0x7f800000, v2
                                        ; implicit-def: $vgpr2
	s_and_saveexec_b32 s0, vcc_lo
	s_xor_b32 s0, exec_lo, s0
; %bb.27:
	v_bfe_u32 v2, v1, 16, 1
	v_add3_u32 v2, v1, v2, 0x7fff
                                        ; implicit-def: $vgpr1
; %bb.28:
	s_andn2_saveexec_b32 s0, s0
; %bb.29:
	v_mov_b32_e32 v2, 0
	v_or_b32_e32 v3, 0x10000, v1
	v_cmp_eq_u32_sdwa vcc_lo, v1, v2 src0_sel:WORD_0 src1_sel:DWORD
	v_cndmask_b32_e32 v2, v3, v1, vcc_lo
; %bb.30:
	s_or_b32 exec_lo, exec_lo, s0
	v_and_b32_e32 v1, 0xffff0000, v2
	v_add_f32_e32 v7, v7, v1
.LBB623_31:
	s_or_b32 exec_lo, exec_lo, s1
	v_lshlrev_b32_e32 v1, 2, v0
	s_mov_b32 s0, exec_lo
	ds_write_b32 v1, v7
	s_waitcnt lgkmcnt(0)
	s_barrier
	buffer_gl0_inv
	v_cmpx_gt_u32_e32 0x80, v0
	s_cbranch_execz .LBB623_33
; %bb.32:
	ds_read2st64_b32 v[2:3], v1 offset1:2
	s_waitcnt lgkmcnt(0)
	v_add_f32_e32 v2, v3, v2
	ds_write_b32 v1, v2
.LBB623_33:
	s_or_b32 exec_lo, exec_lo, s0
	s_mov_b32 s0, exec_lo
	s_waitcnt lgkmcnt(0)
	s_barrier
	buffer_gl0_inv
	v_cmpx_gt_u32_e32 64, v0
	s_cbranch_execz .LBB623_35
; %bb.34:
	ds_read2st64_b32 v[2:3], v1 offset1:1
	s_waitcnt lgkmcnt(0)
	v_add_f32_e32 v2, v3, v2
	ds_write_b32 v1, v2
.LBB623_35:
	s_or_b32 exec_lo, exec_lo, s0
	s_mov_b32 s0, exec_lo
	s_waitcnt lgkmcnt(0)
	s_barrier
	buffer_gl0_inv
	v_cmpx_gt_u32_e32 32, v0
	s_cbranch_execz .LBB623_37
; %bb.36:
	ds_read2_b32 v[2:3], v1 offset1:32
	s_waitcnt lgkmcnt(0)
	v_add_f32_e32 v2, v3, v2
	ds_write_b32 v1, v2
.LBB623_37:
	s_or_b32 exec_lo, exec_lo, s0
	s_mov_b32 s0, exec_lo
	s_waitcnt lgkmcnt(0)
	s_barrier
	buffer_gl0_inv
	v_cmpx_gt_u32_e32 16, v0
	s_cbranch_execz .LBB623_39
; %bb.38:
	ds_read2_b32 v[2:3], v1 offset1:16
	s_waitcnt lgkmcnt(0)
	v_add_f32_e32 v2, v3, v2
	ds_write_b32 v1, v2
.LBB623_39:
	;; [unrolled: 13-line block ×5, first 2 shown]
	s_or_b32 exec_lo, exec_lo, s0
	v_cmp_eq_u32_e32 vcc_lo, 0, v0
	s_waitcnt lgkmcnt(0)
	s_barrier
	buffer_gl0_inv
	s_and_saveexec_b32 s0, vcc_lo
	s_cbranch_execz .LBB623_47
; %bb.46:
	v_mov_b32_e32 v2, 0
	ds_read_b64 v[0:1], v2
	s_waitcnt lgkmcnt(0)
	v_add_f32_e32 v0, v1, v0
	ds_write_b32 v2, v0
.LBB623_47:
	s_or_b32 exec_lo, exec_lo, s0
	s_waitcnt lgkmcnt(0)
	s_barrier
	buffer_gl0_inv
                                        ; implicit-def: $vgpr1
                                        ; implicit-def: $sgpr8_sgpr9
	s_and_saveexec_b32 s0, vcc_lo
	s_cbranch_execz .LBB623_67
; %bb.48:
	v_mov_b32_e32 v0, 0
	v_cmp_eq_f32_e64 s2, s13, 0
	ds_read_b32 v0, v0
	s_and_b32 vcc_lo, exec_lo, s2
	s_waitcnt lgkmcnt(0)
	v_mul_f32_e32 v0, s15, v0
	v_readfirstlane_b32 s1, v0
	s_cbranch_vccz .LBB623_51
; %bb.49:
	s_and_b32 s2, s1, 0x7f800000
	s_cmp_eq_u32 s2, 0x7f800000
	s_cbranch_scc1 .LBB623_52
; %bb.50:
	s_bfe_u32 s2, s1, 0x10010
	s_mov_b32 s3, 0
	s_add_i32 s2, s1, s2
	s_addk_i32 s2, 0x7fff
	s_branch .LBB623_53
.LBB623_51:
	s_mov_b32 s3, -1
                                        ; implicit-def: $sgpr2
	s_branch .LBB623_56
.LBB623_52:
	s_mov_b32 s3, -1
                                        ; implicit-def: $sgpr2
.LBB623_53:
	s_andn2_b32 vcc_lo, exec_lo, s3
	s_cbranch_vccnz .LBB623_55
; %bb.54:
	s_and_b32 s2, s1, 0xffff
	s_or_b32 s3, s1, 0x10000
	s_cmp_eq_u32 s2, 0
	s_cselect_b32 s2, s1, s3
.LBB623_55:
	s_mov_b32 s3, 0
.LBB623_56:
	v_mov_b32_e32 v0, s2
	s_andn2_b32 vcc_lo, exec_lo, s3
	s_mul_hi_i32 s9, s16, s6
	s_mul_i32 s8, s16, s6
	s_cbranch_vccnz .LBB623_66
; %bb.57:
	s_lshl_b64 s[2:3], s[8:9], 1
	s_add_u32 s2, s7, s2
	s_addc_u32 s3, s12, s3
	v_mov_b32_e32 v0, s2
	v_mov_b32_e32 v1, s3
	flat_load_ushort v0, v[0:1]
	s_waitcnt vmcnt(0) lgkmcnt(0)
	v_lshlrev_b32_e32 v0, 16, v0
	v_mul_f32_e32 v0, s13, v0
	v_and_b32_e32 v1, 0x7f800000, v0
	v_cmp_ne_u32_e32 vcc_lo, 0x7f800000, v1
                                        ; implicit-def: $vgpr1
	s_and_saveexec_b32 s2, vcc_lo
	s_xor_b32 s2, exec_lo, s2
; %bb.58:
	v_bfe_u32 v1, v0, 16, 1
	v_add3_u32 v1, v0, v1, 0x7fff
                                        ; implicit-def: $vgpr0
; %bb.59:
	s_andn2_saveexec_b32 s2, s2
; %bb.60:
	v_mov_b32_e32 v1, 0
	v_or_b32_e32 v2, 0x10000, v0
	v_cmp_eq_u32_sdwa vcc_lo, v0, v1 src0_sel:WORD_0 src1_sel:DWORD
	v_cndmask_b32_e32 v1, v2, v0, vcc_lo
; %bb.61:
	s_or_b32 exec_lo, exec_lo, s2
	v_and_b32_e32 v0, 0xffff0000, v1
	v_add_f32_e32 v1, s1, v0
	v_and_b32_e32 v0, 0x7f800000, v1
	v_cmp_ne_u32_e32 vcc_lo, 0x7f800000, v0
                                        ; implicit-def: $vgpr0
	s_and_saveexec_b32 s1, vcc_lo
	s_xor_b32 s1, exec_lo, s1
; %bb.62:
	v_bfe_u32 v0, v1, 16, 1
	v_add3_u32 v0, v1, v0, 0x7fff
                                        ; implicit-def: $vgpr1
; %bb.63:
	s_andn2_saveexec_b32 s1, s1
; %bb.64:
	v_mov_b32_e32 v0, 0
	v_or_b32_e32 v2, 0x10000, v1
	v_cmp_eq_u32_sdwa vcc_lo, v1, v0 src0_sel:WORD_0 src1_sel:DWORD
	v_cndmask_b32_e32 v0, v2, v1, vcc_lo
; %bb.65:
	s_or_b32 exec_lo, exec_lo, s1
.LBB623_66:
	v_lshrrev_b32_e32 v1, 16, v0
	s_or_b32 s14, s14, exec_lo
.LBB623_67:
	s_or_b32 exec_lo, exec_lo, s0
.LBB623_68:
	s_and_saveexec_b32 s0, s14
	s_cbranch_execz .LBB623_70
; %bb.69:
	s_lshl_b64 s[0:1], s[8:9], 1
	s_add_u32 s0, s7, s0
	s_addc_u32 s1, s12, s1
	v_mov_b32_e32 v3, s1
	v_mov_b32_e32 v2, s0
	flat_store_short v[2:3], v1
.LBB623_70:
	s_endpgm
	.section	.rodata,"a",@progbits
	.p2align	6, 0x0
	.amdhsa_kernel _ZL20rocblas_gemvt_kernelILb1ELi256EPK16rocblas_bfloat16fKPS0_EviiT2_lPKT1_lilS8_lilS5_lPT3_lili
		.amdhsa_group_segment_fixed_size 1024
		.amdhsa_private_segment_fixed_size 0
		.amdhsa_kernarg_size 140
		.amdhsa_user_sgpr_count 6
		.amdhsa_user_sgpr_private_segment_buffer 1
		.amdhsa_user_sgpr_dispatch_ptr 0
		.amdhsa_user_sgpr_queue_ptr 0
		.amdhsa_user_sgpr_kernarg_segment_ptr 1
		.amdhsa_user_sgpr_dispatch_id 0
		.amdhsa_user_sgpr_flat_scratch_init 0
		.amdhsa_user_sgpr_private_segment_size 0
		.amdhsa_wavefront_size32 1
		.amdhsa_uses_dynamic_stack 0
		.amdhsa_system_sgpr_private_segment_wavefront_offset 0
		.amdhsa_system_sgpr_workgroup_id_x 1
		.amdhsa_system_sgpr_workgroup_id_y 0
		.amdhsa_system_sgpr_workgroup_id_z 1
		.amdhsa_system_sgpr_workgroup_info 0
		.amdhsa_system_vgpr_workitem_id 0
		.amdhsa_next_free_vgpr 11
		.amdhsa_next_free_sgpr 24
		.amdhsa_reserve_vcc 1
		.amdhsa_reserve_flat_scratch 0
		.amdhsa_float_round_mode_32 0
		.amdhsa_float_round_mode_16_64 0
		.amdhsa_float_denorm_mode_32 3
		.amdhsa_float_denorm_mode_16_64 3
		.amdhsa_dx10_clamp 1
		.amdhsa_ieee_mode 1
		.amdhsa_fp16_overflow 0
		.amdhsa_workgroup_processor_mode 1
		.amdhsa_memory_ordered 1
		.amdhsa_forward_progress 1
		.amdhsa_shared_vgpr_count 0
		.amdhsa_exception_fp_ieee_invalid_op 0
		.amdhsa_exception_fp_denorm_src 0
		.amdhsa_exception_fp_ieee_div_zero 0
		.amdhsa_exception_fp_ieee_overflow 0
		.amdhsa_exception_fp_ieee_underflow 0
		.amdhsa_exception_fp_ieee_inexact 0
		.amdhsa_exception_int_div_zero 0
	.end_amdhsa_kernel
	.section	.text._ZL20rocblas_gemvt_kernelILb1ELi256EPK16rocblas_bfloat16fKPS0_EviiT2_lPKT1_lilS8_lilS5_lPT3_lili,"axG",@progbits,_ZL20rocblas_gemvt_kernelILb1ELi256EPK16rocblas_bfloat16fKPS0_EviiT2_lPKT1_lilS8_lilS5_lPT3_lili,comdat
.Lfunc_end623:
	.size	_ZL20rocblas_gemvt_kernelILb1ELi256EPK16rocblas_bfloat16fKPS0_EviiT2_lPKT1_lilS8_lilS5_lPT3_lili, .Lfunc_end623-_ZL20rocblas_gemvt_kernelILb1ELi256EPK16rocblas_bfloat16fKPS0_EviiT2_lPKT1_lilS8_lilS5_lPT3_lili
                                        ; -- End function
	.set _ZL20rocblas_gemvt_kernelILb1ELi256EPK16rocblas_bfloat16fKPS0_EviiT2_lPKT1_lilS8_lilS5_lPT3_lili.num_vgpr, 11
	.set _ZL20rocblas_gemvt_kernelILb1ELi256EPK16rocblas_bfloat16fKPS0_EviiT2_lPKT1_lilS8_lilS5_lPT3_lili.num_agpr, 0
	.set _ZL20rocblas_gemvt_kernelILb1ELi256EPK16rocblas_bfloat16fKPS0_EviiT2_lPKT1_lilS8_lilS5_lPT3_lili.numbered_sgpr, 24
	.set _ZL20rocblas_gemvt_kernelILb1ELi256EPK16rocblas_bfloat16fKPS0_EviiT2_lPKT1_lilS8_lilS5_lPT3_lili.num_named_barrier, 0
	.set _ZL20rocblas_gemvt_kernelILb1ELi256EPK16rocblas_bfloat16fKPS0_EviiT2_lPKT1_lilS8_lilS5_lPT3_lili.private_seg_size, 0
	.set _ZL20rocblas_gemvt_kernelILb1ELi256EPK16rocblas_bfloat16fKPS0_EviiT2_lPKT1_lilS8_lilS5_lPT3_lili.uses_vcc, 1
	.set _ZL20rocblas_gemvt_kernelILb1ELi256EPK16rocblas_bfloat16fKPS0_EviiT2_lPKT1_lilS8_lilS5_lPT3_lili.uses_flat_scratch, 0
	.set _ZL20rocblas_gemvt_kernelILb1ELi256EPK16rocblas_bfloat16fKPS0_EviiT2_lPKT1_lilS8_lilS5_lPT3_lili.has_dyn_sized_stack, 0
	.set _ZL20rocblas_gemvt_kernelILb1ELi256EPK16rocblas_bfloat16fKPS0_EviiT2_lPKT1_lilS8_lilS5_lPT3_lili.has_recursion, 0
	.set _ZL20rocblas_gemvt_kernelILb1ELi256EPK16rocblas_bfloat16fKPS0_EviiT2_lPKT1_lilS8_lilS5_lPT3_lili.has_indirect_call, 0
	.section	.AMDGPU.csdata,"",@progbits
; Kernel info:
; codeLenInByte = 2052
; TotalNumSgprs: 26
; NumVgprs: 11
; ScratchSize: 0
; MemoryBound: 0
; FloatMode: 240
; IeeeMode: 1
; LDSByteSize: 1024 bytes/workgroup (compile time only)
; SGPRBlocks: 0
; VGPRBlocks: 1
; NumSGPRsForWavesPerEU: 26
; NumVGPRsForWavesPerEU: 11
; Occupancy: 16
; WaveLimiterHint : 1
; COMPUTE_PGM_RSRC2:SCRATCH_EN: 0
; COMPUTE_PGM_RSRC2:USER_SGPR: 6
; COMPUTE_PGM_RSRC2:TRAP_HANDLER: 0
; COMPUTE_PGM_RSRC2:TGID_X_EN: 1
; COMPUTE_PGM_RSRC2:TGID_Y_EN: 0
; COMPUTE_PGM_RSRC2:TGID_Z_EN: 1
; COMPUTE_PGM_RSRC2:TIDIG_COMP_CNT: 0
	.section	.text._ZL32rocblas_gemvt_warp_reduce_kernelILb1ELi1024EiPK16rocblas_bfloat16PKfKPS0_EviiT3_lPKT2_lT1_lSA_lSB_lS7_lPT4_lSB_li,"axG",@progbits,_ZL32rocblas_gemvt_warp_reduce_kernelILb1ELi1024EiPK16rocblas_bfloat16PKfKPS0_EviiT3_lPKT2_lT1_lSA_lSB_lS7_lPT4_lSB_li,comdat
	.globl	_ZL32rocblas_gemvt_warp_reduce_kernelILb1ELi1024EiPK16rocblas_bfloat16PKfKPS0_EviiT3_lPKT2_lT1_lSA_lSB_lS7_lPT4_lSB_li ; -- Begin function _ZL32rocblas_gemvt_warp_reduce_kernelILb1ELi1024EiPK16rocblas_bfloat16PKfKPS0_EviiT3_lPKT2_lT1_lSA_lSB_lS7_lPT4_lSB_li
	.p2align	8
	.type	_ZL32rocblas_gemvt_warp_reduce_kernelILb1ELi1024EiPK16rocblas_bfloat16PKfKPS0_EviiT3_lPKT2_lT1_lSA_lSB_lS7_lPT4_lSB_li,@function
_ZL32rocblas_gemvt_warp_reduce_kernelILb1ELi1024EiPK16rocblas_bfloat16PKfKPS0_EviiT3_lPKT2_lT1_lSA_lSB_lS7_lPT4_lSB_li: ; @_ZL32rocblas_gemvt_warp_reduce_kernelILb1ELi1024EiPK16rocblas_bfloat16PKfKPS0_EviiT3_lPKT2_lT1_lSA_lSB_lS7_lPT4_lSB_li
; %bb.0:
	s_clause 0x1
	s_load_dwordx8 s[16:23], s[4:5], 0x8
	s_load_dwordx8 s[8:15], s[4:5], 0x58
	s_mov_b32 s0, s7
	s_waitcnt lgkmcnt(0)
	s_mul_i32 s1, s19, s7
	s_mul_hi_u32 s3, s18, s7
	s_mul_i32 s2, s18, s7
	s_add_i32 s3, s3, s1
	s_mul_i32 s1, s11, s7
	s_lshl_b64 s[2:3], s[2:3], 2
	s_mul_hi_u32 s7, s10, s7
	s_add_u32 s2, s16, s2
	s_addc_u32 s3, s17, s3
	s_add_i32 s11, s7, s1
	s_mul_i32 s10, s10, s0
	s_lshl_b64 s[10:11], s[10:11], 2
	s_add_u32 s8, s8, s10
	s_addc_u32 s9, s9, s11
	s_load_dword s17, s[2:3], 0x0
	s_load_dword s16, s[8:9], 0x0
	s_waitcnt lgkmcnt(0)
	v_cmp_eq_f32_e64 s8, s17, 0
	v_cmp_eq_f32_e64 s1, s16, 1.0
	s_and_b32 s1, s8, s1
	s_and_b32 vcc_lo, exec_lo, s1
	s_mov_b32 s1, 0
	s_cbranch_vccnz .LBB624_59
; %bb.1:
	v_cmp_neq_f32_e64 s7, s17, 0
	s_mov_b64 s[2:3], 0
	s_and_b32 vcc_lo, exec_lo, s8
	s_mov_b64 s[10:11], 0
	s_cbranch_vccnz .LBB624_3
; %bb.2:
	s_lshl_b64 s[10:11], s[0:1], 3
	s_add_u32 s10, s20, s10
	s_addc_u32 s11, s21, s11
	s_lshl_b64 s[18:19], s[22:23], 1
	s_load_dwordx2 s[10:11], s[10:11], 0x0
	s_waitcnt lgkmcnt(0)
	s_add_u32 s10, s10, s18
	s_addc_u32 s11, s11, s19
.LBB624_3:
	s_andn2_b32 vcc_lo, exec_lo, s7
	s_cbranch_vccnz .LBB624_5
; %bb.4:
	s_load_dwordx4 s[20:23], s[4:5], 0x38
	s_lshl_b64 s[2:3], s[0:1], 3
	s_waitcnt lgkmcnt(0)
	s_add_u32 s2, s20, s2
	s_addc_u32 s3, s21, s3
	s_lshl_b64 s[18:19], s[22:23], 1
	s_load_dwordx2 s[2:3], s[2:3], 0x0
	s_waitcnt lgkmcnt(0)
	s_add_u32 s2, s2, s18
	s_addc_u32 s3, s3, s19
.LBB624_5:
	s_lshl_b64 s[0:1], s[0:1], 3
	s_add_u32 s0, s12, s0
	s_addc_u32 s1, s13, s1
	s_lshl_b64 s[14:15], s[14:15], 1
	s_load_dwordx2 s[18:19], s[0:1], 0x0
	s_load_dword s13, s[4:5], 0x78
	v_cmp_eq_u32_e64 s0, 0, v0
	s_waitcnt lgkmcnt(0)
	s_add_u32 s1, s18, s14
	s_addc_u32 s7, s19, s15
	s_andn2_b32 vcc_lo, exec_lo, s8
	s_cbranch_vccnz .LBB624_13
; %bb.6:
	s_mov_b32 s14, 0
	s_mov_b32 s12, 0
                                        ; implicit-def: $vgpr1
                                        ; implicit-def: $sgpr8_sgpr9
	s_and_saveexec_b32 s15, s0
	s_cbranch_execz .LBB624_14
; %bb.7:
	v_cmp_eq_f32_e64 s0, s16, 0
	s_mul_i32 s8, s13, s6
	s_ashr_i32 s9, s8, 31
	s_and_b32 vcc_lo, exec_lo, s0
	s_cbranch_vccnz .LBB624_15
; %bb.8:
	s_lshl_b64 s[18:19], s[8:9], 1
	s_add_u32 s18, s1, s18
	s_addc_u32 s19, s7, s19
	v_mov_b32_e32 v1, s18
	v_mov_b32_e32 v2, s19
	flat_load_ushort v1, v[1:2]
	s_waitcnt vmcnt(0) lgkmcnt(0)
	v_lshlrev_b32_e32 v1, 16, v1
	v_mul_f32_e32 v1, s16, v1
	v_and_b32_e32 v2, 0x7f800000, v1
	v_cmp_ne_u32_e32 vcc_lo, 0x7f800000, v2
                                        ; implicit-def: $vgpr2
	s_and_saveexec_b32 s0, vcc_lo
	s_xor_b32 s0, exec_lo, s0
; %bb.9:
	v_bfe_u32 v2, v1, 16, 1
	v_add3_u32 v2, v1, v2, 0x7fff
                                        ; implicit-def: $vgpr1
; %bb.10:
	s_andn2_saveexec_b32 s0, s0
; %bb.11:
	v_mov_b32_e32 v2, 0
	v_or_b32_e32 v3, 0x10000, v1
	v_cmp_eq_u32_sdwa vcc_lo, v1, v2 src0_sel:WORD_0 src1_sel:DWORD
	v_cndmask_b32_e32 v2, v3, v1, vcc_lo
; %bb.12:
	s_or_b32 exec_lo, exec_lo, s0
	v_lshrrev_b32_e32 v1, 16, v2
	s_mov_b32 s12, exec_lo
	s_or_b32 exec_lo, exec_lo, s15
	s_and_b32 vcc_lo, exec_lo, s14
	s_cbranch_vccnz .LBB624_16
	s_branch .LBB624_57
.LBB624_13:
	s_mov_b32 s12, 0
                                        ; implicit-def: $vgpr1
                                        ; implicit-def: $sgpr8_sgpr9
	s_cbranch_execnz .LBB624_16
	s_branch .LBB624_57
.LBB624_14:
	s_or_b32 exec_lo, exec_lo, s15
	s_and_b32 vcc_lo, exec_lo, s14
	s_cbranch_vccnz .LBB624_16
	s_branch .LBB624_57
.LBB624_15:
	v_mov_b32_e32 v1, 0
	s_mov_b32 s12, exec_lo
	s_or_b32 exec_lo, exec_lo, s15
	s_and_b32 vcc_lo, exec_lo, s14
	s_cbranch_vccz .LBB624_57
.LBB624_16:
	s_clause 0x2
	s_load_dword s8, s[4:5], 0x0
	s_load_dword s0, s[4:5], 0x28
	;; [unrolled: 1-line block ×3, first 2 shown]
	v_mov_b32_e32 v7, 0
	s_mov_b32 s9, exec_lo
	s_waitcnt lgkmcnt(0)
	v_cmp_gt_i32_e32 vcc_lo, s8, v0
	s_mul_i32 s14, s0, s6
	s_ashr_i32 s0, s8, 31
	s_ashr_i32 s15, s14, 31
	s_lshr_b32 s0, s0, 22
	v_cndmask_b32_e32 v1, 0, v0, vcc_lo
	s_lshl_b64 s[14:15], s[14:15], 1
	s_add_i32 s0, s8, s0
	v_lshlrev_b32_e32 v1, 1, v1
	v_add_co_u32 v1, s4, s10, v1
	v_add_co_ci_u32_e64 v2, null, s11, 0, s4
	s_and_b32 s4, s0, 0xfffffc00
	v_add_co_u32 v1, vcc_lo, v1, s14
	v_add_co_ci_u32_e64 v2, null, s15, v2, vcc_lo
	s_mov_b32 s10, 0
	v_cmpx_gt_i32_e64 s4, v0
	s_cbranch_execz .LBB624_24
; %bb.17:
	v_mul_lo_u32 v3, v0, s5
	v_mov_b32_e32 v6, v2
	v_mov_b32_e32 v8, 0
	;; [unrolled: 1-line block ×5, first 2 shown]
	s_lshl_b32 s11, s5, 10
	s_branch .LBB624_19
.LBB624_18:                             ;   in Loop: Header=BB624_19 Depth=1
	s_or_b32 exec_lo, exec_lo, s0
	v_add_nc_u32_e32 v9, 0x400, v9
	v_and_b32_e32 v4, 0xffff0000, v10
	v_add_co_u32 v5, s0, 0x800, v5
	v_add_nc_u32_e32 v3, s11, v3
	v_cmp_le_i32_e32 vcc_lo, s4, v9
	v_add_f32_e32 v7, v7, v4
	v_add_co_ci_u32_e64 v6, null, 0, v6, s0
	s_or_b32 s10, vcc_lo, s10
	s_andn2_b32 exec_lo, exec_lo, s10
	s_cbranch_execz .LBB624_23
.LBB624_19:                             ; =>This Inner Loop Header: Depth=1
	v_ashrrev_i32_e32 v4, 31, v3
	v_lshlrev_b64 v[10:11], 1, v[3:4]
	v_add_co_u32 v10, vcc_lo, s2, v10
	v_add_co_ci_u32_e64 v11, null, s3, v11, vcc_lo
	flat_load_ushort v4, v[5:6]
	flat_load_ushort v10, v[10:11]
	s_waitcnt vmcnt(1) lgkmcnt(1)
	v_lshlrev_b32_e32 v4, 16, v4
	s_waitcnt vmcnt(0) lgkmcnt(0)
	v_lshlrev_b32_e32 v10, 16, v10
	v_mul_f32_e32 v4, v4, v10
	v_and_b32_e32 v10, 0x7f800000, v4
	v_cmp_ne_u32_e32 vcc_lo, 0x7f800000, v10
                                        ; implicit-def: $vgpr10
	s_and_saveexec_b32 s0, vcc_lo
	s_xor_b32 s0, exec_lo, s0
; %bb.20:                               ;   in Loop: Header=BB624_19 Depth=1
	v_bfe_u32 v10, v4, 16, 1
	v_add3_u32 v10, v4, v10, 0x7fff
                                        ; implicit-def: $vgpr4
; %bb.21:                               ;   in Loop: Header=BB624_19 Depth=1
	s_andn2_saveexec_b32 s0, s0
	s_cbranch_execz .LBB624_18
; %bb.22:                               ;   in Loop: Header=BB624_19 Depth=1
	v_or_b32_e32 v10, 0x10000, v4
	v_cmp_eq_u32_sdwa vcc_lo, v4, v8 src0_sel:WORD_0 src1_sel:DWORD
	v_cndmask_b32_e32 v10, v10, v4, vcc_lo
	s_branch .LBB624_18
.LBB624_23:
	s_or_b32 exec_lo, exec_lo, s10
.LBB624_24:
	s_or_b32 exec_lo, exec_lo, s9
	v_or_b32_e32 v3, s4, v0
	s_mov_b32 s0, exec_lo
	v_cmpx_gt_i32_e64 s8, v3
	s_cbranch_execz .LBB624_30
; %bb.25:
	v_mul_lo_u32 v3, s5, v3
	s_ashr_i32 s5, s4, 31
	s_lshl_b64 s[4:5], s[4:5], 1
	v_ashrrev_i32_e32 v4, 31, v3
	v_lshlrev_b64 v[3:4], 1, v[3:4]
	v_add_co_u32 v3, vcc_lo, s2, v3
	v_add_co_ci_u32_e64 v4, null, s3, v4, vcc_lo
	v_add_co_u32 v1, vcc_lo, v1, s4
	v_add_co_ci_u32_e64 v2, null, s5, v2, vcc_lo
	flat_load_ushort v3, v[3:4]
	flat_load_ushort v1, v[1:2]
	s_waitcnt vmcnt(1) lgkmcnt(1)
	v_lshlrev_b32_e32 v2, 16, v3
	s_waitcnt vmcnt(0) lgkmcnt(0)
	v_lshlrev_b32_e32 v1, 16, v1
	v_mul_f32_e32 v1, v1, v2
	v_and_b32_e32 v2, 0x7f800000, v1
	v_cmp_ne_u32_e32 vcc_lo, 0x7f800000, v2
                                        ; implicit-def: $vgpr2
	s_and_saveexec_b32 s2, vcc_lo
	s_xor_b32 s2, exec_lo, s2
; %bb.26:
	v_bfe_u32 v2, v1, 16, 1
	v_add3_u32 v2, v1, v2, 0x7fff
                                        ; implicit-def: $vgpr1
; %bb.27:
	s_andn2_saveexec_b32 s2, s2
; %bb.28:
	v_mov_b32_e32 v2, 0
	v_or_b32_e32 v3, 0x10000, v1
	v_cmp_eq_u32_sdwa vcc_lo, v1, v2 src0_sel:WORD_0 src1_sel:DWORD
	v_cndmask_b32_e32 v2, v3, v1, vcc_lo
; %bb.29:
	s_or_b32 exec_lo, exec_lo, s2
	v_and_b32_e32 v1, 0xffff0000, v2
	v_add_f32_e32 v7, v7, v1
.LBB624_30:
	s_or_b32 exec_lo, exec_lo, s0
	v_and_b32_e32 v8, 31, v0
	v_cmp_gt_u32_e32 vcc_lo, 32, v0
	v_lshlrev_b32_e32 v1, 2, v8
	s_and_saveexec_b32 s0, vcc_lo
; %bb.31:
	v_mov_b32_e32 v2, 0
	ds_write_b32 v1, v2
; %bb.32:
	s_or_b32 exec_lo, exec_lo, s0
	v_mbcnt_lo_u32_b32 v6, -1, 0
	s_mov_b32 s2, exec_lo
	s_waitcnt lgkmcnt(0)
	s_barrier
	buffer_gl0_inv
	v_lshl_or_b32 v2, v6, 2, 64
	v_cmp_gt_u32_e64 s0, 24, v6
	ds_bpermute_b32 v4, v2, v7
	v_cndmask_b32_e64 v3, 0, 8, s0
	v_cmp_gt_u32_e64 s0, 28, v6
	v_add_lshl_u32 v3, v3, v6, 2
	s_waitcnt lgkmcnt(0)
	v_add_f32_e32 v5, v7, v4
	v_cndmask_b32_e64 v4, 0, 4, s0
	v_cmp_gt_u32_e64 s0, 30, v6
	ds_bpermute_b32 v7, v3, v5
	v_add_lshl_u32 v4, v4, v6, 2
	s_waitcnt lgkmcnt(0)
	v_add_f32_e32 v7, v5, v7
	v_cndmask_b32_e64 v5, 0, 2, s0
	v_cmp_ne_u32_e64 s0, 31, v6
	ds_bpermute_b32 v9, v4, v7
	v_add_lshl_u32 v5, v5, v6, 2
	v_add_co_ci_u32_e64 v6, null, 0, v6, s0
	v_lshlrev_b32_e32 v6, 2, v6
	s_waitcnt lgkmcnt(0)
	v_add_f32_e32 v7, v7, v9
	ds_bpermute_b32 v9, v5, v7
	s_waitcnt lgkmcnt(0)
	v_add_f32_e32 v7, v7, v9
	ds_bpermute_b32 v9, v6, v7
	v_cmpx_eq_u32_e32 0, v8
	s_cbranch_execz .LBB624_34
; %bb.33:
	v_lshrrev_b32_e32 v8, 3, v0
	s_waitcnt lgkmcnt(0)
	v_add_f32_e32 v7, v7, v9
	v_and_b32_e32 v8, 0x7c, v8
	ds_write_b32 v8, v7
.LBB624_34:
	s_or_b32 exec_lo, exec_lo, s2
	v_mov_b32_e32 v7, 0
	s_waitcnt lgkmcnt(0)
	s_barrier
	buffer_gl0_inv
	s_and_saveexec_b32 s0, vcc_lo
; %bb.35:
	ds_read_b32 v7, v1
; %bb.36:
	s_or_b32 exec_lo, exec_lo, s0
	s_and_saveexec_b32 s0, vcc_lo
	s_cbranch_execz .LBB624_38
; %bb.37:
	s_waitcnt lgkmcnt(0)
	ds_bpermute_b32 v1, v2, v7
	s_waitcnt lgkmcnt(0)
	v_add_f32_e32 v1, v7, v1
	ds_bpermute_b32 v2, v3, v1
	s_waitcnt lgkmcnt(0)
	v_add_f32_e32 v1, v1, v2
	;; [unrolled: 3-line block ×5, first 2 shown]
.LBB624_38:
	s_or_b32 exec_lo, exec_lo, s0
	s_mov_b32 s0, exec_lo
                                        ; implicit-def: $vgpr1
                                        ; implicit-def: $sgpr8_sgpr9
	v_cmpx_eq_u32_e32 0, v0
	s_cbranch_execz .LBB624_56
; %bb.39:
	v_cmp_eq_f32_e64 s2, s16, 0
	s_waitcnt lgkmcnt(0)
	v_mul_f32_e32 v0, s17, v7
	s_and_b32 vcc_lo, exec_lo, s2
	s_cbranch_vccz .LBB624_45
; %bb.40:
	v_and_b32_e32 v1, 0x7f800000, v0
	v_cmp_ne_u32_e32 vcc_lo, 0x7f800000, v1
                                        ; implicit-def: $vgpr1
	s_and_saveexec_b32 s2, vcc_lo
	s_xor_b32 s2, exec_lo, s2
; %bb.41:
	v_bfe_u32 v1, v0, 16, 1
	v_add3_u32 v1, v0, v1, 0x7fff
; %bb.42:
	s_andn2_saveexec_b32 s2, s2
; %bb.43:
	v_mov_b32_e32 v1, 0
	v_or_b32_e32 v2, 0x10000, v0
	v_cmp_eq_u32_sdwa vcc_lo, v0, v1 src0_sel:WORD_0 src1_sel:DWORD
	v_cndmask_b32_e32 v1, v2, v0, vcc_lo
; %bb.44:
	s_or_b32 exec_lo, exec_lo, s2
	s_mul_i32 s8, s13, s6
	s_cbranch_execz .LBB624_46
	s_branch .LBB624_55
.LBB624_45:
                                        ; implicit-def: $vgpr1
	s_mul_i32 s8, s13, s6
.LBB624_46:
	s_ashr_i32 s9, s8, 31
	s_lshl_b64 s[2:3], s[8:9], 1
	s_add_u32 s2, s1, s2
	s_addc_u32 s3, s7, s3
	v_mov_b32_e32 v1, s2
	v_mov_b32_e32 v2, s3
	flat_load_ushort v1, v[1:2]
	s_waitcnt vmcnt(0) lgkmcnt(0)
	v_lshlrev_b32_e32 v1, 16, v1
	v_mul_f32_e32 v1, s16, v1
	v_and_b32_e32 v2, 0x7f800000, v1
	v_cmp_ne_u32_e32 vcc_lo, 0x7f800000, v2
                                        ; implicit-def: $vgpr2
	s_and_saveexec_b32 s2, vcc_lo
	s_xor_b32 s2, exec_lo, s2
; %bb.47:
	v_bfe_u32 v2, v1, 16, 1
	v_add3_u32 v2, v1, v2, 0x7fff
                                        ; implicit-def: $vgpr1
; %bb.48:
	s_andn2_saveexec_b32 s2, s2
; %bb.49:
	v_mov_b32_e32 v2, 0
	v_or_b32_e32 v3, 0x10000, v1
	v_cmp_eq_u32_sdwa vcc_lo, v1, v2 src0_sel:WORD_0 src1_sel:DWORD
	v_cndmask_b32_e32 v2, v3, v1, vcc_lo
; %bb.50:
	s_or_b32 exec_lo, exec_lo, s2
	v_and_b32_e32 v1, 0xffff0000, v2
	v_add_f32_e32 v0, v0, v1
	v_and_b32_e32 v1, 0x7f800000, v0
	v_cmp_ne_u32_e32 vcc_lo, 0x7f800000, v1
                                        ; implicit-def: $vgpr1
	s_and_saveexec_b32 s2, vcc_lo
	s_xor_b32 s2, exec_lo, s2
; %bb.51:
	v_bfe_u32 v1, v0, 16, 1
	v_add3_u32 v1, v0, v1, 0x7fff
                                        ; implicit-def: $vgpr0
; %bb.52:
	s_andn2_saveexec_b32 s2, s2
; %bb.53:
	v_mov_b32_e32 v1, 0
	v_or_b32_e32 v2, 0x10000, v0
	v_cmp_eq_u32_sdwa vcc_lo, v0, v1 src0_sel:WORD_0 src1_sel:DWORD
	v_cndmask_b32_e32 v1, v2, v0, vcc_lo
; %bb.54:
	s_or_b32 exec_lo, exec_lo, s2
.LBB624_55:
	v_lshrrev_b32_e32 v1, 16, v1
	s_ashr_i32 s9, s8, 31
	s_or_b32 s12, s12, exec_lo
.LBB624_56:
	s_or_b32 exec_lo, exec_lo, s0
.LBB624_57:
	s_and_saveexec_b32 s0, s12
	s_cbranch_execz .LBB624_59
; %bb.58:
	s_lshl_b64 s[2:3], s[8:9], 1
	s_add_u32 s0, s1, s2
	s_addc_u32 s1, s7, s3
	v_mov_b32_e32 v3, s1
	v_mov_b32_e32 v2, s0
	flat_store_short v[2:3], v1
.LBB624_59:
	s_endpgm
	.section	.rodata,"a",@progbits
	.p2align	6, 0x0
	.amdhsa_kernel _ZL32rocblas_gemvt_warp_reduce_kernelILb1ELi1024EiPK16rocblas_bfloat16PKfKPS0_EviiT3_lPKT2_lT1_lSA_lSB_lS7_lPT4_lSB_li
		.amdhsa_group_segment_fixed_size 128
		.amdhsa_private_segment_fixed_size 0
		.amdhsa_kernarg_size 140
		.amdhsa_user_sgpr_count 6
		.amdhsa_user_sgpr_private_segment_buffer 1
		.amdhsa_user_sgpr_dispatch_ptr 0
		.amdhsa_user_sgpr_queue_ptr 0
		.amdhsa_user_sgpr_kernarg_segment_ptr 1
		.amdhsa_user_sgpr_dispatch_id 0
		.amdhsa_user_sgpr_flat_scratch_init 0
		.amdhsa_user_sgpr_private_segment_size 0
		.amdhsa_wavefront_size32 1
		.amdhsa_uses_dynamic_stack 0
		.amdhsa_system_sgpr_private_segment_wavefront_offset 0
		.amdhsa_system_sgpr_workgroup_id_x 1
		.amdhsa_system_sgpr_workgroup_id_y 0
		.amdhsa_system_sgpr_workgroup_id_z 1
		.amdhsa_system_sgpr_workgroup_info 0
		.amdhsa_system_vgpr_workitem_id 0
		.amdhsa_next_free_vgpr 12
		.amdhsa_next_free_sgpr 24
		.amdhsa_reserve_vcc 1
		.amdhsa_reserve_flat_scratch 0
		.amdhsa_float_round_mode_32 0
		.amdhsa_float_round_mode_16_64 0
		.amdhsa_float_denorm_mode_32 3
		.amdhsa_float_denorm_mode_16_64 3
		.amdhsa_dx10_clamp 1
		.amdhsa_ieee_mode 1
		.amdhsa_fp16_overflow 0
		.amdhsa_workgroup_processor_mode 1
		.amdhsa_memory_ordered 1
		.amdhsa_forward_progress 1
		.amdhsa_shared_vgpr_count 0
		.amdhsa_exception_fp_ieee_invalid_op 0
		.amdhsa_exception_fp_denorm_src 0
		.amdhsa_exception_fp_ieee_div_zero 0
		.amdhsa_exception_fp_ieee_overflow 0
		.amdhsa_exception_fp_ieee_underflow 0
		.amdhsa_exception_fp_ieee_inexact 0
		.amdhsa_exception_int_div_zero 0
	.end_amdhsa_kernel
	.section	.text._ZL32rocblas_gemvt_warp_reduce_kernelILb1ELi1024EiPK16rocblas_bfloat16PKfKPS0_EviiT3_lPKT2_lT1_lSA_lSB_lS7_lPT4_lSB_li,"axG",@progbits,_ZL32rocblas_gemvt_warp_reduce_kernelILb1ELi1024EiPK16rocblas_bfloat16PKfKPS0_EviiT3_lPKT2_lT1_lSA_lSB_lS7_lPT4_lSB_li,comdat
.Lfunc_end624:
	.size	_ZL32rocblas_gemvt_warp_reduce_kernelILb1ELi1024EiPK16rocblas_bfloat16PKfKPS0_EviiT3_lPKT2_lT1_lSA_lSB_lS7_lPT4_lSB_li, .Lfunc_end624-_ZL32rocblas_gemvt_warp_reduce_kernelILb1ELi1024EiPK16rocblas_bfloat16PKfKPS0_EviiT3_lPKT2_lT1_lSA_lSB_lS7_lPT4_lSB_li
                                        ; -- End function
	.set _ZL32rocblas_gemvt_warp_reduce_kernelILb1ELi1024EiPK16rocblas_bfloat16PKfKPS0_EviiT3_lPKT2_lT1_lSA_lSB_lS7_lPT4_lSB_li.num_vgpr, 12
	.set _ZL32rocblas_gemvt_warp_reduce_kernelILb1ELi1024EiPK16rocblas_bfloat16PKfKPS0_EviiT3_lPKT2_lT1_lSA_lSB_lS7_lPT4_lSB_li.num_agpr, 0
	.set _ZL32rocblas_gemvt_warp_reduce_kernelILb1ELi1024EiPK16rocblas_bfloat16PKfKPS0_EviiT3_lPKT2_lT1_lSA_lSB_lS7_lPT4_lSB_li.numbered_sgpr, 24
	.set _ZL32rocblas_gemvt_warp_reduce_kernelILb1ELi1024EiPK16rocblas_bfloat16PKfKPS0_EviiT3_lPKT2_lT1_lSA_lSB_lS7_lPT4_lSB_li.num_named_barrier, 0
	.set _ZL32rocblas_gemvt_warp_reduce_kernelILb1ELi1024EiPK16rocblas_bfloat16PKfKPS0_EviiT3_lPKT2_lT1_lSA_lSB_lS7_lPT4_lSB_li.private_seg_size, 0
	.set _ZL32rocblas_gemvt_warp_reduce_kernelILb1ELi1024EiPK16rocblas_bfloat16PKfKPS0_EviiT3_lPKT2_lT1_lSA_lSB_lS7_lPT4_lSB_li.uses_vcc, 1
	.set _ZL32rocblas_gemvt_warp_reduce_kernelILb1ELi1024EiPK16rocblas_bfloat16PKfKPS0_EviiT3_lPKT2_lT1_lSA_lSB_lS7_lPT4_lSB_li.uses_flat_scratch, 0
	.set _ZL32rocblas_gemvt_warp_reduce_kernelILb1ELi1024EiPK16rocblas_bfloat16PKfKPS0_EviiT3_lPKT2_lT1_lSA_lSB_lS7_lPT4_lSB_li.has_dyn_sized_stack, 0
	.set _ZL32rocblas_gemvt_warp_reduce_kernelILb1ELi1024EiPK16rocblas_bfloat16PKfKPS0_EviiT3_lPKT2_lT1_lSA_lSB_lS7_lPT4_lSB_li.has_recursion, 0
	.set _ZL32rocblas_gemvt_warp_reduce_kernelILb1ELi1024EiPK16rocblas_bfloat16PKfKPS0_EviiT3_lPKT2_lT1_lSA_lSB_lS7_lPT4_lSB_li.has_indirect_call, 0
	.section	.AMDGPU.csdata,"",@progbits
; Kernel info:
; codeLenInByte = 1924
; TotalNumSgprs: 26
; NumVgprs: 12
; ScratchSize: 0
; MemoryBound: 0
; FloatMode: 240
; IeeeMode: 1
; LDSByteSize: 128 bytes/workgroup (compile time only)
; SGPRBlocks: 0
; VGPRBlocks: 1
; NumSGPRsForWavesPerEU: 26
; NumVGPRsForWavesPerEU: 12
; Occupancy: 16
; WaveLimiterHint : 1
; COMPUTE_PGM_RSRC2:SCRATCH_EN: 0
; COMPUTE_PGM_RSRC2:USER_SGPR: 6
; COMPUTE_PGM_RSRC2:TRAP_HANDLER: 0
; COMPUTE_PGM_RSRC2:TGID_X_EN: 1
; COMPUTE_PGM_RSRC2:TGID_Y_EN: 0
; COMPUTE_PGM_RSRC2:TGID_Z_EN: 1
; COMPUTE_PGM_RSRC2:TIDIG_COMP_CNT: 0
	.section	.text._ZL32rocblas_gemvt_warp_reduce_kernelILb1ELi1024ElPK16rocblas_bfloat16PKfKPS0_EviiT3_lPKT2_lT1_lSA_lSB_lS7_lPT4_lSB_li,"axG",@progbits,_ZL32rocblas_gemvt_warp_reduce_kernelILb1ELi1024ElPK16rocblas_bfloat16PKfKPS0_EviiT3_lPKT2_lT1_lSA_lSB_lS7_lPT4_lSB_li,comdat
	.globl	_ZL32rocblas_gemvt_warp_reduce_kernelILb1ELi1024ElPK16rocblas_bfloat16PKfKPS0_EviiT3_lPKT2_lT1_lSA_lSB_lS7_lPT4_lSB_li ; -- Begin function _ZL32rocblas_gemvt_warp_reduce_kernelILb1ELi1024ElPK16rocblas_bfloat16PKfKPS0_EviiT3_lPKT2_lT1_lSA_lSB_lS7_lPT4_lSB_li
	.p2align	8
	.type	_ZL32rocblas_gemvt_warp_reduce_kernelILb1ELi1024ElPK16rocblas_bfloat16PKfKPS0_EviiT3_lPKT2_lT1_lSA_lSB_lS7_lPT4_lSB_li,@function
_ZL32rocblas_gemvt_warp_reduce_kernelILb1ELi1024ElPK16rocblas_bfloat16PKfKPS0_EviiT3_lPKT2_lT1_lSA_lSB_lS7_lPT4_lSB_li: ; @_ZL32rocblas_gemvt_warp_reduce_kernelILb1ELi1024ElPK16rocblas_bfloat16PKfKPS0_EviiT3_lPKT2_lT1_lSA_lSB_lS7_lPT4_lSB_li
; %bb.0:
	s_clause 0x1
	s_load_dwordx8 s[16:23], s[4:5], 0x8
	s_load_dwordx8 s[8:15], s[4:5], 0x58
	s_mov_b32 s27, 0
	s_waitcnt lgkmcnt(0)
	s_mul_i32 s1, s19, s7
	s_mul_hi_u32 s2, s18, s7
	s_mul_i32 s0, s18, s7
	s_add_i32 s1, s2, s1
	s_mul_i32 s2, s11, s7
	s_lshl_b64 s[0:1], s[0:1], 2
	s_mul_hi_u32 s3, s10, s7
	s_add_u32 s0, s16, s0
	s_addc_u32 s1, s17, s1
	s_add_i32 s3, s3, s2
	s_mul_i32 s2, s10, s7
	s_lshl_b64 s[2:3], s[2:3], 2
	s_add_u32 s2, s8, s2
	s_addc_u32 s3, s9, s3
	s_load_dword s29, s[0:1], 0x0
	s_load_dword s28, s[2:3], 0x0
	s_waitcnt lgkmcnt(0)
	v_cmp_eq_f32_e64 s30, s29, 0
	v_cmp_eq_f32_e64 s0, s28, 1.0
	s_and_b32 s0, s30, s0
	s_and_b32 vcc_lo, exec_lo, s0
	s_cbranch_vccnz .LBB625_60
; %bb.1:
	s_clause 0x1
	s_load_dwordx2 s[18:19], s[4:5], 0x28
	s_load_dwordx2 s[8:9], s[4:5], 0x78
	s_mov_b32 s26, s7
	v_cmp_neq_f32_e64 s7, s29, 0
	s_mov_b64 s[10:11], 0
	s_and_b32 vcc_lo, exec_lo, s30
	s_mov_b64 s[24:25], 0
	s_cbranch_vccnz .LBB625_3
; %bb.2:
	s_lshl_b64 s[0:1], s[26:27], 3
	s_add_u32 s0, s20, s0
	s_addc_u32 s1, s21, s1
	s_lshl_b64 s[2:3], s[22:23], 1
	s_load_dwordx2 s[0:1], s[0:1], 0x0
	s_waitcnt lgkmcnt(0)
	s_add_u32 s24, s0, s2
	s_addc_u32 s25, s1, s3
.LBB625_3:
	s_clause 0x1
	s_load_dwordx4 s[0:3], s[4:5], 0x38
	s_load_dwordx2 s[16:17], s[4:5], 0x48
	s_andn2_b32 vcc_lo, exec_lo, s7
	s_cbranch_vccnz .LBB625_5
; %bb.4:
	s_lshl_b64 s[10:11], s[26:27], 3
	s_waitcnt lgkmcnt(0)
	s_add_u32 s0, s0, s10
	s_addc_u32 s1, s1, s11
	s_lshl_b64 s[2:3], s[2:3], 1
	s_load_dwordx2 s[0:1], s[0:1], 0x0
	s_waitcnt lgkmcnt(0)
	s_add_u32 s10, s0, s2
	s_addc_u32 s11, s1, s3
.LBB625_5:
	s_waitcnt lgkmcnt(0)
	s_lshl_b64 s[0:1], s[26:27], 3
	s_add_u32 s0, s12, s0
	s_addc_u32 s1, s13, s1
	s_lshl_b64 s[12:13], s[14:15], 1
	s_load_dwordx2 s[2:3], s[0:1], 0x0
	v_cmp_eq_u32_e64 s0, 0, v0
	s_waitcnt lgkmcnt(0)
	s_add_u32 s1, s2, s12
	s_addc_u32 s7, s3, s13
	s_andn2_b32 vcc_lo, exec_lo, s30
	s_cbranch_vccnz .LBB625_13
; %bb.6:
	s_mov_b32 s13, 0
	s_mov_b32 s12, 0
                                        ; implicit-def: $vgpr1
                                        ; implicit-def: $sgpr2_sgpr3
	s_and_saveexec_b32 s14, s0
	s_cbranch_execz .LBB625_14
; %bb.7:
	s_ashr_i32 s2, s6, 31
	v_cmp_eq_f32_e64 s0, s28, 0
	s_mul_hi_u32 s3, s8, s6
	s_mul_i32 s2, s8, s2
	s_mul_i32 s12, s9, s6
	s_add_i32 s2, s3, s2
	s_and_b32 vcc_lo, exec_lo, s0
	s_add_i32 s3, s2, s12
	s_mul_i32 s2, s8, s6
	s_cbranch_vccnz .LBB625_15
; %bb.8:
	s_lshl_b64 s[20:21], s[2:3], 1
	s_add_u32 s20, s1, s20
	s_addc_u32 s21, s7, s21
	v_mov_b32_e32 v1, s20
	v_mov_b32_e32 v2, s21
	flat_load_ushort v1, v[1:2]
	s_waitcnt vmcnt(0) lgkmcnt(0)
	v_lshlrev_b32_e32 v1, 16, v1
	v_mul_f32_e32 v1, s28, v1
	v_and_b32_e32 v2, 0x7f800000, v1
	v_cmp_ne_u32_e32 vcc_lo, 0x7f800000, v2
                                        ; implicit-def: $vgpr2
	s_and_saveexec_b32 s0, vcc_lo
	s_xor_b32 s0, exec_lo, s0
; %bb.9:
	v_bfe_u32 v2, v1, 16, 1
	v_add3_u32 v2, v1, v2, 0x7fff
                                        ; implicit-def: $vgpr1
; %bb.10:
	s_andn2_saveexec_b32 s0, s0
; %bb.11:
	v_mov_b32_e32 v2, 0
	v_or_b32_e32 v3, 0x10000, v1
	v_cmp_eq_u32_sdwa vcc_lo, v1, v2 src0_sel:WORD_0 src1_sel:DWORD
	v_cndmask_b32_e32 v2, v3, v1, vcc_lo
; %bb.12:
	s_or_b32 exec_lo, exec_lo, s0
	v_lshrrev_b32_e32 v1, 16, v2
	s_mov_b32 s12, exec_lo
	s_or_b32 exec_lo, exec_lo, s14
	s_and_b32 vcc_lo, exec_lo, s13
	s_cbranch_vccnz .LBB625_16
	s_branch .LBB625_58
.LBB625_13:
	s_mov_b32 s12, 0
                                        ; implicit-def: $vgpr1
                                        ; implicit-def: $sgpr2_sgpr3
	s_cbranch_execnz .LBB625_16
	s_branch .LBB625_58
.LBB625_14:
	s_or_b32 exec_lo, exec_lo, s14
	s_and_b32 vcc_lo, exec_lo, s13
	s_cbranch_vccnz .LBB625_16
	s_branch .LBB625_58
.LBB625_15:
	v_mov_b32_e32 v1, 0
	s_mov_b32 s12, exec_lo
	s_or_b32 exec_lo, exec_lo, s14
	s_and_b32 vcc_lo, exec_lo, s13
	s_cbranch_vccz .LBB625_58
.LBB625_16:
	s_load_dword s3, s[4:5], 0x0
	s_ashr_i32 s13, s6, 31
	s_mul_hi_u32 s0, s18, s6
	s_mul_i32 s4, s18, s13
	s_mul_i32 s2, s19, s6
	s_add_i32 s0, s0, s4
	s_mul_i32 s4, s18, s6
	s_add_i32 s5, s0, s2
	v_mov_b32_e32 v7, 0
	s_lshl_b64 s[4:5], s[4:5], 1
	s_mov_b32 s15, 0
	s_mov_b32 s14, exec_lo
	s_waitcnt lgkmcnt(0)
	v_cmp_gt_i32_e32 vcc_lo, s3, v0
	s_ashr_i32 s0, s3, 31
	s_lshr_b32 s0, s0, 22
	s_add_i32 s0, s3, s0
	v_cndmask_b32_e32 v1, 0, v0, vcc_lo
	v_lshlrev_b32_e32 v1, 1, v1
	v_add_co_u32 v1, s2, s24, v1
	v_add_co_ci_u32_e64 v2, null, s25, 0, s2
	s_and_b32 s2, s0, 0xfffffc00
	v_add_co_u32 v1, vcc_lo, v1, s4
	v_add_co_ci_u32_e64 v2, null, s5, v2, vcc_lo
	v_cmpx_gt_i32_e64 s2, v0
	s_cbranch_execz .LBB625_24
; %bb.17:
	v_mad_u64_u32 v[3:4], null, s16, v0, 0
	v_mov_b32_e32 v8, 0
	v_mov_b32_e32 v9, v0
	;; [unrolled: 1-line block ×3, first 2 shown]
	s_lshl_b64 s[4:5], s[16:17], 11
	v_mad_u64_u32 v[4:5], null, s17, v0, v[4:5]
	v_lshlrev_b64 v[5:6], 1, v[3:4]
	v_mov_b32_e32 v4, v2
	v_mov_b32_e32 v3, v1
	v_add_co_u32 v5, vcc_lo, s10, v5
	v_add_co_ci_u32_e64 v6, null, s11, v6, vcc_lo
	s_inst_prefetch 0x1
	s_branch .LBB625_19
	.p2align	6
.LBB625_18:                             ;   in Loop: Header=BB625_19 Depth=1
	s_or_b32 exec_lo, exec_lo, s0
	v_add_nc_u32_e32 v9, 0x400, v9
	v_and_b32_e32 v10, 0xffff0000, v11
	v_add_co_u32 v3, vcc_lo, 0x800, v3
	v_add_co_ci_u32_e64 v4, null, 0, v4, vcc_lo
	v_cmp_le_i32_e32 vcc_lo, s2, v9
	v_add_co_u32 v5, s0, v5, s4
	v_add_f32_e32 v7, v7, v10
	v_add_co_ci_u32_e64 v6, null, s5, v6, s0
	s_or_b32 s15, vcc_lo, s15
	s_andn2_b32 exec_lo, exec_lo, s15
	s_cbranch_execz .LBB625_23
.LBB625_19:                             ; =>This Inner Loop Header: Depth=1
	flat_load_ushort v10, v[5:6]
	flat_load_ushort v11, v[3:4]
	s_waitcnt vmcnt(1) lgkmcnt(1)
	v_lshlrev_b32_e32 v10, 16, v10
	s_waitcnt vmcnt(0) lgkmcnt(0)
	v_lshlrev_b32_e32 v11, 16, v11
	v_mul_f32_e32 v10, v11, v10
	v_and_b32_e32 v11, 0x7f800000, v10
	v_cmp_ne_u32_e32 vcc_lo, 0x7f800000, v11
                                        ; implicit-def: $vgpr11
	s_and_saveexec_b32 s0, vcc_lo
	s_xor_b32 s0, exec_lo, s0
; %bb.20:                               ;   in Loop: Header=BB625_19 Depth=1
	v_bfe_u32 v11, v10, 16, 1
	v_add3_u32 v11, v10, v11, 0x7fff
                                        ; implicit-def: $vgpr10
; %bb.21:                               ;   in Loop: Header=BB625_19 Depth=1
	s_andn2_saveexec_b32 s0, s0
	s_cbranch_execz .LBB625_18
; %bb.22:                               ;   in Loop: Header=BB625_19 Depth=1
	v_or_b32_e32 v11, 0x10000, v10
	v_cmp_eq_u32_sdwa vcc_lo, v10, v8 src0_sel:WORD_0 src1_sel:DWORD
	v_cndmask_b32_e32 v11, v11, v10, vcc_lo
	s_branch .LBB625_18
.LBB625_23:
	s_inst_prefetch 0x2
	s_or_b32 exec_lo, exec_lo, s15
.LBB625_24:
	s_or_b32 exec_lo, exec_lo, s14
	v_or_b32_e32 v3, s2, v0
	s_mov_b32 s0, exec_lo
	v_cmpx_gt_i32_e64 s3, v3
	s_cbranch_execz .LBB625_30
; %bb.25:
	v_ashrrev_i32_e32 v5, 31, v3
	v_mul_lo_u32 v6, s17, v3
	v_mad_u64_u32 v[3:4], null, s16, v3, 0
	s_ashr_i32 s3, s2, 31
	v_mul_lo_u32 v5, s16, v5
	s_lshl_b64 s[2:3], s[2:3], 1
	v_add3_u32 v4, v4, v5, v6
	v_lshlrev_b64 v[3:4], 1, v[3:4]
	v_add_co_u32 v3, vcc_lo, s10, v3
	v_add_co_ci_u32_e64 v4, null, s11, v4, vcc_lo
	v_add_co_u32 v1, vcc_lo, v1, s2
	v_add_co_ci_u32_e64 v2, null, s3, v2, vcc_lo
	flat_load_ushort v3, v[3:4]
	flat_load_ushort v1, v[1:2]
	s_waitcnt vmcnt(1) lgkmcnt(1)
	v_lshlrev_b32_e32 v2, 16, v3
	s_waitcnt vmcnt(0) lgkmcnt(0)
	v_lshlrev_b32_e32 v1, 16, v1
	v_mul_f32_e32 v1, v1, v2
	v_and_b32_e32 v2, 0x7f800000, v1
	v_cmp_ne_u32_e32 vcc_lo, 0x7f800000, v2
                                        ; implicit-def: $vgpr2
	s_and_saveexec_b32 s2, vcc_lo
	s_xor_b32 s2, exec_lo, s2
; %bb.26:
	v_bfe_u32 v2, v1, 16, 1
	v_add3_u32 v2, v1, v2, 0x7fff
                                        ; implicit-def: $vgpr1
; %bb.27:
	s_andn2_saveexec_b32 s2, s2
; %bb.28:
	v_mov_b32_e32 v2, 0
	v_or_b32_e32 v3, 0x10000, v1
	v_cmp_eq_u32_sdwa vcc_lo, v1, v2 src0_sel:WORD_0 src1_sel:DWORD
	v_cndmask_b32_e32 v2, v3, v1, vcc_lo
; %bb.29:
	s_or_b32 exec_lo, exec_lo, s2
	v_and_b32_e32 v1, 0xffff0000, v2
	v_add_f32_e32 v7, v7, v1
.LBB625_30:
	s_or_b32 exec_lo, exec_lo, s0
	v_and_b32_e32 v8, 31, v0
	v_cmp_gt_u32_e32 vcc_lo, 32, v0
	v_lshlrev_b32_e32 v1, 2, v8
	s_and_saveexec_b32 s0, vcc_lo
; %bb.31:
	v_mov_b32_e32 v2, 0
	ds_write_b32 v1, v2
; %bb.32:
	s_or_b32 exec_lo, exec_lo, s0
	v_mbcnt_lo_u32_b32 v6, -1, 0
	s_mov_b32 s2, exec_lo
	s_waitcnt lgkmcnt(0)
	s_barrier
	buffer_gl0_inv
	v_lshl_or_b32 v2, v6, 2, 64
	v_cmp_gt_u32_e64 s0, 24, v6
	ds_bpermute_b32 v4, v2, v7
	v_cndmask_b32_e64 v3, 0, 8, s0
	v_cmp_gt_u32_e64 s0, 28, v6
	v_add_lshl_u32 v3, v3, v6, 2
	s_waitcnt lgkmcnt(0)
	v_add_f32_e32 v5, v7, v4
	v_cndmask_b32_e64 v4, 0, 4, s0
	v_cmp_gt_u32_e64 s0, 30, v6
	ds_bpermute_b32 v7, v3, v5
	v_add_lshl_u32 v4, v4, v6, 2
	s_waitcnt lgkmcnt(0)
	v_add_f32_e32 v7, v5, v7
	v_cndmask_b32_e64 v5, 0, 2, s0
	v_cmp_ne_u32_e64 s0, 31, v6
	ds_bpermute_b32 v9, v4, v7
	v_add_lshl_u32 v5, v5, v6, 2
	v_add_co_ci_u32_e64 v6, null, 0, v6, s0
	v_lshlrev_b32_e32 v6, 2, v6
	s_waitcnt lgkmcnt(0)
	v_add_f32_e32 v7, v7, v9
	ds_bpermute_b32 v9, v5, v7
	s_waitcnt lgkmcnt(0)
	v_add_f32_e32 v7, v7, v9
	ds_bpermute_b32 v9, v6, v7
	v_cmpx_eq_u32_e32 0, v8
	s_cbranch_execz .LBB625_34
; %bb.33:
	v_lshrrev_b32_e32 v8, 3, v0
	s_waitcnt lgkmcnt(0)
	v_add_f32_e32 v7, v7, v9
	v_and_b32_e32 v8, 0x7c, v8
	ds_write_b32 v8, v7
.LBB625_34:
	s_or_b32 exec_lo, exec_lo, s2
	v_mov_b32_e32 v7, 0
	s_waitcnt lgkmcnt(0)
	s_barrier
	buffer_gl0_inv
	s_and_saveexec_b32 s0, vcc_lo
; %bb.35:
	ds_read_b32 v7, v1
; %bb.36:
	s_or_b32 exec_lo, exec_lo, s0
	s_and_saveexec_b32 s0, vcc_lo
	s_cbranch_execz .LBB625_38
; %bb.37:
	s_waitcnt lgkmcnt(0)
	ds_bpermute_b32 v1, v2, v7
	s_waitcnt lgkmcnt(0)
	v_add_f32_e32 v1, v7, v1
	ds_bpermute_b32 v2, v3, v1
	s_waitcnt lgkmcnt(0)
	v_add_f32_e32 v1, v1, v2
	;; [unrolled: 3-line block ×5, first 2 shown]
.LBB625_38:
	s_or_b32 exec_lo, exec_lo, s0
	s_mov_b32 s0, exec_lo
                                        ; implicit-def: $vgpr1
                                        ; implicit-def: $sgpr2_sgpr3
	v_cmpx_eq_u32_e32 0, v0
	s_cbranch_execz .LBB625_57
; %bb.39:
	v_cmp_eq_f32_e64 s2, s28, 0
	s_waitcnt lgkmcnt(0)
	v_mul_f32_e32 v0, s29, v7
	s_and_b32 vcc_lo, exec_lo, s2
	s_cbranch_vccz .LBB625_45
; %bb.40:
	v_and_b32_e32 v1, 0x7f800000, v0
	v_cmp_ne_u32_e32 vcc_lo, 0x7f800000, v1
                                        ; implicit-def: $vgpr1
	s_and_saveexec_b32 s2, vcc_lo
	s_xor_b32 s2, exec_lo, s2
; %bb.41:
	v_bfe_u32 v1, v0, 16, 1
	v_add3_u32 v1, v0, v1, 0x7fff
; %bb.42:
	s_andn2_saveexec_b32 s2, s2
; %bb.43:
	v_mov_b32_e32 v1, 0
	v_or_b32_e32 v2, 0x10000, v0
	v_cmp_eq_u32_sdwa vcc_lo, v0, v1 src0_sel:WORD_0 src1_sel:DWORD
	v_cndmask_b32_e32 v1, v2, v0, vcc_lo
; %bb.44:
	s_or_b32 exec_lo, exec_lo, s2
	s_mov_b32 s2, 0
	s_branch .LBB625_46
.LBB625_45:
	s_mov_b32 s2, -1
                                        ; implicit-def: $vgpr1
.LBB625_46:
	s_mul_i32 s4, s8, s13
	s_mul_hi_u32 s5, s8, s6
	s_andn2_b32 vcc_lo, exec_lo, s2
	s_mul_i32 s9, s9, s6
	s_mul_i32 s2, s8, s6
	s_cbranch_vccnz .LBB625_56
; %bb.47:
	s_add_i32 s3, s5, s4
	s_add_i32 s3, s3, s9
	s_lshl_b64 s[10:11], s[2:3], 1
	s_add_u32 s10, s1, s10
	s_addc_u32 s11, s7, s11
	v_mov_b32_e32 v1, s10
	v_mov_b32_e32 v2, s11
	flat_load_ushort v1, v[1:2]
	s_waitcnt vmcnt(0) lgkmcnt(0)
	v_lshlrev_b32_e32 v1, 16, v1
	v_mul_f32_e32 v1, s28, v1
	v_and_b32_e32 v2, 0x7f800000, v1
	v_cmp_ne_u32_e32 vcc_lo, 0x7f800000, v2
                                        ; implicit-def: $vgpr2
	s_and_saveexec_b32 s3, vcc_lo
	s_xor_b32 s3, exec_lo, s3
; %bb.48:
	v_bfe_u32 v2, v1, 16, 1
	v_add3_u32 v2, v1, v2, 0x7fff
                                        ; implicit-def: $vgpr1
; %bb.49:
	s_andn2_saveexec_b32 s3, s3
; %bb.50:
	v_mov_b32_e32 v2, 0
	v_or_b32_e32 v3, 0x10000, v1
	v_cmp_eq_u32_sdwa vcc_lo, v1, v2 src0_sel:WORD_0 src1_sel:DWORD
	v_cndmask_b32_e32 v2, v3, v1, vcc_lo
; %bb.51:
	s_or_b32 exec_lo, exec_lo, s3
	v_and_b32_e32 v1, 0xffff0000, v2
	v_add_f32_e32 v0, v0, v1
	v_and_b32_e32 v1, 0x7f800000, v0
	v_cmp_ne_u32_e32 vcc_lo, 0x7f800000, v1
                                        ; implicit-def: $vgpr1
	s_and_saveexec_b32 s3, vcc_lo
	s_xor_b32 s3, exec_lo, s3
; %bb.52:
	v_bfe_u32 v1, v0, 16, 1
	v_add3_u32 v1, v0, v1, 0x7fff
                                        ; implicit-def: $vgpr0
; %bb.53:
	s_andn2_saveexec_b32 s3, s3
; %bb.54:
	v_mov_b32_e32 v1, 0
	v_or_b32_e32 v2, 0x10000, v0
	v_cmp_eq_u32_sdwa vcc_lo, v0, v1 src0_sel:WORD_0 src1_sel:DWORD
	v_cndmask_b32_e32 v1, v2, v0, vcc_lo
; %bb.55:
	s_or_b32 exec_lo, exec_lo, s3
.LBB625_56:
	v_lshrrev_b32_e32 v1, 16, v1
	s_add_i32 s3, s5, s4
	s_or_b32 s12, s12, exec_lo
	s_add_i32 s3, s3, s9
.LBB625_57:
	s_or_b32 exec_lo, exec_lo, s0
.LBB625_58:
	s_and_saveexec_b32 s0, s12
	s_cbranch_execz .LBB625_60
; %bb.59:
	s_lshl_b64 s[2:3], s[2:3], 1
	s_add_u32 s0, s1, s2
	s_addc_u32 s1, s7, s3
	v_mov_b32_e32 v3, s1
	v_mov_b32_e32 v2, s0
	flat_store_short v[2:3], v1
.LBB625_60:
	s_endpgm
	.section	.rodata,"a",@progbits
	.p2align	6, 0x0
	.amdhsa_kernel _ZL32rocblas_gemvt_warp_reduce_kernelILb1ELi1024ElPK16rocblas_bfloat16PKfKPS0_EviiT3_lPKT2_lT1_lSA_lSB_lS7_lPT4_lSB_li
		.amdhsa_group_segment_fixed_size 128
		.amdhsa_private_segment_fixed_size 0
		.amdhsa_kernarg_size 140
		.amdhsa_user_sgpr_count 6
		.amdhsa_user_sgpr_private_segment_buffer 1
		.amdhsa_user_sgpr_dispatch_ptr 0
		.amdhsa_user_sgpr_queue_ptr 0
		.amdhsa_user_sgpr_kernarg_segment_ptr 1
		.amdhsa_user_sgpr_dispatch_id 0
		.amdhsa_user_sgpr_flat_scratch_init 0
		.amdhsa_user_sgpr_private_segment_size 0
		.amdhsa_wavefront_size32 1
		.amdhsa_uses_dynamic_stack 0
		.amdhsa_system_sgpr_private_segment_wavefront_offset 0
		.amdhsa_system_sgpr_workgroup_id_x 1
		.amdhsa_system_sgpr_workgroup_id_y 0
		.amdhsa_system_sgpr_workgroup_id_z 1
		.amdhsa_system_sgpr_workgroup_info 0
		.amdhsa_system_vgpr_workitem_id 0
		.amdhsa_next_free_vgpr 12
		.amdhsa_next_free_sgpr 31
		.amdhsa_reserve_vcc 1
		.amdhsa_reserve_flat_scratch 0
		.amdhsa_float_round_mode_32 0
		.amdhsa_float_round_mode_16_64 0
		.amdhsa_float_denorm_mode_32 3
		.amdhsa_float_denorm_mode_16_64 3
		.amdhsa_dx10_clamp 1
		.amdhsa_ieee_mode 1
		.amdhsa_fp16_overflow 0
		.amdhsa_workgroup_processor_mode 1
		.amdhsa_memory_ordered 1
		.amdhsa_forward_progress 1
		.amdhsa_shared_vgpr_count 0
		.amdhsa_exception_fp_ieee_invalid_op 0
		.amdhsa_exception_fp_denorm_src 0
		.amdhsa_exception_fp_ieee_div_zero 0
		.amdhsa_exception_fp_ieee_overflow 0
		.amdhsa_exception_fp_ieee_underflow 0
		.amdhsa_exception_fp_ieee_inexact 0
		.amdhsa_exception_int_div_zero 0
	.end_amdhsa_kernel
	.section	.text._ZL32rocblas_gemvt_warp_reduce_kernelILb1ELi1024ElPK16rocblas_bfloat16PKfKPS0_EviiT3_lPKT2_lT1_lSA_lSB_lS7_lPT4_lSB_li,"axG",@progbits,_ZL32rocblas_gemvt_warp_reduce_kernelILb1ELi1024ElPK16rocblas_bfloat16PKfKPS0_EviiT3_lPKT2_lT1_lSA_lSB_lS7_lPT4_lSB_li,comdat
.Lfunc_end625:
	.size	_ZL32rocblas_gemvt_warp_reduce_kernelILb1ELi1024ElPK16rocblas_bfloat16PKfKPS0_EviiT3_lPKT2_lT1_lSA_lSB_lS7_lPT4_lSB_li, .Lfunc_end625-_ZL32rocblas_gemvt_warp_reduce_kernelILb1ELi1024ElPK16rocblas_bfloat16PKfKPS0_EviiT3_lPKT2_lT1_lSA_lSB_lS7_lPT4_lSB_li
                                        ; -- End function
	.set _ZL32rocblas_gemvt_warp_reduce_kernelILb1ELi1024ElPK16rocblas_bfloat16PKfKPS0_EviiT3_lPKT2_lT1_lSA_lSB_lS7_lPT4_lSB_li.num_vgpr, 12
	.set _ZL32rocblas_gemvt_warp_reduce_kernelILb1ELi1024ElPK16rocblas_bfloat16PKfKPS0_EviiT3_lPKT2_lT1_lSA_lSB_lS7_lPT4_lSB_li.num_agpr, 0
	.set _ZL32rocblas_gemvt_warp_reduce_kernelILb1ELi1024ElPK16rocblas_bfloat16PKfKPS0_EviiT3_lPKT2_lT1_lSA_lSB_lS7_lPT4_lSB_li.numbered_sgpr, 31
	.set _ZL32rocblas_gemvt_warp_reduce_kernelILb1ELi1024ElPK16rocblas_bfloat16PKfKPS0_EviiT3_lPKT2_lT1_lSA_lSB_lS7_lPT4_lSB_li.num_named_barrier, 0
	.set _ZL32rocblas_gemvt_warp_reduce_kernelILb1ELi1024ElPK16rocblas_bfloat16PKfKPS0_EviiT3_lPKT2_lT1_lSA_lSB_lS7_lPT4_lSB_li.private_seg_size, 0
	.set _ZL32rocblas_gemvt_warp_reduce_kernelILb1ELi1024ElPK16rocblas_bfloat16PKfKPS0_EviiT3_lPKT2_lT1_lSA_lSB_lS7_lPT4_lSB_li.uses_vcc, 1
	.set _ZL32rocblas_gemvt_warp_reduce_kernelILb1ELi1024ElPK16rocblas_bfloat16PKfKPS0_EviiT3_lPKT2_lT1_lSA_lSB_lS7_lPT4_lSB_li.uses_flat_scratch, 0
	.set _ZL32rocblas_gemvt_warp_reduce_kernelILb1ELi1024ElPK16rocblas_bfloat16PKfKPS0_EviiT3_lPKT2_lT1_lSA_lSB_lS7_lPT4_lSB_li.has_dyn_sized_stack, 0
	.set _ZL32rocblas_gemvt_warp_reduce_kernelILb1ELi1024ElPK16rocblas_bfloat16PKfKPS0_EviiT3_lPKT2_lT1_lSA_lSB_lS7_lPT4_lSB_li.has_recursion, 0
	.set _ZL32rocblas_gemvt_warp_reduce_kernelILb1ELi1024ElPK16rocblas_bfloat16PKfKPS0_EviiT3_lPKT2_lT1_lSA_lSB_lS7_lPT4_lSB_li.has_indirect_call, 0
	.section	.AMDGPU.csdata,"",@progbits
; Kernel info:
; codeLenInByte = 2088
; TotalNumSgprs: 33
; NumVgprs: 12
; ScratchSize: 0
; MemoryBound: 0
; FloatMode: 240
; IeeeMode: 1
; LDSByteSize: 128 bytes/workgroup (compile time only)
; SGPRBlocks: 0
; VGPRBlocks: 1
; NumSGPRsForWavesPerEU: 33
; NumVGPRsForWavesPerEU: 12
; Occupancy: 16
; WaveLimiterHint : 1
; COMPUTE_PGM_RSRC2:SCRATCH_EN: 0
; COMPUTE_PGM_RSRC2:USER_SGPR: 6
; COMPUTE_PGM_RSRC2:TRAP_HANDLER: 0
; COMPUTE_PGM_RSRC2:TGID_X_EN: 1
; COMPUTE_PGM_RSRC2:TGID_Y_EN: 0
; COMPUTE_PGM_RSRC2:TGID_Z_EN: 1
; COMPUTE_PGM_RSRC2:TIDIG_COMP_CNT: 0
	.section	.text._ZL32rocblas_gemvt_warp_reduce_kernelILb1ELi1024EiPK16rocblas_bfloat16fKPS0_EviiT3_lPKT2_lT1_lS8_lS9_lS5_lPT4_lS9_li,"axG",@progbits,_ZL32rocblas_gemvt_warp_reduce_kernelILb1ELi1024EiPK16rocblas_bfloat16fKPS0_EviiT3_lPKT2_lT1_lS8_lS9_lS5_lPT4_lS9_li,comdat
	.globl	_ZL32rocblas_gemvt_warp_reduce_kernelILb1ELi1024EiPK16rocblas_bfloat16fKPS0_EviiT3_lPKT2_lT1_lS8_lS9_lS5_lPT4_lS9_li ; -- Begin function _ZL32rocblas_gemvt_warp_reduce_kernelILb1ELi1024EiPK16rocblas_bfloat16fKPS0_EviiT3_lPKT2_lT1_lS8_lS9_lS5_lPT4_lS9_li
	.p2align	8
	.type	_ZL32rocblas_gemvt_warp_reduce_kernelILb1ELi1024EiPK16rocblas_bfloat16fKPS0_EviiT3_lPKT2_lT1_lS8_lS9_lS5_lPT4_lS9_li,@function
_ZL32rocblas_gemvt_warp_reduce_kernelILb1ELi1024EiPK16rocblas_bfloat16fKPS0_EviiT3_lPKT2_lT1_lS8_lS9_lS5_lPT4_lS9_li: ; @_ZL32rocblas_gemvt_warp_reduce_kernelILb1ELi1024EiPK16rocblas_bfloat16fKPS0_EviiT3_lPKT2_lT1_lS8_lS9_lS5_lPT4_lS9_li
; %bb.0:
	s_clause 0x1
	s_load_dword s13, s[4:5], 0x8
	s_load_dword s12, s[4:5], 0x58
	s_mov_b32 s9, 0
	s_waitcnt lgkmcnt(0)
	v_cmp_eq_f32_e64 s14, s13, 0
	v_cmp_eq_f32_e64 s0, s12, 1.0
	s_and_b32 s0, s14, s0
	s_and_b32 vcc_lo, exec_lo, s0
	s_cbranch_vccnz .LBB626_61
; %bb.1:
	s_mov_b32 s8, s7
	v_cmp_neq_f32_e64 s7, s13, 0
	s_and_b32 vcc_lo, exec_lo, s7
	s_cbranch_vccnz .LBB626_3
; %bb.2:
	s_mov_b32 s1, 0
	s_mov_b32 s0, s8
	;; [unrolled: 1-line block ×3, first 2 shown]
	s_mov_b64 s[2:3], 0
	s_andn2_b32 vcc_lo, exec_lo, s10
	s_mov_b64 s[10:11], 0
	s_cbranch_vccz .LBB626_4
	s_branch .LBB626_5
.LBB626_3:
	s_mov_b64 s[0:1], s[8:9]
	s_mov_b64 s[2:3], 0
	;; [unrolled: 1-line block ×3, first 2 shown]
.LBB626_4:
	s_load_dwordx4 s[16:19], s[4:5], 0x18
	s_lshl_b64 s[8:9], s[8:9], 3
	s_waitcnt lgkmcnt(0)
	s_add_u32 s8, s16, s8
	s_addc_u32 s9, s17, s9
	s_lshl_b64 s[10:11], s[18:19], 1
	s_load_dwordx2 s[8:9], s[8:9], 0x0
	s_waitcnt lgkmcnt(0)
	s_add_u32 s10, s8, s10
	s_addc_u32 s11, s9, s11
.LBB626_5:
	s_andn2_b32 vcc_lo, exec_lo, s7
	s_cbranch_vccnz .LBB626_7
; %bb.6:
	s_load_dwordx4 s[16:19], s[4:5], 0x38
	s_lshl_b64 s[2:3], s[0:1], 3
	s_waitcnt lgkmcnt(0)
	s_add_u32 s2, s16, s2
	s_addc_u32 s3, s17, s3
	s_lshl_b64 s[8:9], s[18:19], 1
	s_load_dwordx2 s[2:3], s[2:3], 0x0
	s_waitcnt lgkmcnt(0)
	s_add_u32 s2, s2, s8
	s_addc_u32 s3, s3, s9
.LBB626_7:
	s_clause 0x1
	s_load_dwordx4 s[16:19], s[4:5], 0x68
	s_load_dword s15, s[4:5], 0x78
	s_lshl_b64 s[0:1], s[0:1], 3
	s_waitcnt lgkmcnt(0)
	s_add_u32 s0, s16, s0
	s_addc_u32 s1, s17, s1
	s_lshl_b64 s[16:17], s[18:19], 1
	s_load_dwordx2 s[8:9], s[0:1], 0x0
	v_cmp_eq_u32_e64 s0, 0, v0
	s_waitcnt lgkmcnt(0)
	s_add_u32 s1, s8, s16
	s_addc_u32 s7, s9, s17
	s_andn2_b32 vcc_lo, exec_lo, s14
	s_cbranch_vccnz .LBB626_15
; %bb.8:
	s_mov_b32 s16, 0
	s_mov_b32 s14, 0
                                        ; implicit-def: $vgpr1
                                        ; implicit-def: $sgpr8_sgpr9
	s_and_saveexec_b32 s17, s0
	s_cbranch_execz .LBB626_16
; %bb.9:
	v_cmp_eq_f32_e64 s0, s12, 0
	s_mul_i32 s8, s15, s6
	s_ashr_i32 s9, s8, 31
	s_and_b32 vcc_lo, exec_lo, s0
	s_cbranch_vccnz .LBB626_17
; %bb.10:
	s_lshl_b64 s[18:19], s[8:9], 1
	s_add_u32 s18, s1, s18
	s_addc_u32 s19, s7, s19
	v_mov_b32_e32 v1, s18
	v_mov_b32_e32 v2, s19
	flat_load_ushort v1, v[1:2]
	s_waitcnt vmcnt(0) lgkmcnt(0)
	v_lshlrev_b32_e32 v1, 16, v1
	v_mul_f32_e32 v1, s12, v1
	v_and_b32_e32 v2, 0x7f800000, v1
	v_cmp_ne_u32_e32 vcc_lo, 0x7f800000, v2
                                        ; implicit-def: $vgpr2
	s_and_saveexec_b32 s0, vcc_lo
	s_xor_b32 s0, exec_lo, s0
; %bb.11:
	v_bfe_u32 v2, v1, 16, 1
	v_add3_u32 v2, v1, v2, 0x7fff
                                        ; implicit-def: $vgpr1
; %bb.12:
	s_andn2_saveexec_b32 s0, s0
; %bb.13:
	v_mov_b32_e32 v2, 0
	v_or_b32_e32 v3, 0x10000, v1
	v_cmp_eq_u32_sdwa vcc_lo, v1, v2 src0_sel:WORD_0 src1_sel:DWORD
	v_cndmask_b32_e32 v2, v3, v1, vcc_lo
; %bb.14:
	s_or_b32 exec_lo, exec_lo, s0
	v_lshrrev_b32_e32 v1, 16, v2
	s_mov_b32 s14, exec_lo
	s_or_b32 exec_lo, exec_lo, s17
	s_and_b32 vcc_lo, exec_lo, s16
	s_cbranch_vccnz .LBB626_18
	s_branch .LBB626_59
.LBB626_15:
	s_mov_b32 s14, 0
                                        ; implicit-def: $vgpr1
                                        ; implicit-def: $sgpr8_sgpr9
	s_cbranch_execnz .LBB626_18
	s_branch .LBB626_59
.LBB626_16:
	s_or_b32 exec_lo, exec_lo, s17
	s_and_b32 vcc_lo, exec_lo, s16
	s_cbranch_vccnz .LBB626_18
	s_branch .LBB626_59
.LBB626_17:
	v_mov_b32_e32 v1, 0
	s_mov_b32 s14, exec_lo
	s_or_b32 exec_lo, exec_lo, s17
	s_and_b32 vcc_lo, exec_lo, s16
	s_cbranch_vccz .LBB626_59
.LBB626_18:
	s_clause 0x2
	s_load_dword s8, s[4:5], 0x0
	s_load_dword s0, s[4:5], 0x28
	;; [unrolled: 1-line block ×3, first 2 shown]
	v_mov_b32_e32 v7, 0
	s_mov_b32 s9, exec_lo
	s_waitcnt lgkmcnt(0)
	v_cmp_gt_i32_e32 vcc_lo, s8, v0
	s_mul_i32 s16, s0, s6
	s_ashr_i32 s0, s8, 31
	s_ashr_i32 s17, s16, 31
	s_lshr_b32 s0, s0, 22
	v_cndmask_b32_e32 v1, 0, v0, vcc_lo
	s_lshl_b64 s[16:17], s[16:17], 1
	s_add_i32 s0, s8, s0
	v_lshlrev_b32_e32 v1, 1, v1
	v_add_co_u32 v1, s4, s10, v1
	v_add_co_ci_u32_e64 v2, null, s11, 0, s4
	s_and_b32 s4, s0, 0xfffffc00
	v_add_co_u32 v1, vcc_lo, v1, s16
	v_add_co_ci_u32_e64 v2, null, s17, v2, vcc_lo
	s_mov_b32 s10, 0
	v_cmpx_gt_i32_e64 s4, v0
	s_cbranch_execz .LBB626_26
; %bb.19:
	v_mul_lo_u32 v3, v0, s5
	v_mov_b32_e32 v6, v2
	v_mov_b32_e32 v8, 0
	;; [unrolled: 1-line block ×5, first 2 shown]
	s_lshl_b32 s11, s5, 10
	s_branch .LBB626_21
.LBB626_20:                             ;   in Loop: Header=BB626_21 Depth=1
	s_or_b32 exec_lo, exec_lo, s0
	v_add_nc_u32_e32 v9, 0x400, v9
	v_and_b32_e32 v4, 0xffff0000, v10
	v_add_co_u32 v5, s0, 0x800, v5
	v_add_nc_u32_e32 v3, s11, v3
	v_cmp_le_i32_e32 vcc_lo, s4, v9
	v_add_f32_e32 v7, v7, v4
	v_add_co_ci_u32_e64 v6, null, 0, v6, s0
	s_or_b32 s10, vcc_lo, s10
	s_andn2_b32 exec_lo, exec_lo, s10
	s_cbranch_execz .LBB626_25
.LBB626_21:                             ; =>This Inner Loop Header: Depth=1
	v_ashrrev_i32_e32 v4, 31, v3
	v_lshlrev_b64 v[10:11], 1, v[3:4]
	v_add_co_u32 v10, vcc_lo, s2, v10
	v_add_co_ci_u32_e64 v11, null, s3, v11, vcc_lo
	flat_load_ushort v4, v[5:6]
	flat_load_ushort v10, v[10:11]
	s_waitcnt vmcnt(1) lgkmcnt(1)
	v_lshlrev_b32_e32 v4, 16, v4
	s_waitcnt vmcnt(0) lgkmcnt(0)
	v_lshlrev_b32_e32 v10, 16, v10
	v_mul_f32_e32 v4, v4, v10
	v_and_b32_e32 v10, 0x7f800000, v4
	v_cmp_ne_u32_e32 vcc_lo, 0x7f800000, v10
                                        ; implicit-def: $vgpr10
	s_and_saveexec_b32 s0, vcc_lo
	s_xor_b32 s0, exec_lo, s0
; %bb.22:                               ;   in Loop: Header=BB626_21 Depth=1
	v_bfe_u32 v10, v4, 16, 1
	v_add3_u32 v10, v4, v10, 0x7fff
                                        ; implicit-def: $vgpr4
; %bb.23:                               ;   in Loop: Header=BB626_21 Depth=1
	s_andn2_saveexec_b32 s0, s0
	s_cbranch_execz .LBB626_20
; %bb.24:                               ;   in Loop: Header=BB626_21 Depth=1
	v_or_b32_e32 v10, 0x10000, v4
	v_cmp_eq_u32_sdwa vcc_lo, v4, v8 src0_sel:WORD_0 src1_sel:DWORD
	v_cndmask_b32_e32 v10, v10, v4, vcc_lo
	s_branch .LBB626_20
.LBB626_25:
	s_or_b32 exec_lo, exec_lo, s10
.LBB626_26:
	s_or_b32 exec_lo, exec_lo, s9
	v_or_b32_e32 v3, s4, v0
	s_mov_b32 s0, exec_lo
	v_cmpx_gt_i32_e64 s8, v3
	s_cbranch_execz .LBB626_32
; %bb.27:
	v_mul_lo_u32 v3, s5, v3
	s_ashr_i32 s5, s4, 31
	s_lshl_b64 s[4:5], s[4:5], 1
	v_ashrrev_i32_e32 v4, 31, v3
	v_lshlrev_b64 v[3:4], 1, v[3:4]
	v_add_co_u32 v3, vcc_lo, s2, v3
	v_add_co_ci_u32_e64 v4, null, s3, v4, vcc_lo
	v_add_co_u32 v1, vcc_lo, v1, s4
	v_add_co_ci_u32_e64 v2, null, s5, v2, vcc_lo
	flat_load_ushort v3, v[3:4]
	flat_load_ushort v1, v[1:2]
	s_waitcnt vmcnt(1) lgkmcnt(1)
	v_lshlrev_b32_e32 v2, 16, v3
	s_waitcnt vmcnt(0) lgkmcnt(0)
	v_lshlrev_b32_e32 v1, 16, v1
	v_mul_f32_e32 v1, v1, v2
	v_and_b32_e32 v2, 0x7f800000, v1
	v_cmp_ne_u32_e32 vcc_lo, 0x7f800000, v2
                                        ; implicit-def: $vgpr2
	s_and_saveexec_b32 s2, vcc_lo
	s_xor_b32 s2, exec_lo, s2
; %bb.28:
	v_bfe_u32 v2, v1, 16, 1
	v_add3_u32 v2, v1, v2, 0x7fff
                                        ; implicit-def: $vgpr1
; %bb.29:
	s_andn2_saveexec_b32 s2, s2
; %bb.30:
	v_mov_b32_e32 v2, 0
	v_or_b32_e32 v3, 0x10000, v1
	v_cmp_eq_u32_sdwa vcc_lo, v1, v2 src0_sel:WORD_0 src1_sel:DWORD
	v_cndmask_b32_e32 v2, v3, v1, vcc_lo
; %bb.31:
	s_or_b32 exec_lo, exec_lo, s2
	v_and_b32_e32 v1, 0xffff0000, v2
	v_add_f32_e32 v7, v7, v1
.LBB626_32:
	s_or_b32 exec_lo, exec_lo, s0
	v_and_b32_e32 v8, 31, v0
	v_cmp_gt_u32_e32 vcc_lo, 32, v0
	v_lshlrev_b32_e32 v1, 2, v8
	s_and_saveexec_b32 s0, vcc_lo
; %bb.33:
	v_mov_b32_e32 v2, 0
	ds_write_b32 v1, v2
; %bb.34:
	s_or_b32 exec_lo, exec_lo, s0
	v_mbcnt_lo_u32_b32 v6, -1, 0
	s_mov_b32 s2, exec_lo
	s_waitcnt lgkmcnt(0)
	s_barrier
	buffer_gl0_inv
	v_lshl_or_b32 v2, v6, 2, 64
	v_cmp_gt_u32_e64 s0, 24, v6
	ds_bpermute_b32 v4, v2, v7
	v_cndmask_b32_e64 v3, 0, 8, s0
	v_cmp_gt_u32_e64 s0, 28, v6
	v_add_lshl_u32 v3, v3, v6, 2
	s_waitcnt lgkmcnt(0)
	v_add_f32_e32 v5, v7, v4
	v_cndmask_b32_e64 v4, 0, 4, s0
	v_cmp_gt_u32_e64 s0, 30, v6
	ds_bpermute_b32 v7, v3, v5
	v_add_lshl_u32 v4, v4, v6, 2
	s_waitcnt lgkmcnt(0)
	v_add_f32_e32 v7, v5, v7
	v_cndmask_b32_e64 v5, 0, 2, s0
	v_cmp_ne_u32_e64 s0, 31, v6
	ds_bpermute_b32 v9, v4, v7
	v_add_lshl_u32 v5, v5, v6, 2
	v_add_co_ci_u32_e64 v6, null, 0, v6, s0
	v_lshlrev_b32_e32 v6, 2, v6
	s_waitcnt lgkmcnt(0)
	v_add_f32_e32 v7, v7, v9
	ds_bpermute_b32 v9, v5, v7
	s_waitcnt lgkmcnt(0)
	v_add_f32_e32 v7, v7, v9
	ds_bpermute_b32 v9, v6, v7
	v_cmpx_eq_u32_e32 0, v8
	s_cbranch_execz .LBB626_36
; %bb.35:
	v_lshrrev_b32_e32 v8, 3, v0
	s_waitcnt lgkmcnt(0)
	v_add_f32_e32 v7, v7, v9
	v_and_b32_e32 v8, 0x7c, v8
	ds_write_b32 v8, v7
.LBB626_36:
	s_or_b32 exec_lo, exec_lo, s2
	v_mov_b32_e32 v7, 0
	s_waitcnt lgkmcnt(0)
	s_barrier
	buffer_gl0_inv
	s_and_saveexec_b32 s0, vcc_lo
; %bb.37:
	ds_read_b32 v7, v1
; %bb.38:
	s_or_b32 exec_lo, exec_lo, s0
	s_and_saveexec_b32 s0, vcc_lo
	s_cbranch_execz .LBB626_40
; %bb.39:
	s_waitcnt lgkmcnt(0)
	ds_bpermute_b32 v1, v2, v7
	s_waitcnt lgkmcnt(0)
	v_add_f32_e32 v1, v7, v1
	ds_bpermute_b32 v2, v3, v1
	s_waitcnt lgkmcnt(0)
	v_add_f32_e32 v1, v1, v2
	;; [unrolled: 3-line block ×5, first 2 shown]
.LBB626_40:
	s_or_b32 exec_lo, exec_lo, s0
	s_mov_b32 s0, exec_lo
                                        ; implicit-def: $vgpr1
                                        ; implicit-def: $sgpr8_sgpr9
	v_cmpx_eq_u32_e32 0, v0
	s_cbranch_execz .LBB626_58
; %bb.41:
	v_cmp_eq_f32_e64 s2, s12, 0
	s_waitcnt lgkmcnt(0)
	v_mul_f32_e32 v0, s13, v7
	s_and_b32 vcc_lo, exec_lo, s2
	s_cbranch_vccz .LBB626_47
; %bb.42:
	v_and_b32_e32 v1, 0x7f800000, v0
	v_cmp_ne_u32_e32 vcc_lo, 0x7f800000, v1
                                        ; implicit-def: $vgpr1
	s_and_saveexec_b32 s2, vcc_lo
	s_xor_b32 s2, exec_lo, s2
; %bb.43:
	v_bfe_u32 v1, v0, 16, 1
	v_add3_u32 v1, v0, v1, 0x7fff
; %bb.44:
	s_andn2_saveexec_b32 s2, s2
; %bb.45:
	v_mov_b32_e32 v1, 0
	v_or_b32_e32 v2, 0x10000, v0
	v_cmp_eq_u32_sdwa vcc_lo, v0, v1 src0_sel:WORD_0 src1_sel:DWORD
	v_cndmask_b32_e32 v1, v2, v0, vcc_lo
; %bb.46:
	s_or_b32 exec_lo, exec_lo, s2
	s_mul_i32 s8, s15, s6
	s_cbranch_execz .LBB626_48
	s_branch .LBB626_57
.LBB626_47:
                                        ; implicit-def: $vgpr1
	s_mul_i32 s8, s15, s6
.LBB626_48:
	s_ashr_i32 s9, s8, 31
	s_lshl_b64 s[2:3], s[8:9], 1
	s_add_u32 s2, s1, s2
	s_addc_u32 s3, s7, s3
	v_mov_b32_e32 v1, s2
	v_mov_b32_e32 v2, s3
	flat_load_ushort v1, v[1:2]
	s_waitcnt vmcnt(0) lgkmcnt(0)
	v_lshlrev_b32_e32 v1, 16, v1
	v_mul_f32_e32 v1, s12, v1
	v_and_b32_e32 v2, 0x7f800000, v1
	v_cmp_ne_u32_e32 vcc_lo, 0x7f800000, v2
                                        ; implicit-def: $vgpr2
	s_and_saveexec_b32 s2, vcc_lo
	s_xor_b32 s2, exec_lo, s2
; %bb.49:
	v_bfe_u32 v2, v1, 16, 1
	v_add3_u32 v2, v1, v2, 0x7fff
                                        ; implicit-def: $vgpr1
; %bb.50:
	s_andn2_saveexec_b32 s2, s2
; %bb.51:
	v_mov_b32_e32 v2, 0
	v_or_b32_e32 v3, 0x10000, v1
	v_cmp_eq_u32_sdwa vcc_lo, v1, v2 src0_sel:WORD_0 src1_sel:DWORD
	v_cndmask_b32_e32 v2, v3, v1, vcc_lo
; %bb.52:
	s_or_b32 exec_lo, exec_lo, s2
	v_and_b32_e32 v1, 0xffff0000, v2
	v_add_f32_e32 v0, v0, v1
	v_and_b32_e32 v1, 0x7f800000, v0
	v_cmp_ne_u32_e32 vcc_lo, 0x7f800000, v1
                                        ; implicit-def: $vgpr1
	s_and_saveexec_b32 s2, vcc_lo
	s_xor_b32 s2, exec_lo, s2
; %bb.53:
	v_bfe_u32 v1, v0, 16, 1
	v_add3_u32 v1, v0, v1, 0x7fff
                                        ; implicit-def: $vgpr0
; %bb.54:
	s_andn2_saveexec_b32 s2, s2
; %bb.55:
	v_mov_b32_e32 v1, 0
	v_or_b32_e32 v2, 0x10000, v0
	v_cmp_eq_u32_sdwa vcc_lo, v0, v1 src0_sel:WORD_0 src1_sel:DWORD
	v_cndmask_b32_e32 v1, v2, v0, vcc_lo
; %bb.56:
	s_or_b32 exec_lo, exec_lo, s2
.LBB626_57:
	v_lshrrev_b32_e32 v1, 16, v1
	s_ashr_i32 s9, s8, 31
	s_or_b32 s14, s14, exec_lo
.LBB626_58:
	s_or_b32 exec_lo, exec_lo, s0
.LBB626_59:
	s_and_saveexec_b32 s0, s14
	s_cbranch_execz .LBB626_61
; %bb.60:
	s_lshl_b64 s[2:3], s[8:9], 1
	s_add_u32 s0, s1, s2
	s_addc_u32 s1, s7, s3
	v_mov_b32_e32 v3, s1
	v_mov_b32_e32 v2, s0
	flat_store_short v[2:3], v1
.LBB626_61:
	s_endpgm
	.section	.rodata,"a",@progbits
	.p2align	6, 0x0
	.amdhsa_kernel _ZL32rocblas_gemvt_warp_reduce_kernelILb1ELi1024EiPK16rocblas_bfloat16fKPS0_EviiT3_lPKT2_lT1_lS8_lS9_lS5_lPT4_lS9_li
		.amdhsa_group_segment_fixed_size 128
		.amdhsa_private_segment_fixed_size 0
		.amdhsa_kernarg_size 140
		.amdhsa_user_sgpr_count 6
		.amdhsa_user_sgpr_private_segment_buffer 1
		.amdhsa_user_sgpr_dispatch_ptr 0
		.amdhsa_user_sgpr_queue_ptr 0
		.amdhsa_user_sgpr_kernarg_segment_ptr 1
		.amdhsa_user_sgpr_dispatch_id 0
		.amdhsa_user_sgpr_flat_scratch_init 0
		.amdhsa_user_sgpr_private_segment_size 0
		.amdhsa_wavefront_size32 1
		.amdhsa_uses_dynamic_stack 0
		.amdhsa_system_sgpr_private_segment_wavefront_offset 0
		.amdhsa_system_sgpr_workgroup_id_x 1
		.amdhsa_system_sgpr_workgroup_id_y 0
		.amdhsa_system_sgpr_workgroup_id_z 1
		.amdhsa_system_sgpr_workgroup_info 0
		.amdhsa_system_vgpr_workitem_id 0
		.amdhsa_next_free_vgpr 12
		.amdhsa_next_free_sgpr 20
		.amdhsa_reserve_vcc 1
		.amdhsa_reserve_flat_scratch 0
		.amdhsa_float_round_mode_32 0
		.amdhsa_float_round_mode_16_64 0
		.amdhsa_float_denorm_mode_32 3
		.amdhsa_float_denorm_mode_16_64 3
		.amdhsa_dx10_clamp 1
		.amdhsa_ieee_mode 1
		.amdhsa_fp16_overflow 0
		.amdhsa_workgroup_processor_mode 1
		.amdhsa_memory_ordered 1
		.amdhsa_forward_progress 1
		.amdhsa_shared_vgpr_count 0
		.amdhsa_exception_fp_ieee_invalid_op 0
		.amdhsa_exception_fp_denorm_src 0
		.amdhsa_exception_fp_ieee_div_zero 0
		.amdhsa_exception_fp_ieee_overflow 0
		.amdhsa_exception_fp_ieee_underflow 0
		.amdhsa_exception_fp_ieee_inexact 0
		.amdhsa_exception_int_div_zero 0
	.end_amdhsa_kernel
	.section	.text._ZL32rocblas_gemvt_warp_reduce_kernelILb1ELi1024EiPK16rocblas_bfloat16fKPS0_EviiT3_lPKT2_lT1_lS8_lS9_lS5_lPT4_lS9_li,"axG",@progbits,_ZL32rocblas_gemvt_warp_reduce_kernelILb1ELi1024EiPK16rocblas_bfloat16fKPS0_EviiT3_lPKT2_lT1_lS8_lS9_lS5_lPT4_lS9_li,comdat
.Lfunc_end626:
	.size	_ZL32rocblas_gemvt_warp_reduce_kernelILb1ELi1024EiPK16rocblas_bfloat16fKPS0_EviiT3_lPKT2_lT1_lS8_lS9_lS5_lPT4_lS9_li, .Lfunc_end626-_ZL32rocblas_gemvt_warp_reduce_kernelILb1ELi1024EiPK16rocblas_bfloat16fKPS0_EviiT3_lPKT2_lT1_lS8_lS9_lS5_lPT4_lS9_li
                                        ; -- End function
	.set _ZL32rocblas_gemvt_warp_reduce_kernelILb1ELi1024EiPK16rocblas_bfloat16fKPS0_EviiT3_lPKT2_lT1_lS8_lS9_lS5_lPT4_lS9_li.num_vgpr, 12
	.set _ZL32rocblas_gemvt_warp_reduce_kernelILb1ELi1024EiPK16rocblas_bfloat16fKPS0_EviiT3_lPKT2_lT1_lS8_lS9_lS5_lPT4_lS9_li.num_agpr, 0
	.set _ZL32rocblas_gemvt_warp_reduce_kernelILb1ELi1024EiPK16rocblas_bfloat16fKPS0_EviiT3_lPKT2_lT1_lS8_lS9_lS5_lPT4_lS9_li.numbered_sgpr, 20
	.set _ZL32rocblas_gemvt_warp_reduce_kernelILb1ELi1024EiPK16rocblas_bfloat16fKPS0_EviiT3_lPKT2_lT1_lS8_lS9_lS5_lPT4_lS9_li.num_named_barrier, 0
	.set _ZL32rocblas_gemvt_warp_reduce_kernelILb1ELi1024EiPK16rocblas_bfloat16fKPS0_EviiT3_lPKT2_lT1_lS8_lS9_lS5_lPT4_lS9_li.private_seg_size, 0
	.set _ZL32rocblas_gemvt_warp_reduce_kernelILb1ELi1024EiPK16rocblas_bfloat16fKPS0_EviiT3_lPKT2_lT1_lS8_lS9_lS5_lPT4_lS9_li.uses_vcc, 1
	.set _ZL32rocblas_gemvt_warp_reduce_kernelILb1ELi1024EiPK16rocblas_bfloat16fKPS0_EviiT3_lPKT2_lT1_lS8_lS9_lS5_lPT4_lS9_li.uses_flat_scratch, 0
	.set _ZL32rocblas_gemvt_warp_reduce_kernelILb1ELi1024EiPK16rocblas_bfloat16fKPS0_EviiT3_lPKT2_lT1_lS8_lS9_lS5_lPT4_lS9_li.has_dyn_sized_stack, 0
	.set _ZL32rocblas_gemvt_warp_reduce_kernelILb1ELi1024EiPK16rocblas_bfloat16fKPS0_EviiT3_lPKT2_lT1_lS8_lS9_lS5_lPT4_lS9_li.has_recursion, 0
	.set _ZL32rocblas_gemvt_warp_reduce_kernelILb1ELi1024EiPK16rocblas_bfloat16fKPS0_EviiT3_lPKT2_lT1_lS8_lS9_lS5_lPT4_lS9_li.has_indirect_call, 0
	.section	.AMDGPU.csdata,"",@progbits
; Kernel info:
; codeLenInByte = 1912
; TotalNumSgprs: 22
; NumVgprs: 12
; ScratchSize: 0
; MemoryBound: 0
; FloatMode: 240
; IeeeMode: 1
; LDSByteSize: 128 bytes/workgroup (compile time only)
; SGPRBlocks: 0
; VGPRBlocks: 1
; NumSGPRsForWavesPerEU: 22
; NumVGPRsForWavesPerEU: 12
; Occupancy: 16
; WaveLimiterHint : 1
; COMPUTE_PGM_RSRC2:SCRATCH_EN: 0
; COMPUTE_PGM_RSRC2:USER_SGPR: 6
; COMPUTE_PGM_RSRC2:TRAP_HANDLER: 0
; COMPUTE_PGM_RSRC2:TGID_X_EN: 1
; COMPUTE_PGM_RSRC2:TGID_Y_EN: 0
; COMPUTE_PGM_RSRC2:TGID_Z_EN: 1
; COMPUTE_PGM_RSRC2:TIDIG_COMP_CNT: 0
	.section	.text._ZL32rocblas_gemvt_warp_reduce_kernelILb1ELi1024ElPK16rocblas_bfloat16fKPS0_EviiT3_lPKT2_lT1_lS8_lS9_lS5_lPT4_lS9_li,"axG",@progbits,_ZL32rocblas_gemvt_warp_reduce_kernelILb1ELi1024ElPK16rocblas_bfloat16fKPS0_EviiT3_lPKT2_lT1_lS8_lS9_lS5_lPT4_lS9_li,comdat
	.globl	_ZL32rocblas_gemvt_warp_reduce_kernelILb1ELi1024ElPK16rocblas_bfloat16fKPS0_EviiT3_lPKT2_lT1_lS8_lS9_lS5_lPT4_lS9_li ; -- Begin function _ZL32rocblas_gemvt_warp_reduce_kernelILb1ELi1024ElPK16rocblas_bfloat16fKPS0_EviiT3_lPKT2_lT1_lS8_lS9_lS5_lPT4_lS9_li
	.p2align	8
	.type	_ZL32rocblas_gemvt_warp_reduce_kernelILb1ELi1024ElPK16rocblas_bfloat16fKPS0_EviiT3_lPKT2_lT1_lS8_lS9_lS5_lPT4_lS9_li,@function
_ZL32rocblas_gemvt_warp_reduce_kernelILb1ELi1024ElPK16rocblas_bfloat16fKPS0_EviiT3_lPKT2_lT1_lS8_lS9_lS5_lPT4_lS9_li: ; @_ZL32rocblas_gemvt_warp_reduce_kernelILb1ELi1024ElPK16rocblas_bfloat16fKPS0_EviiT3_lPKT2_lT1_lS8_lS9_lS5_lPT4_lS9_li
; %bb.0:
	s_clause 0x1
	s_load_dword s19, s[4:5], 0x8
	s_load_dword s18, s[4:5], 0x58
	s_mov_b32 s11, 0
	s_waitcnt lgkmcnt(0)
	v_cmp_eq_f32_e64 s20, s19, 0
	v_cmp_eq_f32_e64 s0, s18, 1.0
	s_and_b32 s0, s20, s0
	s_and_b32 vcc_lo, exec_lo, s0
	s_cbranch_vccnz .LBB627_62
; %bb.1:
	s_clause 0x1
	s_load_dwordx4 s[0:3], s[4:5], 0x18
	s_load_dwordx2 s[14:15], s[4:5], 0x28
	s_mov_b32 s10, s7
	v_cmp_neq_f32_e64 s7, s19, 0
	s_and_b32 vcc_lo, exec_lo, s7
	s_cbranch_vccnz .LBB627_3
; %bb.2:
	s_mov_b32 s13, 0
	s_mov_b32 s12, s10
	;; [unrolled: 1-line block ×3, first 2 shown]
	s_mov_b64 s[8:9], 0
	s_andn2_b32 vcc_lo, exec_lo, s16
	s_mov_b64 s[16:17], 0
	s_cbranch_vccz .LBB627_4
	s_branch .LBB627_5
.LBB627_3:
	s_mov_b64 s[12:13], s[10:11]
	s_mov_b64 s[8:9], 0
	;; [unrolled: 1-line block ×3, first 2 shown]
.LBB627_4:
	s_lshl_b64 s[10:11], s[10:11], 3
	s_waitcnt lgkmcnt(0)
	s_add_u32 s0, s0, s10
	s_addc_u32 s1, s1, s11
	s_lshl_b64 s[2:3], s[2:3], 1
	s_load_dwordx2 s[0:1], s[0:1], 0x0
	s_waitcnt lgkmcnt(0)
	s_add_u32 s16, s0, s2
	s_addc_u32 s17, s1, s3
.LBB627_5:
	s_waitcnt lgkmcnt(0)
	s_clause 0x1
	s_load_dwordx4 s[0:3], s[4:5], 0x38
	s_load_dwordx2 s[10:11], s[4:5], 0x48
	s_andn2_b32 vcc_lo, exec_lo, s7
	s_cbranch_vccnz .LBB627_7
; %bb.6:
	s_lshl_b64 s[8:9], s[12:13], 3
	s_waitcnt lgkmcnt(0)
	s_add_u32 s0, s0, s8
	s_addc_u32 s1, s1, s9
	s_lshl_b64 s[2:3], s[2:3], 1
	s_load_dwordx2 s[0:1], s[0:1], 0x0
	s_waitcnt lgkmcnt(0)
	s_add_u32 s8, s0, s2
	s_addc_u32 s9, s1, s3
.LBB627_7:
	s_load_dwordx4 s[24:27], s[4:5], 0x68
	s_waitcnt lgkmcnt(0)
	s_load_dwordx2 s[2:3], s[4:5], 0x78
	s_lshl_b64 s[0:1], s[12:13], 3
	s_add_u32 s0, s24, s0
	s_addc_u32 s1, s25, s1
	s_lshl_b64 s[22:23], s[26:27], 1
	s_load_dwordx2 s[12:13], s[0:1], 0x0
	v_cmp_eq_u32_e64 s0, 0, v0
	s_waitcnt lgkmcnt(0)
	s_add_u32 s1, s12, s22
	s_addc_u32 s7, s13, s23
	s_andn2_b32 vcc_lo, exec_lo, s20
	s_cbranch_vccnz .LBB627_15
; %bb.8:
	s_mov_b32 s21, 0
	s_mov_b32 s20, 0
                                        ; implicit-def: $vgpr1
                                        ; implicit-def: $sgpr12_sgpr13
	s_and_saveexec_b32 s22, s0
	s_cbranch_execz .LBB627_16
; %bb.9:
	s_ashr_i32 s12, s6, 31
	v_cmp_eq_f32_e64 s0, s18, 0
	s_mul_hi_u32 s13, s2, s6
	s_mul_i32 s12, s2, s12
	s_mul_i32 s20, s3, s6
	s_add_i32 s12, s13, s12
	s_and_b32 vcc_lo, exec_lo, s0
	s_add_i32 s13, s12, s20
	s_mul_i32 s12, s2, s6
	s_cbranch_vccnz .LBB627_17
; %bb.10:
	s_lshl_b64 s[24:25], s[12:13], 1
	s_add_u32 s24, s1, s24
	s_addc_u32 s25, s7, s25
	v_mov_b32_e32 v1, s24
	v_mov_b32_e32 v2, s25
	flat_load_ushort v1, v[1:2]
	s_waitcnt vmcnt(0) lgkmcnt(0)
	v_lshlrev_b32_e32 v1, 16, v1
	v_mul_f32_e32 v1, s18, v1
	v_and_b32_e32 v2, 0x7f800000, v1
	v_cmp_ne_u32_e32 vcc_lo, 0x7f800000, v2
                                        ; implicit-def: $vgpr2
	s_and_saveexec_b32 s0, vcc_lo
	s_xor_b32 s0, exec_lo, s0
; %bb.11:
	v_bfe_u32 v2, v1, 16, 1
	v_add3_u32 v2, v1, v2, 0x7fff
                                        ; implicit-def: $vgpr1
; %bb.12:
	s_andn2_saveexec_b32 s0, s0
; %bb.13:
	v_mov_b32_e32 v2, 0
	v_or_b32_e32 v3, 0x10000, v1
	v_cmp_eq_u32_sdwa vcc_lo, v1, v2 src0_sel:WORD_0 src1_sel:DWORD
	v_cndmask_b32_e32 v2, v3, v1, vcc_lo
; %bb.14:
	s_or_b32 exec_lo, exec_lo, s0
	v_lshrrev_b32_e32 v1, 16, v2
	s_mov_b32 s20, exec_lo
	s_or_b32 exec_lo, exec_lo, s22
	s_and_b32 vcc_lo, exec_lo, s21
	s_cbranch_vccnz .LBB627_18
	s_branch .LBB627_60
.LBB627_15:
	s_mov_b32 s20, 0
                                        ; implicit-def: $vgpr1
                                        ; implicit-def: $sgpr12_sgpr13
	s_cbranch_execnz .LBB627_18
	s_branch .LBB627_60
.LBB627_16:
	s_or_b32 exec_lo, exec_lo, s22
	s_and_b32 vcc_lo, exec_lo, s21
	s_cbranch_vccnz .LBB627_18
	s_branch .LBB627_60
.LBB627_17:
	v_mov_b32_e32 v1, 0
	s_mov_b32 s20, exec_lo
	s_or_b32 exec_lo, exec_lo, s22
	s_and_b32 vcc_lo, exec_lo, s21
	s_cbranch_vccz .LBB627_60
.LBB627_18:
	s_load_dword s5, s[4:5], 0x0
	s_ashr_i32 s21, s6, 31
	s_mul_hi_u32 s0, s14, s6
	s_mul_i32 s12, s14, s21
	s_mul_i32 s4, s15, s6
	s_add_i32 s0, s0, s12
	s_mul_i32 s12, s14, s6
	s_add_i32 s13, s0, s4
	v_mov_b32_e32 v7, 0
	s_lshl_b64 s[12:13], s[12:13], 1
	s_mov_b32 s15, 0
	s_mov_b32 s14, exec_lo
	s_waitcnt lgkmcnt(0)
	v_cmp_gt_i32_e32 vcc_lo, s5, v0
	s_ashr_i32 s0, s5, 31
	s_lshr_b32 s0, s0, 22
	s_add_i32 s0, s5, s0
	v_cndmask_b32_e32 v1, 0, v0, vcc_lo
	v_lshlrev_b32_e32 v1, 1, v1
	v_add_co_u32 v1, s4, s16, v1
	v_add_co_ci_u32_e64 v2, null, s17, 0, s4
	s_and_b32 s4, s0, 0xfffffc00
	v_add_co_u32 v1, vcc_lo, v1, s12
	v_add_co_ci_u32_e64 v2, null, s13, v2, vcc_lo
	v_cmpx_gt_i32_e64 s4, v0
	s_cbranch_execz .LBB627_26
; %bb.19:
	v_mad_u64_u32 v[3:4], null, s10, v0, 0
	v_mov_b32_e32 v8, 0
	v_mov_b32_e32 v9, v0
	;; [unrolled: 1-line block ×3, first 2 shown]
	s_lshl_b64 s[12:13], s[10:11], 11
	v_mad_u64_u32 v[4:5], null, s11, v0, v[4:5]
	v_lshlrev_b64 v[5:6], 1, v[3:4]
	v_mov_b32_e32 v4, v2
	v_mov_b32_e32 v3, v1
	v_add_co_u32 v5, vcc_lo, s8, v5
	v_add_co_ci_u32_e64 v6, null, s9, v6, vcc_lo
	s_inst_prefetch 0x1
	s_branch .LBB627_21
	.p2align	6
.LBB627_20:                             ;   in Loop: Header=BB627_21 Depth=1
	s_or_b32 exec_lo, exec_lo, s0
	v_add_nc_u32_e32 v9, 0x400, v9
	v_and_b32_e32 v10, 0xffff0000, v11
	v_add_co_u32 v3, vcc_lo, 0x800, v3
	v_add_co_ci_u32_e64 v4, null, 0, v4, vcc_lo
	v_cmp_le_i32_e32 vcc_lo, s4, v9
	v_add_co_u32 v5, s0, v5, s12
	v_add_f32_e32 v7, v7, v10
	v_add_co_ci_u32_e64 v6, null, s13, v6, s0
	s_or_b32 s15, vcc_lo, s15
	s_andn2_b32 exec_lo, exec_lo, s15
	s_cbranch_execz .LBB627_25
.LBB627_21:                             ; =>This Inner Loop Header: Depth=1
	flat_load_ushort v10, v[5:6]
	flat_load_ushort v11, v[3:4]
	s_waitcnt vmcnt(1) lgkmcnt(1)
	v_lshlrev_b32_e32 v10, 16, v10
	s_waitcnt vmcnt(0) lgkmcnt(0)
	v_lshlrev_b32_e32 v11, 16, v11
	v_mul_f32_e32 v10, v11, v10
	v_and_b32_e32 v11, 0x7f800000, v10
	v_cmp_ne_u32_e32 vcc_lo, 0x7f800000, v11
                                        ; implicit-def: $vgpr11
	s_and_saveexec_b32 s0, vcc_lo
	s_xor_b32 s0, exec_lo, s0
; %bb.22:                               ;   in Loop: Header=BB627_21 Depth=1
	v_bfe_u32 v11, v10, 16, 1
	v_add3_u32 v11, v10, v11, 0x7fff
                                        ; implicit-def: $vgpr10
; %bb.23:                               ;   in Loop: Header=BB627_21 Depth=1
	s_andn2_saveexec_b32 s0, s0
	s_cbranch_execz .LBB627_20
; %bb.24:                               ;   in Loop: Header=BB627_21 Depth=1
	v_or_b32_e32 v11, 0x10000, v10
	v_cmp_eq_u32_sdwa vcc_lo, v10, v8 src0_sel:WORD_0 src1_sel:DWORD
	v_cndmask_b32_e32 v11, v11, v10, vcc_lo
	s_branch .LBB627_20
.LBB627_25:
	s_inst_prefetch 0x2
	s_or_b32 exec_lo, exec_lo, s15
.LBB627_26:
	s_or_b32 exec_lo, exec_lo, s14
	v_or_b32_e32 v3, s4, v0
	s_mov_b32 s0, exec_lo
	v_cmpx_gt_i32_e64 s5, v3
	s_cbranch_execz .LBB627_32
; %bb.27:
	v_ashrrev_i32_e32 v5, 31, v3
	v_mul_lo_u32 v6, s11, v3
	v_mad_u64_u32 v[3:4], null, s10, v3, 0
	s_ashr_i32 s5, s4, 31
	v_mul_lo_u32 v5, s10, v5
	s_lshl_b64 s[4:5], s[4:5], 1
	v_add3_u32 v4, v4, v5, v6
	v_lshlrev_b64 v[3:4], 1, v[3:4]
	v_add_co_u32 v3, vcc_lo, s8, v3
	v_add_co_ci_u32_e64 v4, null, s9, v4, vcc_lo
	v_add_co_u32 v1, vcc_lo, v1, s4
	v_add_co_ci_u32_e64 v2, null, s5, v2, vcc_lo
	flat_load_ushort v3, v[3:4]
	flat_load_ushort v1, v[1:2]
	s_waitcnt vmcnt(1) lgkmcnt(1)
	v_lshlrev_b32_e32 v2, 16, v3
	s_waitcnt vmcnt(0) lgkmcnt(0)
	v_lshlrev_b32_e32 v1, 16, v1
	v_mul_f32_e32 v1, v1, v2
	v_and_b32_e32 v2, 0x7f800000, v1
	v_cmp_ne_u32_e32 vcc_lo, 0x7f800000, v2
                                        ; implicit-def: $vgpr2
	s_and_saveexec_b32 s4, vcc_lo
	s_xor_b32 s4, exec_lo, s4
; %bb.28:
	v_bfe_u32 v2, v1, 16, 1
	v_add3_u32 v2, v1, v2, 0x7fff
                                        ; implicit-def: $vgpr1
; %bb.29:
	s_andn2_saveexec_b32 s4, s4
; %bb.30:
	v_mov_b32_e32 v2, 0
	v_or_b32_e32 v3, 0x10000, v1
	v_cmp_eq_u32_sdwa vcc_lo, v1, v2 src0_sel:WORD_0 src1_sel:DWORD
	v_cndmask_b32_e32 v2, v3, v1, vcc_lo
; %bb.31:
	s_or_b32 exec_lo, exec_lo, s4
	v_and_b32_e32 v1, 0xffff0000, v2
	v_add_f32_e32 v7, v7, v1
.LBB627_32:
	s_or_b32 exec_lo, exec_lo, s0
	v_and_b32_e32 v8, 31, v0
	v_cmp_gt_u32_e32 vcc_lo, 32, v0
	v_lshlrev_b32_e32 v1, 2, v8
	s_and_saveexec_b32 s0, vcc_lo
; %bb.33:
	v_mov_b32_e32 v2, 0
	ds_write_b32 v1, v2
; %bb.34:
	s_or_b32 exec_lo, exec_lo, s0
	v_mbcnt_lo_u32_b32 v6, -1, 0
	s_mov_b32 s4, exec_lo
	s_waitcnt lgkmcnt(0)
	s_barrier
	buffer_gl0_inv
	v_lshl_or_b32 v2, v6, 2, 64
	v_cmp_gt_u32_e64 s0, 24, v6
	ds_bpermute_b32 v4, v2, v7
	v_cndmask_b32_e64 v3, 0, 8, s0
	v_cmp_gt_u32_e64 s0, 28, v6
	v_add_lshl_u32 v3, v3, v6, 2
	s_waitcnt lgkmcnt(0)
	v_add_f32_e32 v5, v7, v4
	v_cndmask_b32_e64 v4, 0, 4, s0
	v_cmp_gt_u32_e64 s0, 30, v6
	ds_bpermute_b32 v7, v3, v5
	v_add_lshl_u32 v4, v4, v6, 2
	s_waitcnt lgkmcnt(0)
	v_add_f32_e32 v7, v5, v7
	v_cndmask_b32_e64 v5, 0, 2, s0
	v_cmp_ne_u32_e64 s0, 31, v6
	ds_bpermute_b32 v9, v4, v7
	v_add_lshl_u32 v5, v5, v6, 2
	v_add_co_ci_u32_e64 v6, null, 0, v6, s0
	v_lshlrev_b32_e32 v6, 2, v6
	s_waitcnt lgkmcnt(0)
	v_add_f32_e32 v7, v7, v9
	ds_bpermute_b32 v9, v5, v7
	s_waitcnt lgkmcnt(0)
	v_add_f32_e32 v7, v7, v9
	ds_bpermute_b32 v9, v6, v7
	v_cmpx_eq_u32_e32 0, v8
	s_cbranch_execz .LBB627_36
; %bb.35:
	v_lshrrev_b32_e32 v8, 3, v0
	s_waitcnt lgkmcnt(0)
	v_add_f32_e32 v7, v7, v9
	v_and_b32_e32 v8, 0x7c, v8
	ds_write_b32 v8, v7
.LBB627_36:
	s_or_b32 exec_lo, exec_lo, s4
	v_mov_b32_e32 v7, 0
	s_waitcnt lgkmcnt(0)
	s_barrier
	buffer_gl0_inv
	s_and_saveexec_b32 s0, vcc_lo
; %bb.37:
	ds_read_b32 v7, v1
; %bb.38:
	s_or_b32 exec_lo, exec_lo, s0
	s_and_saveexec_b32 s0, vcc_lo
	s_cbranch_execz .LBB627_40
; %bb.39:
	s_waitcnt lgkmcnt(0)
	ds_bpermute_b32 v1, v2, v7
	s_waitcnt lgkmcnt(0)
	v_add_f32_e32 v1, v7, v1
	ds_bpermute_b32 v2, v3, v1
	s_waitcnt lgkmcnt(0)
	v_add_f32_e32 v1, v1, v2
	;; [unrolled: 3-line block ×5, first 2 shown]
.LBB627_40:
	s_or_b32 exec_lo, exec_lo, s0
	s_mov_b32 s0, exec_lo
                                        ; implicit-def: $vgpr1
                                        ; implicit-def: $sgpr12_sgpr13
	v_cmpx_eq_u32_e32 0, v0
	s_cbranch_execz .LBB627_59
; %bb.41:
	v_cmp_eq_f32_e64 s4, s18, 0
	s_waitcnt lgkmcnt(0)
	v_mul_f32_e32 v0, s19, v7
	s_and_b32 vcc_lo, exec_lo, s4
	s_cbranch_vccz .LBB627_47
; %bb.42:
	v_and_b32_e32 v1, 0x7f800000, v0
	v_cmp_ne_u32_e32 vcc_lo, 0x7f800000, v1
                                        ; implicit-def: $vgpr1
	s_and_saveexec_b32 s4, vcc_lo
	s_xor_b32 s4, exec_lo, s4
; %bb.43:
	v_bfe_u32 v1, v0, 16, 1
	v_add3_u32 v1, v0, v1, 0x7fff
; %bb.44:
	s_andn2_saveexec_b32 s4, s4
; %bb.45:
	v_mov_b32_e32 v1, 0
	v_or_b32_e32 v2, 0x10000, v0
	v_cmp_eq_u32_sdwa vcc_lo, v0, v1 src0_sel:WORD_0 src1_sel:DWORD
	v_cndmask_b32_e32 v1, v2, v0, vcc_lo
; %bb.46:
	s_or_b32 exec_lo, exec_lo, s4
	s_mov_b32 s8, 0
	s_branch .LBB627_48
.LBB627_47:
	s_mov_b32 s8, -1
                                        ; implicit-def: $vgpr1
.LBB627_48:
	s_mul_i32 s4, s2, s21
	s_mul_hi_u32 s5, s2, s6
	s_andn2_b32 vcc_lo, exec_lo, s8
	s_mul_i32 s3, s3, s6
	s_mul_i32 s12, s2, s6
	s_cbranch_vccnz .LBB627_58
; %bb.49:
	s_add_i32 s2, s5, s4
	s_add_i32 s13, s2, s3
	s_lshl_b64 s[8:9], s[12:13], 1
	s_add_u32 s8, s1, s8
	s_addc_u32 s9, s7, s9
	v_mov_b32_e32 v1, s8
	v_mov_b32_e32 v2, s9
	flat_load_ushort v1, v[1:2]
	s_waitcnt vmcnt(0) lgkmcnt(0)
	v_lshlrev_b32_e32 v1, 16, v1
	v_mul_f32_e32 v1, s18, v1
	v_and_b32_e32 v2, 0x7f800000, v1
	v_cmp_ne_u32_e32 vcc_lo, 0x7f800000, v2
                                        ; implicit-def: $vgpr2
	s_and_saveexec_b32 s2, vcc_lo
	s_xor_b32 s2, exec_lo, s2
; %bb.50:
	v_bfe_u32 v2, v1, 16, 1
	v_add3_u32 v2, v1, v2, 0x7fff
                                        ; implicit-def: $vgpr1
; %bb.51:
	s_andn2_saveexec_b32 s2, s2
; %bb.52:
	v_mov_b32_e32 v2, 0
	v_or_b32_e32 v3, 0x10000, v1
	v_cmp_eq_u32_sdwa vcc_lo, v1, v2 src0_sel:WORD_0 src1_sel:DWORD
	v_cndmask_b32_e32 v2, v3, v1, vcc_lo
; %bb.53:
	s_or_b32 exec_lo, exec_lo, s2
	v_and_b32_e32 v1, 0xffff0000, v2
	v_add_f32_e32 v0, v0, v1
	v_and_b32_e32 v1, 0x7f800000, v0
	v_cmp_ne_u32_e32 vcc_lo, 0x7f800000, v1
                                        ; implicit-def: $vgpr1
	s_and_saveexec_b32 s2, vcc_lo
	s_xor_b32 s2, exec_lo, s2
; %bb.54:
	v_bfe_u32 v1, v0, 16, 1
	v_add3_u32 v1, v0, v1, 0x7fff
                                        ; implicit-def: $vgpr0
; %bb.55:
	s_andn2_saveexec_b32 s2, s2
; %bb.56:
	v_mov_b32_e32 v1, 0
	v_or_b32_e32 v2, 0x10000, v0
	v_cmp_eq_u32_sdwa vcc_lo, v0, v1 src0_sel:WORD_0 src1_sel:DWORD
	v_cndmask_b32_e32 v1, v2, v0, vcc_lo
; %bb.57:
	s_or_b32 exec_lo, exec_lo, s2
.LBB627_58:
	v_lshrrev_b32_e32 v1, 16, v1
	s_add_i32 s2, s5, s4
	s_or_b32 s20, s20, exec_lo
	s_add_i32 s13, s2, s3
.LBB627_59:
	s_or_b32 exec_lo, exec_lo, s0
.LBB627_60:
	s_and_saveexec_b32 s0, s20
	s_cbranch_execz .LBB627_62
; %bb.61:
	s_lshl_b64 s[2:3], s[12:13], 1
	s_add_u32 s0, s1, s2
	s_addc_u32 s1, s7, s3
	v_mov_b32_e32 v3, s1
	v_mov_b32_e32 v2, s0
	flat_store_short v[2:3], v1
.LBB627_62:
	s_endpgm
	.section	.rodata,"a",@progbits
	.p2align	6, 0x0
	.amdhsa_kernel _ZL32rocblas_gemvt_warp_reduce_kernelILb1ELi1024ElPK16rocblas_bfloat16fKPS0_EviiT3_lPKT2_lT1_lS8_lS9_lS5_lPT4_lS9_li
		.amdhsa_group_segment_fixed_size 128
		.amdhsa_private_segment_fixed_size 0
		.amdhsa_kernarg_size 140
		.amdhsa_user_sgpr_count 6
		.amdhsa_user_sgpr_private_segment_buffer 1
		.amdhsa_user_sgpr_dispatch_ptr 0
		.amdhsa_user_sgpr_queue_ptr 0
		.amdhsa_user_sgpr_kernarg_segment_ptr 1
		.amdhsa_user_sgpr_dispatch_id 0
		.amdhsa_user_sgpr_flat_scratch_init 0
		.amdhsa_user_sgpr_private_segment_size 0
		.amdhsa_wavefront_size32 1
		.amdhsa_uses_dynamic_stack 0
		.amdhsa_system_sgpr_private_segment_wavefront_offset 0
		.amdhsa_system_sgpr_workgroup_id_x 1
		.amdhsa_system_sgpr_workgroup_id_y 0
		.amdhsa_system_sgpr_workgroup_id_z 1
		.amdhsa_system_sgpr_workgroup_info 0
		.amdhsa_system_vgpr_workitem_id 0
		.amdhsa_next_free_vgpr 12
		.amdhsa_next_free_sgpr 28
		.amdhsa_reserve_vcc 1
		.amdhsa_reserve_flat_scratch 0
		.amdhsa_float_round_mode_32 0
		.amdhsa_float_round_mode_16_64 0
		.amdhsa_float_denorm_mode_32 3
		.amdhsa_float_denorm_mode_16_64 3
		.amdhsa_dx10_clamp 1
		.amdhsa_ieee_mode 1
		.amdhsa_fp16_overflow 0
		.amdhsa_workgroup_processor_mode 1
		.amdhsa_memory_ordered 1
		.amdhsa_forward_progress 1
		.amdhsa_shared_vgpr_count 0
		.amdhsa_exception_fp_ieee_invalid_op 0
		.amdhsa_exception_fp_denorm_src 0
		.amdhsa_exception_fp_ieee_div_zero 0
		.amdhsa_exception_fp_ieee_overflow 0
		.amdhsa_exception_fp_ieee_underflow 0
		.amdhsa_exception_fp_ieee_inexact 0
		.amdhsa_exception_int_div_zero 0
	.end_amdhsa_kernel
	.section	.text._ZL32rocblas_gemvt_warp_reduce_kernelILb1ELi1024ElPK16rocblas_bfloat16fKPS0_EviiT3_lPKT2_lT1_lS8_lS9_lS5_lPT4_lS9_li,"axG",@progbits,_ZL32rocblas_gemvt_warp_reduce_kernelILb1ELi1024ElPK16rocblas_bfloat16fKPS0_EviiT3_lPKT2_lT1_lS8_lS9_lS5_lPT4_lS9_li,comdat
.Lfunc_end627:
	.size	_ZL32rocblas_gemvt_warp_reduce_kernelILb1ELi1024ElPK16rocblas_bfloat16fKPS0_EviiT3_lPKT2_lT1_lS8_lS9_lS5_lPT4_lS9_li, .Lfunc_end627-_ZL32rocblas_gemvt_warp_reduce_kernelILb1ELi1024ElPK16rocblas_bfloat16fKPS0_EviiT3_lPKT2_lT1_lS8_lS9_lS5_lPT4_lS9_li
                                        ; -- End function
	.set _ZL32rocblas_gemvt_warp_reduce_kernelILb1ELi1024ElPK16rocblas_bfloat16fKPS0_EviiT3_lPKT2_lT1_lS8_lS9_lS5_lPT4_lS9_li.num_vgpr, 12
	.set _ZL32rocblas_gemvt_warp_reduce_kernelILb1ELi1024ElPK16rocblas_bfloat16fKPS0_EviiT3_lPKT2_lT1_lS8_lS9_lS5_lPT4_lS9_li.num_agpr, 0
	.set _ZL32rocblas_gemvt_warp_reduce_kernelILb1ELi1024ElPK16rocblas_bfloat16fKPS0_EviiT3_lPKT2_lT1_lS8_lS9_lS5_lPT4_lS9_li.numbered_sgpr, 28
	.set _ZL32rocblas_gemvt_warp_reduce_kernelILb1ELi1024ElPK16rocblas_bfloat16fKPS0_EviiT3_lPKT2_lT1_lS8_lS9_lS5_lPT4_lS9_li.num_named_barrier, 0
	.set _ZL32rocblas_gemvt_warp_reduce_kernelILb1ELi1024ElPK16rocblas_bfloat16fKPS0_EviiT3_lPKT2_lT1_lS8_lS9_lS5_lPT4_lS9_li.private_seg_size, 0
	.set _ZL32rocblas_gemvt_warp_reduce_kernelILb1ELi1024ElPK16rocblas_bfloat16fKPS0_EviiT3_lPKT2_lT1_lS8_lS9_lS5_lPT4_lS9_li.uses_vcc, 1
	.set _ZL32rocblas_gemvt_warp_reduce_kernelILb1ELi1024ElPK16rocblas_bfloat16fKPS0_EviiT3_lPKT2_lT1_lS8_lS9_lS5_lPT4_lS9_li.uses_flat_scratch, 0
	.set _ZL32rocblas_gemvt_warp_reduce_kernelILb1ELi1024ElPK16rocblas_bfloat16fKPS0_EviiT3_lPKT2_lT1_lS8_lS9_lS5_lPT4_lS9_li.has_dyn_sized_stack, 0
	.set _ZL32rocblas_gemvt_warp_reduce_kernelILb1ELi1024ElPK16rocblas_bfloat16fKPS0_EviiT3_lPKT2_lT1_lS8_lS9_lS5_lPT4_lS9_li.has_recursion, 0
	.set _ZL32rocblas_gemvt_warp_reduce_kernelILb1ELi1024ElPK16rocblas_bfloat16fKPS0_EviiT3_lPKT2_lT1_lS8_lS9_lS5_lPT4_lS9_li.has_indirect_call, 0
	.section	.AMDGPU.csdata,"",@progbits
; Kernel info:
; codeLenInByte = 2088
; TotalNumSgprs: 30
; NumVgprs: 12
; ScratchSize: 0
; MemoryBound: 0
; FloatMode: 240
; IeeeMode: 1
; LDSByteSize: 128 bytes/workgroup (compile time only)
; SGPRBlocks: 0
; VGPRBlocks: 1
; NumSGPRsForWavesPerEU: 30
; NumVGPRsForWavesPerEU: 12
; Occupancy: 16
; WaveLimiterHint : 1
; COMPUTE_PGM_RSRC2:SCRATCH_EN: 0
; COMPUTE_PGM_RSRC2:USER_SGPR: 6
; COMPUTE_PGM_RSRC2:TRAP_HANDLER: 0
; COMPUTE_PGM_RSRC2:TGID_X_EN: 1
; COMPUTE_PGM_RSRC2:TGID_Y_EN: 0
; COMPUTE_PGM_RSRC2:TGID_Z_EN: 1
; COMPUTE_PGM_RSRC2:TIDIG_COMP_CNT: 0
	.section	.text._ZL34rocblas_gemvn_sm_mn_batched_kernelILi32ELi24E16rocblas_bfloat16PKffEviiT2_lPKT1_lilS6_lilS3_lPT3_lili,"axG",@progbits,_ZL34rocblas_gemvn_sm_mn_batched_kernelILi32ELi24E16rocblas_bfloat16PKffEviiT2_lPKT1_lilS6_lilS3_lPT3_lili,comdat
	.globl	_ZL34rocblas_gemvn_sm_mn_batched_kernelILi32ELi24E16rocblas_bfloat16PKffEviiT2_lPKT1_lilS6_lilS3_lPT3_lili ; -- Begin function _ZL34rocblas_gemvn_sm_mn_batched_kernelILi32ELi24E16rocblas_bfloat16PKffEviiT2_lPKT1_lilS6_lilS3_lPT3_lili
	.p2align	8
	.type	_ZL34rocblas_gemvn_sm_mn_batched_kernelILi32ELi24E16rocblas_bfloat16PKffEviiT2_lPKT1_lilS6_lilS3_lPT3_lili,@function
_ZL34rocblas_gemvn_sm_mn_batched_kernelILi32ELi24E16rocblas_bfloat16PKffEviiT2_lPKT1_lilS6_lilS3_lPT3_lili: ; @_ZL34rocblas_gemvn_sm_mn_batched_kernelILi32ELi24E16rocblas_bfloat16PKffEviiT2_lPKT1_lilS6_lilS3_lPT3_lili
; %bb.0:
	s_endpgm
	.section	.rodata,"a",@progbits
	.p2align	6, 0x0
	.amdhsa_kernel _ZL34rocblas_gemvn_sm_mn_batched_kernelILi32ELi24E16rocblas_bfloat16PKffEviiT2_lPKT1_lilS6_lilS3_lPT3_lili
		.amdhsa_group_segment_fixed_size 0
		.amdhsa_private_segment_fixed_size 0
		.amdhsa_kernarg_size 140
		.amdhsa_user_sgpr_count 6
		.amdhsa_user_sgpr_private_segment_buffer 1
		.amdhsa_user_sgpr_dispatch_ptr 0
		.amdhsa_user_sgpr_queue_ptr 0
		.amdhsa_user_sgpr_kernarg_segment_ptr 1
		.amdhsa_user_sgpr_dispatch_id 0
		.amdhsa_user_sgpr_flat_scratch_init 0
		.amdhsa_user_sgpr_private_segment_size 0
		.amdhsa_wavefront_size32 1
		.amdhsa_uses_dynamic_stack 0
		.amdhsa_system_sgpr_private_segment_wavefront_offset 0
		.amdhsa_system_sgpr_workgroup_id_x 1
		.amdhsa_system_sgpr_workgroup_id_y 0
		.amdhsa_system_sgpr_workgroup_id_z 0
		.amdhsa_system_sgpr_workgroup_info 0
		.amdhsa_system_vgpr_workitem_id 0
		.amdhsa_next_free_vgpr 1
		.amdhsa_next_free_sgpr 1
		.amdhsa_reserve_vcc 0
		.amdhsa_reserve_flat_scratch 0
		.amdhsa_float_round_mode_32 0
		.amdhsa_float_round_mode_16_64 0
		.amdhsa_float_denorm_mode_32 3
		.amdhsa_float_denorm_mode_16_64 3
		.amdhsa_dx10_clamp 1
		.amdhsa_ieee_mode 1
		.amdhsa_fp16_overflow 0
		.amdhsa_workgroup_processor_mode 1
		.amdhsa_memory_ordered 1
		.amdhsa_forward_progress 1
		.amdhsa_shared_vgpr_count 0
		.amdhsa_exception_fp_ieee_invalid_op 0
		.amdhsa_exception_fp_denorm_src 0
		.amdhsa_exception_fp_ieee_div_zero 0
		.amdhsa_exception_fp_ieee_overflow 0
		.amdhsa_exception_fp_ieee_underflow 0
		.amdhsa_exception_fp_ieee_inexact 0
		.amdhsa_exception_int_div_zero 0
	.end_amdhsa_kernel
	.section	.text._ZL34rocblas_gemvn_sm_mn_batched_kernelILi32ELi24E16rocblas_bfloat16PKffEviiT2_lPKT1_lilS6_lilS3_lPT3_lili,"axG",@progbits,_ZL34rocblas_gemvn_sm_mn_batched_kernelILi32ELi24E16rocblas_bfloat16PKffEviiT2_lPKT1_lilS6_lilS3_lPT3_lili,comdat
.Lfunc_end628:
	.size	_ZL34rocblas_gemvn_sm_mn_batched_kernelILi32ELi24E16rocblas_bfloat16PKffEviiT2_lPKT1_lilS6_lilS3_lPT3_lili, .Lfunc_end628-_ZL34rocblas_gemvn_sm_mn_batched_kernelILi32ELi24E16rocblas_bfloat16PKffEviiT2_lPKT1_lilS6_lilS3_lPT3_lili
                                        ; -- End function
	.set _ZL34rocblas_gemvn_sm_mn_batched_kernelILi32ELi24E16rocblas_bfloat16PKffEviiT2_lPKT1_lilS6_lilS3_lPT3_lili.num_vgpr, 0
	.set _ZL34rocblas_gemvn_sm_mn_batched_kernelILi32ELi24E16rocblas_bfloat16PKffEviiT2_lPKT1_lilS6_lilS3_lPT3_lili.num_agpr, 0
	.set _ZL34rocblas_gemvn_sm_mn_batched_kernelILi32ELi24E16rocblas_bfloat16PKffEviiT2_lPKT1_lilS6_lilS3_lPT3_lili.numbered_sgpr, 0
	.set _ZL34rocblas_gemvn_sm_mn_batched_kernelILi32ELi24E16rocblas_bfloat16PKffEviiT2_lPKT1_lilS6_lilS3_lPT3_lili.num_named_barrier, 0
	.set _ZL34rocblas_gemvn_sm_mn_batched_kernelILi32ELi24E16rocblas_bfloat16PKffEviiT2_lPKT1_lilS6_lilS3_lPT3_lili.private_seg_size, 0
	.set _ZL34rocblas_gemvn_sm_mn_batched_kernelILi32ELi24E16rocblas_bfloat16PKffEviiT2_lPKT1_lilS6_lilS3_lPT3_lili.uses_vcc, 0
	.set _ZL34rocblas_gemvn_sm_mn_batched_kernelILi32ELi24E16rocblas_bfloat16PKffEviiT2_lPKT1_lilS6_lilS3_lPT3_lili.uses_flat_scratch, 0
	.set _ZL34rocblas_gemvn_sm_mn_batched_kernelILi32ELi24E16rocblas_bfloat16PKffEviiT2_lPKT1_lilS6_lilS3_lPT3_lili.has_dyn_sized_stack, 0
	.set _ZL34rocblas_gemvn_sm_mn_batched_kernelILi32ELi24E16rocblas_bfloat16PKffEviiT2_lPKT1_lilS6_lilS3_lPT3_lili.has_recursion, 0
	.set _ZL34rocblas_gemvn_sm_mn_batched_kernelILi32ELi24E16rocblas_bfloat16PKffEviiT2_lPKT1_lilS6_lilS3_lPT3_lili.has_indirect_call, 0
	.section	.AMDGPU.csdata,"",@progbits
; Kernel info:
; codeLenInByte = 4
; TotalNumSgprs: 0
; NumVgprs: 0
; ScratchSize: 0
; MemoryBound: 0
; FloatMode: 240
; IeeeMode: 1
; LDSByteSize: 0 bytes/workgroup (compile time only)
; SGPRBlocks: 0
; VGPRBlocks: 0
; NumSGPRsForWavesPerEU: 1
; NumVGPRsForWavesPerEU: 1
; Occupancy: 16
; WaveLimiterHint : 0
; COMPUTE_PGM_RSRC2:SCRATCH_EN: 0
; COMPUTE_PGM_RSRC2:USER_SGPR: 6
; COMPUTE_PGM_RSRC2:TRAP_HANDLER: 0
; COMPUTE_PGM_RSRC2:TGID_X_EN: 1
; COMPUTE_PGM_RSRC2:TGID_Y_EN: 0
; COMPUTE_PGM_RSRC2:TGID_Z_EN: 0
; COMPUTE_PGM_RSRC2:TIDIG_COMP_CNT: 0
	.section	.text._ZL34rocblas_gemvn_sm_mn_batched_kernelILi32ELi24E16rocblas_bfloat16ffEviiT2_lPKT1_lilS4_lilS1_lPT3_lili,"axG",@progbits,_ZL34rocblas_gemvn_sm_mn_batched_kernelILi32ELi24E16rocblas_bfloat16ffEviiT2_lPKT1_lilS4_lilS1_lPT3_lili,comdat
	.globl	_ZL34rocblas_gemvn_sm_mn_batched_kernelILi32ELi24E16rocblas_bfloat16ffEviiT2_lPKT1_lilS4_lilS1_lPT3_lili ; -- Begin function _ZL34rocblas_gemvn_sm_mn_batched_kernelILi32ELi24E16rocblas_bfloat16ffEviiT2_lPKT1_lilS4_lilS1_lPT3_lili
	.p2align	8
	.type	_ZL34rocblas_gemvn_sm_mn_batched_kernelILi32ELi24E16rocblas_bfloat16ffEviiT2_lPKT1_lilS4_lilS1_lPT3_lili,@function
_ZL34rocblas_gemvn_sm_mn_batched_kernelILi32ELi24E16rocblas_bfloat16ffEviiT2_lPKT1_lilS4_lilS1_lPT3_lili: ; @_ZL34rocblas_gemvn_sm_mn_batched_kernelILi32ELi24E16rocblas_bfloat16ffEviiT2_lPKT1_lilS4_lilS1_lPT3_lili
; %bb.0:
	s_endpgm
	.section	.rodata,"a",@progbits
	.p2align	6, 0x0
	.amdhsa_kernel _ZL34rocblas_gemvn_sm_mn_batched_kernelILi32ELi24E16rocblas_bfloat16ffEviiT2_lPKT1_lilS4_lilS1_lPT3_lili
		.amdhsa_group_segment_fixed_size 0
		.amdhsa_private_segment_fixed_size 0
		.amdhsa_kernarg_size 140
		.amdhsa_user_sgpr_count 6
		.amdhsa_user_sgpr_private_segment_buffer 1
		.amdhsa_user_sgpr_dispatch_ptr 0
		.amdhsa_user_sgpr_queue_ptr 0
		.amdhsa_user_sgpr_kernarg_segment_ptr 1
		.amdhsa_user_sgpr_dispatch_id 0
		.amdhsa_user_sgpr_flat_scratch_init 0
		.amdhsa_user_sgpr_private_segment_size 0
		.amdhsa_wavefront_size32 1
		.amdhsa_uses_dynamic_stack 0
		.amdhsa_system_sgpr_private_segment_wavefront_offset 0
		.amdhsa_system_sgpr_workgroup_id_x 1
		.amdhsa_system_sgpr_workgroup_id_y 0
		.amdhsa_system_sgpr_workgroup_id_z 0
		.amdhsa_system_sgpr_workgroup_info 0
		.amdhsa_system_vgpr_workitem_id 0
		.amdhsa_next_free_vgpr 1
		.amdhsa_next_free_sgpr 1
		.amdhsa_reserve_vcc 0
		.amdhsa_reserve_flat_scratch 0
		.amdhsa_float_round_mode_32 0
		.amdhsa_float_round_mode_16_64 0
		.amdhsa_float_denorm_mode_32 3
		.amdhsa_float_denorm_mode_16_64 3
		.amdhsa_dx10_clamp 1
		.amdhsa_ieee_mode 1
		.amdhsa_fp16_overflow 0
		.amdhsa_workgroup_processor_mode 1
		.amdhsa_memory_ordered 1
		.amdhsa_forward_progress 1
		.amdhsa_shared_vgpr_count 0
		.amdhsa_exception_fp_ieee_invalid_op 0
		.amdhsa_exception_fp_denorm_src 0
		.amdhsa_exception_fp_ieee_div_zero 0
		.amdhsa_exception_fp_ieee_overflow 0
		.amdhsa_exception_fp_ieee_underflow 0
		.amdhsa_exception_fp_ieee_inexact 0
		.amdhsa_exception_int_div_zero 0
	.end_amdhsa_kernel
	.section	.text._ZL34rocblas_gemvn_sm_mn_batched_kernelILi32ELi24E16rocblas_bfloat16ffEviiT2_lPKT1_lilS4_lilS1_lPT3_lili,"axG",@progbits,_ZL34rocblas_gemvn_sm_mn_batched_kernelILi32ELi24E16rocblas_bfloat16ffEviiT2_lPKT1_lilS4_lilS1_lPT3_lili,comdat
.Lfunc_end629:
	.size	_ZL34rocblas_gemvn_sm_mn_batched_kernelILi32ELi24E16rocblas_bfloat16ffEviiT2_lPKT1_lilS4_lilS1_lPT3_lili, .Lfunc_end629-_ZL34rocblas_gemvn_sm_mn_batched_kernelILi32ELi24E16rocblas_bfloat16ffEviiT2_lPKT1_lilS4_lilS1_lPT3_lili
                                        ; -- End function
	.set _ZL34rocblas_gemvn_sm_mn_batched_kernelILi32ELi24E16rocblas_bfloat16ffEviiT2_lPKT1_lilS4_lilS1_lPT3_lili.num_vgpr, 0
	.set _ZL34rocblas_gemvn_sm_mn_batched_kernelILi32ELi24E16rocblas_bfloat16ffEviiT2_lPKT1_lilS4_lilS1_lPT3_lili.num_agpr, 0
	.set _ZL34rocblas_gemvn_sm_mn_batched_kernelILi32ELi24E16rocblas_bfloat16ffEviiT2_lPKT1_lilS4_lilS1_lPT3_lili.numbered_sgpr, 0
	.set _ZL34rocblas_gemvn_sm_mn_batched_kernelILi32ELi24E16rocblas_bfloat16ffEviiT2_lPKT1_lilS4_lilS1_lPT3_lili.num_named_barrier, 0
	.set _ZL34rocblas_gemvn_sm_mn_batched_kernelILi32ELi24E16rocblas_bfloat16ffEviiT2_lPKT1_lilS4_lilS1_lPT3_lili.private_seg_size, 0
	.set _ZL34rocblas_gemvn_sm_mn_batched_kernelILi32ELi24E16rocblas_bfloat16ffEviiT2_lPKT1_lilS4_lilS1_lPT3_lili.uses_vcc, 0
	.set _ZL34rocblas_gemvn_sm_mn_batched_kernelILi32ELi24E16rocblas_bfloat16ffEviiT2_lPKT1_lilS4_lilS1_lPT3_lili.uses_flat_scratch, 0
	.set _ZL34rocblas_gemvn_sm_mn_batched_kernelILi32ELi24E16rocblas_bfloat16ffEviiT2_lPKT1_lilS4_lilS1_lPT3_lili.has_dyn_sized_stack, 0
	.set _ZL34rocblas_gemvn_sm_mn_batched_kernelILi32ELi24E16rocblas_bfloat16ffEviiT2_lPKT1_lilS4_lilS1_lPT3_lili.has_recursion, 0
	.set _ZL34rocblas_gemvn_sm_mn_batched_kernelILi32ELi24E16rocblas_bfloat16ffEviiT2_lPKT1_lilS4_lilS1_lPT3_lili.has_indirect_call, 0
	.section	.AMDGPU.csdata,"",@progbits
; Kernel info:
; codeLenInByte = 4
; TotalNumSgprs: 0
; NumVgprs: 0
; ScratchSize: 0
; MemoryBound: 0
; FloatMode: 240
; IeeeMode: 1
; LDSByteSize: 0 bytes/workgroup (compile time only)
; SGPRBlocks: 0
; VGPRBlocks: 0
; NumSGPRsForWavesPerEU: 1
; NumVGPRsForWavesPerEU: 1
; Occupancy: 16
; WaveLimiterHint : 0
; COMPUTE_PGM_RSRC2:SCRATCH_EN: 0
; COMPUTE_PGM_RSRC2:USER_SGPR: 6
; COMPUTE_PGM_RSRC2:TRAP_HANDLER: 0
; COMPUTE_PGM_RSRC2:TGID_X_EN: 1
; COMPUTE_PGM_RSRC2:TGID_Y_EN: 0
; COMPUTE_PGM_RSRC2:TGID_Z_EN: 0
; COMPUTE_PGM_RSRC2:TIDIG_COMP_CNT: 0
	.section	.text._ZL20rocblas_gemvn_kernelILi64ELi4Ei16rocblas_bfloat16PKffEviiT3_lPKT2_lT1_lS6_lS7_lS3_lPT4_lS7_li,"axG",@progbits,_ZL20rocblas_gemvn_kernelILi64ELi4Ei16rocblas_bfloat16PKffEviiT3_lPKT2_lT1_lS6_lS7_lS3_lPT4_lS7_li,comdat
	.globl	_ZL20rocblas_gemvn_kernelILi64ELi4Ei16rocblas_bfloat16PKffEviiT3_lPKT2_lT1_lS6_lS7_lS3_lPT4_lS7_li ; -- Begin function _ZL20rocblas_gemvn_kernelILi64ELi4Ei16rocblas_bfloat16PKffEviiT3_lPKT2_lT1_lS6_lS7_lS3_lPT4_lS7_li
	.p2align	8
	.type	_ZL20rocblas_gemvn_kernelILi64ELi4Ei16rocblas_bfloat16PKffEviiT3_lPKT2_lT1_lS6_lS7_lS3_lPT4_lS7_li,@function
_ZL20rocblas_gemvn_kernelILi64ELi4Ei16rocblas_bfloat16PKffEviiT3_lPKT2_lT1_lS6_lS7_lS3_lPT4_lS7_li: ; @_ZL20rocblas_gemvn_kernelILi64ELi4Ei16rocblas_bfloat16PKffEviiT3_lPKT2_lT1_lS6_lS7_lS3_lPT4_lS7_li
; %bb.0:
	s_load_dwordx2 s[0:1], s[4:5], 0x9c
	s_waitcnt lgkmcnt(0)
	s_lshr_b32 s2, s0, 16
	s_and_b32 s0, s0, 0xffff
	s_and_b32 s1, s1, 0xffff
	s_mul_i32 s0, s2, s0
	s_mul_i32 s0, s0, s1
	s_cmpk_lg_i32 s0, 0x100
	s_cbranch_scc1 .LBB630_50
; %bb.1:
	s_clause 0x1
	s_load_dwordx8 s[16:23], s[4:5], 0x8
	s_load_dwordx8 s[8:15], s[4:5], 0x50
	s_waitcnt lgkmcnt(0)
	s_mul_i32 s1, s19, s7
	s_mul_hi_u32 s2, s18, s7
	s_mul_i32 s0, s18, s7
	s_add_i32 s1, s2, s1
	s_mul_i32 s2, s13, s7
	s_lshl_b64 s[0:1], s[0:1], 2
	s_mul_hi_u32 s3, s12, s7
	s_add_u32 s0, s16, s0
	s_addc_u32 s1, s17, s1
	s_add_i32 s3, s3, s2
	s_mul_i32 s2, s12, s7
	s_mov_b32 s18, 0
	s_lshl_b64 s[2:3], s[2:3], 2
	s_add_u32 s2, s10, s2
	s_addc_u32 s3, s11, s3
	s_load_dword s17, s[0:1], 0x0
	s_load_dword s16, s[2:3], 0x0
	s_waitcnt lgkmcnt(0)
	v_cmp_eq_f32_e64 s0, s17, 0
	v_cmp_eq_f32_e64 s1, s16, 1.0
	s_and_b32 s0, s0, s1
	s_and_b32 vcc_lo, exec_lo, s0
	s_cbranch_vccnz .LBB630_50
; %bb.2:
	s_clause 0x3
	s_load_dwordx2 s[0:1], s[4:5], 0x80
	s_load_dwordx2 s[2:3], s[4:5], 0x70
	s_load_dword s19, s[4:5], 0x78
	s_load_dwordx2 s[10:11], s[4:5], 0x0
	v_lshlrev_b32_e32 v13, 6, v1
	v_cmp_neq_f32_e64 s24, s17, 0
	v_add_nc_u32_e32 v14, v13, v0
	s_waitcnt lgkmcnt(0)
	s_mul_i32 s1, s1, s7
	s_mul_hi_u32 s12, s0, s7
	s_mul_i32 s0, s0, s7
	s_add_i32 s1, s12, s1
	s_lshl_b64 s[0:1], s[0:1], 2
	s_add_u32 s12, s14, s0
	s_addc_u32 s13, s15, s1
	s_lshl_b64 s[0:1], s[2:3], 2
	s_add_u32 s12, s12, s0
	v_cmp_gt_u32_e64 s0, 0x100, v14
	s_addc_u32 s13, s13, s1
	s_and_b32 vcc_lo, exec_lo, s24
	s_cbranch_vccnz .LBB630_9
; %bb.3:
	s_mov_b32 s1, 0
                                        ; implicit-def: $vgpr3
                                        ; implicit-def: $vgpr4_vgpr5
	s_and_saveexec_b32 s2, s0
	s_cbranch_execz .LBB630_10
; %bb.4:
	v_lshl_or_b32 v2, s6, 8, v14
	v_mov_b32_e32 v3, 0
	s_ashr_i32 s15, s10, 31
	s_mov_b32 s14, s10
	s_mov_b32 s3, 0
	s_mov_b32 s0, exec_lo
                                        ; implicit-def: $vgpr4_vgpr5
	v_cmpx_gt_i64_e64 s[14:15], v[2:3]
	s_cbranch_execz .LBB630_8
; %bb.5:
	v_mad_u64_u32 v[4:5], null, s19, v2, 0
	s_ashr_i32 s3, s19, 31
	v_mad_u64_u32 v[5:6], null, s3, v2, v[5:6]
	v_cmp_eq_f32_e64 s3, s16, 0
	s_and_b32 vcc_lo, exec_lo, s3
	s_cbranch_vccnz .LBB630_7
; %bb.6:
	v_lshlrev_b64 v[2:3], 2, v[4:5]
	v_add_co_u32 v2, vcc_lo, s12, v2
	v_add_co_ci_u32_e64 v3, null, s13, v3, vcc_lo
	global_load_dword v2, v[2:3], off
	s_waitcnt vmcnt(0)
	v_mul_f32_e32 v3, s16, v2
.LBB630_7:
	s_mov_b32 s3, exec_lo
.LBB630_8:
	s_or_b32 exec_lo, exec_lo, s0
	s_and_b32 s18, s3, exec_lo
	s_or_b32 exec_lo, exec_lo, s2
	s_and_b32 vcc_lo, exec_lo, s1
	s_cbranch_vccnz .LBB630_11
	s_branch .LBB630_48
.LBB630_9:
                                        ; implicit-def: $vgpr3
                                        ; implicit-def: $vgpr4_vgpr5
	s_cbranch_execnz .LBB630_11
	s_branch .LBB630_48
.LBB630_10:
	s_or_b32 exec_lo, exec_lo, s2
	s_and_b32 vcc_lo, exec_lo, s1
	s_cbranch_vccz .LBB630_48
.LBB630_11:
	s_clause 0x3
	s_load_dwordx4 s[0:3], s[4:5], 0x30
	s_load_dword s14, s[4:5], 0x28
	s_load_dwordx2 s[24:25], s[4:5], 0x40
	s_load_dword s4, s[4:5], 0x48
	s_mul_i32 s9, s9, s7
	v_lshlrev_b32_e32 v20, 2, v1
	v_mov_b32_e32 v15, 0
	v_mov_b32_e32 v16, 0
	;; [unrolled: 1-line block ×4, first 2 shown]
	s_waitcnt lgkmcnt(0)
	s_mul_i32 s1, s1, s7
	s_mul_hi_u32 s15, s0, s7
	s_mul_i32 s0, s0, s7
	s_add_i32 s1, s15, s1
	s_mul_hi_u32 s15, s8, s7
	s_lshl_b64 s[0:1], s[0:1], 1
	s_add_u32 s26, s20, s0
	s_addc_u32 s21, s21, s1
	s_lshl_b64 s[0:1], s[22:23], 1
	s_mul_i32 s20, s8, s7
	s_add_u32 s7, s26, s0
	s_addc_u32 s8, s21, s1
	s_add_i32 s21, s15, s9
	s_lshl_b64 s[0:1], s[20:21], 1
	s_mov_b32 s20, exec_lo
	s_add_u32 s2, s2, s0
	s_addc_u32 s3, s3, s1
	s_lshl_b64 s[0:1], s[24:25], 1
	s_add_u32 s9, s2, s0
	s_addc_u32 s15, s3, s1
	s_ashr_i32 s0, s11, 31
	s_lshl_b32 s5, s6, 8
	s_lshr_b32 s0, s0, 28
	v_or_b32_e32 v19, s5, v0
	s_add_i32 s0, s11, s0
	s_and_b32 s6, s0, -16
	v_cmpx_gt_i32_e64 s6, v20
	s_cbranch_execz .LBB630_23
; %bb.12:
	v_add_nc_u32_e32 v5, 0xc0, v19
	v_mul_lo_u32 v3, s14, v20
	v_add_nc_u32_e32 v2, 64, v19
	v_add_nc_u32_e32 v6, 2, v20
	;; [unrolled: 1-line block ×3, first 2 shown]
	v_cmp_gt_i32_e64 s2, s10, v5
	v_mul_lo_u32 v5, v1, s14
	v_add_nc_u32_e32 v7, 3, v20
	v_mul_lo_u32 v8, v1, s4
	v_cmp_gt_i32_e64 s0, s10, v2
	v_add3_u32 v21, v3, s14, v0
	v_mad_u64_u32 v[2:3], null, s14, v6, v[0:1]
	v_cmp_gt_i32_e64 s1, s10, v4
	v_mad_u64_u32 v[3:4], null, s14, v7, v[0:1]
	v_lshl_add_u32 v22, v5, 2, v0
	v_mad_u64_u32 v[4:5], null, s4, v20, s[4:5]
	v_mul_lo_u32 v23, s4, v6
	v_mul_lo_u32 v24, s4, v7
	v_lshlrev_b32_e32 v25, 2, v8
	v_mov_b32_e32 v15, 0
	v_mov_b32_e32 v16, 0
	;; [unrolled: 1-line block ×4, first 2 shown]
	s_lshl_b32 s21, s14, 4
	s_lshl_b32 s23, s4, 4
	s_mov_b32 s22, 0
	s_mov_b32 s24, 0
	v_cmp_gt_i32_e32 vcc_lo, s10, v19
	s_branch .LBB630_17
.LBB630_13:                             ;   in Loop: Header=BB630_17 Depth=1
	s_or_b32 exec_lo, exec_lo, s27
	s_waitcnt vmcnt(3)
	v_lshlrev_b32_e32 v5, 16, v41
	s_waitcnt vmcnt(2)
	v_lshlrev_b32_e32 v6, 16, v40
	v_fmac_f32_e32 v17, v33, v5
	s_waitcnt vmcnt(1)
	v_lshlrev_b32_e32 v5, 16, v39
	v_fmac_f32_e32 v17, v29, v6
	v_fmac_f32_e32 v17, v31, v5
	s_waitcnt vmcnt(0)
	v_lshlrev_b32_e32 v5, 16, v38
	v_fmac_f32_e32 v17, v27, v5
.LBB630_14:                             ;   in Loop: Header=BB630_17 Depth=1
	s_or_b32 exec_lo, exec_lo, s26
	s_waitcnt vmcnt(3)
	v_lshlrev_b32_e32 v5, 16, v37
	s_waitcnt vmcnt(2)
	v_lshlrev_b32_e32 v6, 16, v36
	v_fmac_f32_e32 v16, v33, v5
	s_waitcnt vmcnt(1)
	v_lshlrev_b32_e32 v5, 16, v35
	v_fmac_f32_e32 v16, v29, v6
	v_fmac_f32_e32 v16, v31, v5
	s_waitcnt vmcnt(0)
	v_lshlrev_b32_e32 v5, 16, v34
	v_fmac_f32_e32 v16, v27, v5
.LBB630_15:                             ;   in Loop: Header=BB630_17 Depth=1
	s_or_b32 exec_lo, exec_lo, s3
	s_waitcnt vmcnt(3)
	v_lshlrev_b32_e32 v5, 16, v32
	s_waitcnt vmcnt(2)
	v_lshlrev_b32_e32 v6, 16, v30
	v_fmac_f32_e32 v15, v33, v5
	s_waitcnt vmcnt(1)
	v_lshlrev_b32_e32 v5, 16, v28
	v_fmac_f32_e32 v15, v29, v6
	v_fmac_f32_e32 v15, v31, v5
	s_waitcnt vmcnt(0)
	v_lshlrev_b32_e32 v5, 16, v26
	v_fmac_f32_e32 v15, v27, v5
.LBB630_16:                             ;   in Loop: Header=BB630_17 Depth=1
	s_or_b32 exec_lo, exec_lo, s25
	v_add_nc_u32_e32 v20, 16, v20
	v_add_nc_u32_e32 v21, s21, v21
	;; [unrolled: 1-line block ×5, first 2 shown]
	v_cmp_le_i32_e64 s3, s6, v20
	s_add_i32 s24, s24, s23
	s_or_b32 s22, s3, s22
	s_andn2_b32 exec_lo, exec_lo, s22
	s_cbranch_execz .LBB630_22
.LBB630_17:                             ; =>This Inner Loop Header: Depth=1
	s_and_saveexec_b32 s25, vcc_lo
	s_cbranch_execz .LBB630_16
; %bb.18:                               ;   in Loop: Header=BB630_17 Depth=1
	v_add_nc_u32_e32 v5, s24, v25
	v_add_nc_u32_e32 v7, s24, v4
	;; [unrolled: 1-line block ×5, first 2 shown]
	v_ashrrev_i32_e32 v6, 31, v5
	v_ashrrev_i32_e32 v8, 31, v7
	;; [unrolled: 1-line block ×5, first 2 shown]
	v_lshlrev_b64 v[5:6], 1, v[5:6]
	v_lshlrev_b64 v[7:8], 1, v[7:8]
	;; [unrolled: 1-line block ×4, first 2 shown]
	v_add_nc_u32_e32 v28, s5, v21
	v_add_nc_u32_e32 v30, s5, v2
	v_add_co_u32 v5, s3, s9, v5
	v_add_co_ci_u32_e64 v6, null, s15, v6, s3
	v_add_co_u32 v7, s3, s9, v7
	v_add_co_ci_u32_e64 v8, null, s15, v8, s3
	;; [unrolled: 2-line block ×4, first 2 shown]
	v_lshlrev_b64 v[26:27], 1, v[26:27]
	s_clause 0x3
	global_load_ushort v33, v[5:6], off
	global_load_ushort v34, v[7:8], off
	;; [unrolled: 1-line block ×4, first 2 shown]
	v_add_nc_u32_e32 v9, s5, v3
	v_ashrrev_i32_e32 v29, 31, v28
	v_ashrrev_i32_e32 v31, 31, v30
	v_add_co_u32 v5, s3, s7, v26
	v_ashrrev_i32_e32 v10, 31, v9
	v_lshlrev_b64 v[7:8], 1, v[28:29]
	v_add_co_ci_u32_e64 v6, null, s8, v27, s3
	v_lshlrev_b64 v[26:27], 1, v[30:31]
	v_lshlrev_b64 v[9:10], 1, v[9:10]
	v_add_co_u32 v11, s3, s7, v7
	v_add_co_ci_u32_e64 v12, null, s8, v8, s3
	v_add_co_u32 v7, s3, s7, v26
	v_add_co_ci_u32_e64 v8, null, s8, v27, s3
	;; [unrolled: 2-line block ×3, first 2 shown]
	s_clause 0x3
	global_load_ushort v32, v[5:6], off
	global_load_ushort v30, v[11:12], off
	;; [unrolled: 1-line block ×4, first 2 shown]
	s_waitcnt vmcnt(7)
	v_lshlrev_b32_e32 v33, 16, v33
	s_waitcnt vmcnt(6)
	v_lshlrev_b32_e32 v29, 16, v34
	;; [unrolled: 2-line block ×4, first 2 shown]
	s_and_saveexec_b32 s3, s0
	s_cbranch_execz .LBB630_15
; %bb.19:                               ;   in Loop: Header=BB630_17 Depth=1
	s_clause 0x3
	global_load_ushort v37, v[5:6], off offset:128
	global_load_ushort v36, v[11:12], off offset:128
	global_load_ushort v35, v[7:8], off offset:128
	global_load_ushort v34, v[9:10], off offset:128
	s_and_saveexec_b32 s26, s1
	s_cbranch_execz .LBB630_14
; %bb.20:                               ;   in Loop: Header=BB630_17 Depth=1
	s_clause 0x3
	global_load_ushort v41, v[5:6], off offset:256
	global_load_ushort v40, v[11:12], off offset:256
	global_load_ushort v39, v[7:8], off offset:256
	global_load_ushort v38, v[9:10], off offset:256
	;; [unrolled: 8-line block ×3, first 2 shown]
	s_waitcnt vmcnt(3)
	v_lshlrev_b32_e32 v5, 16, v5
	s_waitcnt vmcnt(2)
	v_lshlrev_b32_e32 v6, 16, v6
	v_fmac_f32_e32 v18, v33, v5
	s_waitcnt vmcnt(1)
	v_lshlrev_b32_e32 v5, 16, v7
	v_fmac_f32_e32 v18, v29, v6
	;; [unrolled: 3-line block ×3, first 2 shown]
	v_fmac_f32_e32 v18, v27, v6
	s_branch .LBB630_13
.LBB630_22:
	s_or_b32 exec_lo, exec_lo, s22
.LBB630_23:
	s_or_b32 exec_lo, exec_lo, s20
	s_sub_i32 s0, s11, s6
	s_cmp_lt_i32 s0, 1
	s_cbranch_scc1 .LBB630_41
; %bb.24:
	v_cmp_gt_i32_e32 vcc_lo, s11, v20
	v_mov_b32_e32 v11, 0
	v_or_b32_e32 v2, 1, v20
	v_mov_b32_e32 v10, 0
	v_mov_b32_e32 v21, 0
	;; [unrolled: 1-line block ×3, first 2 shown]
	s_and_saveexec_b32 s1, vcc_lo
	s_cbranch_execz .LBB630_32
; %bb.25:
	v_mul_lo_u32 v3, v20, s4
	v_mov_b32_e32 v12, 0
	v_mov_b32_e32 v10, 0
	;; [unrolled: 1-line block ×3, first 2 shown]
	s_mov_b32 s2, exec_lo
	v_ashrrev_i32_e32 v4, 31, v3
	v_lshlrev_b64 v[3:4], 1, v[3:4]
	v_add_co_u32 v3, s0, s9, v3
	v_add_co_ci_u32_e64 v4, null, s15, v4, s0
	global_load_ushort v3, v[3:4], off
	v_cmpx_gt_i32_e64 s11, v2
	s_cbranch_execz .LBB630_31
; %bb.26:
	v_mul_lo_u32 v4, v2, s4
	v_mov_b32_e32 v10, 0
	v_mov_b32_e32 v11, 0
	s_mov_b32 s3, exec_lo
	v_ashrrev_i32_e32 v5, 31, v4
	v_lshlrev_b64 v[4:5], 1, v[4:5]
	v_add_co_u32 v4, s0, s9, v4
	v_add_co_ci_u32_e64 v5, null, s15, v5, s0
	global_load_ushort v4, v[4:5], off
	v_or_b32_e32 v5, 2, v20
	v_cmpx_gt_i32_e64 s11, v5
	s_cbranch_execz .LBB630_30
; %bb.27:
	v_mul_lo_u32 v5, v5, s4
	v_mov_b32_e32 v10, 0
	s_mov_b32 s6, exec_lo
	v_ashrrev_i32_e32 v6, 31, v5
	v_lshlrev_b64 v[5:6], 1, v[5:6]
	v_add_co_u32 v5, s0, s9, v5
	v_add_co_ci_u32_e64 v6, null, s15, v6, s0
	global_load_ushort v5, v[5:6], off
	v_or_b32_e32 v6, 3, v20
	v_cmpx_gt_i32_e64 s11, v6
	s_cbranch_execz .LBB630_29
; %bb.28:
	v_mul_lo_u32 v6, v6, s4
	v_ashrrev_i32_e32 v7, 31, v6
	v_lshlrev_b64 v[6:7], 1, v[6:7]
	v_add_co_u32 v6, s0, s9, v6
	v_add_co_ci_u32_e64 v7, null, s15, v7, s0
	global_load_ushort v6, v[6:7], off
	s_waitcnt vmcnt(0)
	v_lshlrev_b32_e32 v10, 16, v6
.LBB630_29:
	s_or_b32 exec_lo, exec_lo, s6
	s_waitcnt vmcnt(0)
	v_lshlrev_b32_e32 v11, 16, v5
.LBB630_30:
	s_or_b32 exec_lo, exec_lo, s3
	s_waitcnt vmcnt(0)
	v_lshlrev_b32_e32 v12, 16, v4
.LBB630_31:
	s_or_b32 exec_lo, exec_lo, s2
	s_waitcnt vmcnt(0)
	v_lshlrev_b32_e32 v21, 16, v3
.LBB630_32:
	s_or_b32 exec_lo, exec_lo, s1
	s_mov_b32 s1, exec_lo
	v_cmpx_gt_i32_e64 s10, v19
	s_cbranch_execz .LBB630_40
; %bb.33:
	v_mul_lo_u32 v3, v20, s14
	v_mul_lo_u32 v4, v2, s14
	v_or_b32_e32 v5, 2, v20
	v_or_b32_e32 v6, 3, v20
	s_mov_b32 s0, exec_lo
	v_mul_lo_u32 v7, v5, s14
	v_cndmask_b32_e32 v3, 0, v3, vcc_lo
	v_cmp_gt_i32_e32 vcc_lo, s11, v2
	v_mul_lo_u32 v8, v6, s14
	v_add_nc_u32_e32 v2, v3, v19
	v_cndmask_b32_e32 v4, 0, v4, vcc_lo
	v_cmp_gt_i32_e32 vcc_lo, s11, v5
	v_ashrrev_i32_e32 v3, 31, v2
	v_add_nc_u32_e32 v4, v4, v19
	v_cndmask_b32_e32 v7, 0, v7, vcc_lo
	v_cmp_gt_i32_e32 vcc_lo, s11, v6
	v_lshlrev_b64 v[2:3], 1, v[2:3]
	v_ashrrev_i32_e32 v5, 31, v4
	v_add_nc_u32_e32 v6, v7, v19
	v_cndmask_b32_e32 v8, 0, v8, vcc_lo
	v_lshlrev_b64 v[4:5], 1, v[4:5]
	v_ashrrev_i32_e32 v7, 31, v6
	v_add_nc_u32_e32 v8, v8, v19
	v_add_co_u32 v2, vcc_lo, s7, v2
	v_add_co_ci_u32_e64 v3, null, s8, v3, vcc_lo
	v_ashrrev_i32_e32 v9, 31, v8
	v_add_co_u32 v4, vcc_lo, s7, v4
	v_add_co_ci_u32_e64 v5, null, s8, v5, vcc_lo
	v_lshlrev_b64 v[6:7], 1, v[6:7]
	v_lshlrev_b64 v[8:9], 1, v[8:9]
	s_clause 0x1
	global_load_ushort v20, v[2:3], off
	global_load_ushort v22, v[4:5], off
	v_add_co_u32 v6, vcc_lo, s7, v6
	v_add_co_ci_u32_e64 v7, null, s8, v7, vcc_lo
	v_add_co_u32 v8, vcc_lo, s7, v8
	v_add_co_ci_u32_e64 v9, null, s8, v9, vcc_lo
	s_clause 0x1
	global_load_ushort v23, v[6:7], off
	global_load_ushort v24, v[8:9], off
	s_waitcnt vmcnt(3)
	v_lshlrev_b32_e32 v20, 16, v20
	s_waitcnt vmcnt(2)
	v_lshlrev_b32_e32 v22, 16, v22
	v_fmac_f32_e32 v15, v21, v20
	v_fmac_f32_e32 v15, v12, v22
	v_add_nc_u32_e32 v22, 64, v19
	s_waitcnt vmcnt(1)
	v_lshlrev_b32_e32 v23, 16, v23
	s_waitcnt vmcnt(0)
	v_lshlrev_b32_e32 v20, 16, v24
	v_fmac_f32_e32 v15, v11, v23
	v_cmpx_gt_i32_e64 s10, v22
	s_cbranch_execz .LBB630_39
; %bb.34:
	s_clause 0x3
	global_load_ushort v22, v[2:3], off offset:128
	global_load_ushort v23, v[4:5], off offset:128
	;; [unrolled: 1-line block ×4, first 2 shown]
	s_mov_b32 s2, exec_lo
	s_waitcnt vmcnt(3)
	v_lshlrev_b32_e32 v22, 16, v22
	s_waitcnt vmcnt(2)
	v_lshlrev_b32_e32 v23, 16, v23
	;; [unrolled: 2-line block ×3, first 2 shown]
	v_fmac_f32_e32 v16, v21, v22
	s_waitcnt vmcnt(0)
	v_lshlrev_b32_e32 v22, 16, v25
	v_fmac_f32_e32 v16, v12, v23
	v_add_nc_u32_e32 v23, 0x80, v19
	v_fmac_f32_e32 v16, v11, v24
	v_cmpx_gt_i32_e64 s10, v23
	s_cbranch_execz .LBB630_38
; %bb.35:
	s_clause 0x3
	global_load_ushort v23, v[2:3], off offset:256
	global_load_ushort v24, v[4:5], off offset:256
	global_load_ushort v25, v[6:7], off offset:256
	global_load_ushort v26, v[8:9], off offset:256
	s_mov_b32 s3, exec_lo
	s_waitcnt vmcnt(3)
	v_lshlrev_b32_e32 v23, 16, v23
	s_waitcnt vmcnt(2)
	v_lshlrev_b32_e32 v24, 16, v24
	v_fmac_f32_e32 v17, v21, v23
	s_waitcnt vmcnt(1)
	v_lshlrev_b32_e32 v23, 16, v25
	v_fmac_f32_e32 v17, v12, v24
	v_add_nc_u32_e32 v24, 0xc0, v19
	s_waitcnt vmcnt(0)
	v_lshlrev_b32_e32 v19, 16, v26
	v_fmac_f32_e32 v17, v11, v23
	v_cmpx_gt_i32_e64 s10, v24
	s_cbranch_execz .LBB630_37
; %bb.36:
	s_clause 0x3
	global_load_ushort v2, v[2:3], off offset:384
	global_load_ushort v3, v[4:5], off offset:384
	global_load_ushort v4, v[6:7], off offset:384
	global_load_ushort v5, v[8:9], off offset:384
	s_waitcnt vmcnt(3)
	v_lshlrev_b32_e32 v2, 16, v2
	s_waitcnt vmcnt(2)
	v_lshlrev_b32_e32 v3, 16, v3
	v_fmac_f32_e32 v18, v21, v2
	s_waitcnt vmcnt(1)
	v_lshlrev_b32_e32 v2, 16, v4
	v_fmac_f32_e32 v18, v12, v3
	;; [unrolled: 3-line block ×3, first 2 shown]
	v_fmac_f32_e32 v18, v10, v3
.LBB630_37:
	s_or_b32 exec_lo, exec_lo, s3
	v_fmac_f32_e32 v17, v10, v19
.LBB630_38:
	s_or_b32 exec_lo, exec_lo, s2
	v_fmac_f32_e32 v16, v10, v22
.LBB630_39:
	s_or_b32 exec_lo, exec_lo, s0
	v_fmac_f32_e32 v15, v10, v20
.LBB630_40:
	s_or_b32 exec_lo, exec_lo, s1
.LBB630_41:
	v_lshlrev_b32_e32 v0, 2, v0
	s_mov_b32 s0, exec_lo
                                        ; implicit-def: $vgpr3
                                        ; implicit-def: $vgpr4_vgpr5
	v_lshl_or_b32 v1, v1, 10, v0
	ds_write2st64_b32 v1, v15, v16 offset1:1
	ds_write2st64_b32 v1, v17, v18 offset0:2 offset1:3
	s_waitcnt lgkmcnt(0)
	s_barrier
	buffer_gl0_inv
	v_cmpx_gt_u32_e32 0x100, v14
	s_cbranch_execz .LBB630_47
; %bb.42:
	v_lshl_add_u32 v4, v13, 2, v0
	s_mov_b32 s2, s18
	s_mov_b32 s1, exec_lo
	ds_read2st64_b32 v[0:1], v4 offset1:4
	ds_read2st64_b32 v[2:3], v4 offset0:8 offset1:12
	s_waitcnt lgkmcnt(1)
	v_add_f32_e32 v0, v0, v1
	v_or_b32_e32 v1, s5, v14
	s_waitcnt lgkmcnt(0)
	v_add_f32_e32 v0, v2, v0
	v_add_f32_e32 v0, v3, v0
                                        ; implicit-def: $vgpr3
	ds_write_b32 v4, v0
                                        ; implicit-def: $vgpr4_vgpr5
	v_cmpx_gt_i32_e64 s10, v1
	s_cbranch_execz .LBB630_46
; %bb.43:
	v_mul_lo_u32 v4, s19, v1
	v_cmp_eq_f32_e64 s2, s16, 0
	v_mul_f32_e32 v3, s17, v0
	s_and_b32 vcc_lo, exec_lo, s2
	v_ashrrev_i32_e32 v5, 31, v4
	s_cbranch_vccnz .LBB630_45
; %bb.44:
	v_lshlrev_b64 v[0:1], 2, v[4:5]
	v_add_co_u32 v0, vcc_lo, s12, v0
	v_add_co_ci_u32_e64 v1, null, s13, v1, vcc_lo
	global_load_dword v0, v[0:1], off
	s_waitcnt vmcnt(0)
	v_fmac_f32_e32 v3, s16, v0
.LBB630_45:
	s_or_b32 s2, s18, exec_lo
.LBB630_46:
	s_or_b32 exec_lo, exec_lo, s1
	s_andn2_b32 s1, s18, exec_lo
	s_and_b32 s2, s2, exec_lo
	s_or_b32 s18, s1, s2
.LBB630_47:
	s_or_b32 exec_lo, exec_lo, s0
.LBB630_48:
	s_and_saveexec_b32 s0, s18
	s_cbranch_execz .LBB630_50
; %bb.49:
	v_lshlrev_b64 v[0:1], 2, v[4:5]
	v_add_co_u32 v0, vcc_lo, s12, v0
	v_add_co_ci_u32_e64 v1, null, s13, v1, vcc_lo
	global_store_dword v[0:1], v3, off
.LBB630_50:
	s_endpgm
	.section	.rodata,"a",@progbits
	.p2align	6, 0x0
	.amdhsa_kernel _ZL20rocblas_gemvn_kernelILi64ELi4Ei16rocblas_bfloat16PKffEviiT3_lPKT2_lT1_lS6_lS7_lS3_lPT4_lS7_li
		.amdhsa_group_segment_fixed_size 4096
		.amdhsa_private_segment_fixed_size 0
		.amdhsa_kernarg_size 400
		.amdhsa_user_sgpr_count 6
		.amdhsa_user_sgpr_private_segment_buffer 1
		.amdhsa_user_sgpr_dispatch_ptr 0
		.amdhsa_user_sgpr_queue_ptr 0
		.amdhsa_user_sgpr_kernarg_segment_ptr 1
		.amdhsa_user_sgpr_dispatch_id 0
		.amdhsa_user_sgpr_flat_scratch_init 0
		.amdhsa_user_sgpr_private_segment_size 0
		.amdhsa_wavefront_size32 1
		.amdhsa_uses_dynamic_stack 0
		.amdhsa_system_sgpr_private_segment_wavefront_offset 0
		.amdhsa_system_sgpr_workgroup_id_x 1
		.amdhsa_system_sgpr_workgroup_id_y 0
		.amdhsa_system_sgpr_workgroup_id_z 1
		.amdhsa_system_sgpr_workgroup_info 0
		.amdhsa_system_vgpr_workitem_id 1
		.amdhsa_next_free_vgpr 42
		.amdhsa_next_free_sgpr 28
		.amdhsa_reserve_vcc 1
		.amdhsa_reserve_flat_scratch 0
		.amdhsa_float_round_mode_32 0
		.amdhsa_float_round_mode_16_64 0
		.amdhsa_float_denorm_mode_32 3
		.amdhsa_float_denorm_mode_16_64 3
		.amdhsa_dx10_clamp 1
		.amdhsa_ieee_mode 1
		.amdhsa_fp16_overflow 0
		.amdhsa_workgroup_processor_mode 1
		.amdhsa_memory_ordered 1
		.amdhsa_forward_progress 1
		.amdhsa_shared_vgpr_count 0
		.amdhsa_exception_fp_ieee_invalid_op 0
		.amdhsa_exception_fp_denorm_src 0
		.amdhsa_exception_fp_ieee_div_zero 0
		.amdhsa_exception_fp_ieee_overflow 0
		.amdhsa_exception_fp_ieee_underflow 0
		.amdhsa_exception_fp_ieee_inexact 0
		.amdhsa_exception_int_div_zero 0
	.end_amdhsa_kernel
	.section	.text._ZL20rocblas_gemvn_kernelILi64ELi4Ei16rocblas_bfloat16PKffEviiT3_lPKT2_lT1_lS6_lS7_lS3_lPT4_lS7_li,"axG",@progbits,_ZL20rocblas_gemvn_kernelILi64ELi4Ei16rocblas_bfloat16PKffEviiT3_lPKT2_lT1_lS6_lS7_lS3_lPT4_lS7_li,comdat
.Lfunc_end630:
	.size	_ZL20rocblas_gemvn_kernelILi64ELi4Ei16rocblas_bfloat16PKffEviiT3_lPKT2_lT1_lS6_lS7_lS3_lPT4_lS7_li, .Lfunc_end630-_ZL20rocblas_gemvn_kernelILi64ELi4Ei16rocblas_bfloat16PKffEviiT3_lPKT2_lT1_lS6_lS7_lS3_lPT4_lS7_li
                                        ; -- End function
	.set _ZL20rocblas_gemvn_kernelILi64ELi4Ei16rocblas_bfloat16PKffEviiT3_lPKT2_lT1_lS6_lS7_lS3_lPT4_lS7_li.num_vgpr, 42
	.set _ZL20rocblas_gemvn_kernelILi64ELi4Ei16rocblas_bfloat16PKffEviiT3_lPKT2_lT1_lS6_lS7_lS3_lPT4_lS7_li.num_agpr, 0
	.set _ZL20rocblas_gemvn_kernelILi64ELi4Ei16rocblas_bfloat16PKffEviiT3_lPKT2_lT1_lS6_lS7_lS3_lPT4_lS7_li.numbered_sgpr, 28
	.set _ZL20rocblas_gemvn_kernelILi64ELi4Ei16rocblas_bfloat16PKffEviiT3_lPKT2_lT1_lS6_lS7_lS3_lPT4_lS7_li.num_named_barrier, 0
	.set _ZL20rocblas_gemvn_kernelILi64ELi4Ei16rocblas_bfloat16PKffEviiT3_lPKT2_lT1_lS6_lS7_lS3_lPT4_lS7_li.private_seg_size, 0
	.set _ZL20rocblas_gemvn_kernelILi64ELi4Ei16rocblas_bfloat16PKffEviiT3_lPKT2_lT1_lS6_lS7_lS3_lPT4_lS7_li.uses_vcc, 1
	.set _ZL20rocblas_gemvn_kernelILi64ELi4Ei16rocblas_bfloat16PKffEviiT3_lPKT2_lT1_lS6_lS7_lS3_lPT4_lS7_li.uses_flat_scratch, 0
	.set _ZL20rocblas_gemvn_kernelILi64ELi4Ei16rocblas_bfloat16PKffEviiT3_lPKT2_lT1_lS6_lS7_lS3_lPT4_lS7_li.has_dyn_sized_stack, 0
	.set _ZL20rocblas_gemvn_kernelILi64ELi4Ei16rocblas_bfloat16PKffEviiT3_lPKT2_lT1_lS6_lS7_lS3_lPT4_lS7_li.has_recursion, 0
	.set _ZL20rocblas_gemvn_kernelILi64ELi4Ei16rocblas_bfloat16PKffEviiT3_lPKT2_lT1_lS6_lS7_lS3_lPT4_lS7_li.has_indirect_call, 0
	.section	.AMDGPU.csdata,"",@progbits
; Kernel info:
; codeLenInByte = 2852
; TotalNumSgprs: 30
; NumVgprs: 42
; ScratchSize: 0
; MemoryBound: 0
; FloatMode: 240
; IeeeMode: 1
; LDSByteSize: 4096 bytes/workgroup (compile time only)
; SGPRBlocks: 0
; VGPRBlocks: 5
; NumSGPRsForWavesPerEU: 30
; NumVGPRsForWavesPerEU: 42
; Occupancy: 16
; WaveLimiterHint : 1
; COMPUTE_PGM_RSRC2:SCRATCH_EN: 0
; COMPUTE_PGM_RSRC2:USER_SGPR: 6
; COMPUTE_PGM_RSRC2:TRAP_HANDLER: 0
; COMPUTE_PGM_RSRC2:TGID_X_EN: 1
; COMPUTE_PGM_RSRC2:TGID_Y_EN: 0
; COMPUTE_PGM_RSRC2:TGID_Z_EN: 1
; COMPUTE_PGM_RSRC2:TIDIG_COMP_CNT: 1
	.section	.text._ZL20rocblas_gemvn_kernelILi64ELi4El16rocblas_bfloat16PKffEviiT3_lPKT2_lT1_lS6_lS7_lS3_lPT4_lS7_li,"axG",@progbits,_ZL20rocblas_gemvn_kernelILi64ELi4El16rocblas_bfloat16PKffEviiT3_lPKT2_lT1_lS6_lS7_lS3_lPT4_lS7_li,comdat
	.globl	_ZL20rocblas_gemvn_kernelILi64ELi4El16rocblas_bfloat16PKffEviiT3_lPKT2_lT1_lS6_lS7_lS3_lPT4_lS7_li ; -- Begin function _ZL20rocblas_gemvn_kernelILi64ELi4El16rocblas_bfloat16PKffEviiT3_lPKT2_lT1_lS6_lS7_lS3_lPT4_lS7_li
	.p2align	8
	.type	_ZL20rocblas_gemvn_kernelILi64ELi4El16rocblas_bfloat16PKffEviiT3_lPKT2_lT1_lS6_lS7_lS3_lPT4_lS7_li,@function
_ZL20rocblas_gemvn_kernelILi64ELi4El16rocblas_bfloat16PKffEviiT3_lPKT2_lT1_lS6_lS7_lS3_lPT4_lS7_li: ; @_ZL20rocblas_gemvn_kernelILi64ELi4El16rocblas_bfloat16PKffEviiT3_lPKT2_lT1_lS6_lS7_lS3_lPT4_lS7_li
; %bb.0:
	s_load_dwordx2 s[0:1], s[4:5], 0x9c
	s_waitcnt lgkmcnt(0)
	s_lshr_b32 s2, s0, 16
	s_and_b32 s0, s0, 0xffff
	s_and_b32 s1, s1, 0xffff
	s_mul_i32 s0, s2, s0
	s_mul_i32 s0, s0, s1
	s_cmpk_lg_i32 s0, 0x100
	s_cbranch_scc1 .LBB631_50
; %bb.1:
	s_clause 0x1
	s_load_dwordx16 s[36:51], s[4:5], 0x8
	s_load_dwordx16 s[8:23], s[4:5], 0x48
	s_mov_b32 s26, 0
	s_waitcnt lgkmcnt(0)
	s_mul_i32 s1, s39, s7
	s_mul_hi_u32 s2, s38, s7
	s_mul_i32 s0, s38, s7
	s_add_i32 s1, s2, s1
	s_mul_i32 s2, s15, s7
	s_lshl_b64 s[0:1], s[0:1], 2
	s_mul_hi_u32 s3, s14, s7
	s_add_u32 s0, s36, s0
	s_addc_u32 s1, s37, s1
	s_add_i32 s3, s3, s2
	s_mul_i32 s2, s14, s7
	s_lshl_b64 s[2:3], s[2:3], 2
	s_add_u32 s2, s12, s2
	s_addc_u32 s3, s13, s3
	s_load_dword s25, s[0:1], 0x0
	s_load_dword s24, s[2:3], 0x0
	s_waitcnt lgkmcnt(0)
	v_cmp_eq_f32_e64 s0, s25, 0
	v_cmp_eq_f32_e64 s1, s24, 1.0
	s_and_b32 s0, s0, s1
	s_and_b32 vcc_lo, exec_lo, s0
	s_cbranch_vccnz .LBB631_50
; %bb.2:
	s_load_dwordx2 s[12:13], s[4:5], 0x0
	v_lshlrev_b32_e32 v14, 6, v1
	s_mul_i32 s0, s23, s7
	s_mul_hi_u32 s1, s22, s7
	v_cmp_neq_f32_e64 s4, s25, 0
	s_add_i32 s1, s1, s0
	s_mul_i32 s0, s22, s7
	v_add_nc_u32_e32 v13, v14, v0
	s_lshl_b64 s[0:1], s[0:1], 2
	s_add_u32 s2, s16, s0
	s_addc_u32 s3, s17, s1
	s_lshl_b64 s[0:1], s[18:19], 2
	s_add_u32 s5, s2, s0
	v_cmp_gt_u32_e64 s0, 0x100, v13
	s_addc_u32 s22, s3, s1
	s_and_b32 vcc_lo, exec_lo, s4
	s_cbranch_vccnz .LBB631_9
; %bb.3:
	s_mov_b32 s1, 0
                                        ; implicit-def: $vgpr3
                                        ; implicit-def: $vgpr4_vgpr5
	s_and_saveexec_b32 s2, s0
	s_cbranch_execz .LBB631_10
; %bb.4:
	v_lshl_or_b32 v2, s6, 8, v13
	v_mov_b32_e32 v3, 0
	s_waitcnt lgkmcnt(0)
	s_ashr_i32 s15, s12, 31
	s_mov_b32 s14, s12
	s_mov_b32 s3, 0
	s_mov_b32 s0, exec_lo
                                        ; implicit-def: $vgpr4_vgpr5
	v_cmpx_gt_i64_e64 s[14:15], v[2:3]
	s_cbranch_execz .LBB631_8
; %bb.5:
	v_mad_u64_u32 v[4:5], null, s20, v2, 0
	v_cmp_eq_f32_e64 s3, s24, 0
	s_and_b32 vcc_lo, exec_lo, s3
	v_mad_u64_u32 v[5:6], null, s21, v2, v[5:6]
	s_cbranch_vccnz .LBB631_7
; %bb.6:
	v_lshlrev_b64 v[2:3], 2, v[4:5]
	v_add_co_u32 v2, vcc_lo, s5, v2
	v_add_co_ci_u32_e64 v3, null, s22, v3, vcc_lo
	global_load_dword v2, v[2:3], off
	s_waitcnt vmcnt(0)
	v_mul_f32_e32 v3, s24, v2
.LBB631_7:
	s_mov_b32 s3, exec_lo
.LBB631_8:
	s_or_b32 exec_lo, exec_lo, s0
	s_and_b32 s26, s3, exec_lo
	s_or_b32 exec_lo, exec_lo, s2
	s_and_b32 vcc_lo, exec_lo, s1
	s_cbranch_vccnz .LBB631_11
	s_branch .LBB631_48
.LBB631_9:
                                        ; implicit-def: $vgpr3
                                        ; implicit-def: $vgpr4_vgpr5
	s_cbranch_execnz .LBB631_11
	s_branch .LBB631_48
.LBB631_10:
	s_or_b32 exec_lo, exec_lo, s2
	s_and_b32 vcc_lo, exec_lo, s1
	s_cbranch_vccz .LBB631_48
.LBB631_11:
	s_mul_i32 s0, s47, s7
	s_mul_hi_u32 s1, s46, s7
	s_lshl_b32 s23, s6, 8
	s_add_i32 s15, s1, s0
	s_waitcnt lgkmcnt(0)
	s_ashr_i32 s1, s13, 31
	v_lshlrev_b32_e32 v19, 2, v1
	s_lshr_b32 s1, s1, 28
	v_or_b32_e32 v2, s23, v0
	v_mov_b32_e32 v15, 0
	v_mov_b32_e32 v16, 0
	;; [unrolled: 1-line block ×4, first 2 shown]
	s_mul_i32 s0, s11, s7
	s_mul_hi_u32 s2, s10, s7
	s_add_i32 s1, s13, s1
	s_mul_i32 s14, s46, s7
	s_and_b32 s27, s1, -16
	s_add_i32 s11, s2, s0
	s_mul_i32 s10, s10, s7
	s_mov_b32 s28, exec_lo
	v_cmpx_gt_i32_e64 s27, v19
	s_cbranch_execz .LBB631_23
; %bb.12:
	v_lshlrev_b32_e32 v30, 2, v1
	v_mad_u64_u32 v[4:5], null, s8, v1, 0
	v_add_nc_u32_e32 v11, 64, v2
	v_add_nc_u32_e32 v12, 0x80, v2
	v_or_b32_e32 v15, 3, v30
	s_lshl_b64 s[0:1], s[10:11], 1
	s_lshl_b64 s[6:7], s[50:51], 1
	s_add_u32 s4, s48, s0
	s_addc_u32 s29, s49, s1
	v_mad_u64_u32 v[6:7], null, s44, v15, 0
	v_cmp_gt_i32_e64 s0, s12, v11
	v_cmp_gt_i32_e64 s1, s12, v12
	v_add_nc_u32_e32 v16, 0xc0, v2
	v_or_b32_e32 v24, 2, v30
	s_lshl_b64 s[18:19], s[42:43], 1
	s_lshl_b64 s[16:17], s[8:9], 5
	v_mad_u64_u32 v[8:9], null, s9, v1, v[5:6]
	v_mad_u64_u32 v[9:10], null, s8, v15, 0
	v_cmp_gt_i32_e64 s2, s12, v16
	s_lshl_b64 s[30:31], s[14:15], 1
	v_mad_u64_u32 v[28:29], null, s8, v24, 0
	v_mov_b32_e32 v5, v8
	v_mad_u64_u32 v[7:8], null, s45, v15, v[7:8]
	v_mad_u64_u32 v[32:33], null, s44, v30, s[44:45]
	v_lshlrev_b64 v[11:12], 3, v[4:5]
	v_mov_b32_e32 v5, v10
	v_mov_b32_e32 v8, v29
	v_ashrrev_i32_e32 v3, 31, v2
	v_lshlrev_b64 v[6:7], 1, v[6:7]
	v_cmp_gt_i32_e32 vcc_lo, s12, v2
	v_add_co_u32 v20, s3, s4, v11
	v_add_co_ci_u32_e64 v21, null, s29, v12, s3
	v_mad_u64_u32 v[15:16], null, s9, v15, v[5:6]
	v_mad_u64_u32 v[11:12], null, s44, v1, 0
	s_add_u32 s3, s40, s18
	s_addc_u32 s18, s41, s19
	s_add_u32 s19, s3, s30
	s_addc_u32 s18, s18, s31
	v_mov_b32_e32 v10, v15
	v_mad_u64_u32 v[15:16], null, s44, v24, 0
	v_mov_b32_e32 v5, v12
	v_add_co_u32 v22, s3, s19, v6
	v_add_co_ci_u32_e64 v23, null, s18, v7, s3
	v_mad_u64_u32 v[17:18], null, s45, v1, v[5:6]
	v_lshlrev_b64 v[6:7], 1, v[9:10]
	v_mov_b32_e32 v5, v16
	v_lshlrev_b64 v[3:4], 1, v[2:3]
	v_mad_u64_u32 v[9:10], null, s45, v24, v[5:6]
	v_mov_b32_e32 v12, v17
	v_mad_u64_u32 v[17:18], null, s8, v30, s[8:9]
	v_mad_u64_u32 v[26:27], null, s9, v24, v[8:9]
	v_add_co_u32 v24, s3, s4, v6
	v_add_co_ci_u32_e64 v25, null, s29, v7, s3
	v_lshlrev_b64 v[6:7], 3, v[11:12]
	v_mov_b32_e32 v5, v18
	v_mov_b32_e32 v16, v9
	;; [unrolled: 1-line block ×3, first 2 shown]
	v_add_co_u32 v26, s3, s19, v6
	v_mad_u64_u32 v[8:9], null, s9, v30, v[5:6]
	v_add_co_ci_u32_e64 v27, null, s18, v7, s3
	v_lshlrev_b64 v[6:7], 1, v[15:16]
	v_mov_b32_e32 v5, v33
	v_mov_b32_e32 v15, 0
	;; [unrolled: 1-line block ×4, first 2 shown]
	v_mad_u64_u32 v[9:10], null, s45, v30, v[5:6]
	v_lshlrev_b64 v[10:11], 1, v[28:29]
	v_add_co_u32 v28, s3, s19, v6
	v_lshlrev_b64 v[5:6], 1, v[17:18]
	v_add_co_ci_u32_e64 v29, null, s18, v7, s3
	v_mov_b32_e32 v33, v9
	v_add_co_u32 v30, s3, s4, v10
	v_add_co_ci_u32_e64 v31, null, s29, v11, s3
	v_lshlrev_b64 v[7:8], 1, v[32:33]
	v_add_co_u32 v32, s3, s4, v5
	v_add_co_ci_u32_e64 v33, null, s29, v6, s3
	v_mov_b32_e32 v17, 0
	v_add_co_u32 v34, s3, s19, v7
	v_add_co_ci_u32_e64 v35, null, s18, v8, s3
	v_mov_b32_e32 v18, 0
	s_lshl_b64 s[18:19], s[44:45], 5
	s_mov_b32 s29, 0
	s_branch .LBB631_17
.LBB631_13:                             ;   in Loop: Header=BB631_17 Depth=1
	s_or_b32 exec_lo, exec_lo, s31
	s_waitcnt vmcnt(3)
	v_lshlrev_b32_e32 v5, 16, v51
	s_waitcnt vmcnt(2)
	v_lshlrev_b32_e32 v6, 16, v50
	v_fmac_f32_e32 v17, v43, v5
	s_waitcnt vmcnt(1)
	v_lshlrev_b32_e32 v5, 16, v49
	v_fmac_f32_e32 v17, v39, v6
	v_fmac_f32_e32 v17, v41, v5
	s_waitcnt vmcnt(0)
	v_lshlrev_b32_e32 v5, 16, v48
	v_fmac_f32_e32 v17, v37, v5
.LBB631_14:                             ;   in Loop: Header=BB631_17 Depth=1
	s_or_b32 exec_lo, exec_lo, s30
	s_waitcnt vmcnt(3)
	v_lshlrev_b32_e32 v5, 16, v47
	s_waitcnt vmcnt(2)
	v_lshlrev_b32_e32 v6, 16, v46
	v_fmac_f32_e32 v16, v43, v5
	s_waitcnt vmcnt(1)
	v_lshlrev_b32_e32 v5, 16, v45
	v_fmac_f32_e32 v16, v39, v6
	v_fmac_f32_e32 v16, v41, v5
	s_waitcnt vmcnt(0)
	v_lshlrev_b32_e32 v5, 16, v44
	v_fmac_f32_e32 v16, v37, v5
.LBB631_15:                             ;   in Loop: Header=BB631_17 Depth=1
	s_or_b32 exec_lo, exec_lo, s3
	s_waitcnt vmcnt(3)
	v_lshlrev_b32_e32 v5, 16, v42
	s_waitcnt vmcnt(2)
	v_lshlrev_b32_e32 v6, 16, v40
	v_fmac_f32_e32 v15, v43, v5
	s_waitcnt vmcnt(1)
	v_lshlrev_b32_e32 v5, 16, v38
	v_fmac_f32_e32 v15, v39, v6
	v_fmac_f32_e32 v15, v41, v5
	s_waitcnt vmcnt(0)
	v_lshlrev_b32_e32 v5, 16, v36
	v_fmac_f32_e32 v15, v37, v5
.LBB631_16:                             ;   in Loop: Header=BB631_17 Depth=1
	s_or_b32 exec_lo, exec_lo, s4
	v_add_co_u32 v20, s3, v20, s16
	v_add_co_ci_u32_e64 v21, null, s17, v21, s3
	v_add_co_u32 v22, s3, v22, s18
	v_add_co_ci_u32_e64 v23, null, s19, v23, s3
	;; [unrolled: 2-line block ×4, first 2 shown]
	v_add_co_u32 v28, s3, v28, s18
	v_add_nc_u32_e32 v19, 16, v19
	v_add_co_ci_u32_e64 v29, null, s19, v29, s3
	v_add_co_u32 v30, s3, v30, s16
	v_add_co_ci_u32_e64 v31, null, s17, v31, s3
	v_add_co_u32 v32, s3, v32, s16
	v_add_co_ci_u32_e64 v33, null, s17, v33, s3
	v_cmp_le_i32_e64 s3, s27, v19
	v_add_co_u32 v34, s4, v34, s18
	v_add_co_ci_u32_e64 v35, null, s19, v35, s4
	s_or_b32 s29, s3, s29
	s_andn2_b32 exec_lo, exec_lo, s29
	s_cbranch_execz .LBB631_22
.LBB631_17:                             ; =>This Inner Loop Header: Depth=1
	s_and_saveexec_b32 s4, vcc_lo
	s_cbranch_execz .LBB631_16
; %bb.18:                               ;   in Loop: Header=BB631_17 Depth=1
	v_add_co_u32 v5, s3, v20, s6
	v_add_co_ci_u32_e64 v6, null, s7, v21, s3
	v_add_co_u32 v7, s3, v32, s6
	v_add_co_ci_u32_e64 v8, null, s7, v33, s3
	;; [unrolled: 2-line block ×4, first 2 shown]
	global_load_ushort v37, v[5:6], off
	global_load_ushort v39, v[7:8], off
	;; [unrolled: 1-line block ×4, first 2 shown]
	v_add_co_u32 v5, s3, v26, v3
	v_add_co_ci_u32_e64 v6, null, v27, v4, s3
	v_add_co_u32 v9, s3, v34, v3
	v_add_co_ci_u32_e64 v10, null, v35, v4, s3
	;; [unrolled: 2-line block ×4, first 2 shown]
	global_load_ushort v42, v[5:6], off
	global_load_ushort v40, v[9:10], off
	;; [unrolled: 1-line block ×4, first 2 shown]
	s_waitcnt vmcnt(7)
	v_lshlrev_b32_e32 v43, 16, v37
	s_waitcnt vmcnt(6)
	v_lshlrev_b32_e32 v39, 16, v39
	;; [unrolled: 2-line block ×4, first 2 shown]
	s_and_saveexec_b32 s3, s0
	s_cbranch_execz .LBB631_15
; %bb.19:                               ;   in Loop: Header=BB631_17 Depth=1
	global_load_ushort v47, v[5:6], off offset:128
	global_load_ushort v46, v[9:10], off offset:128
	global_load_ushort v45, v[7:8], off offset:128
	global_load_ushort v44, v[11:12], off offset:128
	s_and_saveexec_b32 s30, s1
	s_cbranch_execz .LBB631_14
; %bb.20:                               ;   in Loop: Header=BB631_17 Depth=1
	global_load_ushort v51, v[5:6], off offset:256
	global_load_ushort v50, v[9:10], off offset:256
	global_load_ushort v49, v[7:8], off offset:256
	global_load_ushort v48, v[11:12], off offset:256
	;; [unrolled: 7-line block ×3, first 2 shown]
	s_waitcnt vmcnt(3)
	v_lshlrev_b32_e32 v5, 16, v5
	s_waitcnt vmcnt(2)
	v_lshlrev_b32_e32 v6, 16, v6
	v_fmac_f32_e32 v18, v43, v5
	s_waitcnt vmcnt(1)
	v_lshlrev_b32_e32 v5, 16, v7
	v_fmac_f32_e32 v18, v39, v6
	;; [unrolled: 3-line block ×3, first 2 shown]
	v_fmac_f32_e32 v18, v37, v6
	s_branch .LBB631_13
.LBB631_22:
	s_or_b32 exec_lo, exec_lo, s29
.LBB631_23:
	s_or_b32 exec_lo, exec_lo, s28
	s_sub_i32 s0, s13, s27
	s_cmp_lt_i32 s0, 1
	s_cbranch_scc1 .LBB631_41
; %bb.24:
	v_cmp_gt_i32_e32 vcc_lo, s13, v19
	v_mov_b32_e32 v12, 0
	v_or_b32_e32 v4, 1, v19
	v_mov_b32_e32 v11, 0
	v_mov_b32_e32 v21, 0
	;; [unrolled: 1-line block ×3, first 2 shown]
	s_and_saveexec_b32 s1, vcc_lo
	s_cbranch_execz .LBB631_32
; %bb.25:
	v_mad_u64_u32 v[5:6], null, s8, v19, 0
	s_lshl_b64 s[2:3], s[10:11], 1
	v_mov_b32_e32 v20, 0
	s_add_u32 s0, s48, s2
	s_addc_u32 s2, s49, s3
	s_lshl_b64 s[6:7], s[50:51], 1
	v_mov_b32_e32 v11, 0
	v_mov_b32_e32 v3, v6
	s_add_u32 s3, s0, s6
	s_addc_u32 s4, s2, s7
	v_mov_b32_e32 v12, 0
	s_mov_b32 s2, exec_lo
	v_mad_u64_u32 v[6:7], null, s9, v19, v[3:4]
	v_lshlrev_b64 v[5:6], 1, v[5:6]
	v_add_co_u32 v5, s0, s3, v5
	v_add_co_ci_u32_e64 v6, null, s4, v6, s0
	global_load_ushort v3, v[5:6], off
	v_cmpx_gt_i32_e64 s13, v4
	s_cbranch_execz .LBB631_31
; %bb.26:
	v_mad_u64_u32 v[5:6], null, s8, v4, 0
	v_mov_b32_e32 v11, 0
	v_mov_b32_e32 v12, 0
	s_mov_b32 s6, exec_lo
	v_mad_u64_u32 v[6:7], null, s9, v4, v[6:7]
	v_lshlrev_b64 v[5:6], 1, v[5:6]
	v_add_co_u32 v5, s0, s3, v5
	v_add_co_ci_u32_e64 v6, null, s4, v6, s0
	global_load_ushort v5, v[5:6], off
	v_or_b32_e32 v6, 2, v19
	v_cmpx_gt_i32_e64 s13, v6
	s_cbranch_execz .LBB631_30
; %bb.27:
	v_mad_u64_u32 v[7:8], null, s8, v6, 0
	v_mov_b32_e32 v11, 0
	s_mov_b32 s7, exec_lo
	v_mad_u64_u32 v[8:9], null, s9, v6, v[8:9]
	v_lshlrev_b64 v[6:7], 1, v[7:8]
	v_add_co_u32 v6, s0, s3, v6
	v_add_co_ci_u32_e64 v7, null, s4, v7, s0
	global_load_ushort v6, v[6:7], off
	v_or_b32_e32 v7, 3, v19
	v_cmpx_gt_i32_e64 s13, v7
	s_cbranch_execz .LBB631_29
; %bb.28:
	v_mad_u64_u32 v[8:9], null, s8, v7, 0
	v_mad_u64_u32 v[9:10], null, s9, v7, v[9:10]
	v_lshlrev_b64 v[7:8], 1, v[8:9]
	v_add_co_u32 v7, s0, s3, v7
	v_add_co_ci_u32_e64 v8, null, s4, v8, s0
	global_load_ushort v7, v[7:8], off
	s_waitcnt vmcnt(0)
	v_lshlrev_b32_e32 v11, 16, v7
.LBB631_29:
	s_or_b32 exec_lo, exec_lo, s7
	s_waitcnt vmcnt(0)
	v_lshlrev_b32_e32 v12, 16, v6
.LBB631_30:
	s_or_b32 exec_lo, exec_lo, s6
	s_waitcnt vmcnt(0)
	v_lshlrev_b32_e32 v20, 16, v5
.LBB631_31:
	s_or_b32 exec_lo, exec_lo, s2
	s_waitcnt vmcnt(0)
	v_lshlrev_b32_e32 v21, 16, v3
.LBB631_32:
	s_or_b32 exec_lo, exec_lo, s1
	s_mov_b32 s1, exec_lo
	v_cmpx_gt_i32_e64 s12, v2
	s_cbranch_execz .LBB631_40
; %bb.33:
	v_mad_u64_u32 v[5:6], null, s44, v19, 0
	v_mad_u64_u32 v[7:8], null, s44, v4, 0
	v_ashrrev_i32_e32 v3, 31, v2
	v_or_b32_e32 v29, 2, v19
	s_lshl_b64 s[2:3], s[14:15], 1
	s_add_u32 s0, s40, s2
	v_cndmask_b32_e32 v5, 0, v5, vcc_lo
	v_mad_u64_u32 v[9:10], null, s45, v19, v[6:7]
	v_or_b32_e32 v19, 3, v19
	v_lshlrev_b64 v[22:23], 1, v[2:3]
	v_mad_u64_u32 v[24:25], null, s44, v29, 0
	v_mov_b32_e32 v3, v8
	s_addc_u32 s4, s41, s3
	v_cndmask_b32_e32 v6, 0, v9, vcc_lo
	v_cmp_gt_i32_e32 vcc_lo, s13, v4
	s_lshl_b64 s[2:3], s[42:43], 1
	v_mad_u64_u32 v[8:9], null, s44, v19, 0
	v_lshlrev_b64 v[5:6], 1, v[5:6]
	v_mad_u64_u32 v[26:27], null, s45, v4, v[3:4]
	s_add_u32 s2, s0, s2
	v_cndmask_b32_e32 v27, 0, v7, vcc_lo
	v_mov_b32_e32 v7, v25
	s_addc_u32 s3, s4, s3
	v_add_co_u32 v3, s0, s2, v5
	v_add_co_ci_u32_e64 v4, null, s3, v6, s0
	v_cndmask_b32_e32 v28, 0, v26, vcc_lo
	v_mad_u64_u32 v[25:26], null, s45, v29, v[7:8]
	v_mov_b32_e32 v7, v9
	v_add_co_u32 v3, vcc_lo, v3, v22
	v_add_co_ci_u32_e64 v4, null, v4, v23, vcc_lo
	v_cmp_gt_i32_e32 vcc_lo, s13, v29
	v_lshlrev_b64 v[5:6], 1, v[27:28]
	v_mad_u64_u32 v[26:27], null, s45, v19, v[7:8]
	v_cndmask_b32_e32 v9, 0, v24, vcc_lo
	v_cndmask_b32_e32 v10, 0, v25, vcc_lo
	v_cmp_gt_i32_e32 vcc_lo, s13, v19
	v_add_co_u32 v5, s0, s2, v5
	v_add_co_ci_u32_e64 v6, null, s3, v6, s0
	v_cndmask_b32_e32 v7, 0, v8, vcc_lo
	v_cndmask_b32_e32 v8, 0, v26, vcc_lo
	v_lshlrev_b64 v[9:10], 1, v[9:10]
	v_add_co_u32 v5, s0, v5, v22
	v_add_co_ci_u32_e64 v6, null, v6, v23, s0
	v_lshlrev_b64 v[7:8], 1, v[7:8]
	v_add_co_u32 v9, vcc_lo, s2, v9
	v_add_co_ci_u32_e64 v10, null, s3, v10, vcc_lo
	s_clause 0x1
	global_load_ushort v19, v[3:4], off
	global_load_ushort v24, v[5:6], off
	v_add_co_u32 v25, vcc_lo, s2, v7
	v_add_co_ci_u32_e64 v26, null, s3, v8, vcc_lo
	v_add_co_u32 v7, vcc_lo, v9, v22
	v_add_co_ci_u32_e64 v8, null, v10, v23, vcc_lo
	;; [unrolled: 2-line block ×3, first 2 shown]
	s_clause 0x1
	global_load_ushort v22, v[7:8], off
	global_load_ushort v23, v[9:10], off
	s_mov_b32 s0, exec_lo
	s_waitcnt vmcnt(3)
	v_lshlrev_b32_e32 v19, 16, v19
	s_waitcnt vmcnt(2)
	v_lshlrev_b32_e32 v24, 16, v24
	v_fmac_f32_e32 v15, v21, v19
	v_fmac_f32_e32 v15, v20, v24
	v_add_nc_u32_e32 v24, 64, v2
	s_waitcnt vmcnt(1)
	v_lshlrev_b32_e32 v22, 16, v22
	s_waitcnt vmcnt(0)
	v_lshlrev_b32_e32 v19, 16, v23
	v_fmac_f32_e32 v15, v12, v22
	v_cmpx_gt_i32_e64 s12, v24
	s_cbranch_execz .LBB631_39
; %bb.34:
	s_clause 0x3
	global_load_ushort v22, v[3:4], off offset:128
	global_load_ushort v23, v[5:6], off offset:128
	;; [unrolled: 1-line block ×4, first 2 shown]
	s_mov_b32 s2, exec_lo
	s_waitcnt vmcnt(3)
	v_lshlrev_b32_e32 v22, 16, v22
	s_waitcnt vmcnt(2)
	v_lshlrev_b32_e32 v23, 16, v23
	;; [unrolled: 2-line block ×3, first 2 shown]
	v_fmac_f32_e32 v16, v21, v22
	s_waitcnt vmcnt(0)
	v_lshlrev_b32_e32 v22, 16, v25
	v_fmac_f32_e32 v16, v20, v23
	v_add_nc_u32_e32 v23, 0x80, v2
	v_fmac_f32_e32 v16, v12, v24
	v_cmpx_gt_i32_e64 s12, v23
	s_cbranch_execz .LBB631_38
; %bb.35:
	s_clause 0x3
	global_load_ushort v23, v[3:4], off offset:256
	global_load_ushort v24, v[5:6], off offset:256
	;; [unrolled: 1-line block ×4, first 2 shown]
	s_mov_b32 s3, exec_lo
	s_waitcnt vmcnt(3)
	v_lshlrev_b32_e32 v23, 16, v23
	s_waitcnt vmcnt(2)
	v_lshlrev_b32_e32 v24, 16, v24
	v_fmac_f32_e32 v17, v21, v23
	s_waitcnt vmcnt(1)
	v_lshlrev_b32_e32 v23, 16, v25
	v_fmac_f32_e32 v17, v20, v24
	v_add_nc_u32_e32 v24, 0xc0, v2
	s_waitcnt vmcnt(0)
	v_lshlrev_b32_e32 v2, 16, v26
	v_fmac_f32_e32 v17, v12, v23
	v_cmpx_gt_i32_e64 s12, v24
	s_cbranch_execz .LBB631_37
; %bb.36:
	s_clause 0x3
	global_load_ushort v3, v[3:4], off offset:384
	global_load_ushort v4, v[5:6], off offset:384
	;; [unrolled: 1-line block ×4, first 2 shown]
	s_waitcnt vmcnt(3)
	v_lshlrev_b32_e32 v3, 16, v3
	s_waitcnt vmcnt(2)
	v_lshlrev_b32_e32 v4, 16, v4
	v_fmac_f32_e32 v18, v21, v3
	s_waitcnt vmcnt(1)
	v_lshlrev_b32_e32 v3, 16, v5
	v_fmac_f32_e32 v18, v20, v4
	;; [unrolled: 3-line block ×3, first 2 shown]
	v_fmac_f32_e32 v18, v11, v4
.LBB631_37:
	s_or_b32 exec_lo, exec_lo, s3
	v_fmac_f32_e32 v17, v11, v2
.LBB631_38:
	s_or_b32 exec_lo, exec_lo, s2
	v_fmac_f32_e32 v16, v11, v22
.LBB631_39:
	s_or_b32 exec_lo, exec_lo, s0
	v_fmac_f32_e32 v15, v11, v19
.LBB631_40:
	s_or_b32 exec_lo, exec_lo, s1
.LBB631_41:
	v_lshlrev_b32_e32 v0, 2, v0
	s_mov_b32 s0, exec_lo
                                        ; implicit-def: $vgpr3
                                        ; implicit-def: $vgpr4_vgpr5
	v_lshl_or_b32 v1, v1, 10, v0
	ds_write2st64_b32 v1, v15, v16 offset1:1
	ds_write2st64_b32 v1, v17, v18 offset0:2 offset1:3
	s_waitcnt lgkmcnt(0)
	s_barrier
	buffer_gl0_inv
	v_cmpx_gt_u32_e32 0x100, v13
	s_cbranch_execz .LBB631_47
; %bb.42:
	v_lshl_add_u32 v4, v14, 2, v0
	s_mov_b32 s2, s26
	s_mov_b32 s1, exec_lo
	ds_read2st64_b32 v[0:1], v4 offset1:4
	ds_read2st64_b32 v[2:3], v4 offset0:8 offset1:12
	s_waitcnt lgkmcnt(1)
	v_add_f32_e32 v0, v0, v1
	v_or_b32_e32 v1, s23, v13
	s_waitcnt lgkmcnt(0)
	v_add_f32_e32 v0, v2, v0
	v_add_f32_e32 v0, v3, v0
                                        ; implicit-def: $vgpr3
	ds_write_b32 v4, v0
                                        ; implicit-def: $vgpr4_vgpr5
	v_cmpx_gt_i32_e64 s12, v1
	s_cbranch_execz .LBB631_46
; %bb.43:
	v_ashrrev_i32_e32 v2, 31, v1
	v_mul_lo_u32 v6, s21, v1
	v_mad_u64_u32 v[4:5], null, s20, v1, 0
	v_cmp_eq_f32_e64 s2, s24, 0
	v_mul_lo_u32 v1, s20, v2
	v_mul_f32_e32 v3, s25, v0
	s_and_b32 vcc_lo, exec_lo, s2
	v_add3_u32 v5, v5, v1, v6
	s_cbranch_vccnz .LBB631_45
; %bb.44:
	v_lshlrev_b64 v[0:1], 2, v[4:5]
	v_add_co_u32 v0, vcc_lo, s5, v0
	v_add_co_ci_u32_e64 v1, null, s22, v1, vcc_lo
	global_load_dword v0, v[0:1], off
	s_waitcnt vmcnt(0)
	v_fmac_f32_e32 v3, s24, v0
.LBB631_45:
	s_or_b32 s2, s26, exec_lo
.LBB631_46:
	s_or_b32 exec_lo, exec_lo, s1
	s_andn2_b32 s1, s26, exec_lo
	s_and_b32 s2, s2, exec_lo
	s_or_b32 s26, s1, s2
.LBB631_47:
	s_or_b32 exec_lo, exec_lo, s0
.LBB631_48:
	s_and_saveexec_b32 s0, s26
	s_cbranch_execz .LBB631_50
; %bb.49:
	v_lshlrev_b64 v[0:1], 2, v[4:5]
	v_add_co_u32 v0, vcc_lo, s5, v0
	v_add_co_ci_u32_e64 v1, null, s22, v1, vcc_lo
	global_store_dword v[0:1], v3, off
.LBB631_50:
	s_endpgm
	.section	.rodata,"a",@progbits
	.p2align	6, 0x0
	.amdhsa_kernel _ZL20rocblas_gemvn_kernelILi64ELi4El16rocblas_bfloat16PKffEviiT3_lPKT2_lT1_lS6_lS7_lS3_lPT4_lS7_li
		.amdhsa_group_segment_fixed_size 4096
		.amdhsa_private_segment_fixed_size 0
		.amdhsa_kernarg_size 400
		.amdhsa_user_sgpr_count 6
		.amdhsa_user_sgpr_private_segment_buffer 1
		.amdhsa_user_sgpr_dispatch_ptr 0
		.amdhsa_user_sgpr_queue_ptr 0
		.amdhsa_user_sgpr_kernarg_segment_ptr 1
		.amdhsa_user_sgpr_dispatch_id 0
		.amdhsa_user_sgpr_flat_scratch_init 0
		.amdhsa_user_sgpr_private_segment_size 0
		.amdhsa_wavefront_size32 1
		.amdhsa_uses_dynamic_stack 0
		.amdhsa_system_sgpr_private_segment_wavefront_offset 0
		.amdhsa_system_sgpr_workgroup_id_x 1
		.amdhsa_system_sgpr_workgroup_id_y 0
		.amdhsa_system_sgpr_workgroup_id_z 1
		.amdhsa_system_sgpr_workgroup_info 0
		.amdhsa_system_vgpr_workitem_id 1
		.amdhsa_next_free_vgpr 52
		.amdhsa_next_free_sgpr 52
		.amdhsa_reserve_vcc 1
		.amdhsa_reserve_flat_scratch 0
		.amdhsa_float_round_mode_32 0
		.amdhsa_float_round_mode_16_64 0
		.amdhsa_float_denorm_mode_32 3
		.amdhsa_float_denorm_mode_16_64 3
		.amdhsa_dx10_clamp 1
		.amdhsa_ieee_mode 1
		.amdhsa_fp16_overflow 0
		.amdhsa_workgroup_processor_mode 1
		.amdhsa_memory_ordered 1
		.amdhsa_forward_progress 1
		.amdhsa_shared_vgpr_count 0
		.amdhsa_exception_fp_ieee_invalid_op 0
		.amdhsa_exception_fp_denorm_src 0
		.amdhsa_exception_fp_ieee_div_zero 0
		.amdhsa_exception_fp_ieee_overflow 0
		.amdhsa_exception_fp_ieee_underflow 0
		.amdhsa_exception_fp_ieee_inexact 0
		.amdhsa_exception_int_div_zero 0
	.end_amdhsa_kernel
	.section	.text._ZL20rocblas_gemvn_kernelILi64ELi4El16rocblas_bfloat16PKffEviiT3_lPKT2_lT1_lS6_lS7_lS3_lPT4_lS7_li,"axG",@progbits,_ZL20rocblas_gemvn_kernelILi64ELi4El16rocblas_bfloat16PKffEviiT3_lPKT2_lT1_lS6_lS7_lS3_lPT4_lS7_li,comdat
.Lfunc_end631:
	.size	_ZL20rocblas_gemvn_kernelILi64ELi4El16rocblas_bfloat16PKffEviiT3_lPKT2_lT1_lS6_lS7_lS3_lPT4_lS7_li, .Lfunc_end631-_ZL20rocblas_gemvn_kernelILi64ELi4El16rocblas_bfloat16PKffEviiT3_lPKT2_lT1_lS6_lS7_lS3_lPT4_lS7_li
                                        ; -- End function
	.set _ZL20rocblas_gemvn_kernelILi64ELi4El16rocblas_bfloat16PKffEviiT3_lPKT2_lT1_lS6_lS7_lS3_lPT4_lS7_li.num_vgpr, 52
	.set _ZL20rocblas_gemvn_kernelILi64ELi4El16rocblas_bfloat16PKffEviiT3_lPKT2_lT1_lS6_lS7_lS3_lPT4_lS7_li.num_agpr, 0
	.set _ZL20rocblas_gemvn_kernelILi64ELi4El16rocblas_bfloat16PKffEviiT3_lPKT2_lT1_lS6_lS7_lS3_lPT4_lS7_li.numbered_sgpr, 52
	.set _ZL20rocblas_gemvn_kernelILi64ELi4El16rocblas_bfloat16PKffEviiT3_lPKT2_lT1_lS6_lS7_lS3_lPT4_lS7_li.num_named_barrier, 0
	.set _ZL20rocblas_gemvn_kernelILi64ELi4El16rocblas_bfloat16PKffEviiT3_lPKT2_lT1_lS6_lS7_lS3_lPT4_lS7_li.private_seg_size, 0
	.set _ZL20rocblas_gemvn_kernelILi64ELi4El16rocblas_bfloat16PKffEviiT3_lPKT2_lT1_lS6_lS7_lS3_lPT4_lS7_li.uses_vcc, 1
	.set _ZL20rocblas_gemvn_kernelILi64ELi4El16rocblas_bfloat16PKffEviiT3_lPKT2_lT1_lS6_lS7_lS3_lPT4_lS7_li.uses_flat_scratch, 0
	.set _ZL20rocblas_gemvn_kernelILi64ELi4El16rocblas_bfloat16PKffEviiT3_lPKT2_lT1_lS6_lS7_lS3_lPT4_lS7_li.has_dyn_sized_stack, 0
	.set _ZL20rocblas_gemvn_kernelILi64ELi4El16rocblas_bfloat16PKffEviiT3_lPKT2_lT1_lS6_lS7_lS3_lPT4_lS7_li.has_recursion, 0
	.set _ZL20rocblas_gemvn_kernelILi64ELi4El16rocblas_bfloat16PKffEviiT3_lPKT2_lT1_lS6_lS7_lS3_lPT4_lS7_li.has_indirect_call, 0
	.section	.AMDGPU.csdata,"",@progbits
; Kernel info:
; codeLenInByte = 3232
; TotalNumSgprs: 54
; NumVgprs: 52
; ScratchSize: 0
; MemoryBound: 0
; FloatMode: 240
; IeeeMode: 1
; LDSByteSize: 4096 bytes/workgroup (compile time only)
; SGPRBlocks: 0
; VGPRBlocks: 6
; NumSGPRsForWavesPerEU: 54
; NumVGPRsForWavesPerEU: 52
; Occupancy: 16
; WaveLimiterHint : 0
; COMPUTE_PGM_RSRC2:SCRATCH_EN: 0
; COMPUTE_PGM_RSRC2:USER_SGPR: 6
; COMPUTE_PGM_RSRC2:TRAP_HANDLER: 0
; COMPUTE_PGM_RSRC2:TGID_X_EN: 1
; COMPUTE_PGM_RSRC2:TGID_Y_EN: 0
; COMPUTE_PGM_RSRC2:TGID_Z_EN: 1
; COMPUTE_PGM_RSRC2:TIDIG_COMP_CNT: 1
	.section	.text._ZL20rocblas_gemvn_kernelILi64ELi4Ei16rocblas_bfloat16ffEviiT3_lPKT2_lT1_lS4_lS5_lS1_lPT4_lS5_li,"axG",@progbits,_ZL20rocblas_gemvn_kernelILi64ELi4Ei16rocblas_bfloat16ffEviiT3_lPKT2_lT1_lS4_lS5_lS1_lPT4_lS5_li,comdat
	.globl	_ZL20rocblas_gemvn_kernelILi64ELi4Ei16rocblas_bfloat16ffEviiT3_lPKT2_lT1_lS4_lS5_lS1_lPT4_lS5_li ; -- Begin function _ZL20rocblas_gemvn_kernelILi64ELi4Ei16rocblas_bfloat16ffEviiT3_lPKT2_lT1_lS4_lS5_lS1_lPT4_lS5_li
	.p2align	8
	.type	_ZL20rocblas_gemvn_kernelILi64ELi4Ei16rocblas_bfloat16ffEviiT3_lPKT2_lT1_lS4_lS5_lS1_lPT4_lS5_li,@function
_ZL20rocblas_gemvn_kernelILi64ELi4Ei16rocblas_bfloat16ffEviiT3_lPKT2_lT1_lS4_lS5_lS1_lPT4_lS5_li: ; @_ZL20rocblas_gemvn_kernelILi64ELi4Ei16rocblas_bfloat16ffEviiT3_lPKT2_lT1_lS4_lS5_lS1_lPT4_lS5_li
; %bb.0:
	s_load_dwordx2 s[0:1], s[4:5], 0x9c
	s_waitcnt lgkmcnt(0)
	s_lshr_b32 s2, s0, 16
	s_and_b32 s0, s0, 0xffff
	s_and_b32 s1, s1, 0xffff
	s_mul_i32 s0, s2, s0
	s_mul_i32 s0, s0, s1
	s_cmpk_lg_i32 s0, 0x100
	s_cbranch_scc1 .LBB632_50
; %bb.1:
	s_clause 0x1
	s_load_dwordx4 s[8:11], s[4:5], 0x0
	s_load_dword s13, s[4:5], 0x58
	s_mov_b32 s14, 0
	s_waitcnt lgkmcnt(0)
	v_cmp_eq_f32_e64 s0, s10, 0
	v_cmp_eq_f32_e64 s1, s13, 1.0
	s_and_b32 s0, s0, s1
	s_and_b32 vcc_lo, exec_lo, s0
	s_cbranch_vccnz .LBB632_50
; %bb.2:
	s_clause 0x2
	s_load_dwordx2 s[16:17], s[4:5], 0x80
	s_load_dwordx4 s[0:3], s[4:5], 0x68
	s_load_dword s15, s[4:5], 0x78
	v_lshlrev_b32_e32 v13, 6, v1
	v_cmp_neq_f32_e64 s18, s10, 0
	v_add_nc_u32_e32 v14, v13, v0
	s_waitcnt lgkmcnt(0)
	s_mul_i32 s11, s17, s7
	s_mul_hi_u32 s12, s16, s7
	s_mul_i32 s16, s16, s7
	s_add_i32 s17, s12, s11
	s_lshl_b64 s[16:17], s[16:17], 2
	s_add_u32 s11, s0, s16
	s_addc_u32 s12, s1, s17
	s_lshl_b64 s[0:1], s[2:3], 2
	s_add_u32 s11, s11, s0
	v_cmp_gt_u32_e64 s0, 0x100, v14
	s_addc_u32 s12, s12, s1
	s_and_b32 vcc_lo, exec_lo, s18
	s_cbranch_vccnz .LBB632_9
; %bb.3:
	s_mov_b32 s1, 0
                                        ; implicit-def: $vgpr3
                                        ; implicit-def: $vgpr4_vgpr5
	s_and_saveexec_b32 s2, s0
	s_cbranch_execz .LBB632_10
; %bb.4:
	v_lshl_or_b32 v2, s6, 8, v14
	v_mov_b32_e32 v3, 0
	s_ashr_i32 s17, s8, 31
	s_mov_b32 s16, s8
	s_mov_b32 s3, 0
	s_mov_b32 s0, exec_lo
                                        ; implicit-def: $vgpr4_vgpr5
	v_cmpx_gt_i64_e64 s[16:17], v[2:3]
	s_cbranch_execz .LBB632_8
; %bb.5:
	v_mad_u64_u32 v[4:5], null, s15, v2, 0
	s_ashr_i32 s3, s15, 31
	v_mad_u64_u32 v[5:6], null, s3, v2, v[5:6]
	v_cmp_eq_f32_e64 s3, s13, 0
	s_and_b32 vcc_lo, exec_lo, s3
	s_cbranch_vccnz .LBB632_7
; %bb.6:
	v_lshlrev_b64 v[2:3], 2, v[4:5]
	v_add_co_u32 v2, vcc_lo, s11, v2
	v_add_co_ci_u32_e64 v3, null, s12, v3, vcc_lo
	global_load_dword v2, v[2:3], off
	s_waitcnt vmcnt(0)
	v_mul_f32_e32 v3, s13, v2
.LBB632_7:
	s_mov_b32 s3, exec_lo
.LBB632_8:
	s_or_b32 exec_lo, exec_lo, s0
	s_and_b32 s14, s3, exec_lo
	s_or_b32 exec_lo, exec_lo, s2
	s_and_b32 vcc_lo, exec_lo, s1
	s_cbranch_vccnz .LBB632_11
	s_branch .LBB632_48
.LBB632_9:
                                        ; implicit-def: $vgpr3
                                        ; implicit-def: $vgpr4_vgpr5
	s_cbranch_execnz .LBB632_11
	s_branch .LBB632_48
.LBB632_10:
	s_or_b32 exec_lo, exec_lo, s2
	s_and_b32 vcc_lo, exec_lo, s1
	s_cbranch_vccz .LBB632_48
.LBB632_11:
	s_clause 0x5
	s_load_dwordx4 s[0:3], s[4:5], 0x30
	s_load_dwordx2 s[18:19], s[4:5], 0x50
	s_load_dwordx4 s[20:23], s[4:5], 0x18
	s_load_dword s16, s[4:5], 0x28
	s_load_dwordx2 s[24:25], s[4:5], 0x40
	s_load_dword s4, s[4:5], 0x48
	v_lshlrev_b32_e32 v20, 2, v1
	v_mov_b32_e32 v15, 0
	v_mov_b32_e32 v16, 0
	;; [unrolled: 1-line block ×4, first 2 shown]
	s_waitcnt lgkmcnt(0)
	s_mul_i32 s1, s1, s7
	s_mul_hi_u32 s17, s0, s7
	s_mul_i32 s0, s0, s7
	s_add_i32 s1, s17, s1
	s_mul_i32 s19, s19, s7
	s_lshl_b64 s[0:1], s[0:1], 1
	s_mul_hi_u32 s26, s18, s7
	s_add_u32 s17, s20, s0
	s_addc_u32 s20, s21, s1
	s_lshl_b64 s[0:1], s[22:23], 1
	s_mul_i32 s18, s18, s7
	s_add_u32 s7, s17, s0
	s_addc_u32 s17, s20, s1
	s_add_i32 s19, s26, s19
	s_mov_b32 s20, exec_lo
	s_lshl_b64 s[0:1], s[18:19], 1
	s_add_u32 s2, s2, s0
	s_addc_u32 s3, s3, s1
	s_lshl_b64 s[0:1], s[24:25], 1
	s_add_u32 s18, s2, s0
	s_addc_u32 s19, s3, s1
	s_ashr_i32 s0, s9, 31
	s_lshl_b32 s5, s6, 8
	s_lshr_b32 s0, s0, 28
	v_or_b32_e32 v19, s5, v0
	s_add_i32 s0, s9, s0
	s_and_b32 s6, s0, -16
	v_cmpx_gt_i32_e64 s6, v20
	s_cbranch_execz .LBB632_23
; %bb.12:
	v_add_nc_u32_e32 v5, 0xc0, v19
	v_mul_lo_u32 v3, s16, v20
	v_add_nc_u32_e32 v2, 64, v19
	v_add_nc_u32_e32 v6, 2, v20
	;; [unrolled: 1-line block ×3, first 2 shown]
	v_cmp_gt_i32_e64 s2, s8, v5
	v_mul_lo_u32 v5, v1, s16
	v_add_nc_u32_e32 v7, 3, v20
	v_mul_lo_u32 v8, v1, s4
	v_cmp_gt_i32_e64 s0, s8, v2
	v_add3_u32 v21, v3, s16, v0
	v_mad_u64_u32 v[2:3], null, s16, v6, v[0:1]
	v_cmp_gt_i32_e64 s1, s8, v4
	v_mad_u64_u32 v[3:4], null, s16, v7, v[0:1]
	v_lshl_add_u32 v22, v5, 2, v0
	v_mad_u64_u32 v[4:5], null, s4, v20, s[4:5]
	v_mul_lo_u32 v23, s4, v6
	v_mul_lo_u32 v24, s4, v7
	v_lshlrev_b32_e32 v25, 2, v8
	v_mov_b32_e32 v15, 0
	v_mov_b32_e32 v16, 0
	;; [unrolled: 1-line block ×4, first 2 shown]
	s_lshl_b32 s21, s16, 4
	s_lshl_b32 s23, s4, 4
	s_mov_b32 s22, 0
	s_mov_b32 s24, 0
	v_cmp_gt_i32_e32 vcc_lo, s8, v19
	s_branch .LBB632_17
.LBB632_13:                             ;   in Loop: Header=BB632_17 Depth=1
	s_or_b32 exec_lo, exec_lo, s27
	s_waitcnt vmcnt(3)
	v_lshlrev_b32_e32 v5, 16, v41
	s_waitcnt vmcnt(2)
	v_lshlrev_b32_e32 v6, 16, v40
	v_fmac_f32_e32 v17, v33, v5
	s_waitcnt vmcnt(1)
	v_lshlrev_b32_e32 v5, 16, v39
	v_fmac_f32_e32 v17, v29, v6
	v_fmac_f32_e32 v17, v31, v5
	s_waitcnt vmcnt(0)
	v_lshlrev_b32_e32 v5, 16, v38
	v_fmac_f32_e32 v17, v27, v5
.LBB632_14:                             ;   in Loop: Header=BB632_17 Depth=1
	s_or_b32 exec_lo, exec_lo, s26
	s_waitcnt vmcnt(3)
	v_lshlrev_b32_e32 v5, 16, v37
	s_waitcnt vmcnt(2)
	v_lshlrev_b32_e32 v6, 16, v36
	v_fmac_f32_e32 v16, v33, v5
	s_waitcnt vmcnt(1)
	v_lshlrev_b32_e32 v5, 16, v35
	v_fmac_f32_e32 v16, v29, v6
	v_fmac_f32_e32 v16, v31, v5
	s_waitcnt vmcnt(0)
	v_lshlrev_b32_e32 v5, 16, v34
	v_fmac_f32_e32 v16, v27, v5
.LBB632_15:                             ;   in Loop: Header=BB632_17 Depth=1
	s_or_b32 exec_lo, exec_lo, s3
	s_waitcnt vmcnt(3)
	v_lshlrev_b32_e32 v5, 16, v32
	s_waitcnt vmcnt(2)
	v_lshlrev_b32_e32 v6, 16, v30
	v_fmac_f32_e32 v15, v33, v5
	s_waitcnt vmcnt(1)
	v_lshlrev_b32_e32 v5, 16, v28
	v_fmac_f32_e32 v15, v29, v6
	v_fmac_f32_e32 v15, v31, v5
	s_waitcnt vmcnt(0)
	v_lshlrev_b32_e32 v5, 16, v26
	v_fmac_f32_e32 v15, v27, v5
.LBB632_16:                             ;   in Loop: Header=BB632_17 Depth=1
	s_or_b32 exec_lo, exec_lo, s25
	v_add_nc_u32_e32 v20, 16, v20
	v_add_nc_u32_e32 v21, s21, v21
	;; [unrolled: 1-line block ×5, first 2 shown]
	v_cmp_le_i32_e64 s3, s6, v20
	s_add_i32 s24, s24, s23
	s_or_b32 s22, s3, s22
	s_andn2_b32 exec_lo, exec_lo, s22
	s_cbranch_execz .LBB632_22
.LBB632_17:                             ; =>This Inner Loop Header: Depth=1
	s_and_saveexec_b32 s25, vcc_lo
	s_cbranch_execz .LBB632_16
; %bb.18:                               ;   in Loop: Header=BB632_17 Depth=1
	v_add_nc_u32_e32 v5, s24, v25
	v_add_nc_u32_e32 v7, s24, v4
	v_add_nc_u32_e32 v9, s24, v23
	v_add_nc_u32_e32 v11, s24, v24
	v_add_nc_u32_e32 v26, s5, v22
	v_ashrrev_i32_e32 v6, 31, v5
	v_ashrrev_i32_e32 v8, 31, v7
	;; [unrolled: 1-line block ×5, first 2 shown]
	v_lshlrev_b64 v[5:6], 1, v[5:6]
	v_lshlrev_b64 v[7:8], 1, v[7:8]
	;; [unrolled: 1-line block ×4, first 2 shown]
	v_add_nc_u32_e32 v28, s5, v21
	v_add_nc_u32_e32 v30, s5, v2
	v_add_co_u32 v5, s3, s18, v5
	v_add_co_ci_u32_e64 v6, null, s19, v6, s3
	v_add_co_u32 v7, s3, s18, v7
	v_add_co_ci_u32_e64 v8, null, s19, v8, s3
	;; [unrolled: 2-line block ×4, first 2 shown]
	v_lshlrev_b64 v[26:27], 1, v[26:27]
	s_clause 0x3
	global_load_ushort v33, v[5:6], off
	global_load_ushort v34, v[7:8], off
	;; [unrolled: 1-line block ×4, first 2 shown]
	v_add_nc_u32_e32 v9, s5, v3
	v_ashrrev_i32_e32 v29, 31, v28
	v_ashrrev_i32_e32 v31, 31, v30
	v_add_co_u32 v5, s3, s7, v26
	v_ashrrev_i32_e32 v10, 31, v9
	v_lshlrev_b64 v[7:8], 1, v[28:29]
	v_add_co_ci_u32_e64 v6, null, s17, v27, s3
	v_lshlrev_b64 v[26:27], 1, v[30:31]
	v_lshlrev_b64 v[9:10], 1, v[9:10]
	v_add_co_u32 v11, s3, s7, v7
	v_add_co_ci_u32_e64 v12, null, s17, v8, s3
	v_add_co_u32 v7, s3, s7, v26
	v_add_co_ci_u32_e64 v8, null, s17, v27, s3
	;; [unrolled: 2-line block ×3, first 2 shown]
	s_clause 0x3
	global_load_ushort v32, v[5:6], off
	global_load_ushort v30, v[11:12], off
	;; [unrolled: 1-line block ×4, first 2 shown]
	s_waitcnt vmcnt(7)
	v_lshlrev_b32_e32 v33, 16, v33
	s_waitcnt vmcnt(6)
	v_lshlrev_b32_e32 v29, 16, v34
	;; [unrolled: 2-line block ×4, first 2 shown]
	s_and_saveexec_b32 s3, s0
	s_cbranch_execz .LBB632_15
; %bb.19:                               ;   in Loop: Header=BB632_17 Depth=1
	s_clause 0x3
	global_load_ushort v37, v[5:6], off offset:128
	global_load_ushort v36, v[11:12], off offset:128
	global_load_ushort v35, v[7:8], off offset:128
	global_load_ushort v34, v[9:10], off offset:128
	s_and_saveexec_b32 s26, s1
	s_cbranch_execz .LBB632_14
; %bb.20:                               ;   in Loop: Header=BB632_17 Depth=1
	s_clause 0x3
	global_load_ushort v41, v[5:6], off offset:256
	global_load_ushort v40, v[11:12], off offset:256
	global_load_ushort v39, v[7:8], off offset:256
	global_load_ushort v38, v[9:10], off offset:256
	;; [unrolled: 8-line block ×3, first 2 shown]
	s_waitcnt vmcnt(3)
	v_lshlrev_b32_e32 v5, 16, v5
	s_waitcnt vmcnt(2)
	v_lshlrev_b32_e32 v6, 16, v6
	v_fmac_f32_e32 v18, v33, v5
	s_waitcnt vmcnt(1)
	v_lshlrev_b32_e32 v5, 16, v7
	v_fmac_f32_e32 v18, v29, v6
	;; [unrolled: 3-line block ×3, first 2 shown]
	v_fmac_f32_e32 v18, v27, v6
	s_branch .LBB632_13
.LBB632_22:
	s_or_b32 exec_lo, exec_lo, s22
.LBB632_23:
	s_or_b32 exec_lo, exec_lo, s20
	s_sub_i32 s0, s9, s6
	s_cmp_lt_i32 s0, 1
	s_cbranch_scc1 .LBB632_41
; %bb.24:
	v_cmp_gt_i32_e32 vcc_lo, s9, v20
	v_mov_b32_e32 v11, 0
	v_or_b32_e32 v2, 1, v20
	v_mov_b32_e32 v10, 0
	v_mov_b32_e32 v21, 0
	;; [unrolled: 1-line block ×3, first 2 shown]
	s_and_saveexec_b32 s1, vcc_lo
	s_cbranch_execz .LBB632_32
; %bb.25:
	v_mul_lo_u32 v3, v20, s4
	v_mov_b32_e32 v12, 0
	v_mov_b32_e32 v10, 0
	;; [unrolled: 1-line block ×3, first 2 shown]
	s_mov_b32 s2, exec_lo
	v_ashrrev_i32_e32 v4, 31, v3
	v_lshlrev_b64 v[3:4], 1, v[3:4]
	v_add_co_u32 v3, s0, s18, v3
	v_add_co_ci_u32_e64 v4, null, s19, v4, s0
	global_load_ushort v3, v[3:4], off
	v_cmpx_gt_i32_e64 s9, v2
	s_cbranch_execz .LBB632_31
; %bb.26:
	v_mul_lo_u32 v4, v2, s4
	v_mov_b32_e32 v10, 0
	v_mov_b32_e32 v11, 0
	s_mov_b32 s3, exec_lo
	v_ashrrev_i32_e32 v5, 31, v4
	v_lshlrev_b64 v[4:5], 1, v[4:5]
	v_add_co_u32 v4, s0, s18, v4
	v_add_co_ci_u32_e64 v5, null, s19, v5, s0
	global_load_ushort v4, v[4:5], off
	v_or_b32_e32 v5, 2, v20
	v_cmpx_gt_i32_e64 s9, v5
	s_cbranch_execz .LBB632_30
; %bb.27:
	v_mul_lo_u32 v5, v5, s4
	v_mov_b32_e32 v10, 0
	s_mov_b32 s6, exec_lo
	v_ashrrev_i32_e32 v6, 31, v5
	v_lshlrev_b64 v[5:6], 1, v[5:6]
	v_add_co_u32 v5, s0, s18, v5
	v_add_co_ci_u32_e64 v6, null, s19, v6, s0
	global_load_ushort v5, v[5:6], off
	v_or_b32_e32 v6, 3, v20
	v_cmpx_gt_i32_e64 s9, v6
	s_cbranch_execz .LBB632_29
; %bb.28:
	v_mul_lo_u32 v6, v6, s4
	v_ashrrev_i32_e32 v7, 31, v6
	v_lshlrev_b64 v[6:7], 1, v[6:7]
	v_add_co_u32 v6, s0, s18, v6
	v_add_co_ci_u32_e64 v7, null, s19, v7, s0
	global_load_ushort v6, v[6:7], off
	s_waitcnt vmcnt(0)
	v_lshlrev_b32_e32 v10, 16, v6
.LBB632_29:
	s_or_b32 exec_lo, exec_lo, s6
	s_waitcnt vmcnt(0)
	v_lshlrev_b32_e32 v11, 16, v5
.LBB632_30:
	s_or_b32 exec_lo, exec_lo, s3
	s_waitcnt vmcnt(0)
	v_lshlrev_b32_e32 v12, 16, v4
.LBB632_31:
	s_or_b32 exec_lo, exec_lo, s2
	s_waitcnt vmcnt(0)
	v_lshlrev_b32_e32 v21, 16, v3
.LBB632_32:
	s_or_b32 exec_lo, exec_lo, s1
	s_mov_b32 s1, exec_lo
	v_cmpx_gt_i32_e64 s8, v19
	s_cbranch_execz .LBB632_40
; %bb.33:
	v_mul_lo_u32 v3, v20, s16
	v_mul_lo_u32 v4, v2, s16
	v_or_b32_e32 v5, 2, v20
	v_or_b32_e32 v6, 3, v20
	s_mov_b32 s0, exec_lo
	v_mul_lo_u32 v7, v5, s16
	v_cndmask_b32_e32 v3, 0, v3, vcc_lo
	v_cmp_gt_i32_e32 vcc_lo, s9, v2
	v_mul_lo_u32 v8, v6, s16
	v_add_nc_u32_e32 v2, v3, v19
	v_cndmask_b32_e32 v4, 0, v4, vcc_lo
	v_cmp_gt_i32_e32 vcc_lo, s9, v5
	v_ashrrev_i32_e32 v3, 31, v2
	v_add_nc_u32_e32 v4, v4, v19
	v_cndmask_b32_e32 v7, 0, v7, vcc_lo
	v_cmp_gt_i32_e32 vcc_lo, s9, v6
	v_lshlrev_b64 v[2:3], 1, v[2:3]
	v_ashrrev_i32_e32 v5, 31, v4
	v_add_nc_u32_e32 v6, v7, v19
	v_cndmask_b32_e32 v8, 0, v8, vcc_lo
	v_lshlrev_b64 v[4:5], 1, v[4:5]
	v_ashrrev_i32_e32 v7, 31, v6
	v_add_nc_u32_e32 v8, v8, v19
	v_add_co_u32 v2, vcc_lo, s7, v2
	v_add_co_ci_u32_e64 v3, null, s17, v3, vcc_lo
	v_ashrrev_i32_e32 v9, 31, v8
	v_add_co_u32 v4, vcc_lo, s7, v4
	v_add_co_ci_u32_e64 v5, null, s17, v5, vcc_lo
	v_lshlrev_b64 v[6:7], 1, v[6:7]
	v_lshlrev_b64 v[8:9], 1, v[8:9]
	s_clause 0x1
	global_load_ushort v20, v[2:3], off
	global_load_ushort v22, v[4:5], off
	v_add_co_u32 v6, vcc_lo, s7, v6
	v_add_co_ci_u32_e64 v7, null, s17, v7, vcc_lo
	v_add_co_u32 v8, vcc_lo, s7, v8
	v_add_co_ci_u32_e64 v9, null, s17, v9, vcc_lo
	s_clause 0x1
	global_load_ushort v23, v[6:7], off
	global_load_ushort v24, v[8:9], off
	s_waitcnt vmcnt(3)
	v_lshlrev_b32_e32 v20, 16, v20
	s_waitcnt vmcnt(2)
	v_lshlrev_b32_e32 v22, 16, v22
	v_fmac_f32_e32 v15, v21, v20
	v_fmac_f32_e32 v15, v12, v22
	v_add_nc_u32_e32 v22, 64, v19
	s_waitcnt vmcnt(1)
	v_lshlrev_b32_e32 v23, 16, v23
	s_waitcnt vmcnt(0)
	v_lshlrev_b32_e32 v20, 16, v24
	v_fmac_f32_e32 v15, v11, v23
	v_cmpx_gt_i32_e64 s8, v22
	s_cbranch_execz .LBB632_39
; %bb.34:
	s_clause 0x3
	global_load_ushort v22, v[2:3], off offset:128
	global_load_ushort v23, v[4:5], off offset:128
	;; [unrolled: 1-line block ×4, first 2 shown]
	s_mov_b32 s2, exec_lo
	s_waitcnt vmcnt(3)
	v_lshlrev_b32_e32 v22, 16, v22
	s_waitcnt vmcnt(2)
	v_lshlrev_b32_e32 v23, 16, v23
	;; [unrolled: 2-line block ×3, first 2 shown]
	v_fmac_f32_e32 v16, v21, v22
	s_waitcnt vmcnt(0)
	v_lshlrev_b32_e32 v22, 16, v25
	v_fmac_f32_e32 v16, v12, v23
	v_add_nc_u32_e32 v23, 0x80, v19
	v_fmac_f32_e32 v16, v11, v24
	v_cmpx_gt_i32_e64 s8, v23
	s_cbranch_execz .LBB632_38
; %bb.35:
	s_clause 0x3
	global_load_ushort v23, v[2:3], off offset:256
	global_load_ushort v24, v[4:5], off offset:256
	;; [unrolled: 1-line block ×4, first 2 shown]
	s_mov_b32 s3, exec_lo
	s_waitcnt vmcnt(3)
	v_lshlrev_b32_e32 v23, 16, v23
	s_waitcnt vmcnt(2)
	v_lshlrev_b32_e32 v24, 16, v24
	v_fmac_f32_e32 v17, v21, v23
	s_waitcnt vmcnt(1)
	v_lshlrev_b32_e32 v23, 16, v25
	v_fmac_f32_e32 v17, v12, v24
	v_add_nc_u32_e32 v24, 0xc0, v19
	s_waitcnt vmcnt(0)
	v_lshlrev_b32_e32 v19, 16, v26
	v_fmac_f32_e32 v17, v11, v23
	v_cmpx_gt_i32_e64 s8, v24
	s_cbranch_execz .LBB632_37
; %bb.36:
	s_clause 0x3
	global_load_ushort v2, v[2:3], off offset:384
	global_load_ushort v3, v[4:5], off offset:384
	;; [unrolled: 1-line block ×4, first 2 shown]
	s_waitcnt vmcnt(3)
	v_lshlrev_b32_e32 v2, 16, v2
	s_waitcnt vmcnt(2)
	v_lshlrev_b32_e32 v3, 16, v3
	v_fmac_f32_e32 v18, v21, v2
	s_waitcnt vmcnt(1)
	v_lshlrev_b32_e32 v2, 16, v4
	v_fmac_f32_e32 v18, v12, v3
	;; [unrolled: 3-line block ×3, first 2 shown]
	v_fmac_f32_e32 v18, v10, v3
.LBB632_37:
	s_or_b32 exec_lo, exec_lo, s3
	v_fmac_f32_e32 v17, v10, v19
.LBB632_38:
	s_or_b32 exec_lo, exec_lo, s2
	v_fmac_f32_e32 v16, v10, v22
.LBB632_39:
	s_or_b32 exec_lo, exec_lo, s0
	v_fmac_f32_e32 v15, v10, v20
.LBB632_40:
	s_or_b32 exec_lo, exec_lo, s1
.LBB632_41:
	v_lshlrev_b32_e32 v0, 2, v0
	s_mov_b32 s0, exec_lo
                                        ; implicit-def: $vgpr3
                                        ; implicit-def: $vgpr4_vgpr5
	v_lshl_or_b32 v1, v1, 10, v0
	ds_write2st64_b32 v1, v15, v16 offset1:1
	ds_write2st64_b32 v1, v17, v18 offset0:2 offset1:3
	s_waitcnt lgkmcnt(0)
	s_barrier
	buffer_gl0_inv
	v_cmpx_gt_u32_e32 0x100, v14
	s_cbranch_execz .LBB632_47
; %bb.42:
	v_lshl_add_u32 v4, v13, 2, v0
	s_mov_b32 s2, s14
	s_mov_b32 s1, exec_lo
	ds_read2st64_b32 v[0:1], v4 offset1:4
	ds_read2st64_b32 v[2:3], v4 offset0:8 offset1:12
	s_waitcnt lgkmcnt(1)
	v_add_f32_e32 v0, v0, v1
	v_or_b32_e32 v1, s5, v14
	s_waitcnt lgkmcnt(0)
	v_add_f32_e32 v0, v2, v0
	v_add_f32_e32 v0, v3, v0
                                        ; implicit-def: $vgpr3
	ds_write_b32 v4, v0
                                        ; implicit-def: $vgpr4_vgpr5
	v_cmpx_gt_i32_e64 s8, v1
	s_cbranch_execz .LBB632_46
; %bb.43:
	v_mul_lo_u32 v4, s15, v1
	v_cmp_eq_f32_e64 s2, s13, 0
	v_mul_f32_e32 v3, s10, v0
	s_and_b32 vcc_lo, exec_lo, s2
	v_ashrrev_i32_e32 v5, 31, v4
	s_cbranch_vccnz .LBB632_45
; %bb.44:
	v_lshlrev_b64 v[0:1], 2, v[4:5]
	v_add_co_u32 v0, vcc_lo, s11, v0
	v_add_co_ci_u32_e64 v1, null, s12, v1, vcc_lo
	global_load_dword v0, v[0:1], off
	s_waitcnt vmcnt(0)
	v_fmac_f32_e32 v3, s13, v0
.LBB632_45:
	s_or_b32 s2, s14, exec_lo
.LBB632_46:
	s_or_b32 exec_lo, exec_lo, s1
	s_andn2_b32 s1, s14, exec_lo
	s_and_b32 s2, s2, exec_lo
	s_or_b32 s14, s1, s2
.LBB632_47:
	s_or_b32 exec_lo, exec_lo, s0
.LBB632_48:
	s_and_saveexec_b32 s0, s14
	s_cbranch_execz .LBB632_50
; %bb.49:
	v_lshlrev_b64 v[0:1], 2, v[4:5]
	v_add_co_u32 v0, vcc_lo, s11, v0
	v_add_co_ci_u32_e64 v1, null, s12, v1, vcc_lo
	global_store_dword v[0:1], v3, off
.LBB632_50:
	s_endpgm
	.section	.rodata,"a",@progbits
	.p2align	6, 0x0
	.amdhsa_kernel _ZL20rocblas_gemvn_kernelILi64ELi4Ei16rocblas_bfloat16ffEviiT3_lPKT2_lT1_lS4_lS5_lS1_lPT4_lS5_li
		.amdhsa_group_segment_fixed_size 4096
		.amdhsa_private_segment_fixed_size 0
		.amdhsa_kernarg_size 400
		.amdhsa_user_sgpr_count 6
		.amdhsa_user_sgpr_private_segment_buffer 1
		.amdhsa_user_sgpr_dispatch_ptr 0
		.amdhsa_user_sgpr_queue_ptr 0
		.amdhsa_user_sgpr_kernarg_segment_ptr 1
		.amdhsa_user_sgpr_dispatch_id 0
		.amdhsa_user_sgpr_flat_scratch_init 0
		.amdhsa_user_sgpr_private_segment_size 0
		.amdhsa_wavefront_size32 1
		.amdhsa_uses_dynamic_stack 0
		.amdhsa_system_sgpr_private_segment_wavefront_offset 0
		.amdhsa_system_sgpr_workgroup_id_x 1
		.amdhsa_system_sgpr_workgroup_id_y 0
		.amdhsa_system_sgpr_workgroup_id_z 1
		.amdhsa_system_sgpr_workgroup_info 0
		.amdhsa_system_vgpr_workitem_id 1
		.amdhsa_next_free_vgpr 42
		.amdhsa_next_free_sgpr 28
		.amdhsa_reserve_vcc 1
		.amdhsa_reserve_flat_scratch 0
		.amdhsa_float_round_mode_32 0
		.amdhsa_float_round_mode_16_64 0
		.amdhsa_float_denorm_mode_32 3
		.amdhsa_float_denorm_mode_16_64 3
		.amdhsa_dx10_clamp 1
		.amdhsa_ieee_mode 1
		.amdhsa_fp16_overflow 0
		.amdhsa_workgroup_processor_mode 1
		.amdhsa_memory_ordered 1
		.amdhsa_forward_progress 1
		.amdhsa_shared_vgpr_count 0
		.amdhsa_exception_fp_ieee_invalid_op 0
		.amdhsa_exception_fp_denorm_src 0
		.amdhsa_exception_fp_ieee_div_zero 0
		.amdhsa_exception_fp_ieee_overflow 0
		.amdhsa_exception_fp_ieee_underflow 0
		.amdhsa_exception_fp_ieee_inexact 0
		.amdhsa_exception_int_div_zero 0
	.end_amdhsa_kernel
	.section	.text._ZL20rocblas_gemvn_kernelILi64ELi4Ei16rocblas_bfloat16ffEviiT3_lPKT2_lT1_lS4_lS5_lS1_lPT4_lS5_li,"axG",@progbits,_ZL20rocblas_gemvn_kernelILi64ELi4Ei16rocblas_bfloat16ffEviiT3_lPKT2_lT1_lS4_lS5_lS1_lPT4_lS5_li,comdat
.Lfunc_end632:
	.size	_ZL20rocblas_gemvn_kernelILi64ELi4Ei16rocblas_bfloat16ffEviiT3_lPKT2_lT1_lS4_lS5_lS1_lPT4_lS5_li, .Lfunc_end632-_ZL20rocblas_gemvn_kernelILi64ELi4Ei16rocblas_bfloat16ffEviiT3_lPKT2_lT1_lS4_lS5_lS1_lPT4_lS5_li
                                        ; -- End function
	.set _ZL20rocblas_gemvn_kernelILi64ELi4Ei16rocblas_bfloat16ffEviiT3_lPKT2_lT1_lS4_lS5_lS1_lPT4_lS5_li.num_vgpr, 42
	.set _ZL20rocblas_gemvn_kernelILi64ELi4Ei16rocblas_bfloat16ffEviiT3_lPKT2_lT1_lS4_lS5_lS1_lPT4_lS5_li.num_agpr, 0
	.set _ZL20rocblas_gemvn_kernelILi64ELi4Ei16rocblas_bfloat16ffEviiT3_lPKT2_lT1_lS4_lS5_lS1_lPT4_lS5_li.numbered_sgpr, 28
	.set _ZL20rocblas_gemvn_kernelILi64ELi4Ei16rocblas_bfloat16ffEviiT3_lPKT2_lT1_lS4_lS5_lS1_lPT4_lS5_li.num_named_barrier, 0
	.set _ZL20rocblas_gemvn_kernelILi64ELi4Ei16rocblas_bfloat16ffEviiT3_lPKT2_lT1_lS4_lS5_lS1_lPT4_lS5_li.private_seg_size, 0
	.set _ZL20rocblas_gemvn_kernelILi64ELi4Ei16rocblas_bfloat16ffEviiT3_lPKT2_lT1_lS4_lS5_lS1_lPT4_lS5_li.uses_vcc, 1
	.set _ZL20rocblas_gemvn_kernelILi64ELi4Ei16rocblas_bfloat16ffEviiT3_lPKT2_lT1_lS4_lS5_lS1_lPT4_lS5_li.uses_flat_scratch, 0
	.set _ZL20rocblas_gemvn_kernelILi64ELi4Ei16rocblas_bfloat16ffEviiT3_lPKT2_lT1_lS4_lS5_lS1_lPT4_lS5_li.has_dyn_sized_stack, 0
	.set _ZL20rocblas_gemvn_kernelILi64ELi4Ei16rocblas_bfloat16ffEviiT3_lPKT2_lT1_lS4_lS5_lS1_lPT4_lS5_li.has_recursion, 0
	.set _ZL20rocblas_gemvn_kernelILi64ELi4Ei16rocblas_bfloat16ffEviiT3_lPKT2_lT1_lS4_lS5_lS1_lPT4_lS5_li.has_indirect_call, 0
	.section	.AMDGPU.csdata,"",@progbits
; Kernel info:
; codeLenInByte = 2784
; TotalNumSgprs: 30
; NumVgprs: 42
; ScratchSize: 0
; MemoryBound: 0
; FloatMode: 240
; IeeeMode: 1
; LDSByteSize: 4096 bytes/workgroup (compile time only)
; SGPRBlocks: 0
; VGPRBlocks: 5
; NumSGPRsForWavesPerEU: 30
; NumVGPRsForWavesPerEU: 42
; Occupancy: 16
; WaveLimiterHint : 1
; COMPUTE_PGM_RSRC2:SCRATCH_EN: 0
; COMPUTE_PGM_RSRC2:USER_SGPR: 6
; COMPUTE_PGM_RSRC2:TRAP_HANDLER: 0
; COMPUTE_PGM_RSRC2:TGID_X_EN: 1
; COMPUTE_PGM_RSRC2:TGID_Y_EN: 0
; COMPUTE_PGM_RSRC2:TGID_Z_EN: 1
; COMPUTE_PGM_RSRC2:TIDIG_COMP_CNT: 1
	.section	.text._ZL20rocblas_gemvn_kernelILi64ELi4El16rocblas_bfloat16ffEviiT3_lPKT2_lT1_lS4_lS5_lS1_lPT4_lS5_li,"axG",@progbits,_ZL20rocblas_gemvn_kernelILi64ELi4El16rocblas_bfloat16ffEviiT3_lPKT2_lT1_lS4_lS5_lS1_lPT4_lS5_li,comdat
	.globl	_ZL20rocblas_gemvn_kernelILi64ELi4El16rocblas_bfloat16ffEviiT3_lPKT2_lT1_lS4_lS5_lS1_lPT4_lS5_li ; -- Begin function _ZL20rocblas_gemvn_kernelILi64ELi4El16rocblas_bfloat16ffEviiT3_lPKT2_lT1_lS4_lS5_lS1_lPT4_lS5_li
	.p2align	8
	.type	_ZL20rocblas_gemvn_kernelILi64ELi4El16rocblas_bfloat16ffEviiT3_lPKT2_lT1_lS4_lS5_lS1_lPT4_lS5_li,@function
_ZL20rocblas_gemvn_kernelILi64ELi4El16rocblas_bfloat16ffEviiT3_lPKT2_lT1_lS4_lS5_lS1_lPT4_lS5_li: ; @_ZL20rocblas_gemvn_kernelILi64ELi4El16rocblas_bfloat16ffEviiT3_lPKT2_lT1_lS4_lS5_lS1_lPT4_lS5_li
; %bb.0:
	s_load_dwordx2 s[0:1], s[4:5], 0x9c
	s_waitcnt lgkmcnt(0)
	s_lshr_b32 s2, s0, 16
	s_and_b32 s0, s0, 0xffff
	s_and_b32 s1, s1, 0xffff
	s_mul_i32 s0, s2, s0
	s_mul_i32 s0, s0, s1
	s_cmpk_lg_i32 s0, 0x100
	s_cbranch_scc1 .LBB633_50
; %bb.1:
	s_clause 0x1
	s_load_dwordx4 s[28:31], s[4:5], 0x0
	s_load_dword s36, s[4:5], 0x58
	s_mov_b32 s37, 0
	s_waitcnt lgkmcnt(0)
	v_cmp_eq_f32_e64 s0, s30, 0
	v_cmp_eq_f32_e64 s1, s36, 1.0
	s_and_b32 s0, s0, s1
	s_and_b32 vcc_lo, exec_lo, s0
	s_cbranch_vccnz .LBB633_50
; %bb.2:
	s_load_dwordx8 s[20:27], s[4:5], 0x68
	v_lshlrev_b32_e32 v13, 6, v1
	v_add_nc_u32_e32 v14, v13, v0
	s_waitcnt lgkmcnt(0)
	s_mul_i32 s1, s27, s7
	s_mul_hi_u32 s2, s26, s7
	s_mul_i32 s0, s26, s7
	s_add_i32 s1, s2, s1
	v_cmp_neq_f32_e64 s2, s30, 0
	s_lshl_b64 s[0:1], s[0:1], 2
	s_add_u32 s3, s20, s0
	s_addc_u32 s8, s21, s1
	s_lshl_b64 s[0:1], s[22:23], 2
	s_add_u32 s31, s3, s0
	v_cmp_gt_u32_e64 s0, 0x100, v14
	s_addc_u32 s33, s8, s1
	s_and_b32 vcc_lo, exec_lo, s2
	s_cbranch_vccnz .LBB633_9
; %bb.3:
	s_mov_b32 s1, 0
                                        ; implicit-def: $vgpr3
                                        ; implicit-def: $vgpr4_vgpr5
	s_and_saveexec_b32 s2, s0
	s_cbranch_execz .LBB633_10
; %bb.4:
	v_lshl_or_b32 v2, s6, 8, v14
	v_mov_b32_e32 v3, 0
	s_ashr_i32 s9, s28, 31
	s_mov_b32 s8, s28
	s_mov_b32 s3, 0
	s_mov_b32 s0, exec_lo
                                        ; implicit-def: $vgpr4_vgpr5
	v_cmpx_gt_i64_e64 s[8:9], v[2:3]
	s_cbranch_execz .LBB633_8
; %bb.5:
	v_mad_u64_u32 v[4:5], null, s24, v2, 0
	v_cmp_eq_f32_e64 s3, s36, 0
	s_and_b32 vcc_lo, exec_lo, s3
	v_mad_u64_u32 v[5:6], null, s25, v2, v[5:6]
	s_cbranch_vccnz .LBB633_7
; %bb.6:
	v_lshlrev_b64 v[2:3], 2, v[4:5]
	v_add_co_u32 v2, vcc_lo, s31, v2
	v_add_co_ci_u32_e64 v3, null, s33, v3, vcc_lo
	global_load_dword v2, v[2:3], off
	s_waitcnt vmcnt(0)
	v_mul_f32_e32 v3, s36, v2
.LBB633_7:
	s_mov_b32 s3, exec_lo
.LBB633_8:
	s_or_b32 exec_lo, exec_lo, s0
	s_and_b32 s37, s3, exec_lo
	s_or_b32 exec_lo, exec_lo, s2
	s_and_b32 vcc_lo, exec_lo, s1
	s_cbranch_vccnz .LBB633_11
	s_branch .LBB633_48
.LBB633_9:
                                        ; implicit-def: $vgpr3
                                        ; implicit-def: $vgpr4_vgpr5
	s_cbranch_execnz .LBB633_11
	s_branch .LBB633_48
.LBB633_10:
	s_or_b32 exec_lo, exec_lo, s2
	s_and_b32 vcc_lo, exec_lo, s1
	s_cbranch_vccz .LBB633_48
.LBB633_11:
	s_load_dwordx16 s[8:23], s[4:5], 0x18
	s_ashr_i32 s0, s29, 31
	s_lshl_b32 s5, s6, 8
	s_lshr_b32 s0, s0, 28
	v_lshlrev_b32_e32 v19, 2, v1
	s_add_i32 s0, s29, s0
	v_mov_b32_e32 v15, 0
	v_mov_b32_e32 v16, 0
	;; [unrolled: 1-line block ×4, first 2 shown]
	v_or_b32_e32 v2, s5, v0
	s_and_b32 s38, s0, -16
	s_mov_b32 s39, exec_lo
	s_waitcnt lgkmcnt(0)
	s_mul_i32 s0, s15, s7
	s_mul_hi_u32 s1, s14, s7
	s_mul_i32 s2, s23, s7
	s_mul_hi_u32 s3, s22, s7
	s_mul_i32 s14, s14, s7
	s_add_i32 s15, s1, s0
	s_add_i32 s23, s3, s2
	s_mul_i32 s22, s22, s7
	v_cmpx_gt_i32_e64 s38, v19
	s_cbranch_execz .LBB633_23
; %bb.12:
	v_lshlrev_b32_e32 v30, 2, v1
	v_mad_u64_u32 v[4:5], null, s20, v1, 0
	v_add_nc_u32_e32 v11, 64, v2
	v_add_nc_u32_e32 v12, 0x80, v2
	v_or_b32_e32 v15, 3, v30
	s_lshl_b64 s[0:1], s[22:23], 1
	s_lshl_b64 s[6:7], s[18:19], 1
	s_add_u32 s4, s16, s0
	s_addc_u32 s42, s17, s1
	v_mad_u64_u32 v[6:7], null, s12, v15, 0
	v_cmp_gt_i32_e64 s0, s28, v11
	v_cmp_gt_i32_e64 s1, s28, v12
	v_add_nc_u32_e32 v16, 0xc0, v2
	v_or_b32_e32 v24, 2, v30
	s_lshl_b64 s[34:35], s[10:11], 1
	s_lshl_b64 s[26:27], s[20:21], 5
	v_mad_u64_u32 v[8:9], null, s21, v1, v[5:6]
	v_mad_u64_u32 v[9:10], null, s20, v15, 0
	v_cmp_gt_i32_e64 s2, s28, v16
	s_lshl_b64 s[40:41], s[14:15], 1
	v_mad_u64_u32 v[28:29], null, s20, v24, 0
	v_mov_b32_e32 v5, v8
	v_mad_u64_u32 v[7:8], null, s13, v15, v[7:8]
	v_mad_u64_u32 v[32:33], null, s12, v30, s[12:13]
	v_lshlrev_b64 v[11:12], 3, v[4:5]
	v_mov_b32_e32 v5, v10
	v_mov_b32_e32 v8, v29
	v_ashrrev_i32_e32 v3, 31, v2
	v_lshlrev_b64 v[6:7], 1, v[6:7]
	v_cmp_gt_i32_e32 vcc_lo, s28, v2
	v_add_co_u32 v20, s3, s4, v11
	v_add_co_ci_u32_e64 v21, null, s42, v12, s3
	v_mad_u64_u32 v[15:16], null, s21, v15, v[5:6]
	v_mad_u64_u32 v[11:12], null, s12, v1, 0
	s_add_u32 s3, s8, s34
	s_addc_u32 s34, s9, s35
	s_add_u32 s35, s3, s40
	s_addc_u32 s34, s34, s41
	v_mov_b32_e32 v10, v15
	v_mad_u64_u32 v[15:16], null, s12, v24, 0
	v_mov_b32_e32 v5, v12
	v_add_co_u32 v22, s3, s35, v6
	v_add_co_ci_u32_e64 v23, null, s34, v7, s3
	v_mad_u64_u32 v[17:18], null, s13, v1, v[5:6]
	v_lshlrev_b64 v[6:7], 1, v[9:10]
	v_mov_b32_e32 v5, v16
	v_lshlrev_b64 v[3:4], 1, v[2:3]
	s_mov_b32 s40, 0
	v_mad_u64_u32 v[9:10], null, s13, v24, v[5:6]
	v_mov_b32_e32 v12, v17
	v_mad_u64_u32 v[17:18], null, s20, v30, s[20:21]
	v_mad_u64_u32 v[26:27], null, s21, v24, v[8:9]
	v_add_co_u32 v24, s3, s4, v6
	v_add_co_ci_u32_e64 v25, null, s42, v7, s3
	v_lshlrev_b64 v[6:7], 3, v[11:12]
	v_mov_b32_e32 v5, v18
	v_mov_b32_e32 v16, v9
	v_mov_b32_e32 v29, v26
	v_add_co_u32 v26, s3, s35, v6
	v_mad_u64_u32 v[8:9], null, s21, v30, v[5:6]
	v_add_co_ci_u32_e64 v27, null, s34, v7, s3
	v_lshlrev_b64 v[6:7], 1, v[15:16]
	v_mov_b32_e32 v5, v33
	v_mov_b32_e32 v15, 0
	;; [unrolled: 1-line block ×4, first 2 shown]
	v_mad_u64_u32 v[9:10], null, s13, v30, v[5:6]
	v_lshlrev_b64 v[10:11], 1, v[28:29]
	v_add_co_u32 v28, s3, s35, v6
	v_lshlrev_b64 v[5:6], 1, v[17:18]
	v_add_co_ci_u32_e64 v29, null, s34, v7, s3
	v_mov_b32_e32 v33, v9
	v_add_co_u32 v30, s3, s4, v10
	v_add_co_ci_u32_e64 v31, null, s42, v11, s3
	v_lshlrev_b64 v[7:8], 1, v[32:33]
	v_add_co_u32 v32, s3, s4, v5
	v_add_co_ci_u32_e64 v33, null, s42, v6, s3
	v_mov_b32_e32 v17, 0
	v_add_co_u32 v34, s3, s35, v7
	v_add_co_ci_u32_e64 v35, null, s34, v8, s3
	v_mov_b32_e32 v18, 0
	s_lshl_b64 s[34:35], s[12:13], 5
	s_branch .LBB633_17
.LBB633_13:                             ;   in Loop: Header=BB633_17 Depth=1
	s_or_b32 exec_lo, exec_lo, s42
	s_waitcnt vmcnt(3)
	v_lshlrev_b32_e32 v5, 16, v51
	s_waitcnt vmcnt(2)
	v_lshlrev_b32_e32 v6, 16, v50
	v_fmac_f32_e32 v17, v43, v5
	s_waitcnt vmcnt(1)
	v_lshlrev_b32_e32 v5, 16, v49
	v_fmac_f32_e32 v17, v39, v6
	v_fmac_f32_e32 v17, v41, v5
	s_waitcnt vmcnt(0)
	v_lshlrev_b32_e32 v5, 16, v48
	v_fmac_f32_e32 v17, v37, v5
.LBB633_14:                             ;   in Loop: Header=BB633_17 Depth=1
	s_or_b32 exec_lo, exec_lo, s41
	s_waitcnt vmcnt(3)
	v_lshlrev_b32_e32 v5, 16, v47
	s_waitcnt vmcnt(2)
	v_lshlrev_b32_e32 v6, 16, v46
	v_fmac_f32_e32 v16, v43, v5
	s_waitcnt vmcnt(1)
	v_lshlrev_b32_e32 v5, 16, v45
	v_fmac_f32_e32 v16, v39, v6
	v_fmac_f32_e32 v16, v41, v5
	s_waitcnt vmcnt(0)
	v_lshlrev_b32_e32 v5, 16, v44
	v_fmac_f32_e32 v16, v37, v5
.LBB633_15:                             ;   in Loop: Header=BB633_17 Depth=1
	s_or_b32 exec_lo, exec_lo, s3
	s_waitcnt vmcnt(3)
	v_lshlrev_b32_e32 v5, 16, v42
	s_waitcnt vmcnt(2)
	v_lshlrev_b32_e32 v6, 16, v40
	v_fmac_f32_e32 v15, v43, v5
	s_waitcnt vmcnt(1)
	v_lshlrev_b32_e32 v5, 16, v38
	v_fmac_f32_e32 v15, v39, v6
	v_fmac_f32_e32 v15, v41, v5
	s_waitcnt vmcnt(0)
	v_lshlrev_b32_e32 v5, 16, v36
	v_fmac_f32_e32 v15, v37, v5
.LBB633_16:                             ;   in Loop: Header=BB633_17 Depth=1
	s_or_b32 exec_lo, exec_lo, s4
	v_add_co_u32 v20, s3, v20, s26
	v_add_co_ci_u32_e64 v21, null, s27, v21, s3
	v_add_co_u32 v22, s3, v22, s34
	v_add_co_ci_u32_e64 v23, null, s35, v23, s3
	;; [unrolled: 2-line block ×4, first 2 shown]
	v_add_co_u32 v28, s3, v28, s34
	v_add_nc_u32_e32 v19, 16, v19
	v_add_co_ci_u32_e64 v29, null, s35, v29, s3
	v_add_co_u32 v30, s3, v30, s26
	v_add_co_ci_u32_e64 v31, null, s27, v31, s3
	v_add_co_u32 v32, s3, v32, s26
	v_add_co_ci_u32_e64 v33, null, s27, v33, s3
	v_cmp_le_i32_e64 s3, s38, v19
	v_add_co_u32 v34, s4, v34, s34
	v_add_co_ci_u32_e64 v35, null, s35, v35, s4
	s_or_b32 s40, s3, s40
	s_andn2_b32 exec_lo, exec_lo, s40
	s_cbranch_execz .LBB633_22
.LBB633_17:                             ; =>This Inner Loop Header: Depth=1
	s_and_saveexec_b32 s4, vcc_lo
	s_cbranch_execz .LBB633_16
; %bb.18:                               ;   in Loop: Header=BB633_17 Depth=1
	v_add_co_u32 v5, s3, v20, s6
	v_add_co_ci_u32_e64 v6, null, s7, v21, s3
	v_add_co_u32 v7, s3, v32, s6
	v_add_co_ci_u32_e64 v8, null, s7, v33, s3
	;; [unrolled: 2-line block ×4, first 2 shown]
	global_load_ushort v37, v[5:6], off
	global_load_ushort v39, v[7:8], off
	;; [unrolled: 1-line block ×4, first 2 shown]
	v_add_co_u32 v5, s3, v26, v3
	v_add_co_ci_u32_e64 v6, null, v27, v4, s3
	v_add_co_u32 v9, s3, v34, v3
	v_add_co_ci_u32_e64 v10, null, v35, v4, s3
	;; [unrolled: 2-line block ×4, first 2 shown]
	global_load_ushort v42, v[5:6], off
	global_load_ushort v40, v[9:10], off
	;; [unrolled: 1-line block ×4, first 2 shown]
	s_waitcnt vmcnt(7)
	v_lshlrev_b32_e32 v43, 16, v37
	s_waitcnt vmcnt(6)
	v_lshlrev_b32_e32 v39, 16, v39
	;; [unrolled: 2-line block ×4, first 2 shown]
	s_and_saveexec_b32 s3, s0
	s_cbranch_execz .LBB633_15
; %bb.19:                               ;   in Loop: Header=BB633_17 Depth=1
	global_load_ushort v47, v[5:6], off offset:128
	global_load_ushort v46, v[9:10], off offset:128
	global_load_ushort v45, v[7:8], off offset:128
	global_load_ushort v44, v[11:12], off offset:128
	s_and_saveexec_b32 s41, s1
	s_cbranch_execz .LBB633_14
; %bb.20:                               ;   in Loop: Header=BB633_17 Depth=1
	global_load_ushort v51, v[5:6], off offset:256
	global_load_ushort v50, v[9:10], off offset:256
	global_load_ushort v49, v[7:8], off offset:256
	global_load_ushort v48, v[11:12], off offset:256
	;; [unrolled: 7-line block ×3, first 2 shown]
	s_waitcnt vmcnt(3)
	v_lshlrev_b32_e32 v5, 16, v5
	s_waitcnt vmcnt(2)
	v_lshlrev_b32_e32 v6, 16, v6
	v_fmac_f32_e32 v18, v43, v5
	s_waitcnt vmcnt(1)
	v_lshlrev_b32_e32 v5, 16, v7
	v_fmac_f32_e32 v18, v39, v6
	;; [unrolled: 3-line block ×3, first 2 shown]
	v_fmac_f32_e32 v18, v37, v6
	s_branch .LBB633_13
.LBB633_22:
	s_or_b32 exec_lo, exec_lo, s40
.LBB633_23:
	s_or_b32 exec_lo, exec_lo, s39
	s_sub_i32 s0, s29, s38
	s_cmp_lt_i32 s0, 1
	s_cbranch_scc1 .LBB633_41
; %bb.24:
	v_cmp_gt_i32_e32 vcc_lo, s29, v19
	v_mov_b32_e32 v12, 0
	v_or_b32_e32 v4, 1, v19
	v_mov_b32_e32 v11, 0
	v_mov_b32_e32 v21, 0
	;; [unrolled: 1-line block ×3, first 2 shown]
	s_and_saveexec_b32 s1, vcc_lo
	s_cbranch_execz .LBB633_32
; %bb.25:
	v_mad_u64_u32 v[5:6], null, s20, v19, 0
	s_lshl_b64 s[2:3], s[22:23], 1
	v_mov_b32_e32 v20, 0
	s_add_u32 s0, s16, s2
	s_addc_u32 s2, s17, s3
	s_lshl_b64 s[6:7], s[18:19], 1
	v_mov_b32_e32 v11, 0
	v_mov_b32_e32 v3, v6
	s_add_u32 s3, s0, s6
	s_addc_u32 s4, s2, s7
	v_mov_b32_e32 v12, 0
	s_mov_b32 s2, exec_lo
	v_mad_u64_u32 v[6:7], null, s21, v19, v[3:4]
	v_lshlrev_b64 v[5:6], 1, v[5:6]
	v_add_co_u32 v5, s0, s3, v5
	v_add_co_ci_u32_e64 v6, null, s4, v6, s0
	global_load_ushort v3, v[5:6], off
	v_cmpx_gt_i32_e64 s29, v4
	s_cbranch_execz .LBB633_31
; %bb.26:
	v_mad_u64_u32 v[5:6], null, s20, v4, 0
	v_mov_b32_e32 v11, 0
	v_mov_b32_e32 v12, 0
	s_mov_b32 s6, exec_lo
	v_mad_u64_u32 v[6:7], null, s21, v4, v[6:7]
	v_lshlrev_b64 v[5:6], 1, v[5:6]
	v_add_co_u32 v5, s0, s3, v5
	v_add_co_ci_u32_e64 v6, null, s4, v6, s0
	global_load_ushort v5, v[5:6], off
	v_or_b32_e32 v6, 2, v19
	v_cmpx_gt_i32_e64 s29, v6
	s_cbranch_execz .LBB633_30
; %bb.27:
	v_mad_u64_u32 v[7:8], null, s20, v6, 0
	v_mov_b32_e32 v11, 0
	s_mov_b32 s7, exec_lo
	v_mad_u64_u32 v[8:9], null, s21, v6, v[8:9]
	v_lshlrev_b64 v[6:7], 1, v[7:8]
	v_add_co_u32 v6, s0, s3, v6
	v_add_co_ci_u32_e64 v7, null, s4, v7, s0
	global_load_ushort v6, v[6:7], off
	v_or_b32_e32 v7, 3, v19
	v_cmpx_gt_i32_e64 s29, v7
	s_cbranch_execz .LBB633_29
; %bb.28:
	v_mad_u64_u32 v[8:9], null, s20, v7, 0
	v_mad_u64_u32 v[9:10], null, s21, v7, v[9:10]
	v_lshlrev_b64 v[7:8], 1, v[8:9]
	v_add_co_u32 v7, s0, s3, v7
	v_add_co_ci_u32_e64 v8, null, s4, v8, s0
	global_load_ushort v7, v[7:8], off
	s_waitcnt vmcnt(0)
	v_lshlrev_b32_e32 v11, 16, v7
.LBB633_29:
	s_or_b32 exec_lo, exec_lo, s7
	s_waitcnt vmcnt(0)
	v_lshlrev_b32_e32 v12, 16, v6
.LBB633_30:
	s_or_b32 exec_lo, exec_lo, s6
	s_waitcnt vmcnt(0)
	v_lshlrev_b32_e32 v20, 16, v5
.LBB633_31:
	s_or_b32 exec_lo, exec_lo, s2
	s_waitcnt vmcnt(0)
	v_lshlrev_b32_e32 v21, 16, v3
.LBB633_32:
	s_or_b32 exec_lo, exec_lo, s1
	s_mov_b32 s1, exec_lo
	v_cmpx_gt_i32_e64 s28, v2
	s_cbranch_execz .LBB633_40
; %bb.33:
	v_mad_u64_u32 v[5:6], null, s12, v19, 0
	v_mad_u64_u32 v[7:8], null, s12, v4, 0
	v_ashrrev_i32_e32 v3, 31, v2
	v_or_b32_e32 v29, 2, v19
	s_lshl_b64 s[2:3], s[14:15], 1
	s_add_u32 s0, s8, s2
	v_cndmask_b32_e32 v5, 0, v5, vcc_lo
	v_mad_u64_u32 v[9:10], null, s13, v19, v[6:7]
	v_or_b32_e32 v19, 3, v19
	v_lshlrev_b64 v[22:23], 1, v[2:3]
	v_mad_u64_u32 v[24:25], null, s12, v29, 0
	v_mov_b32_e32 v3, v8
	s_addc_u32 s4, s9, s3
	v_cndmask_b32_e32 v6, 0, v9, vcc_lo
	v_cmp_gt_i32_e32 vcc_lo, s29, v4
	s_lshl_b64 s[2:3], s[10:11], 1
	v_mad_u64_u32 v[8:9], null, s12, v19, 0
	v_lshlrev_b64 v[5:6], 1, v[5:6]
	v_mad_u64_u32 v[26:27], null, s13, v4, v[3:4]
	s_add_u32 s2, s0, s2
	v_cndmask_b32_e32 v27, 0, v7, vcc_lo
	v_mov_b32_e32 v7, v25
	s_addc_u32 s3, s4, s3
	v_add_co_u32 v3, s0, s2, v5
	v_add_co_ci_u32_e64 v4, null, s3, v6, s0
	v_cndmask_b32_e32 v28, 0, v26, vcc_lo
	v_mad_u64_u32 v[25:26], null, s13, v29, v[7:8]
	v_mov_b32_e32 v7, v9
	v_add_co_u32 v3, vcc_lo, v3, v22
	v_add_co_ci_u32_e64 v4, null, v4, v23, vcc_lo
	v_cmp_gt_i32_e32 vcc_lo, s29, v29
	v_lshlrev_b64 v[5:6], 1, v[27:28]
	v_mad_u64_u32 v[26:27], null, s13, v19, v[7:8]
	v_cndmask_b32_e32 v9, 0, v24, vcc_lo
	v_cndmask_b32_e32 v10, 0, v25, vcc_lo
	v_cmp_gt_i32_e32 vcc_lo, s29, v19
	v_add_co_u32 v5, s0, s2, v5
	v_add_co_ci_u32_e64 v6, null, s3, v6, s0
	v_cndmask_b32_e32 v7, 0, v8, vcc_lo
	v_cndmask_b32_e32 v8, 0, v26, vcc_lo
	v_lshlrev_b64 v[9:10], 1, v[9:10]
	v_add_co_u32 v5, s0, v5, v22
	v_add_co_ci_u32_e64 v6, null, v6, v23, s0
	v_lshlrev_b64 v[7:8], 1, v[7:8]
	v_add_co_u32 v9, vcc_lo, s2, v9
	v_add_co_ci_u32_e64 v10, null, s3, v10, vcc_lo
	s_clause 0x1
	global_load_ushort v19, v[3:4], off
	global_load_ushort v24, v[5:6], off
	v_add_co_u32 v25, vcc_lo, s2, v7
	v_add_co_ci_u32_e64 v26, null, s3, v8, vcc_lo
	v_add_co_u32 v7, vcc_lo, v9, v22
	v_add_co_ci_u32_e64 v8, null, v10, v23, vcc_lo
	;; [unrolled: 2-line block ×3, first 2 shown]
	s_clause 0x1
	global_load_ushort v22, v[7:8], off
	global_load_ushort v23, v[9:10], off
	s_mov_b32 s0, exec_lo
	s_waitcnt vmcnt(3)
	v_lshlrev_b32_e32 v19, 16, v19
	s_waitcnt vmcnt(2)
	v_lshlrev_b32_e32 v24, 16, v24
	v_fmac_f32_e32 v15, v21, v19
	v_fmac_f32_e32 v15, v20, v24
	v_add_nc_u32_e32 v24, 64, v2
	s_waitcnt vmcnt(1)
	v_lshlrev_b32_e32 v22, 16, v22
	s_waitcnt vmcnt(0)
	v_lshlrev_b32_e32 v19, 16, v23
	v_fmac_f32_e32 v15, v12, v22
	v_cmpx_gt_i32_e64 s28, v24
	s_cbranch_execz .LBB633_39
; %bb.34:
	s_clause 0x3
	global_load_ushort v22, v[3:4], off offset:128
	global_load_ushort v23, v[5:6], off offset:128
	;; [unrolled: 1-line block ×4, first 2 shown]
	s_mov_b32 s2, exec_lo
	s_waitcnt vmcnt(3)
	v_lshlrev_b32_e32 v22, 16, v22
	s_waitcnt vmcnt(2)
	v_lshlrev_b32_e32 v23, 16, v23
	;; [unrolled: 2-line block ×3, first 2 shown]
	v_fmac_f32_e32 v16, v21, v22
	s_waitcnt vmcnt(0)
	v_lshlrev_b32_e32 v22, 16, v25
	v_fmac_f32_e32 v16, v20, v23
	v_add_nc_u32_e32 v23, 0x80, v2
	v_fmac_f32_e32 v16, v12, v24
	v_cmpx_gt_i32_e64 s28, v23
	s_cbranch_execz .LBB633_38
; %bb.35:
	s_clause 0x3
	global_load_ushort v23, v[3:4], off offset:256
	global_load_ushort v24, v[5:6], off offset:256
	;; [unrolled: 1-line block ×4, first 2 shown]
	s_mov_b32 s3, exec_lo
	s_waitcnt vmcnt(3)
	v_lshlrev_b32_e32 v23, 16, v23
	s_waitcnt vmcnt(2)
	v_lshlrev_b32_e32 v24, 16, v24
	v_fmac_f32_e32 v17, v21, v23
	s_waitcnt vmcnt(1)
	v_lshlrev_b32_e32 v23, 16, v25
	v_fmac_f32_e32 v17, v20, v24
	v_add_nc_u32_e32 v24, 0xc0, v2
	s_waitcnt vmcnt(0)
	v_lshlrev_b32_e32 v2, 16, v26
	v_fmac_f32_e32 v17, v12, v23
	v_cmpx_gt_i32_e64 s28, v24
	s_cbranch_execz .LBB633_37
; %bb.36:
	s_clause 0x3
	global_load_ushort v3, v[3:4], off offset:384
	global_load_ushort v4, v[5:6], off offset:384
	;; [unrolled: 1-line block ×4, first 2 shown]
	s_waitcnt vmcnt(3)
	v_lshlrev_b32_e32 v3, 16, v3
	s_waitcnt vmcnt(2)
	v_lshlrev_b32_e32 v4, 16, v4
	v_fmac_f32_e32 v18, v21, v3
	s_waitcnt vmcnt(1)
	v_lshlrev_b32_e32 v3, 16, v5
	v_fmac_f32_e32 v18, v20, v4
	;; [unrolled: 3-line block ×3, first 2 shown]
	v_fmac_f32_e32 v18, v11, v4
.LBB633_37:
	s_or_b32 exec_lo, exec_lo, s3
	v_fmac_f32_e32 v17, v11, v2
.LBB633_38:
	s_or_b32 exec_lo, exec_lo, s2
	v_fmac_f32_e32 v16, v11, v22
.LBB633_39:
	s_or_b32 exec_lo, exec_lo, s0
	v_fmac_f32_e32 v15, v11, v19
.LBB633_40:
	s_or_b32 exec_lo, exec_lo, s1
.LBB633_41:
	v_lshlrev_b32_e32 v0, 2, v0
	s_mov_b32 s0, exec_lo
                                        ; implicit-def: $vgpr3
                                        ; implicit-def: $vgpr4_vgpr5
	v_lshl_or_b32 v1, v1, 10, v0
	ds_write2st64_b32 v1, v15, v16 offset1:1
	ds_write2st64_b32 v1, v17, v18 offset0:2 offset1:3
	s_waitcnt lgkmcnt(0)
	s_barrier
	buffer_gl0_inv
	v_cmpx_gt_u32_e32 0x100, v14
	s_cbranch_execz .LBB633_47
; %bb.42:
	v_lshl_add_u32 v4, v13, 2, v0
	s_mov_b32 s2, s37
	s_mov_b32 s1, exec_lo
	ds_read2st64_b32 v[0:1], v4 offset1:4
	ds_read2st64_b32 v[2:3], v4 offset0:8 offset1:12
	s_waitcnt lgkmcnt(1)
	v_add_f32_e32 v0, v0, v1
	v_or_b32_e32 v1, s5, v14
	s_waitcnt lgkmcnt(0)
	v_add_f32_e32 v0, v2, v0
	v_add_f32_e32 v0, v3, v0
                                        ; implicit-def: $vgpr3
	ds_write_b32 v4, v0
                                        ; implicit-def: $vgpr4_vgpr5
	v_cmpx_gt_i32_e64 s28, v1
	s_cbranch_execz .LBB633_46
; %bb.43:
	v_ashrrev_i32_e32 v2, 31, v1
	v_mul_lo_u32 v6, s25, v1
	v_mad_u64_u32 v[4:5], null, s24, v1, 0
	v_cmp_eq_f32_e64 s2, s36, 0
	v_mul_lo_u32 v1, s24, v2
	v_mul_f32_e32 v3, s30, v0
	s_and_b32 vcc_lo, exec_lo, s2
	v_add3_u32 v5, v5, v1, v6
	s_cbranch_vccnz .LBB633_45
; %bb.44:
	v_lshlrev_b64 v[0:1], 2, v[4:5]
	v_add_co_u32 v0, vcc_lo, s31, v0
	v_add_co_ci_u32_e64 v1, null, s33, v1, vcc_lo
	global_load_dword v0, v[0:1], off
	s_waitcnt vmcnt(0)
	v_fmac_f32_e32 v3, s36, v0
.LBB633_45:
	s_or_b32 s2, s37, exec_lo
.LBB633_46:
	s_or_b32 exec_lo, exec_lo, s1
	s_andn2_b32 s1, s37, exec_lo
	s_and_b32 s2, s2, exec_lo
	s_or_b32 s37, s1, s2
.LBB633_47:
	s_or_b32 exec_lo, exec_lo, s0
.LBB633_48:
	s_and_saveexec_b32 s0, s37
	s_cbranch_execz .LBB633_50
; %bb.49:
	v_lshlrev_b64 v[0:1], 2, v[4:5]
	v_add_co_u32 v0, vcc_lo, s31, v0
	v_add_co_ci_u32_e64 v1, null, s33, v1, vcc_lo
	global_store_dword v[0:1], v3, off
.LBB633_50:
	s_endpgm
	.section	.rodata,"a",@progbits
	.p2align	6, 0x0
	.amdhsa_kernel _ZL20rocblas_gemvn_kernelILi64ELi4El16rocblas_bfloat16ffEviiT3_lPKT2_lT1_lS4_lS5_lS1_lPT4_lS5_li
		.amdhsa_group_segment_fixed_size 4096
		.amdhsa_private_segment_fixed_size 0
		.amdhsa_kernarg_size 400
		.amdhsa_user_sgpr_count 6
		.amdhsa_user_sgpr_private_segment_buffer 1
		.amdhsa_user_sgpr_dispatch_ptr 0
		.amdhsa_user_sgpr_queue_ptr 0
		.amdhsa_user_sgpr_kernarg_segment_ptr 1
		.amdhsa_user_sgpr_dispatch_id 0
		.amdhsa_user_sgpr_flat_scratch_init 0
		.amdhsa_user_sgpr_private_segment_size 0
		.amdhsa_wavefront_size32 1
		.amdhsa_uses_dynamic_stack 0
		.amdhsa_system_sgpr_private_segment_wavefront_offset 0
		.amdhsa_system_sgpr_workgroup_id_x 1
		.amdhsa_system_sgpr_workgroup_id_y 0
		.amdhsa_system_sgpr_workgroup_id_z 1
		.amdhsa_system_sgpr_workgroup_info 0
		.amdhsa_system_vgpr_workitem_id 1
		.amdhsa_next_free_vgpr 52
		.amdhsa_next_free_sgpr 43
		.amdhsa_reserve_vcc 1
		.amdhsa_reserve_flat_scratch 0
		.amdhsa_float_round_mode_32 0
		.amdhsa_float_round_mode_16_64 0
		.amdhsa_float_denorm_mode_32 3
		.amdhsa_float_denorm_mode_16_64 3
		.amdhsa_dx10_clamp 1
		.amdhsa_ieee_mode 1
		.amdhsa_fp16_overflow 0
		.amdhsa_workgroup_processor_mode 1
		.amdhsa_memory_ordered 1
		.amdhsa_forward_progress 1
		.amdhsa_shared_vgpr_count 0
		.amdhsa_exception_fp_ieee_invalid_op 0
		.amdhsa_exception_fp_denorm_src 0
		.amdhsa_exception_fp_ieee_div_zero 0
		.amdhsa_exception_fp_ieee_overflow 0
		.amdhsa_exception_fp_ieee_underflow 0
		.amdhsa_exception_fp_ieee_inexact 0
		.amdhsa_exception_int_div_zero 0
	.end_amdhsa_kernel
	.section	.text._ZL20rocblas_gemvn_kernelILi64ELi4El16rocblas_bfloat16ffEviiT3_lPKT2_lT1_lS4_lS5_lS1_lPT4_lS5_li,"axG",@progbits,_ZL20rocblas_gemvn_kernelILi64ELi4El16rocblas_bfloat16ffEviiT3_lPKT2_lT1_lS4_lS5_lS1_lPT4_lS5_li,comdat
.Lfunc_end633:
	.size	_ZL20rocblas_gemvn_kernelILi64ELi4El16rocblas_bfloat16ffEviiT3_lPKT2_lT1_lS4_lS5_lS1_lPT4_lS5_li, .Lfunc_end633-_ZL20rocblas_gemvn_kernelILi64ELi4El16rocblas_bfloat16ffEviiT3_lPKT2_lT1_lS4_lS5_lS1_lPT4_lS5_li
                                        ; -- End function
	.set _ZL20rocblas_gemvn_kernelILi64ELi4El16rocblas_bfloat16ffEviiT3_lPKT2_lT1_lS4_lS5_lS1_lPT4_lS5_li.num_vgpr, 52
	.set _ZL20rocblas_gemvn_kernelILi64ELi4El16rocblas_bfloat16ffEviiT3_lPKT2_lT1_lS4_lS5_lS1_lPT4_lS5_li.num_agpr, 0
	.set _ZL20rocblas_gemvn_kernelILi64ELi4El16rocblas_bfloat16ffEviiT3_lPKT2_lT1_lS4_lS5_lS1_lPT4_lS5_li.numbered_sgpr, 43
	.set _ZL20rocblas_gemvn_kernelILi64ELi4El16rocblas_bfloat16ffEviiT3_lPKT2_lT1_lS4_lS5_lS1_lPT4_lS5_li.num_named_barrier, 0
	.set _ZL20rocblas_gemvn_kernelILi64ELi4El16rocblas_bfloat16ffEviiT3_lPKT2_lT1_lS4_lS5_lS1_lPT4_lS5_li.private_seg_size, 0
	.set _ZL20rocblas_gemvn_kernelILi64ELi4El16rocblas_bfloat16ffEviiT3_lPKT2_lT1_lS4_lS5_lS1_lPT4_lS5_li.uses_vcc, 1
	.set _ZL20rocblas_gemvn_kernelILi64ELi4El16rocblas_bfloat16ffEviiT3_lPKT2_lT1_lS4_lS5_lS1_lPT4_lS5_li.uses_flat_scratch, 0
	.set _ZL20rocblas_gemvn_kernelILi64ELi4El16rocblas_bfloat16ffEviiT3_lPKT2_lT1_lS4_lS5_lS1_lPT4_lS5_li.has_dyn_sized_stack, 0
	.set _ZL20rocblas_gemvn_kernelILi64ELi4El16rocblas_bfloat16ffEviiT3_lPKT2_lT1_lS4_lS5_lS1_lPT4_lS5_li.has_recursion, 0
	.set _ZL20rocblas_gemvn_kernelILi64ELi4El16rocblas_bfloat16ffEviiT3_lPKT2_lT1_lS4_lS5_lS1_lPT4_lS5_li.has_indirect_call, 0
	.section	.AMDGPU.csdata,"",@progbits
; Kernel info:
; codeLenInByte = 3164
; TotalNumSgprs: 45
; NumVgprs: 52
; ScratchSize: 0
; MemoryBound: 0
; FloatMode: 240
; IeeeMode: 1
; LDSByteSize: 4096 bytes/workgroup (compile time only)
; SGPRBlocks: 0
; VGPRBlocks: 6
; NumSGPRsForWavesPerEU: 45
; NumVGPRsForWavesPerEU: 52
; Occupancy: 16
; WaveLimiterHint : 1
; COMPUTE_PGM_RSRC2:SCRATCH_EN: 0
; COMPUTE_PGM_RSRC2:USER_SGPR: 6
; COMPUTE_PGM_RSRC2:TRAP_HANDLER: 0
; COMPUTE_PGM_RSRC2:TGID_X_EN: 1
; COMPUTE_PGM_RSRC2:TGID_Y_EN: 0
; COMPUTE_PGM_RSRC2:TGID_Z_EN: 1
; COMPUTE_PGM_RSRC2:TIDIG_COMP_CNT: 1
	.section	.text._ZL20rocblas_gemvn_kernelILi32ELi16Ei16rocblas_bfloat16PKffEviiT3_lPKT2_lT1_lS6_lS7_lS3_lPT4_lS7_li,"axG",@progbits,_ZL20rocblas_gemvn_kernelILi32ELi16Ei16rocblas_bfloat16PKffEviiT3_lPKT2_lT1_lS6_lS7_lS3_lPT4_lS7_li,comdat
	.globl	_ZL20rocblas_gemvn_kernelILi32ELi16Ei16rocblas_bfloat16PKffEviiT3_lPKT2_lT1_lS6_lS7_lS3_lPT4_lS7_li ; -- Begin function _ZL20rocblas_gemvn_kernelILi32ELi16Ei16rocblas_bfloat16PKffEviiT3_lPKT2_lT1_lS6_lS7_lS3_lPT4_lS7_li
	.p2align	8
	.type	_ZL20rocblas_gemvn_kernelILi32ELi16Ei16rocblas_bfloat16PKffEviiT3_lPKT2_lT1_lS6_lS7_lS3_lPT4_lS7_li,@function
_ZL20rocblas_gemvn_kernelILi32ELi16Ei16rocblas_bfloat16PKffEviiT3_lPKT2_lT1_lS6_lS7_lS3_lPT4_lS7_li: ; @_ZL20rocblas_gemvn_kernelILi32ELi16Ei16rocblas_bfloat16PKffEviiT3_lPKT2_lT1_lS6_lS7_lS3_lPT4_lS7_li
; %bb.0:
	s_load_dwordx2 s[0:1], s[4:5], 0x9c
	s_waitcnt lgkmcnt(0)
	s_lshr_b32 s2, s0, 16
	s_and_b32 s0, s0, 0xffff
	s_and_b32 s1, s1, 0xffff
	s_mul_i32 s0, s2, s0
	s_mul_i32 s0, s0, s1
	s_cmpk_lg_i32 s0, 0x200
	s_cbranch_scc1 .LBB634_50
; %bb.1:
	s_clause 0x1
	s_load_dwordx8 s[16:23], s[4:5], 0x8
	s_load_dwordx8 s[8:15], s[4:5], 0x50
	s_waitcnt lgkmcnt(0)
	s_mul_i32 s1, s19, s7
	s_mul_hi_u32 s2, s18, s7
	s_mul_i32 s0, s18, s7
	s_add_i32 s1, s2, s1
	s_mul_i32 s2, s13, s7
	s_lshl_b64 s[0:1], s[0:1], 2
	s_mul_hi_u32 s3, s12, s7
	s_add_u32 s0, s16, s0
	s_addc_u32 s1, s17, s1
	s_add_i32 s3, s3, s2
	s_mul_i32 s2, s12, s7
	s_mov_b32 s18, 0
	s_lshl_b64 s[2:3], s[2:3], 2
	s_add_u32 s2, s10, s2
	s_addc_u32 s3, s11, s3
	s_load_dword s17, s[0:1], 0x0
	s_load_dword s16, s[2:3], 0x0
	s_waitcnt lgkmcnt(0)
	v_cmp_eq_f32_e64 s0, s17, 0
	v_cmp_eq_f32_e64 s1, s16, 1.0
	s_and_b32 s0, s0, s1
	s_and_b32 vcc_lo, exec_lo, s0
	s_cbranch_vccnz .LBB634_50
; %bb.2:
	s_clause 0x3
	s_load_dwordx2 s[0:1], s[4:5], 0x80
	s_load_dwordx2 s[2:3], s[4:5], 0x70
	s_load_dword s19, s[4:5], 0x78
	s_load_dwordx2 s[10:11], s[4:5], 0x0
	v_lshlrev_b32_e32 v14, 5, v1
	v_cmp_neq_f32_e64 s24, s17, 0
	v_add_nc_u32_e32 v13, v14, v0
	s_waitcnt lgkmcnt(0)
	s_mul_i32 s1, s1, s7
	s_mul_hi_u32 s12, s0, s7
	s_mul_i32 s0, s0, s7
	s_add_i32 s1, s12, s1
	s_lshl_b64 s[0:1], s[0:1], 2
	s_add_u32 s12, s14, s0
	s_addc_u32 s13, s15, s1
	s_lshl_b64 s[0:1], s[2:3], 2
	s_add_u32 s12, s12, s0
	v_cmp_gt_u32_e64 s0, 0x80, v13
	s_addc_u32 s13, s13, s1
	s_and_b32 vcc_lo, exec_lo, s24
	s_cbranch_vccnz .LBB634_9
; %bb.3:
	s_mov_b32 s1, 0
                                        ; implicit-def: $vgpr3
                                        ; implicit-def: $vgpr4_vgpr5
	s_and_saveexec_b32 s2, s0
	s_cbranch_execz .LBB634_10
; %bb.4:
	v_lshl_or_b32 v2, s6, 7, v13
	v_mov_b32_e32 v3, 0
	s_ashr_i32 s15, s10, 31
	s_mov_b32 s14, s10
	s_mov_b32 s3, 0
	s_mov_b32 s0, exec_lo
                                        ; implicit-def: $vgpr4_vgpr5
	v_cmpx_gt_i64_e64 s[14:15], v[2:3]
	s_cbranch_execz .LBB634_8
; %bb.5:
	v_mad_u64_u32 v[4:5], null, s19, v2, 0
	s_ashr_i32 s3, s19, 31
	v_mad_u64_u32 v[5:6], null, s3, v2, v[5:6]
	v_cmp_eq_f32_e64 s3, s16, 0
	s_and_b32 vcc_lo, exec_lo, s3
	s_cbranch_vccnz .LBB634_7
; %bb.6:
	v_lshlrev_b64 v[2:3], 2, v[4:5]
	v_add_co_u32 v2, vcc_lo, s12, v2
	v_add_co_ci_u32_e64 v3, null, s13, v3, vcc_lo
	global_load_dword v2, v[2:3], off
	s_waitcnt vmcnt(0)
	v_mul_f32_e32 v3, s16, v2
.LBB634_7:
	s_mov_b32 s3, exec_lo
.LBB634_8:
	s_or_b32 exec_lo, exec_lo, s0
	s_and_b32 s18, s3, exec_lo
	s_or_b32 exec_lo, exec_lo, s2
	s_and_b32 vcc_lo, exec_lo, s1
	s_cbranch_vccnz .LBB634_11
	s_branch .LBB634_48
.LBB634_9:
                                        ; implicit-def: $vgpr3
                                        ; implicit-def: $vgpr4_vgpr5
	s_cbranch_execnz .LBB634_11
	s_branch .LBB634_48
.LBB634_10:
	s_or_b32 exec_lo, exec_lo, s2
	s_and_b32 vcc_lo, exec_lo, s1
	s_cbranch_vccz .LBB634_48
.LBB634_11:
	s_clause 0x3
	s_load_dwordx4 s[0:3], s[4:5], 0x30
	s_load_dword s14, s[4:5], 0x28
	s_load_dwordx2 s[24:25], s[4:5], 0x40
	s_load_dword s4, s[4:5], 0x48
	s_mul_i32 s9, s9, s7
	v_lshlrev_b32_e32 v20, 2, v1
	v_mov_b32_e32 v15, 0
	v_mov_b32_e32 v16, 0
	;; [unrolled: 1-line block ×4, first 2 shown]
	s_waitcnt lgkmcnt(0)
	s_mul_i32 s1, s1, s7
	s_mul_hi_u32 s15, s0, s7
	s_mul_i32 s0, s0, s7
	s_add_i32 s1, s15, s1
	s_mul_hi_u32 s15, s8, s7
	s_lshl_b64 s[0:1], s[0:1], 1
	s_add_u32 s26, s20, s0
	s_addc_u32 s21, s21, s1
	s_lshl_b64 s[0:1], s[22:23], 1
	s_mul_i32 s20, s8, s7
	s_add_u32 s7, s26, s0
	s_addc_u32 s8, s21, s1
	s_add_i32 s21, s15, s9
	s_lshl_b64 s[0:1], s[20:21], 1
	s_mov_b32 s20, exec_lo
	s_add_u32 s2, s2, s0
	s_addc_u32 s3, s3, s1
	s_lshl_b64 s[0:1], s[24:25], 1
	s_add_u32 s9, s2, s0
	s_addc_u32 s15, s3, s1
	s_ashr_i32 s0, s11, 31
	s_lshl_b32 s5, s6, 7
	s_lshr_b32 s0, s0, 26
	v_add_nc_u32_e32 v19, s5, v0
	s_add_i32 s0, s11, s0
	s_and_b32 s6, s0, 0xffffffc0
	v_cmpx_gt_i32_e64 s6, v20
	s_cbranch_execz .LBB634_23
; %bb.12:
	v_add_nc_u32_e32 v5, 0x60, v19
	v_mul_lo_u32 v3, s14, v20
	v_add_nc_u32_e32 v2, 32, v19
	v_add_nc_u32_e32 v6, 2, v20
	;; [unrolled: 1-line block ×3, first 2 shown]
	v_cmp_gt_i32_e64 s2, s10, v5
	v_mul_lo_u32 v5, v1, s14
	v_add_nc_u32_e32 v7, 3, v20
	v_mul_lo_u32 v8, v1, s4
	v_cmp_gt_i32_e64 s0, s10, v2
	v_add3_u32 v21, v3, s14, v0
	v_mad_u64_u32 v[2:3], null, s14, v6, v[0:1]
	v_cmp_gt_i32_e64 s1, s10, v4
	v_mad_u64_u32 v[3:4], null, s14, v7, v[0:1]
	v_lshl_add_u32 v22, v5, 2, v0
	v_mad_u64_u32 v[4:5], null, s4, v20, s[4:5]
	v_mul_lo_u32 v23, s4, v6
	v_mul_lo_u32 v24, s4, v7
	v_lshlrev_b32_e32 v25, 2, v8
	v_mov_b32_e32 v15, 0
	v_mov_b32_e32 v16, 0
	;; [unrolled: 1-line block ×4, first 2 shown]
	s_lshl_b32 s21, s14, 6
	s_lshl_b32 s23, s4, 6
	s_mov_b32 s22, 0
	s_mov_b32 s24, 0
	v_cmp_gt_i32_e32 vcc_lo, s10, v19
	s_branch .LBB634_17
.LBB634_13:                             ;   in Loop: Header=BB634_17 Depth=1
	s_or_b32 exec_lo, exec_lo, s27
	s_waitcnt vmcnt(3)
	v_lshlrev_b32_e32 v5, 16, v41
	s_waitcnt vmcnt(2)
	v_lshlrev_b32_e32 v6, 16, v40
	v_fmac_f32_e32 v17, v33, v5
	s_waitcnt vmcnt(1)
	v_lshlrev_b32_e32 v5, 16, v39
	v_fmac_f32_e32 v17, v29, v6
	v_fmac_f32_e32 v17, v31, v5
	s_waitcnt vmcnt(0)
	v_lshlrev_b32_e32 v5, 16, v38
	v_fmac_f32_e32 v17, v27, v5
.LBB634_14:                             ;   in Loop: Header=BB634_17 Depth=1
	s_or_b32 exec_lo, exec_lo, s26
	s_waitcnt vmcnt(3)
	v_lshlrev_b32_e32 v5, 16, v37
	s_waitcnt vmcnt(2)
	v_lshlrev_b32_e32 v6, 16, v36
	v_fmac_f32_e32 v16, v33, v5
	s_waitcnt vmcnt(1)
	v_lshlrev_b32_e32 v5, 16, v35
	v_fmac_f32_e32 v16, v29, v6
	v_fmac_f32_e32 v16, v31, v5
	s_waitcnt vmcnt(0)
	v_lshlrev_b32_e32 v5, 16, v34
	v_fmac_f32_e32 v16, v27, v5
.LBB634_15:                             ;   in Loop: Header=BB634_17 Depth=1
	s_or_b32 exec_lo, exec_lo, s3
	s_waitcnt vmcnt(3)
	v_lshlrev_b32_e32 v5, 16, v32
	s_waitcnt vmcnt(2)
	v_lshlrev_b32_e32 v6, 16, v30
	v_fmac_f32_e32 v15, v33, v5
	s_waitcnt vmcnt(1)
	v_lshlrev_b32_e32 v5, 16, v28
	v_fmac_f32_e32 v15, v29, v6
	v_fmac_f32_e32 v15, v31, v5
	s_waitcnt vmcnt(0)
	v_lshlrev_b32_e32 v5, 16, v26
	v_fmac_f32_e32 v15, v27, v5
.LBB634_16:                             ;   in Loop: Header=BB634_17 Depth=1
	s_or_b32 exec_lo, exec_lo, s25
	v_add_nc_u32_e32 v20, 64, v20
	v_add_nc_u32_e32 v21, s21, v21
	;; [unrolled: 1-line block ×5, first 2 shown]
	v_cmp_le_i32_e64 s3, s6, v20
	s_add_i32 s24, s24, s23
	s_or_b32 s22, s3, s22
	s_andn2_b32 exec_lo, exec_lo, s22
	s_cbranch_execz .LBB634_22
.LBB634_17:                             ; =>This Inner Loop Header: Depth=1
	s_and_saveexec_b32 s25, vcc_lo
	s_cbranch_execz .LBB634_16
; %bb.18:                               ;   in Loop: Header=BB634_17 Depth=1
	v_add_nc_u32_e32 v5, s24, v25
	v_add_nc_u32_e32 v7, s24, v4
	;; [unrolled: 1-line block ×5, first 2 shown]
	v_ashrrev_i32_e32 v6, 31, v5
	v_ashrrev_i32_e32 v8, 31, v7
	;; [unrolled: 1-line block ×5, first 2 shown]
	v_lshlrev_b64 v[5:6], 1, v[5:6]
	v_lshlrev_b64 v[7:8], 1, v[7:8]
	;; [unrolled: 1-line block ×4, first 2 shown]
	v_add_nc_u32_e32 v28, s5, v21
	v_add_nc_u32_e32 v30, s5, v2
	v_add_co_u32 v5, s3, s9, v5
	v_add_co_ci_u32_e64 v6, null, s15, v6, s3
	v_add_co_u32 v7, s3, s9, v7
	v_add_co_ci_u32_e64 v8, null, s15, v8, s3
	;; [unrolled: 2-line block ×4, first 2 shown]
	v_lshlrev_b64 v[26:27], 1, v[26:27]
	s_clause 0x3
	global_load_ushort v33, v[5:6], off
	global_load_ushort v34, v[7:8], off
	;; [unrolled: 1-line block ×4, first 2 shown]
	v_add_nc_u32_e32 v9, s5, v3
	v_ashrrev_i32_e32 v29, 31, v28
	v_ashrrev_i32_e32 v31, 31, v30
	v_add_co_u32 v5, s3, s7, v26
	v_ashrrev_i32_e32 v10, 31, v9
	v_lshlrev_b64 v[7:8], 1, v[28:29]
	v_add_co_ci_u32_e64 v6, null, s8, v27, s3
	v_lshlrev_b64 v[26:27], 1, v[30:31]
	v_lshlrev_b64 v[9:10], 1, v[9:10]
	v_add_co_u32 v11, s3, s7, v7
	v_add_co_ci_u32_e64 v12, null, s8, v8, s3
	v_add_co_u32 v7, s3, s7, v26
	v_add_co_ci_u32_e64 v8, null, s8, v27, s3
	;; [unrolled: 2-line block ×3, first 2 shown]
	s_clause 0x3
	global_load_ushort v32, v[5:6], off
	global_load_ushort v30, v[11:12], off
	global_load_ushort v28, v[7:8], off
	global_load_ushort v26, v[9:10], off
	s_waitcnt vmcnt(7)
	v_lshlrev_b32_e32 v33, 16, v33
	s_waitcnt vmcnt(6)
	v_lshlrev_b32_e32 v29, 16, v34
	;; [unrolled: 2-line block ×4, first 2 shown]
	s_and_saveexec_b32 s3, s0
	s_cbranch_execz .LBB634_15
; %bb.19:                               ;   in Loop: Header=BB634_17 Depth=1
	s_clause 0x3
	global_load_ushort v37, v[5:6], off offset:64
	global_load_ushort v36, v[11:12], off offset:64
	global_load_ushort v35, v[7:8], off offset:64
	global_load_ushort v34, v[9:10], off offset:64
	s_and_saveexec_b32 s26, s1
	s_cbranch_execz .LBB634_14
; %bb.20:                               ;   in Loop: Header=BB634_17 Depth=1
	s_clause 0x3
	global_load_ushort v41, v[5:6], off offset:128
	global_load_ushort v40, v[11:12], off offset:128
	global_load_ushort v39, v[7:8], off offset:128
	global_load_ushort v38, v[9:10], off offset:128
	;; [unrolled: 8-line block ×3, first 2 shown]
	s_waitcnt vmcnt(3)
	v_lshlrev_b32_e32 v5, 16, v5
	s_waitcnt vmcnt(2)
	v_lshlrev_b32_e32 v6, 16, v6
	v_fmac_f32_e32 v18, v33, v5
	s_waitcnt vmcnt(1)
	v_lshlrev_b32_e32 v5, 16, v7
	v_fmac_f32_e32 v18, v29, v6
	;; [unrolled: 3-line block ×3, first 2 shown]
	v_fmac_f32_e32 v18, v27, v6
	s_branch .LBB634_13
.LBB634_22:
	s_or_b32 exec_lo, exec_lo, s22
.LBB634_23:
	s_or_b32 exec_lo, exec_lo, s20
	s_sub_i32 s0, s11, s6
	s_cmp_lt_i32 s0, 1
	s_cbranch_scc1 .LBB634_41
; %bb.24:
	v_cmp_gt_i32_e32 vcc_lo, s11, v20
	v_mov_b32_e32 v11, 0
	v_or_b32_e32 v2, 1, v20
	v_mov_b32_e32 v10, 0
	v_mov_b32_e32 v21, 0
	;; [unrolled: 1-line block ×3, first 2 shown]
	s_and_saveexec_b32 s1, vcc_lo
	s_cbranch_execz .LBB634_32
; %bb.25:
	v_mul_lo_u32 v3, v20, s4
	v_mov_b32_e32 v12, 0
	v_mov_b32_e32 v10, 0
	v_mov_b32_e32 v11, 0
	s_mov_b32 s2, exec_lo
	v_ashrrev_i32_e32 v4, 31, v3
	v_lshlrev_b64 v[3:4], 1, v[3:4]
	v_add_co_u32 v3, s0, s9, v3
	v_add_co_ci_u32_e64 v4, null, s15, v4, s0
	global_load_ushort v3, v[3:4], off
	v_cmpx_gt_i32_e64 s11, v2
	s_cbranch_execz .LBB634_31
; %bb.26:
	v_mul_lo_u32 v4, v2, s4
	v_mov_b32_e32 v10, 0
	v_mov_b32_e32 v11, 0
	s_mov_b32 s3, exec_lo
	v_ashrrev_i32_e32 v5, 31, v4
	v_lshlrev_b64 v[4:5], 1, v[4:5]
	v_add_co_u32 v4, s0, s9, v4
	v_add_co_ci_u32_e64 v5, null, s15, v5, s0
	global_load_ushort v4, v[4:5], off
	v_or_b32_e32 v5, 2, v20
	v_cmpx_gt_i32_e64 s11, v5
	s_cbranch_execz .LBB634_30
; %bb.27:
	v_mul_lo_u32 v5, v5, s4
	v_mov_b32_e32 v10, 0
	s_mov_b32 s6, exec_lo
	v_ashrrev_i32_e32 v6, 31, v5
	v_lshlrev_b64 v[5:6], 1, v[5:6]
	v_add_co_u32 v5, s0, s9, v5
	v_add_co_ci_u32_e64 v6, null, s15, v6, s0
	global_load_ushort v5, v[5:6], off
	v_or_b32_e32 v6, 3, v20
	v_cmpx_gt_i32_e64 s11, v6
	s_cbranch_execz .LBB634_29
; %bb.28:
	v_mul_lo_u32 v6, v6, s4
	v_ashrrev_i32_e32 v7, 31, v6
	v_lshlrev_b64 v[6:7], 1, v[6:7]
	v_add_co_u32 v6, s0, s9, v6
	v_add_co_ci_u32_e64 v7, null, s15, v7, s0
	global_load_ushort v6, v[6:7], off
	s_waitcnt vmcnt(0)
	v_lshlrev_b32_e32 v10, 16, v6
.LBB634_29:
	s_or_b32 exec_lo, exec_lo, s6
	s_waitcnt vmcnt(0)
	v_lshlrev_b32_e32 v11, 16, v5
.LBB634_30:
	s_or_b32 exec_lo, exec_lo, s3
	s_waitcnt vmcnt(0)
	v_lshlrev_b32_e32 v12, 16, v4
.LBB634_31:
	s_or_b32 exec_lo, exec_lo, s2
	s_waitcnt vmcnt(0)
	v_lshlrev_b32_e32 v21, 16, v3
.LBB634_32:
	s_or_b32 exec_lo, exec_lo, s1
	s_mov_b32 s1, exec_lo
	v_cmpx_gt_i32_e64 s10, v19
	s_cbranch_execz .LBB634_40
; %bb.33:
	v_mul_lo_u32 v3, v20, s14
	v_mul_lo_u32 v4, v2, s14
	v_or_b32_e32 v5, 2, v20
	v_or_b32_e32 v6, 3, v20
	s_mov_b32 s0, exec_lo
	v_mul_lo_u32 v7, v5, s14
	v_cndmask_b32_e32 v3, 0, v3, vcc_lo
	v_cmp_gt_i32_e32 vcc_lo, s11, v2
	v_mul_lo_u32 v8, v6, s14
	v_add_nc_u32_e32 v2, v3, v19
	v_cndmask_b32_e32 v4, 0, v4, vcc_lo
	v_cmp_gt_i32_e32 vcc_lo, s11, v5
	v_ashrrev_i32_e32 v3, 31, v2
	v_add_nc_u32_e32 v4, v4, v19
	v_cndmask_b32_e32 v7, 0, v7, vcc_lo
	v_cmp_gt_i32_e32 vcc_lo, s11, v6
	v_lshlrev_b64 v[2:3], 1, v[2:3]
	v_ashrrev_i32_e32 v5, 31, v4
	v_add_nc_u32_e32 v6, v7, v19
	v_cndmask_b32_e32 v8, 0, v8, vcc_lo
	v_lshlrev_b64 v[4:5], 1, v[4:5]
	v_ashrrev_i32_e32 v7, 31, v6
	v_add_nc_u32_e32 v8, v8, v19
	v_add_co_u32 v2, vcc_lo, s7, v2
	v_add_co_ci_u32_e64 v3, null, s8, v3, vcc_lo
	v_ashrrev_i32_e32 v9, 31, v8
	v_add_co_u32 v4, vcc_lo, s7, v4
	v_add_co_ci_u32_e64 v5, null, s8, v5, vcc_lo
	v_lshlrev_b64 v[6:7], 1, v[6:7]
	v_lshlrev_b64 v[8:9], 1, v[8:9]
	s_clause 0x1
	global_load_ushort v20, v[2:3], off
	global_load_ushort v22, v[4:5], off
	v_add_co_u32 v6, vcc_lo, s7, v6
	v_add_co_ci_u32_e64 v7, null, s8, v7, vcc_lo
	v_add_co_u32 v8, vcc_lo, s7, v8
	v_add_co_ci_u32_e64 v9, null, s8, v9, vcc_lo
	s_clause 0x1
	global_load_ushort v23, v[6:7], off
	global_load_ushort v24, v[8:9], off
	s_waitcnt vmcnt(3)
	v_lshlrev_b32_e32 v20, 16, v20
	s_waitcnt vmcnt(2)
	v_lshlrev_b32_e32 v22, 16, v22
	v_fmac_f32_e32 v15, v21, v20
	v_fmac_f32_e32 v15, v12, v22
	v_add_nc_u32_e32 v22, 32, v19
	s_waitcnt vmcnt(1)
	v_lshlrev_b32_e32 v23, 16, v23
	s_waitcnt vmcnt(0)
	v_lshlrev_b32_e32 v20, 16, v24
	v_fmac_f32_e32 v15, v11, v23
	v_cmpx_gt_i32_e64 s10, v22
	s_cbranch_execz .LBB634_39
; %bb.34:
	s_clause 0x3
	global_load_ushort v22, v[2:3], off offset:64
	global_load_ushort v23, v[4:5], off offset:64
	;; [unrolled: 1-line block ×4, first 2 shown]
	s_mov_b32 s2, exec_lo
	s_waitcnt vmcnt(3)
	v_lshlrev_b32_e32 v22, 16, v22
	s_waitcnt vmcnt(2)
	v_lshlrev_b32_e32 v23, 16, v23
	;; [unrolled: 2-line block ×3, first 2 shown]
	v_fmac_f32_e32 v16, v21, v22
	s_waitcnt vmcnt(0)
	v_lshlrev_b32_e32 v22, 16, v25
	v_fmac_f32_e32 v16, v12, v23
	v_add_nc_u32_e32 v23, 64, v19
	v_fmac_f32_e32 v16, v11, v24
	v_cmpx_gt_i32_e64 s10, v23
	s_cbranch_execz .LBB634_38
; %bb.35:
	s_clause 0x3
	global_load_ushort v23, v[2:3], off offset:128
	global_load_ushort v24, v[4:5], off offset:128
	;; [unrolled: 1-line block ×4, first 2 shown]
	s_mov_b32 s3, exec_lo
	s_waitcnt vmcnt(3)
	v_lshlrev_b32_e32 v23, 16, v23
	s_waitcnt vmcnt(2)
	v_lshlrev_b32_e32 v24, 16, v24
	v_fmac_f32_e32 v17, v21, v23
	s_waitcnt vmcnt(1)
	v_lshlrev_b32_e32 v23, 16, v25
	v_fmac_f32_e32 v17, v12, v24
	v_add_nc_u32_e32 v24, 0x60, v19
	s_waitcnt vmcnt(0)
	v_lshlrev_b32_e32 v19, 16, v26
	v_fmac_f32_e32 v17, v11, v23
	v_cmpx_gt_i32_e64 s10, v24
	s_cbranch_execz .LBB634_37
; %bb.36:
	s_clause 0x3
	global_load_ushort v2, v[2:3], off offset:192
	global_load_ushort v3, v[4:5], off offset:192
	;; [unrolled: 1-line block ×4, first 2 shown]
	s_waitcnt vmcnt(3)
	v_lshlrev_b32_e32 v2, 16, v2
	s_waitcnt vmcnt(2)
	v_lshlrev_b32_e32 v3, 16, v3
	v_fmac_f32_e32 v18, v21, v2
	s_waitcnt vmcnt(1)
	v_lshlrev_b32_e32 v2, 16, v4
	v_fmac_f32_e32 v18, v12, v3
	;; [unrolled: 3-line block ×3, first 2 shown]
	v_fmac_f32_e32 v18, v10, v3
.LBB634_37:
	s_or_b32 exec_lo, exec_lo, s3
	v_fmac_f32_e32 v17, v10, v19
.LBB634_38:
	s_or_b32 exec_lo, exec_lo, s2
	v_fmac_f32_e32 v16, v10, v22
.LBB634_39:
	s_or_b32 exec_lo, exec_lo, s0
	v_fmac_f32_e32 v15, v10, v20
.LBB634_40:
	s_or_b32 exec_lo, exec_lo, s1
.LBB634_41:
	v_lshlrev_b32_e32 v0, 2, v0
	s_mov_b32 s0, exec_lo
                                        ; implicit-def: $vgpr3
                                        ; implicit-def: $vgpr4_vgpr5
	v_lshl_add_u32 v1, v1, 9, v0
	ds_write2_b32 v1, v15, v16 offset1:32
	ds_write2_b32 v1, v17, v18 offset0:64 offset1:96
	s_waitcnt lgkmcnt(0)
	s_barrier
	buffer_gl0_inv
	v_cmpx_gt_u32_e32 0x80, v13
	s_cbranch_execz .LBB634_47
; %bb.42:
	v_lshl_add_u32 v6, v14, 2, v0
	s_mov_b32 s2, s18
	s_mov_b32 s1, exec_lo
	ds_read2st64_b32 v[0:1], v6 offset1:2
	ds_read2st64_b32 v[2:3], v6 offset0:4 offset1:6
	ds_read2st64_b32 v[4:5], v6 offset0:8 offset1:10
	s_waitcnt lgkmcnt(2)
	v_add_f32_e32 v7, v0, v1
	ds_read2st64_b32 v[0:1], v6 offset0:12 offset1:14
	s_waitcnt lgkmcnt(2)
	v_add_f32_e32 v2, v2, v7
	v_add_f32_e32 v7, v3, v2
	ds_read2st64_b32 v[2:3], v6 offset0:16 offset1:18
	s_waitcnt lgkmcnt(2)
	v_add_f32_e32 v4, v4, v7
	;; [unrolled: 4-line block ×3, first 2 shown]
	v_add_f32_e32 v0, v1, v0
	s_waitcnt lgkmcnt(1)
	v_add_f32_e32 v2, v2, v0
	ds_read2st64_b32 v[0:1], v6 offset0:24 offset1:26
	v_add_f32_e32 v2, v3, v2
	s_waitcnt lgkmcnt(1)
	v_add_f32_e32 v4, v4, v2
	ds_read2st64_b32 v[2:3], v6 offset0:28 offset1:30
	v_add_f32_e32 v4, v5, v4
	s_waitcnt lgkmcnt(1)
	v_add_f32_e32 v0, v0, v4
                                        ; implicit-def: $vgpr4_vgpr5
	v_add_f32_e32 v0, v1, v0
	v_or_b32_e32 v1, s5, v13
	s_waitcnt lgkmcnt(0)
	v_add_f32_e32 v0, v2, v0
	v_add_f32_e32 v0, v3, v0
                                        ; implicit-def: $vgpr3
	ds_write_b32 v6, v0
	v_cmpx_gt_i32_e64 s10, v1
	s_cbranch_execz .LBB634_46
; %bb.43:
	v_mul_lo_u32 v4, s19, v1
	v_cmp_eq_f32_e64 s2, s16, 0
	v_mul_f32_e32 v3, s17, v0
	s_and_b32 vcc_lo, exec_lo, s2
	v_ashrrev_i32_e32 v5, 31, v4
	s_cbranch_vccnz .LBB634_45
; %bb.44:
	v_lshlrev_b64 v[0:1], 2, v[4:5]
	v_add_co_u32 v0, vcc_lo, s12, v0
	v_add_co_ci_u32_e64 v1, null, s13, v1, vcc_lo
	global_load_dword v0, v[0:1], off
	s_waitcnt vmcnt(0)
	v_fmac_f32_e32 v3, s16, v0
.LBB634_45:
	s_or_b32 s2, s18, exec_lo
.LBB634_46:
	s_or_b32 exec_lo, exec_lo, s1
	s_andn2_b32 s1, s18, exec_lo
	s_and_b32 s2, s2, exec_lo
	s_or_b32 s18, s1, s2
.LBB634_47:
	s_or_b32 exec_lo, exec_lo, s0
.LBB634_48:
	s_and_saveexec_b32 s0, s18
	s_cbranch_execz .LBB634_50
; %bb.49:
	v_lshlrev_b64 v[0:1], 2, v[4:5]
	v_add_co_u32 v0, vcc_lo, s12, v0
	v_add_co_ci_u32_e64 v1, null, s13, v1, vcc_lo
	global_store_dword v[0:1], v3, off
.LBB634_50:
	s_endpgm
	.section	.rodata,"a",@progbits
	.p2align	6, 0x0
	.amdhsa_kernel _ZL20rocblas_gemvn_kernelILi32ELi16Ei16rocblas_bfloat16PKffEviiT3_lPKT2_lT1_lS6_lS7_lS3_lPT4_lS7_li
		.amdhsa_group_segment_fixed_size 8192
		.amdhsa_private_segment_fixed_size 0
		.amdhsa_kernarg_size 400
		.amdhsa_user_sgpr_count 6
		.amdhsa_user_sgpr_private_segment_buffer 1
		.amdhsa_user_sgpr_dispatch_ptr 0
		.amdhsa_user_sgpr_queue_ptr 0
		.amdhsa_user_sgpr_kernarg_segment_ptr 1
		.amdhsa_user_sgpr_dispatch_id 0
		.amdhsa_user_sgpr_flat_scratch_init 0
		.amdhsa_user_sgpr_private_segment_size 0
		.amdhsa_wavefront_size32 1
		.amdhsa_uses_dynamic_stack 0
		.amdhsa_system_sgpr_private_segment_wavefront_offset 0
		.amdhsa_system_sgpr_workgroup_id_x 1
		.amdhsa_system_sgpr_workgroup_id_y 0
		.amdhsa_system_sgpr_workgroup_id_z 1
		.amdhsa_system_sgpr_workgroup_info 0
		.amdhsa_system_vgpr_workitem_id 1
		.amdhsa_next_free_vgpr 42
		.amdhsa_next_free_sgpr 28
		.amdhsa_reserve_vcc 1
		.amdhsa_reserve_flat_scratch 0
		.amdhsa_float_round_mode_32 0
		.amdhsa_float_round_mode_16_64 0
		.amdhsa_float_denorm_mode_32 3
		.amdhsa_float_denorm_mode_16_64 3
		.amdhsa_dx10_clamp 1
		.amdhsa_ieee_mode 1
		.amdhsa_fp16_overflow 0
		.amdhsa_workgroup_processor_mode 1
		.amdhsa_memory_ordered 1
		.amdhsa_forward_progress 1
		.amdhsa_shared_vgpr_count 0
		.amdhsa_exception_fp_ieee_invalid_op 0
		.amdhsa_exception_fp_denorm_src 0
		.amdhsa_exception_fp_ieee_div_zero 0
		.amdhsa_exception_fp_ieee_overflow 0
		.amdhsa_exception_fp_ieee_underflow 0
		.amdhsa_exception_fp_ieee_inexact 0
		.amdhsa_exception_int_div_zero 0
	.end_amdhsa_kernel
	.section	.text._ZL20rocblas_gemvn_kernelILi32ELi16Ei16rocblas_bfloat16PKffEviiT3_lPKT2_lT1_lS6_lS7_lS3_lPT4_lS7_li,"axG",@progbits,_ZL20rocblas_gemvn_kernelILi32ELi16Ei16rocblas_bfloat16PKffEviiT3_lPKT2_lT1_lS6_lS7_lS3_lPT4_lS7_li,comdat
.Lfunc_end634:
	.size	_ZL20rocblas_gemvn_kernelILi32ELi16Ei16rocblas_bfloat16PKffEviiT3_lPKT2_lT1_lS6_lS7_lS3_lPT4_lS7_li, .Lfunc_end634-_ZL20rocblas_gemvn_kernelILi32ELi16Ei16rocblas_bfloat16PKffEviiT3_lPKT2_lT1_lS6_lS7_lS3_lPT4_lS7_li
                                        ; -- End function
	.set _ZL20rocblas_gemvn_kernelILi32ELi16Ei16rocblas_bfloat16PKffEviiT3_lPKT2_lT1_lS6_lS7_lS3_lPT4_lS7_li.num_vgpr, 42
	.set _ZL20rocblas_gemvn_kernelILi32ELi16Ei16rocblas_bfloat16PKffEviiT3_lPKT2_lT1_lS6_lS7_lS3_lPT4_lS7_li.num_agpr, 0
	.set _ZL20rocblas_gemvn_kernelILi32ELi16Ei16rocblas_bfloat16PKffEviiT3_lPKT2_lT1_lS6_lS7_lS3_lPT4_lS7_li.numbered_sgpr, 28
	.set _ZL20rocblas_gemvn_kernelILi32ELi16Ei16rocblas_bfloat16PKffEviiT3_lPKT2_lT1_lS6_lS7_lS3_lPT4_lS7_li.num_named_barrier, 0
	.set _ZL20rocblas_gemvn_kernelILi32ELi16Ei16rocblas_bfloat16PKffEviiT3_lPKT2_lT1_lS6_lS7_lS3_lPT4_lS7_li.private_seg_size, 0
	.set _ZL20rocblas_gemvn_kernelILi32ELi16Ei16rocblas_bfloat16PKffEviiT3_lPKT2_lT1_lS6_lS7_lS3_lPT4_lS7_li.uses_vcc, 1
	.set _ZL20rocblas_gemvn_kernelILi32ELi16Ei16rocblas_bfloat16PKffEviiT3_lPKT2_lT1_lS6_lS7_lS3_lPT4_lS7_li.uses_flat_scratch, 0
	.set _ZL20rocblas_gemvn_kernelILi32ELi16Ei16rocblas_bfloat16PKffEviiT3_lPKT2_lT1_lS6_lS7_lS3_lPT4_lS7_li.has_dyn_sized_stack, 0
	.set _ZL20rocblas_gemvn_kernelILi32ELi16Ei16rocblas_bfloat16PKffEviiT3_lPKT2_lT1_lS6_lS7_lS3_lPT4_lS7_li.has_recursion, 0
	.set _ZL20rocblas_gemvn_kernelILi32ELi16Ei16rocblas_bfloat16PKffEviiT3_lPKT2_lT1_lS6_lS7_lS3_lPT4_lS7_li.has_indirect_call, 0
	.section	.AMDGPU.csdata,"",@progbits
; Kernel info:
; codeLenInByte = 2968
; TotalNumSgprs: 30
; NumVgprs: 42
; ScratchSize: 0
; MemoryBound: 0
; FloatMode: 240
; IeeeMode: 1
; LDSByteSize: 8192 bytes/workgroup (compile time only)
; SGPRBlocks: 0
; VGPRBlocks: 5
; NumSGPRsForWavesPerEU: 30
; NumVGPRsForWavesPerEU: 42
; Occupancy: 16
; WaveLimiterHint : 1
; COMPUTE_PGM_RSRC2:SCRATCH_EN: 0
; COMPUTE_PGM_RSRC2:USER_SGPR: 6
; COMPUTE_PGM_RSRC2:TRAP_HANDLER: 0
; COMPUTE_PGM_RSRC2:TGID_X_EN: 1
; COMPUTE_PGM_RSRC2:TGID_Y_EN: 0
; COMPUTE_PGM_RSRC2:TGID_Z_EN: 1
; COMPUTE_PGM_RSRC2:TIDIG_COMP_CNT: 1
	.section	.text._ZL20rocblas_gemvn_kernelILi32ELi16El16rocblas_bfloat16PKffEviiT3_lPKT2_lT1_lS6_lS7_lS3_lPT4_lS7_li,"axG",@progbits,_ZL20rocblas_gemvn_kernelILi32ELi16El16rocblas_bfloat16PKffEviiT3_lPKT2_lT1_lS6_lS7_lS3_lPT4_lS7_li,comdat
	.globl	_ZL20rocblas_gemvn_kernelILi32ELi16El16rocblas_bfloat16PKffEviiT3_lPKT2_lT1_lS6_lS7_lS3_lPT4_lS7_li ; -- Begin function _ZL20rocblas_gemvn_kernelILi32ELi16El16rocblas_bfloat16PKffEviiT3_lPKT2_lT1_lS6_lS7_lS3_lPT4_lS7_li
	.p2align	8
	.type	_ZL20rocblas_gemvn_kernelILi32ELi16El16rocblas_bfloat16PKffEviiT3_lPKT2_lT1_lS6_lS7_lS3_lPT4_lS7_li,@function
_ZL20rocblas_gemvn_kernelILi32ELi16El16rocblas_bfloat16PKffEviiT3_lPKT2_lT1_lS6_lS7_lS3_lPT4_lS7_li: ; @_ZL20rocblas_gemvn_kernelILi32ELi16El16rocblas_bfloat16PKffEviiT3_lPKT2_lT1_lS6_lS7_lS3_lPT4_lS7_li
; %bb.0:
	s_load_dwordx2 s[0:1], s[4:5], 0x9c
	s_waitcnt lgkmcnt(0)
	s_lshr_b32 s2, s0, 16
	s_and_b32 s0, s0, 0xffff
	s_and_b32 s1, s1, 0xffff
	s_mul_i32 s0, s2, s0
	s_mul_i32 s0, s0, s1
	s_cmpk_lg_i32 s0, 0x200
	s_cbranch_scc1 .LBB635_50
; %bb.1:
	s_clause 0x1
	s_load_dwordx16 s[36:51], s[4:5], 0x8
	s_load_dwordx16 s[8:23], s[4:5], 0x48
	s_mov_b32 s26, 0
	s_waitcnt lgkmcnt(0)
	s_mul_i32 s1, s39, s7
	s_mul_hi_u32 s2, s38, s7
	s_mul_i32 s0, s38, s7
	s_add_i32 s1, s2, s1
	s_mul_i32 s2, s15, s7
	s_lshl_b64 s[0:1], s[0:1], 2
	s_mul_hi_u32 s3, s14, s7
	s_add_u32 s0, s36, s0
	s_addc_u32 s1, s37, s1
	s_add_i32 s3, s3, s2
	s_mul_i32 s2, s14, s7
	s_lshl_b64 s[2:3], s[2:3], 2
	s_add_u32 s2, s12, s2
	s_addc_u32 s3, s13, s3
	s_load_dword s25, s[0:1], 0x0
	s_load_dword s24, s[2:3], 0x0
	s_waitcnt lgkmcnt(0)
	v_cmp_eq_f32_e64 s0, s25, 0
	v_cmp_eq_f32_e64 s1, s24, 1.0
	s_and_b32 s0, s0, s1
	s_and_b32 vcc_lo, exec_lo, s0
	s_cbranch_vccnz .LBB635_50
; %bb.2:
	s_load_dwordx2 s[12:13], s[4:5], 0x0
	v_lshlrev_b32_e32 v14, 5, v1
	s_mul_i32 s0, s23, s7
	s_mul_hi_u32 s1, s22, s7
	v_cmp_neq_f32_e64 s4, s25, 0
	s_add_i32 s1, s1, s0
	s_mul_i32 s0, s22, s7
	v_add_nc_u32_e32 v13, v14, v0
	s_lshl_b64 s[0:1], s[0:1], 2
	s_add_u32 s2, s16, s0
	s_addc_u32 s3, s17, s1
	s_lshl_b64 s[0:1], s[18:19], 2
	s_add_u32 s5, s2, s0
	v_cmp_gt_u32_e64 s0, 0x80, v13
	s_addc_u32 s22, s3, s1
	s_and_b32 vcc_lo, exec_lo, s4
	s_cbranch_vccnz .LBB635_9
; %bb.3:
	s_mov_b32 s1, 0
                                        ; implicit-def: $vgpr3
                                        ; implicit-def: $vgpr4_vgpr5
	s_and_saveexec_b32 s2, s0
	s_cbranch_execz .LBB635_10
; %bb.4:
	v_lshl_or_b32 v2, s6, 7, v13
	v_mov_b32_e32 v3, 0
	s_waitcnt lgkmcnt(0)
	s_ashr_i32 s15, s12, 31
	s_mov_b32 s14, s12
	s_mov_b32 s3, 0
	s_mov_b32 s0, exec_lo
                                        ; implicit-def: $vgpr4_vgpr5
	v_cmpx_gt_i64_e64 s[14:15], v[2:3]
	s_cbranch_execz .LBB635_8
; %bb.5:
	v_mad_u64_u32 v[4:5], null, s20, v2, 0
	v_cmp_eq_f32_e64 s3, s24, 0
	s_and_b32 vcc_lo, exec_lo, s3
	v_mad_u64_u32 v[5:6], null, s21, v2, v[5:6]
	s_cbranch_vccnz .LBB635_7
; %bb.6:
	v_lshlrev_b64 v[2:3], 2, v[4:5]
	v_add_co_u32 v2, vcc_lo, s5, v2
	v_add_co_ci_u32_e64 v3, null, s22, v3, vcc_lo
	global_load_dword v2, v[2:3], off
	s_waitcnt vmcnt(0)
	v_mul_f32_e32 v3, s24, v2
.LBB635_7:
	s_mov_b32 s3, exec_lo
.LBB635_8:
	s_or_b32 exec_lo, exec_lo, s0
	s_and_b32 s26, s3, exec_lo
	s_or_b32 exec_lo, exec_lo, s2
	s_and_b32 vcc_lo, exec_lo, s1
	s_cbranch_vccnz .LBB635_11
	s_branch .LBB635_48
.LBB635_9:
                                        ; implicit-def: $vgpr3
                                        ; implicit-def: $vgpr4_vgpr5
	s_cbranch_execnz .LBB635_11
	s_branch .LBB635_48
.LBB635_10:
	s_or_b32 exec_lo, exec_lo, s2
	s_and_b32 vcc_lo, exec_lo, s1
	s_cbranch_vccz .LBB635_48
.LBB635_11:
	s_mul_i32 s0, s47, s7
	s_mul_hi_u32 s1, s46, s7
	s_lshl_b32 s23, s6, 7
	s_add_i32 s15, s1, s0
	s_waitcnt lgkmcnt(0)
	s_ashr_i32 s1, s13, 31
	v_lshlrev_b32_e32 v19, 2, v1
	s_lshr_b32 s1, s1, 26
	v_add_nc_u32_e32 v2, s23, v0
	v_mov_b32_e32 v15, 0
	v_mov_b32_e32 v16, 0
	;; [unrolled: 1-line block ×4, first 2 shown]
	s_mul_i32 s0, s11, s7
	s_mul_hi_u32 s2, s10, s7
	s_add_i32 s27, s13, s1
	s_mul_i32 s14, s46, s7
	s_andn2_b32 s27, s27, 63
	s_add_i32 s11, s2, s0
	s_mul_i32 s10, s10, s7
	s_mov_b32 s28, exec_lo
	v_cmpx_gt_i32_e64 s27, v19
	s_cbranch_execz .LBB635_23
; %bb.12:
	v_lshlrev_b32_e32 v30, 2, v1
	v_mad_u64_u32 v[4:5], null, s8, v1, 0
	v_add_nc_u32_e32 v11, 32, v2
	v_add_nc_u32_e32 v12, 64, v2
	v_or_b32_e32 v15, 3, v30
	s_lshl_b64 s[0:1], s[10:11], 1
	s_lshl_b64 s[6:7], s[50:51], 1
	s_add_u32 s4, s48, s0
	s_addc_u32 s29, s49, s1
	v_mad_u64_u32 v[6:7], null, s44, v15, 0
	v_cmp_gt_i32_e64 s0, s12, v11
	v_cmp_gt_i32_e64 s1, s12, v12
	v_add_nc_u32_e32 v16, 0x60, v2
	v_or_b32_e32 v24, 2, v30
	s_lshl_b64 s[18:19], s[42:43], 1
	s_lshl_b64 s[16:17], s[8:9], 7
	v_mad_u64_u32 v[8:9], null, s9, v1, v[5:6]
	v_mad_u64_u32 v[9:10], null, s8, v15, 0
	v_cmp_gt_i32_e64 s2, s12, v16
	s_lshl_b64 s[30:31], s[14:15], 1
	v_mad_u64_u32 v[28:29], null, s8, v24, 0
	v_mov_b32_e32 v5, v8
	v_mad_u64_u32 v[7:8], null, s45, v15, v[7:8]
	v_mad_u64_u32 v[32:33], null, s44, v30, s[44:45]
	v_lshlrev_b64 v[11:12], 3, v[4:5]
	v_mov_b32_e32 v5, v10
	v_mov_b32_e32 v8, v29
	v_ashrrev_i32_e32 v3, 31, v2
	v_lshlrev_b64 v[6:7], 1, v[6:7]
	v_cmp_gt_i32_e32 vcc_lo, s12, v2
	v_add_co_u32 v20, s3, s4, v11
	v_add_co_ci_u32_e64 v21, null, s29, v12, s3
	v_mad_u64_u32 v[15:16], null, s9, v15, v[5:6]
	v_mad_u64_u32 v[11:12], null, s44, v1, 0
	s_add_u32 s3, s40, s18
	s_addc_u32 s18, s41, s19
	s_add_u32 s19, s3, s30
	s_addc_u32 s18, s18, s31
	v_mov_b32_e32 v10, v15
	v_mad_u64_u32 v[15:16], null, s44, v24, 0
	v_mov_b32_e32 v5, v12
	v_add_co_u32 v22, s3, s19, v6
	v_add_co_ci_u32_e64 v23, null, s18, v7, s3
	v_mad_u64_u32 v[17:18], null, s45, v1, v[5:6]
	v_lshlrev_b64 v[6:7], 1, v[9:10]
	v_mov_b32_e32 v5, v16
	v_lshlrev_b64 v[3:4], 1, v[2:3]
	v_mad_u64_u32 v[9:10], null, s45, v24, v[5:6]
	v_mov_b32_e32 v12, v17
	v_mad_u64_u32 v[17:18], null, s8, v30, s[8:9]
	v_mad_u64_u32 v[26:27], null, s9, v24, v[8:9]
	v_add_co_u32 v24, s3, s4, v6
	v_add_co_ci_u32_e64 v25, null, s29, v7, s3
	v_lshlrev_b64 v[6:7], 3, v[11:12]
	v_mov_b32_e32 v5, v18
	v_mov_b32_e32 v16, v9
	;; [unrolled: 1-line block ×3, first 2 shown]
	v_add_co_u32 v26, s3, s19, v6
	v_mad_u64_u32 v[8:9], null, s9, v30, v[5:6]
	v_add_co_ci_u32_e64 v27, null, s18, v7, s3
	v_lshlrev_b64 v[6:7], 1, v[15:16]
	v_mov_b32_e32 v5, v33
	v_mov_b32_e32 v15, 0
	;; [unrolled: 1-line block ×4, first 2 shown]
	v_mad_u64_u32 v[9:10], null, s45, v30, v[5:6]
	v_lshlrev_b64 v[10:11], 1, v[28:29]
	v_add_co_u32 v28, s3, s19, v6
	v_lshlrev_b64 v[5:6], 1, v[17:18]
	v_add_co_ci_u32_e64 v29, null, s18, v7, s3
	v_mov_b32_e32 v33, v9
	v_add_co_u32 v30, s3, s4, v10
	v_add_co_ci_u32_e64 v31, null, s29, v11, s3
	v_lshlrev_b64 v[7:8], 1, v[32:33]
	v_add_co_u32 v32, s3, s4, v5
	v_add_co_ci_u32_e64 v33, null, s29, v6, s3
	v_mov_b32_e32 v17, 0
	v_add_co_u32 v34, s3, s19, v7
	v_add_co_ci_u32_e64 v35, null, s18, v8, s3
	v_mov_b32_e32 v18, 0
	s_lshl_b64 s[18:19], s[44:45], 7
	s_mov_b32 s29, 0
	s_branch .LBB635_17
.LBB635_13:                             ;   in Loop: Header=BB635_17 Depth=1
	s_or_b32 exec_lo, exec_lo, s31
	s_waitcnt vmcnt(3)
	v_lshlrev_b32_e32 v5, 16, v51
	s_waitcnt vmcnt(2)
	v_lshlrev_b32_e32 v6, 16, v50
	v_fmac_f32_e32 v17, v43, v5
	s_waitcnt vmcnt(1)
	v_lshlrev_b32_e32 v5, 16, v49
	v_fmac_f32_e32 v17, v39, v6
	v_fmac_f32_e32 v17, v41, v5
	s_waitcnt vmcnt(0)
	v_lshlrev_b32_e32 v5, 16, v48
	v_fmac_f32_e32 v17, v37, v5
.LBB635_14:                             ;   in Loop: Header=BB635_17 Depth=1
	s_or_b32 exec_lo, exec_lo, s30
	s_waitcnt vmcnt(3)
	v_lshlrev_b32_e32 v5, 16, v47
	s_waitcnt vmcnt(2)
	v_lshlrev_b32_e32 v6, 16, v46
	v_fmac_f32_e32 v16, v43, v5
	s_waitcnt vmcnt(1)
	v_lshlrev_b32_e32 v5, 16, v45
	v_fmac_f32_e32 v16, v39, v6
	v_fmac_f32_e32 v16, v41, v5
	s_waitcnt vmcnt(0)
	v_lshlrev_b32_e32 v5, 16, v44
	v_fmac_f32_e32 v16, v37, v5
.LBB635_15:                             ;   in Loop: Header=BB635_17 Depth=1
	s_or_b32 exec_lo, exec_lo, s3
	s_waitcnt vmcnt(3)
	v_lshlrev_b32_e32 v5, 16, v42
	s_waitcnt vmcnt(2)
	v_lshlrev_b32_e32 v6, 16, v40
	v_fmac_f32_e32 v15, v43, v5
	s_waitcnt vmcnt(1)
	v_lshlrev_b32_e32 v5, 16, v38
	v_fmac_f32_e32 v15, v39, v6
	v_fmac_f32_e32 v15, v41, v5
	s_waitcnt vmcnt(0)
	v_lshlrev_b32_e32 v5, 16, v36
	v_fmac_f32_e32 v15, v37, v5
.LBB635_16:                             ;   in Loop: Header=BB635_17 Depth=1
	s_or_b32 exec_lo, exec_lo, s4
	v_add_co_u32 v20, s3, v20, s16
	v_add_co_ci_u32_e64 v21, null, s17, v21, s3
	v_add_co_u32 v22, s3, v22, s18
	v_add_co_ci_u32_e64 v23, null, s19, v23, s3
	v_add_co_u32 v24, s3, v24, s16
	v_add_co_ci_u32_e64 v25, null, s17, v25, s3
	v_add_co_u32 v26, s3, v26, s18
	v_add_co_ci_u32_e64 v27, null, s19, v27, s3
	v_add_co_u32 v28, s3, v28, s18
	v_add_nc_u32_e32 v19, 64, v19
	v_add_co_ci_u32_e64 v29, null, s19, v29, s3
	v_add_co_u32 v30, s3, v30, s16
	v_add_co_ci_u32_e64 v31, null, s17, v31, s3
	v_add_co_u32 v32, s3, v32, s16
	v_add_co_ci_u32_e64 v33, null, s17, v33, s3
	v_cmp_le_i32_e64 s3, s27, v19
	v_add_co_u32 v34, s4, v34, s18
	v_add_co_ci_u32_e64 v35, null, s19, v35, s4
	s_or_b32 s29, s3, s29
	s_andn2_b32 exec_lo, exec_lo, s29
	s_cbranch_execz .LBB635_22
.LBB635_17:                             ; =>This Inner Loop Header: Depth=1
	s_and_saveexec_b32 s4, vcc_lo
	s_cbranch_execz .LBB635_16
; %bb.18:                               ;   in Loop: Header=BB635_17 Depth=1
	v_add_co_u32 v5, s3, v20, s6
	v_add_co_ci_u32_e64 v6, null, s7, v21, s3
	v_add_co_u32 v7, s3, v32, s6
	v_add_co_ci_u32_e64 v8, null, s7, v33, s3
	v_add_co_u32 v9, s3, v30, s6
	v_add_co_ci_u32_e64 v10, null, s7, v31, s3
	v_add_co_u32 v11, s3, v24, s6
	v_add_co_ci_u32_e64 v12, null, s7, v25, s3
	global_load_ushort v37, v[5:6], off
	global_load_ushort v39, v[7:8], off
	;; [unrolled: 1-line block ×4, first 2 shown]
	v_add_co_u32 v5, s3, v26, v3
	v_add_co_ci_u32_e64 v6, null, v27, v4, s3
	v_add_co_u32 v9, s3, v34, v3
	v_add_co_ci_u32_e64 v10, null, v35, v4, s3
	;; [unrolled: 2-line block ×4, first 2 shown]
	global_load_ushort v42, v[5:6], off
	global_load_ushort v40, v[9:10], off
	;; [unrolled: 1-line block ×4, first 2 shown]
	s_waitcnt vmcnt(7)
	v_lshlrev_b32_e32 v43, 16, v37
	s_waitcnt vmcnt(6)
	v_lshlrev_b32_e32 v39, 16, v39
	;; [unrolled: 2-line block ×4, first 2 shown]
	s_and_saveexec_b32 s3, s0
	s_cbranch_execz .LBB635_15
; %bb.19:                               ;   in Loop: Header=BB635_17 Depth=1
	global_load_ushort v47, v[5:6], off offset:64
	global_load_ushort v46, v[9:10], off offset:64
	global_load_ushort v45, v[7:8], off offset:64
	global_load_ushort v44, v[11:12], off offset:64
	s_and_saveexec_b32 s30, s1
	s_cbranch_execz .LBB635_14
; %bb.20:                               ;   in Loop: Header=BB635_17 Depth=1
	global_load_ushort v51, v[5:6], off offset:128
	global_load_ushort v50, v[9:10], off offset:128
	global_load_ushort v49, v[7:8], off offset:128
	global_load_ushort v48, v[11:12], off offset:128
	s_and_saveexec_b32 s31, s2
	s_cbranch_execz .LBB635_13
; %bb.21:                               ;   in Loop: Header=BB635_17 Depth=1
	global_load_ushort v5, v[5:6], off offset:192
	global_load_ushort v6, v[9:10], off offset:192
	global_load_ushort v7, v[7:8], off offset:192
	global_load_ushort v8, v[11:12], off offset:192
	s_waitcnt vmcnt(3)
	v_lshlrev_b32_e32 v5, 16, v5
	s_waitcnt vmcnt(2)
	v_lshlrev_b32_e32 v6, 16, v6
	v_fmac_f32_e32 v18, v43, v5
	s_waitcnt vmcnt(1)
	v_lshlrev_b32_e32 v5, 16, v7
	v_fmac_f32_e32 v18, v39, v6
	;; [unrolled: 3-line block ×3, first 2 shown]
	v_fmac_f32_e32 v18, v37, v6
	s_branch .LBB635_13
.LBB635_22:
	s_or_b32 exec_lo, exec_lo, s29
.LBB635_23:
	s_or_b32 exec_lo, exec_lo, s28
	s_sub_i32 s0, s13, s27
	s_cmp_lt_i32 s0, 1
	s_cbranch_scc1 .LBB635_41
; %bb.24:
	v_cmp_gt_i32_e32 vcc_lo, s13, v19
	v_mov_b32_e32 v12, 0
	v_or_b32_e32 v4, 1, v19
	v_mov_b32_e32 v11, 0
	v_mov_b32_e32 v21, 0
	;; [unrolled: 1-line block ×3, first 2 shown]
	s_and_saveexec_b32 s1, vcc_lo
	s_cbranch_execz .LBB635_32
; %bb.25:
	v_mad_u64_u32 v[5:6], null, s8, v19, 0
	s_lshl_b64 s[2:3], s[10:11], 1
	v_mov_b32_e32 v20, 0
	s_add_u32 s0, s48, s2
	s_addc_u32 s2, s49, s3
	s_lshl_b64 s[6:7], s[50:51], 1
	v_mov_b32_e32 v11, 0
	v_mov_b32_e32 v3, v6
	s_add_u32 s3, s0, s6
	s_addc_u32 s4, s2, s7
	v_mov_b32_e32 v12, 0
	s_mov_b32 s2, exec_lo
	v_mad_u64_u32 v[6:7], null, s9, v19, v[3:4]
	v_lshlrev_b64 v[5:6], 1, v[5:6]
	v_add_co_u32 v5, s0, s3, v5
	v_add_co_ci_u32_e64 v6, null, s4, v6, s0
	global_load_ushort v3, v[5:6], off
	v_cmpx_gt_i32_e64 s13, v4
	s_cbranch_execz .LBB635_31
; %bb.26:
	v_mad_u64_u32 v[5:6], null, s8, v4, 0
	v_mov_b32_e32 v11, 0
	v_mov_b32_e32 v12, 0
	s_mov_b32 s6, exec_lo
	v_mad_u64_u32 v[6:7], null, s9, v4, v[6:7]
	v_lshlrev_b64 v[5:6], 1, v[5:6]
	v_add_co_u32 v5, s0, s3, v5
	v_add_co_ci_u32_e64 v6, null, s4, v6, s0
	global_load_ushort v5, v[5:6], off
	v_or_b32_e32 v6, 2, v19
	v_cmpx_gt_i32_e64 s13, v6
	s_cbranch_execz .LBB635_30
; %bb.27:
	v_mad_u64_u32 v[7:8], null, s8, v6, 0
	v_mov_b32_e32 v11, 0
	s_mov_b32 s7, exec_lo
	v_mad_u64_u32 v[8:9], null, s9, v6, v[8:9]
	v_lshlrev_b64 v[6:7], 1, v[7:8]
	v_add_co_u32 v6, s0, s3, v6
	v_add_co_ci_u32_e64 v7, null, s4, v7, s0
	global_load_ushort v6, v[6:7], off
	v_or_b32_e32 v7, 3, v19
	v_cmpx_gt_i32_e64 s13, v7
	s_cbranch_execz .LBB635_29
; %bb.28:
	v_mad_u64_u32 v[8:9], null, s8, v7, 0
	v_mad_u64_u32 v[9:10], null, s9, v7, v[9:10]
	v_lshlrev_b64 v[7:8], 1, v[8:9]
	v_add_co_u32 v7, s0, s3, v7
	v_add_co_ci_u32_e64 v8, null, s4, v8, s0
	global_load_ushort v7, v[7:8], off
	s_waitcnt vmcnt(0)
	v_lshlrev_b32_e32 v11, 16, v7
.LBB635_29:
	s_or_b32 exec_lo, exec_lo, s7
	s_waitcnt vmcnt(0)
	v_lshlrev_b32_e32 v12, 16, v6
.LBB635_30:
	s_or_b32 exec_lo, exec_lo, s6
	s_waitcnt vmcnt(0)
	v_lshlrev_b32_e32 v20, 16, v5
.LBB635_31:
	s_or_b32 exec_lo, exec_lo, s2
	s_waitcnt vmcnt(0)
	v_lshlrev_b32_e32 v21, 16, v3
.LBB635_32:
	s_or_b32 exec_lo, exec_lo, s1
	s_mov_b32 s1, exec_lo
	v_cmpx_gt_i32_e64 s12, v2
	s_cbranch_execz .LBB635_40
; %bb.33:
	v_mad_u64_u32 v[5:6], null, s44, v19, 0
	v_mad_u64_u32 v[7:8], null, s44, v4, 0
	v_ashrrev_i32_e32 v3, 31, v2
	v_or_b32_e32 v29, 2, v19
	s_lshl_b64 s[2:3], s[14:15], 1
	s_add_u32 s0, s40, s2
	v_cndmask_b32_e32 v5, 0, v5, vcc_lo
	v_mad_u64_u32 v[9:10], null, s45, v19, v[6:7]
	v_or_b32_e32 v19, 3, v19
	v_lshlrev_b64 v[22:23], 1, v[2:3]
	v_mad_u64_u32 v[24:25], null, s44, v29, 0
	v_mov_b32_e32 v3, v8
	s_addc_u32 s4, s41, s3
	v_cndmask_b32_e32 v6, 0, v9, vcc_lo
	v_cmp_gt_i32_e32 vcc_lo, s13, v4
	s_lshl_b64 s[2:3], s[42:43], 1
	v_mad_u64_u32 v[8:9], null, s44, v19, 0
	v_lshlrev_b64 v[5:6], 1, v[5:6]
	v_mad_u64_u32 v[26:27], null, s45, v4, v[3:4]
	s_add_u32 s2, s0, s2
	v_cndmask_b32_e32 v27, 0, v7, vcc_lo
	v_mov_b32_e32 v7, v25
	s_addc_u32 s3, s4, s3
	v_add_co_u32 v3, s0, s2, v5
	v_add_co_ci_u32_e64 v4, null, s3, v6, s0
	v_cndmask_b32_e32 v28, 0, v26, vcc_lo
	v_mad_u64_u32 v[25:26], null, s45, v29, v[7:8]
	v_mov_b32_e32 v7, v9
	v_add_co_u32 v3, vcc_lo, v3, v22
	v_add_co_ci_u32_e64 v4, null, v4, v23, vcc_lo
	v_cmp_gt_i32_e32 vcc_lo, s13, v29
	v_lshlrev_b64 v[5:6], 1, v[27:28]
	v_mad_u64_u32 v[26:27], null, s45, v19, v[7:8]
	v_cndmask_b32_e32 v9, 0, v24, vcc_lo
	v_cndmask_b32_e32 v10, 0, v25, vcc_lo
	v_cmp_gt_i32_e32 vcc_lo, s13, v19
	v_add_co_u32 v5, s0, s2, v5
	v_add_co_ci_u32_e64 v6, null, s3, v6, s0
	v_cndmask_b32_e32 v7, 0, v8, vcc_lo
	v_cndmask_b32_e32 v8, 0, v26, vcc_lo
	v_lshlrev_b64 v[9:10], 1, v[9:10]
	v_add_co_u32 v5, s0, v5, v22
	v_add_co_ci_u32_e64 v6, null, v6, v23, s0
	v_lshlrev_b64 v[7:8], 1, v[7:8]
	v_add_co_u32 v9, vcc_lo, s2, v9
	v_add_co_ci_u32_e64 v10, null, s3, v10, vcc_lo
	s_clause 0x1
	global_load_ushort v19, v[3:4], off
	global_load_ushort v24, v[5:6], off
	v_add_co_u32 v25, vcc_lo, s2, v7
	v_add_co_ci_u32_e64 v26, null, s3, v8, vcc_lo
	v_add_co_u32 v7, vcc_lo, v9, v22
	v_add_co_ci_u32_e64 v8, null, v10, v23, vcc_lo
	;; [unrolled: 2-line block ×3, first 2 shown]
	s_clause 0x1
	global_load_ushort v22, v[7:8], off
	global_load_ushort v23, v[9:10], off
	s_mov_b32 s0, exec_lo
	s_waitcnt vmcnt(3)
	v_lshlrev_b32_e32 v19, 16, v19
	s_waitcnt vmcnt(2)
	v_lshlrev_b32_e32 v24, 16, v24
	v_fmac_f32_e32 v15, v21, v19
	v_fmac_f32_e32 v15, v20, v24
	v_add_nc_u32_e32 v24, 32, v2
	s_waitcnt vmcnt(1)
	v_lshlrev_b32_e32 v22, 16, v22
	s_waitcnt vmcnt(0)
	v_lshlrev_b32_e32 v19, 16, v23
	v_fmac_f32_e32 v15, v12, v22
	v_cmpx_gt_i32_e64 s12, v24
	s_cbranch_execz .LBB635_39
; %bb.34:
	s_clause 0x3
	global_load_ushort v22, v[3:4], off offset:64
	global_load_ushort v23, v[5:6], off offset:64
	;; [unrolled: 1-line block ×4, first 2 shown]
	s_mov_b32 s2, exec_lo
	s_waitcnt vmcnt(3)
	v_lshlrev_b32_e32 v22, 16, v22
	s_waitcnt vmcnt(2)
	v_lshlrev_b32_e32 v23, 16, v23
	;; [unrolled: 2-line block ×3, first 2 shown]
	v_fmac_f32_e32 v16, v21, v22
	s_waitcnt vmcnt(0)
	v_lshlrev_b32_e32 v22, 16, v25
	v_fmac_f32_e32 v16, v20, v23
	v_add_nc_u32_e32 v23, 64, v2
	v_fmac_f32_e32 v16, v12, v24
	v_cmpx_gt_i32_e64 s12, v23
	s_cbranch_execz .LBB635_38
; %bb.35:
	s_clause 0x3
	global_load_ushort v23, v[3:4], off offset:128
	global_load_ushort v24, v[5:6], off offset:128
	;; [unrolled: 1-line block ×4, first 2 shown]
	s_mov_b32 s3, exec_lo
	s_waitcnt vmcnt(3)
	v_lshlrev_b32_e32 v23, 16, v23
	s_waitcnt vmcnt(2)
	v_lshlrev_b32_e32 v24, 16, v24
	v_fmac_f32_e32 v17, v21, v23
	s_waitcnt vmcnt(1)
	v_lshlrev_b32_e32 v23, 16, v25
	v_fmac_f32_e32 v17, v20, v24
	v_add_nc_u32_e32 v24, 0x60, v2
	s_waitcnt vmcnt(0)
	v_lshlrev_b32_e32 v2, 16, v26
	v_fmac_f32_e32 v17, v12, v23
	v_cmpx_gt_i32_e64 s12, v24
	s_cbranch_execz .LBB635_37
; %bb.36:
	s_clause 0x3
	global_load_ushort v3, v[3:4], off offset:192
	global_load_ushort v4, v[5:6], off offset:192
	global_load_ushort v5, v[7:8], off offset:192
	global_load_ushort v6, v[9:10], off offset:192
	s_waitcnt vmcnt(3)
	v_lshlrev_b32_e32 v3, 16, v3
	s_waitcnt vmcnt(2)
	v_lshlrev_b32_e32 v4, 16, v4
	v_fmac_f32_e32 v18, v21, v3
	s_waitcnt vmcnt(1)
	v_lshlrev_b32_e32 v3, 16, v5
	v_fmac_f32_e32 v18, v20, v4
	;; [unrolled: 3-line block ×3, first 2 shown]
	v_fmac_f32_e32 v18, v11, v4
.LBB635_37:
	s_or_b32 exec_lo, exec_lo, s3
	v_fmac_f32_e32 v17, v11, v2
.LBB635_38:
	s_or_b32 exec_lo, exec_lo, s2
	v_fmac_f32_e32 v16, v11, v22
.LBB635_39:
	s_or_b32 exec_lo, exec_lo, s0
	v_fmac_f32_e32 v15, v11, v19
.LBB635_40:
	s_or_b32 exec_lo, exec_lo, s1
.LBB635_41:
	v_lshlrev_b32_e32 v0, 2, v0
	s_mov_b32 s0, exec_lo
                                        ; implicit-def: $vgpr3
                                        ; implicit-def: $vgpr4_vgpr5
	v_lshl_add_u32 v1, v1, 9, v0
	ds_write2_b32 v1, v15, v16 offset1:32
	ds_write2_b32 v1, v17, v18 offset0:64 offset1:96
	s_waitcnt lgkmcnt(0)
	s_barrier
	buffer_gl0_inv
	v_cmpx_gt_u32_e32 0x80, v13
	s_cbranch_execz .LBB635_47
; %bb.42:
	v_lshl_add_u32 v6, v14, 2, v0
	s_mov_b32 s2, s26
	s_mov_b32 s1, exec_lo
	ds_read2st64_b32 v[0:1], v6 offset1:2
	ds_read2st64_b32 v[2:3], v6 offset0:4 offset1:6
	ds_read2st64_b32 v[4:5], v6 offset0:8 offset1:10
	s_waitcnt lgkmcnt(2)
	v_add_f32_e32 v7, v0, v1
	ds_read2st64_b32 v[0:1], v6 offset0:12 offset1:14
	s_waitcnt lgkmcnt(2)
	v_add_f32_e32 v2, v2, v7
	v_add_f32_e32 v7, v3, v2
	ds_read2st64_b32 v[2:3], v6 offset0:16 offset1:18
	s_waitcnt lgkmcnt(2)
	v_add_f32_e32 v4, v4, v7
	;; [unrolled: 4-line block ×3, first 2 shown]
	v_add_f32_e32 v0, v1, v0
	s_waitcnt lgkmcnt(1)
	v_add_f32_e32 v2, v2, v0
	ds_read2st64_b32 v[0:1], v6 offset0:24 offset1:26
	v_add_f32_e32 v2, v3, v2
	s_waitcnt lgkmcnt(1)
	v_add_f32_e32 v4, v4, v2
	ds_read2st64_b32 v[2:3], v6 offset0:28 offset1:30
	v_add_f32_e32 v4, v5, v4
	s_waitcnt lgkmcnt(1)
	v_add_f32_e32 v0, v0, v4
                                        ; implicit-def: $vgpr4_vgpr5
	v_add_f32_e32 v0, v1, v0
	v_or_b32_e32 v1, s23, v13
	s_waitcnt lgkmcnt(0)
	v_add_f32_e32 v0, v2, v0
	v_add_f32_e32 v0, v3, v0
                                        ; implicit-def: $vgpr3
	ds_write_b32 v6, v0
	v_cmpx_gt_i32_e64 s12, v1
	s_cbranch_execz .LBB635_46
; %bb.43:
	v_ashrrev_i32_e32 v2, 31, v1
	v_mul_lo_u32 v6, s21, v1
	v_mad_u64_u32 v[4:5], null, s20, v1, 0
	v_cmp_eq_f32_e64 s2, s24, 0
	v_mul_lo_u32 v1, s20, v2
	v_mul_f32_e32 v3, s25, v0
	s_and_b32 vcc_lo, exec_lo, s2
	v_add3_u32 v5, v5, v1, v6
	s_cbranch_vccnz .LBB635_45
; %bb.44:
	v_lshlrev_b64 v[0:1], 2, v[4:5]
	v_add_co_u32 v0, vcc_lo, s5, v0
	v_add_co_ci_u32_e64 v1, null, s22, v1, vcc_lo
	global_load_dword v0, v[0:1], off
	s_waitcnt vmcnt(0)
	v_fmac_f32_e32 v3, s24, v0
.LBB635_45:
	s_or_b32 s2, s26, exec_lo
.LBB635_46:
	s_or_b32 exec_lo, exec_lo, s1
	s_andn2_b32 s1, s26, exec_lo
	s_and_b32 s2, s2, exec_lo
	s_or_b32 s26, s1, s2
.LBB635_47:
	s_or_b32 exec_lo, exec_lo, s0
.LBB635_48:
	s_and_saveexec_b32 s0, s26
	s_cbranch_execz .LBB635_50
; %bb.49:
	v_lshlrev_b64 v[0:1], 2, v[4:5]
	v_add_co_u32 v0, vcc_lo, s5, v0
	v_add_co_ci_u32_e64 v1, null, s22, v1, vcc_lo
	global_store_dword v[0:1], v3, off
.LBB635_50:
	s_endpgm
	.section	.rodata,"a",@progbits
	.p2align	6, 0x0
	.amdhsa_kernel _ZL20rocblas_gemvn_kernelILi32ELi16El16rocblas_bfloat16PKffEviiT3_lPKT2_lT1_lS6_lS7_lS3_lPT4_lS7_li
		.amdhsa_group_segment_fixed_size 8192
		.amdhsa_private_segment_fixed_size 0
		.amdhsa_kernarg_size 400
		.amdhsa_user_sgpr_count 6
		.amdhsa_user_sgpr_private_segment_buffer 1
		.amdhsa_user_sgpr_dispatch_ptr 0
		.amdhsa_user_sgpr_queue_ptr 0
		.amdhsa_user_sgpr_kernarg_segment_ptr 1
		.amdhsa_user_sgpr_dispatch_id 0
		.amdhsa_user_sgpr_flat_scratch_init 0
		.amdhsa_user_sgpr_private_segment_size 0
		.amdhsa_wavefront_size32 1
		.amdhsa_uses_dynamic_stack 0
		.amdhsa_system_sgpr_private_segment_wavefront_offset 0
		.amdhsa_system_sgpr_workgroup_id_x 1
		.amdhsa_system_sgpr_workgroup_id_y 0
		.amdhsa_system_sgpr_workgroup_id_z 1
		.amdhsa_system_sgpr_workgroup_info 0
		.amdhsa_system_vgpr_workitem_id 1
		.amdhsa_next_free_vgpr 52
		.amdhsa_next_free_sgpr 52
		.amdhsa_reserve_vcc 1
		.amdhsa_reserve_flat_scratch 0
		.amdhsa_float_round_mode_32 0
		.amdhsa_float_round_mode_16_64 0
		.amdhsa_float_denorm_mode_32 3
		.amdhsa_float_denorm_mode_16_64 3
		.amdhsa_dx10_clamp 1
		.amdhsa_ieee_mode 1
		.amdhsa_fp16_overflow 0
		.amdhsa_workgroup_processor_mode 1
		.amdhsa_memory_ordered 1
		.amdhsa_forward_progress 1
		.amdhsa_shared_vgpr_count 0
		.amdhsa_exception_fp_ieee_invalid_op 0
		.amdhsa_exception_fp_denorm_src 0
		.amdhsa_exception_fp_ieee_div_zero 0
		.amdhsa_exception_fp_ieee_overflow 0
		.amdhsa_exception_fp_ieee_underflow 0
		.amdhsa_exception_fp_ieee_inexact 0
		.amdhsa_exception_int_div_zero 0
	.end_amdhsa_kernel
	.section	.text._ZL20rocblas_gemvn_kernelILi32ELi16El16rocblas_bfloat16PKffEviiT3_lPKT2_lT1_lS6_lS7_lS3_lPT4_lS7_li,"axG",@progbits,_ZL20rocblas_gemvn_kernelILi32ELi16El16rocblas_bfloat16PKffEviiT3_lPKT2_lT1_lS6_lS7_lS3_lPT4_lS7_li,comdat
.Lfunc_end635:
	.size	_ZL20rocblas_gemvn_kernelILi32ELi16El16rocblas_bfloat16PKffEviiT3_lPKT2_lT1_lS6_lS7_lS3_lPT4_lS7_li, .Lfunc_end635-_ZL20rocblas_gemvn_kernelILi32ELi16El16rocblas_bfloat16PKffEviiT3_lPKT2_lT1_lS6_lS7_lS3_lPT4_lS7_li
                                        ; -- End function
	.set _ZL20rocblas_gemvn_kernelILi32ELi16El16rocblas_bfloat16PKffEviiT3_lPKT2_lT1_lS6_lS7_lS3_lPT4_lS7_li.num_vgpr, 52
	.set _ZL20rocblas_gemvn_kernelILi32ELi16El16rocblas_bfloat16PKffEviiT3_lPKT2_lT1_lS6_lS7_lS3_lPT4_lS7_li.num_agpr, 0
	.set _ZL20rocblas_gemvn_kernelILi32ELi16El16rocblas_bfloat16PKffEviiT3_lPKT2_lT1_lS6_lS7_lS3_lPT4_lS7_li.numbered_sgpr, 52
	.set _ZL20rocblas_gemvn_kernelILi32ELi16El16rocblas_bfloat16PKffEviiT3_lPKT2_lT1_lS6_lS7_lS3_lPT4_lS7_li.num_named_barrier, 0
	.set _ZL20rocblas_gemvn_kernelILi32ELi16El16rocblas_bfloat16PKffEviiT3_lPKT2_lT1_lS6_lS7_lS3_lPT4_lS7_li.private_seg_size, 0
	.set _ZL20rocblas_gemvn_kernelILi32ELi16El16rocblas_bfloat16PKffEviiT3_lPKT2_lT1_lS6_lS7_lS3_lPT4_lS7_li.uses_vcc, 1
	.set _ZL20rocblas_gemvn_kernelILi32ELi16El16rocblas_bfloat16PKffEviiT3_lPKT2_lT1_lS6_lS7_lS3_lPT4_lS7_li.uses_flat_scratch, 0
	.set _ZL20rocblas_gemvn_kernelILi32ELi16El16rocblas_bfloat16PKffEviiT3_lPKT2_lT1_lS6_lS7_lS3_lPT4_lS7_li.has_dyn_sized_stack, 0
	.set _ZL20rocblas_gemvn_kernelILi32ELi16El16rocblas_bfloat16PKffEviiT3_lPKT2_lT1_lS6_lS7_lS3_lPT4_lS7_li.has_recursion, 0
	.set _ZL20rocblas_gemvn_kernelILi32ELi16El16rocblas_bfloat16PKffEviiT3_lPKT2_lT1_lS6_lS7_lS3_lPT4_lS7_li.has_indirect_call, 0
	.section	.AMDGPU.csdata,"",@progbits
; Kernel info:
; codeLenInByte = 3344
; TotalNumSgprs: 54
; NumVgprs: 52
; ScratchSize: 0
; MemoryBound: 0
; FloatMode: 240
; IeeeMode: 1
; LDSByteSize: 8192 bytes/workgroup (compile time only)
; SGPRBlocks: 0
; VGPRBlocks: 6
; NumSGPRsForWavesPerEU: 54
; NumVGPRsForWavesPerEU: 52
; Occupancy: 16
; WaveLimiterHint : 0
; COMPUTE_PGM_RSRC2:SCRATCH_EN: 0
; COMPUTE_PGM_RSRC2:USER_SGPR: 6
; COMPUTE_PGM_RSRC2:TRAP_HANDLER: 0
; COMPUTE_PGM_RSRC2:TGID_X_EN: 1
; COMPUTE_PGM_RSRC2:TGID_Y_EN: 0
; COMPUTE_PGM_RSRC2:TGID_Z_EN: 1
; COMPUTE_PGM_RSRC2:TIDIG_COMP_CNT: 1
	.section	.text._ZL20rocblas_gemvn_kernelILi32ELi16Ei16rocblas_bfloat16ffEviiT3_lPKT2_lT1_lS4_lS5_lS1_lPT4_lS5_li,"axG",@progbits,_ZL20rocblas_gemvn_kernelILi32ELi16Ei16rocblas_bfloat16ffEviiT3_lPKT2_lT1_lS4_lS5_lS1_lPT4_lS5_li,comdat
	.globl	_ZL20rocblas_gemvn_kernelILi32ELi16Ei16rocblas_bfloat16ffEviiT3_lPKT2_lT1_lS4_lS5_lS1_lPT4_lS5_li ; -- Begin function _ZL20rocblas_gemvn_kernelILi32ELi16Ei16rocblas_bfloat16ffEviiT3_lPKT2_lT1_lS4_lS5_lS1_lPT4_lS5_li
	.p2align	8
	.type	_ZL20rocblas_gemvn_kernelILi32ELi16Ei16rocblas_bfloat16ffEviiT3_lPKT2_lT1_lS4_lS5_lS1_lPT4_lS5_li,@function
_ZL20rocblas_gemvn_kernelILi32ELi16Ei16rocblas_bfloat16ffEviiT3_lPKT2_lT1_lS4_lS5_lS1_lPT4_lS5_li: ; @_ZL20rocblas_gemvn_kernelILi32ELi16Ei16rocblas_bfloat16ffEviiT3_lPKT2_lT1_lS4_lS5_lS1_lPT4_lS5_li
; %bb.0:
	s_load_dwordx2 s[0:1], s[4:5], 0x9c
	s_waitcnt lgkmcnt(0)
	s_lshr_b32 s2, s0, 16
	s_and_b32 s0, s0, 0xffff
	s_and_b32 s1, s1, 0xffff
	s_mul_i32 s0, s2, s0
	s_mul_i32 s0, s0, s1
	s_cmpk_lg_i32 s0, 0x200
	s_cbranch_scc1 .LBB636_50
; %bb.1:
	s_clause 0x1
	s_load_dwordx4 s[8:11], s[4:5], 0x0
	s_load_dword s13, s[4:5], 0x58
	s_mov_b32 s14, 0
	s_waitcnt lgkmcnt(0)
	v_cmp_eq_f32_e64 s0, s10, 0
	v_cmp_eq_f32_e64 s1, s13, 1.0
	s_and_b32 s0, s0, s1
	s_and_b32 vcc_lo, exec_lo, s0
	s_cbranch_vccnz .LBB636_50
; %bb.2:
	s_clause 0x2
	s_load_dwordx2 s[16:17], s[4:5], 0x80
	s_load_dwordx4 s[0:3], s[4:5], 0x68
	s_load_dword s15, s[4:5], 0x78
	v_lshlrev_b32_e32 v14, 5, v1
	v_cmp_neq_f32_e64 s18, s10, 0
	v_add_nc_u32_e32 v13, v14, v0
	s_waitcnt lgkmcnt(0)
	s_mul_i32 s11, s17, s7
	s_mul_hi_u32 s12, s16, s7
	s_mul_i32 s16, s16, s7
	s_add_i32 s17, s12, s11
	s_lshl_b64 s[16:17], s[16:17], 2
	s_add_u32 s11, s0, s16
	s_addc_u32 s12, s1, s17
	s_lshl_b64 s[0:1], s[2:3], 2
	s_add_u32 s11, s11, s0
	v_cmp_gt_u32_e64 s0, 0x80, v13
	s_addc_u32 s12, s12, s1
	s_and_b32 vcc_lo, exec_lo, s18
	s_cbranch_vccnz .LBB636_9
; %bb.3:
	s_mov_b32 s1, 0
                                        ; implicit-def: $vgpr3
                                        ; implicit-def: $vgpr4_vgpr5
	s_and_saveexec_b32 s2, s0
	s_cbranch_execz .LBB636_10
; %bb.4:
	v_lshl_or_b32 v2, s6, 7, v13
	v_mov_b32_e32 v3, 0
	s_ashr_i32 s17, s8, 31
	s_mov_b32 s16, s8
	s_mov_b32 s3, 0
	s_mov_b32 s0, exec_lo
                                        ; implicit-def: $vgpr4_vgpr5
	v_cmpx_gt_i64_e64 s[16:17], v[2:3]
	s_cbranch_execz .LBB636_8
; %bb.5:
	v_mad_u64_u32 v[4:5], null, s15, v2, 0
	s_ashr_i32 s3, s15, 31
	v_mad_u64_u32 v[5:6], null, s3, v2, v[5:6]
	v_cmp_eq_f32_e64 s3, s13, 0
	s_and_b32 vcc_lo, exec_lo, s3
	s_cbranch_vccnz .LBB636_7
; %bb.6:
	v_lshlrev_b64 v[2:3], 2, v[4:5]
	v_add_co_u32 v2, vcc_lo, s11, v2
	v_add_co_ci_u32_e64 v3, null, s12, v3, vcc_lo
	global_load_dword v2, v[2:3], off
	s_waitcnt vmcnt(0)
	v_mul_f32_e32 v3, s13, v2
.LBB636_7:
	s_mov_b32 s3, exec_lo
.LBB636_8:
	s_or_b32 exec_lo, exec_lo, s0
	s_and_b32 s14, s3, exec_lo
	s_or_b32 exec_lo, exec_lo, s2
	s_and_b32 vcc_lo, exec_lo, s1
	s_cbranch_vccnz .LBB636_11
	s_branch .LBB636_48
.LBB636_9:
                                        ; implicit-def: $vgpr3
                                        ; implicit-def: $vgpr4_vgpr5
	s_cbranch_execnz .LBB636_11
	s_branch .LBB636_48
.LBB636_10:
	s_or_b32 exec_lo, exec_lo, s2
	s_and_b32 vcc_lo, exec_lo, s1
	s_cbranch_vccz .LBB636_48
.LBB636_11:
	s_clause 0x5
	s_load_dwordx4 s[0:3], s[4:5], 0x30
	s_load_dwordx2 s[18:19], s[4:5], 0x50
	s_load_dwordx4 s[20:23], s[4:5], 0x18
	s_load_dword s16, s[4:5], 0x28
	s_load_dwordx2 s[24:25], s[4:5], 0x40
	s_load_dword s4, s[4:5], 0x48
	v_lshlrev_b32_e32 v20, 2, v1
	v_mov_b32_e32 v15, 0
	v_mov_b32_e32 v16, 0
	;; [unrolled: 1-line block ×4, first 2 shown]
	s_waitcnt lgkmcnt(0)
	s_mul_i32 s1, s1, s7
	s_mul_hi_u32 s17, s0, s7
	s_mul_i32 s0, s0, s7
	s_add_i32 s1, s17, s1
	s_mul_i32 s19, s19, s7
	s_lshl_b64 s[0:1], s[0:1], 1
	s_mul_hi_u32 s26, s18, s7
	s_add_u32 s17, s20, s0
	s_addc_u32 s20, s21, s1
	s_lshl_b64 s[0:1], s[22:23], 1
	s_mul_i32 s18, s18, s7
	s_add_u32 s7, s17, s0
	s_addc_u32 s17, s20, s1
	s_add_i32 s19, s26, s19
	s_mov_b32 s20, exec_lo
	s_lshl_b64 s[0:1], s[18:19], 1
	s_add_u32 s2, s2, s0
	s_addc_u32 s3, s3, s1
	s_lshl_b64 s[0:1], s[24:25], 1
	s_add_u32 s18, s2, s0
	s_addc_u32 s19, s3, s1
	s_ashr_i32 s0, s9, 31
	s_lshl_b32 s5, s6, 7
	s_lshr_b32 s0, s0, 26
	v_add_nc_u32_e32 v19, s5, v0
	s_add_i32 s0, s9, s0
	s_and_b32 s6, s0, 0xffffffc0
	v_cmpx_gt_i32_e64 s6, v20
	s_cbranch_execz .LBB636_23
; %bb.12:
	v_add_nc_u32_e32 v5, 0x60, v19
	v_mul_lo_u32 v3, s16, v20
	v_add_nc_u32_e32 v2, 32, v19
	v_add_nc_u32_e32 v6, 2, v20
	v_add_nc_u32_e32 v4, 64, v19
	v_cmp_gt_i32_e64 s2, s8, v5
	v_mul_lo_u32 v5, v1, s16
	v_add_nc_u32_e32 v7, 3, v20
	v_mul_lo_u32 v8, v1, s4
	v_cmp_gt_i32_e64 s0, s8, v2
	v_add3_u32 v21, v3, s16, v0
	v_mad_u64_u32 v[2:3], null, s16, v6, v[0:1]
	v_cmp_gt_i32_e64 s1, s8, v4
	v_mad_u64_u32 v[3:4], null, s16, v7, v[0:1]
	v_lshl_add_u32 v22, v5, 2, v0
	v_mad_u64_u32 v[4:5], null, s4, v20, s[4:5]
	v_mul_lo_u32 v23, s4, v6
	v_mul_lo_u32 v24, s4, v7
	v_lshlrev_b32_e32 v25, 2, v8
	v_mov_b32_e32 v15, 0
	v_mov_b32_e32 v16, 0
	;; [unrolled: 1-line block ×4, first 2 shown]
	s_lshl_b32 s21, s16, 6
	s_lshl_b32 s23, s4, 6
	s_mov_b32 s22, 0
	s_mov_b32 s24, 0
	v_cmp_gt_i32_e32 vcc_lo, s8, v19
	s_branch .LBB636_17
.LBB636_13:                             ;   in Loop: Header=BB636_17 Depth=1
	s_or_b32 exec_lo, exec_lo, s27
	s_waitcnt vmcnt(3)
	v_lshlrev_b32_e32 v5, 16, v41
	s_waitcnt vmcnt(2)
	v_lshlrev_b32_e32 v6, 16, v40
	v_fmac_f32_e32 v17, v33, v5
	s_waitcnt vmcnt(1)
	v_lshlrev_b32_e32 v5, 16, v39
	v_fmac_f32_e32 v17, v29, v6
	v_fmac_f32_e32 v17, v31, v5
	s_waitcnt vmcnt(0)
	v_lshlrev_b32_e32 v5, 16, v38
	v_fmac_f32_e32 v17, v27, v5
.LBB636_14:                             ;   in Loop: Header=BB636_17 Depth=1
	s_or_b32 exec_lo, exec_lo, s26
	s_waitcnt vmcnt(3)
	v_lshlrev_b32_e32 v5, 16, v37
	s_waitcnt vmcnt(2)
	v_lshlrev_b32_e32 v6, 16, v36
	v_fmac_f32_e32 v16, v33, v5
	s_waitcnt vmcnt(1)
	v_lshlrev_b32_e32 v5, 16, v35
	v_fmac_f32_e32 v16, v29, v6
	v_fmac_f32_e32 v16, v31, v5
	s_waitcnt vmcnt(0)
	v_lshlrev_b32_e32 v5, 16, v34
	v_fmac_f32_e32 v16, v27, v5
.LBB636_15:                             ;   in Loop: Header=BB636_17 Depth=1
	s_or_b32 exec_lo, exec_lo, s3
	s_waitcnt vmcnt(3)
	v_lshlrev_b32_e32 v5, 16, v32
	s_waitcnt vmcnt(2)
	v_lshlrev_b32_e32 v6, 16, v30
	v_fmac_f32_e32 v15, v33, v5
	s_waitcnt vmcnt(1)
	v_lshlrev_b32_e32 v5, 16, v28
	v_fmac_f32_e32 v15, v29, v6
	v_fmac_f32_e32 v15, v31, v5
	s_waitcnt vmcnt(0)
	v_lshlrev_b32_e32 v5, 16, v26
	v_fmac_f32_e32 v15, v27, v5
.LBB636_16:                             ;   in Loop: Header=BB636_17 Depth=1
	s_or_b32 exec_lo, exec_lo, s25
	v_add_nc_u32_e32 v20, 64, v20
	v_add_nc_u32_e32 v21, s21, v21
	;; [unrolled: 1-line block ×5, first 2 shown]
	v_cmp_le_i32_e64 s3, s6, v20
	s_add_i32 s24, s24, s23
	s_or_b32 s22, s3, s22
	s_andn2_b32 exec_lo, exec_lo, s22
	s_cbranch_execz .LBB636_22
.LBB636_17:                             ; =>This Inner Loop Header: Depth=1
	s_and_saveexec_b32 s25, vcc_lo
	s_cbranch_execz .LBB636_16
; %bb.18:                               ;   in Loop: Header=BB636_17 Depth=1
	v_add_nc_u32_e32 v5, s24, v25
	v_add_nc_u32_e32 v7, s24, v4
	;; [unrolled: 1-line block ×5, first 2 shown]
	v_ashrrev_i32_e32 v6, 31, v5
	v_ashrrev_i32_e32 v8, 31, v7
	v_ashrrev_i32_e32 v10, 31, v9
	v_ashrrev_i32_e32 v12, 31, v11
	v_ashrrev_i32_e32 v27, 31, v26
	v_lshlrev_b64 v[5:6], 1, v[5:6]
	v_lshlrev_b64 v[7:8], 1, v[7:8]
	;; [unrolled: 1-line block ×4, first 2 shown]
	v_add_nc_u32_e32 v28, s5, v21
	v_add_nc_u32_e32 v30, s5, v2
	v_add_co_u32 v5, s3, s18, v5
	v_add_co_ci_u32_e64 v6, null, s19, v6, s3
	v_add_co_u32 v7, s3, s18, v7
	v_add_co_ci_u32_e64 v8, null, s19, v8, s3
	;; [unrolled: 2-line block ×4, first 2 shown]
	v_lshlrev_b64 v[26:27], 1, v[26:27]
	s_clause 0x3
	global_load_ushort v33, v[5:6], off
	global_load_ushort v34, v[7:8], off
	;; [unrolled: 1-line block ×4, first 2 shown]
	v_add_nc_u32_e32 v9, s5, v3
	v_ashrrev_i32_e32 v29, 31, v28
	v_ashrrev_i32_e32 v31, 31, v30
	v_add_co_u32 v5, s3, s7, v26
	v_ashrrev_i32_e32 v10, 31, v9
	v_lshlrev_b64 v[7:8], 1, v[28:29]
	v_add_co_ci_u32_e64 v6, null, s17, v27, s3
	v_lshlrev_b64 v[26:27], 1, v[30:31]
	v_lshlrev_b64 v[9:10], 1, v[9:10]
	v_add_co_u32 v11, s3, s7, v7
	v_add_co_ci_u32_e64 v12, null, s17, v8, s3
	v_add_co_u32 v7, s3, s7, v26
	v_add_co_ci_u32_e64 v8, null, s17, v27, s3
	;; [unrolled: 2-line block ×3, first 2 shown]
	s_clause 0x3
	global_load_ushort v32, v[5:6], off
	global_load_ushort v30, v[11:12], off
	;; [unrolled: 1-line block ×4, first 2 shown]
	s_waitcnt vmcnt(7)
	v_lshlrev_b32_e32 v33, 16, v33
	s_waitcnt vmcnt(6)
	v_lshlrev_b32_e32 v29, 16, v34
	;; [unrolled: 2-line block ×4, first 2 shown]
	s_and_saveexec_b32 s3, s0
	s_cbranch_execz .LBB636_15
; %bb.19:                               ;   in Loop: Header=BB636_17 Depth=1
	s_clause 0x3
	global_load_ushort v37, v[5:6], off offset:64
	global_load_ushort v36, v[11:12], off offset:64
	global_load_ushort v35, v[7:8], off offset:64
	global_load_ushort v34, v[9:10], off offset:64
	s_and_saveexec_b32 s26, s1
	s_cbranch_execz .LBB636_14
; %bb.20:                               ;   in Loop: Header=BB636_17 Depth=1
	s_clause 0x3
	global_load_ushort v41, v[5:6], off offset:128
	global_load_ushort v40, v[11:12], off offset:128
	global_load_ushort v39, v[7:8], off offset:128
	global_load_ushort v38, v[9:10], off offset:128
	;; [unrolled: 8-line block ×3, first 2 shown]
	s_waitcnt vmcnt(3)
	v_lshlrev_b32_e32 v5, 16, v5
	s_waitcnt vmcnt(2)
	v_lshlrev_b32_e32 v6, 16, v6
	v_fmac_f32_e32 v18, v33, v5
	s_waitcnt vmcnt(1)
	v_lshlrev_b32_e32 v5, 16, v7
	v_fmac_f32_e32 v18, v29, v6
	;; [unrolled: 3-line block ×3, first 2 shown]
	v_fmac_f32_e32 v18, v27, v6
	s_branch .LBB636_13
.LBB636_22:
	s_or_b32 exec_lo, exec_lo, s22
.LBB636_23:
	s_or_b32 exec_lo, exec_lo, s20
	s_sub_i32 s0, s9, s6
	s_cmp_lt_i32 s0, 1
	s_cbranch_scc1 .LBB636_41
; %bb.24:
	v_cmp_gt_i32_e32 vcc_lo, s9, v20
	v_mov_b32_e32 v11, 0
	v_or_b32_e32 v2, 1, v20
	v_mov_b32_e32 v10, 0
	v_mov_b32_e32 v21, 0
	;; [unrolled: 1-line block ×3, first 2 shown]
	s_and_saveexec_b32 s1, vcc_lo
	s_cbranch_execz .LBB636_32
; %bb.25:
	v_mul_lo_u32 v3, v20, s4
	v_mov_b32_e32 v12, 0
	v_mov_b32_e32 v10, 0
	;; [unrolled: 1-line block ×3, first 2 shown]
	s_mov_b32 s2, exec_lo
	v_ashrrev_i32_e32 v4, 31, v3
	v_lshlrev_b64 v[3:4], 1, v[3:4]
	v_add_co_u32 v3, s0, s18, v3
	v_add_co_ci_u32_e64 v4, null, s19, v4, s0
	global_load_ushort v3, v[3:4], off
	v_cmpx_gt_i32_e64 s9, v2
	s_cbranch_execz .LBB636_31
; %bb.26:
	v_mul_lo_u32 v4, v2, s4
	v_mov_b32_e32 v10, 0
	v_mov_b32_e32 v11, 0
	s_mov_b32 s3, exec_lo
	v_ashrrev_i32_e32 v5, 31, v4
	v_lshlrev_b64 v[4:5], 1, v[4:5]
	v_add_co_u32 v4, s0, s18, v4
	v_add_co_ci_u32_e64 v5, null, s19, v5, s0
	global_load_ushort v4, v[4:5], off
	v_or_b32_e32 v5, 2, v20
	v_cmpx_gt_i32_e64 s9, v5
	s_cbranch_execz .LBB636_30
; %bb.27:
	v_mul_lo_u32 v5, v5, s4
	v_mov_b32_e32 v10, 0
	s_mov_b32 s6, exec_lo
	v_ashrrev_i32_e32 v6, 31, v5
	v_lshlrev_b64 v[5:6], 1, v[5:6]
	v_add_co_u32 v5, s0, s18, v5
	v_add_co_ci_u32_e64 v6, null, s19, v6, s0
	global_load_ushort v5, v[5:6], off
	v_or_b32_e32 v6, 3, v20
	v_cmpx_gt_i32_e64 s9, v6
	s_cbranch_execz .LBB636_29
; %bb.28:
	v_mul_lo_u32 v6, v6, s4
	v_ashrrev_i32_e32 v7, 31, v6
	v_lshlrev_b64 v[6:7], 1, v[6:7]
	v_add_co_u32 v6, s0, s18, v6
	v_add_co_ci_u32_e64 v7, null, s19, v7, s0
	global_load_ushort v6, v[6:7], off
	s_waitcnt vmcnt(0)
	v_lshlrev_b32_e32 v10, 16, v6
.LBB636_29:
	s_or_b32 exec_lo, exec_lo, s6
	s_waitcnt vmcnt(0)
	v_lshlrev_b32_e32 v11, 16, v5
.LBB636_30:
	s_or_b32 exec_lo, exec_lo, s3
	s_waitcnt vmcnt(0)
	v_lshlrev_b32_e32 v12, 16, v4
.LBB636_31:
	s_or_b32 exec_lo, exec_lo, s2
	s_waitcnt vmcnt(0)
	v_lshlrev_b32_e32 v21, 16, v3
.LBB636_32:
	s_or_b32 exec_lo, exec_lo, s1
	s_mov_b32 s1, exec_lo
	v_cmpx_gt_i32_e64 s8, v19
	s_cbranch_execz .LBB636_40
; %bb.33:
	v_mul_lo_u32 v3, v20, s16
	v_mul_lo_u32 v4, v2, s16
	v_or_b32_e32 v5, 2, v20
	v_or_b32_e32 v6, 3, v20
	s_mov_b32 s0, exec_lo
	v_mul_lo_u32 v7, v5, s16
	v_cndmask_b32_e32 v3, 0, v3, vcc_lo
	v_cmp_gt_i32_e32 vcc_lo, s9, v2
	v_mul_lo_u32 v8, v6, s16
	v_add_nc_u32_e32 v2, v3, v19
	v_cndmask_b32_e32 v4, 0, v4, vcc_lo
	v_cmp_gt_i32_e32 vcc_lo, s9, v5
	v_ashrrev_i32_e32 v3, 31, v2
	v_add_nc_u32_e32 v4, v4, v19
	v_cndmask_b32_e32 v7, 0, v7, vcc_lo
	v_cmp_gt_i32_e32 vcc_lo, s9, v6
	v_lshlrev_b64 v[2:3], 1, v[2:3]
	v_ashrrev_i32_e32 v5, 31, v4
	v_add_nc_u32_e32 v6, v7, v19
	v_cndmask_b32_e32 v8, 0, v8, vcc_lo
	v_lshlrev_b64 v[4:5], 1, v[4:5]
	v_ashrrev_i32_e32 v7, 31, v6
	v_add_nc_u32_e32 v8, v8, v19
	v_add_co_u32 v2, vcc_lo, s7, v2
	v_add_co_ci_u32_e64 v3, null, s17, v3, vcc_lo
	v_ashrrev_i32_e32 v9, 31, v8
	v_add_co_u32 v4, vcc_lo, s7, v4
	v_add_co_ci_u32_e64 v5, null, s17, v5, vcc_lo
	v_lshlrev_b64 v[6:7], 1, v[6:7]
	v_lshlrev_b64 v[8:9], 1, v[8:9]
	s_clause 0x1
	global_load_ushort v20, v[2:3], off
	global_load_ushort v22, v[4:5], off
	v_add_co_u32 v6, vcc_lo, s7, v6
	v_add_co_ci_u32_e64 v7, null, s17, v7, vcc_lo
	v_add_co_u32 v8, vcc_lo, s7, v8
	v_add_co_ci_u32_e64 v9, null, s17, v9, vcc_lo
	s_clause 0x1
	global_load_ushort v23, v[6:7], off
	global_load_ushort v24, v[8:9], off
	s_waitcnt vmcnt(3)
	v_lshlrev_b32_e32 v20, 16, v20
	s_waitcnt vmcnt(2)
	v_lshlrev_b32_e32 v22, 16, v22
	v_fmac_f32_e32 v15, v21, v20
	v_fmac_f32_e32 v15, v12, v22
	v_add_nc_u32_e32 v22, 32, v19
	s_waitcnt vmcnt(1)
	v_lshlrev_b32_e32 v23, 16, v23
	s_waitcnt vmcnt(0)
	v_lshlrev_b32_e32 v20, 16, v24
	v_fmac_f32_e32 v15, v11, v23
	v_cmpx_gt_i32_e64 s8, v22
	s_cbranch_execz .LBB636_39
; %bb.34:
	s_clause 0x3
	global_load_ushort v22, v[2:3], off offset:64
	global_load_ushort v23, v[4:5], off offset:64
	;; [unrolled: 1-line block ×4, first 2 shown]
	s_mov_b32 s2, exec_lo
	s_waitcnt vmcnt(3)
	v_lshlrev_b32_e32 v22, 16, v22
	s_waitcnt vmcnt(2)
	v_lshlrev_b32_e32 v23, 16, v23
	;; [unrolled: 2-line block ×3, first 2 shown]
	v_fmac_f32_e32 v16, v21, v22
	s_waitcnt vmcnt(0)
	v_lshlrev_b32_e32 v22, 16, v25
	v_fmac_f32_e32 v16, v12, v23
	v_add_nc_u32_e32 v23, 64, v19
	v_fmac_f32_e32 v16, v11, v24
	v_cmpx_gt_i32_e64 s8, v23
	s_cbranch_execz .LBB636_38
; %bb.35:
	s_clause 0x3
	global_load_ushort v23, v[2:3], off offset:128
	global_load_ushort v24, v[4:5], off offset:128
	;; [unrolled: 1-line block ×4, first 2 shown]
	s_mov_b32 s3, exec_lo
	s_waitcnt vmcnt(3)
	v_lshlrev_b32_e32 v23, 16, v23
	s_waitcnt vmcnt(2)
	v_lshlrev_b32_e32 v24, 16, v24
	v_fmac_f32_e32 v17, v21, v23
	s_waitcnt vmcnt(1)
	v_lshlrev_b32_e32 v23, 16, v25
	v_fmac_f32_e32 v17, v12, v24
	v_add_nc_u32_e32 v24, 0x60, v19
	s_waitcnt vmcnt(0)
	v_lshlrev_b32_e32 v19, 16, v26
	v_fmac_f32_e32 v17, v11, v23
	v_cmpx_gt_i32_e64 s8, v24
	s_cbranch_execz .LBB636_37
; %bb.36:
	s_clause 0x3
	global_load_ushort v2, v[2:3], off offset:192
	global_load_ushort v3, v[4:5], off offset:192
	;; [unrolled: 1-line block ×4, first 2 shown]
	s_waitcnt vmcnt(3)
	v_lshlrev_b32_e32 v2, 16, v2
	s_waitcnt vmcnt(2)
	v_lshlrev_b32_e32 v3, 16, v3
	v_fmac_f32_e32 v18, v21, v2
	s_waitcnt vmcnt(1)
	v_lshlrev_b32_e32 v2, 16, v4
	v_fmac_f32_e32 v18, v12, v3
	;; [unrolled: 3-line block ×3, first 2 shown]
	v_fmac_f32_e32 v18, v10, v3
.LBB636_37:
	s_or_b32 exec_lo, exec_lo, s3
	v_fmac_f32_e32 v17, v10, v19
.LBB636_38:
	s_or_b32 exec_lo, exec_lo, s2
	v_fmac_f32_e32 v16, v10, v22
.LBB636_39:
	s_or_b32 exec_lo, exec_lo, s0
	v_fmac_f32_e32 v15, v10, v20
.LBB636_40:
	s_or_b32 exec_lo, exec_lo, s1
.LBB636_41:
	v_lshlrev_b32_e32 v0, 2, v0
	s_mov_b32 s0, exec_lo
                                        ; implicit-def: $vgpr3
                                        ; implicit-def: $vgpr4_vgpr5
	v_lshl_add_u32 v1, v1, 9, v0
	ds_write2_b32 v1, v15, v16 offset1:32
	ds_write2_b32 v1, v17, v18 offset0:64 offset1:96
	s_waitcnt lgkmcnt(0)
	s_barrier
	buffer_gl0_inv
	v_cmpx_gt_u32_e32 0x80, v13
	s_cbranch_execz .LBB636_47
; %bb.42:
	v_lshl_add_u32 v6, v14, 2, v0
	s_mov_b32 s2, s14
	s_mov_b32 s1, exec_lo
	ds_read2st64_b32 v[0:1], v6 offset1:2
	ds_read2st64_b32 v[2:3], v6 offset0:4 offset1:6
	ds_read2st64_b32 v[4:5], v6 offset0:8 offset1:10
	s_waitcnt lgkmcnt(2)
	v_add_f32_e32 v7, v0, v1
	ds_read2st64_b32 v[0:1], v6 offset0:12 offset1:14
	s_waitcnt lgkmcnt(2)
	v_add_f32_e32 v2, v2, v7
	v_add_f32_e32 v7, v3, v2
	ds_read2st64_b32 v[2:3], v6 offset0:16 offset1:18
	s_waitcnt lgkmcnt(2)
	v_add_f32_e32 v4, v4, v7
	;; [unrolled: 4-line block ×3, first 2 shown]
	v_add_f32_e32 v0, v1, v0
	s_waitcnt lgkmcnt(1)
	v_add_f32_e32 v2, v2, v0
	ds_read2st64_b32 v[0:1], v6 offset0:24 offset1:26
	v_add_f32_e32 v2, v3, v2
	s_waitcnt lgkmcnt(1)
	v_add_f32_e32 v4, v4, v2
	ds_read2st64_b32 v[2:3], v6 offset0:28 offset1:30
	v_add_f32_e32 v4, v5, v4
	s_waitcnt lgkmcnt(1)
	v_add_f32_e32 v0, v0, v4
                                        ; implicit-def: $vgpr4_vgpr5
	v_add_f32_e32 v0, v1, v0
	v_or_b32_e32 v1, s5, v13
	s_waitcnt lgkmcnt(0)
	v_add_f32_e32 v0, v2, v0
	v_add_f32_e32 v0, v3, v0
                                        ; implicit-def: $vgpr3
	ds_write_b32 v6, v0
	v_cmpx_gt_i32_e64 s8, v1
	s_cbranch_execz .LBB636_46
; %bb.43:
	v_mul_lo_u32 v4, s15, v1
	v_cmp_eq_f32_e64 s2, s13, 0
	v_mul_f32_e32 v3, s10, v0
	s_and_b32 vcc_lo, exec_lo, s2
	v_ashrrev_i32_e32 v5, 31, v4
	s_cbranch_vccnz .LBB636_45
; %bb.44:
	v_lshlrev_b64 v[0:1], 2, v[4:5]
	v_add_co_u32 v0, vcc_lo, s11, v0
	v_add_co_ci_u32_e64 v1, null, s12, v1, vcc_lo
	global_load_dword v0, v[0:1], off
	s_waitcnt vmcnt(0)
	v_fmac_f32_e32 v3, s13, v0
.LBB636_45:
	s_or_b32 s2, s14, exec_lo
.LBB636_46:
	s_or_b32 exec_lo, exec_lo, s1
	s_andn2_b32 s1, s14, exec_lo
	s_and_b32 s2, s2, exec_lo
	s_or_b32 s14, s1, s2
.LBB636_47:
	s_or_b32 exec_lo, exec_lo, s0
.LBB636_48:
	s_and_saveexec_b32 s0, s14
	s_cbranch_execz .LBB636_50
; %bb.49:
	v_lshlrev_b64 v[0:1], 2, v[4:5]
	v_add_co_u32 v0, vcc_lo, s11, v0
	v_add_co_ci_u32_e64 v1, null, s12, v1, vcc_lo
	global_store_dword v[0:1], v3, off
.LBB636_50:
	s_endpgm
	.section	.rodata,"a",@progbits
	.p2align	6, 0x0
	.amdhsa_kernel _ZL20rocblas_gemvn_kernelILi32ELi16Ei16rocblas_bfloat16ffEviiT3_lPKT2_lT1_lS4_lS5_lS1_lPT4_lS5_li
		.amdhsa_group_segment_fixed_size 8192
		.amdhsa_private_segment_fixed_size 0
		.amdhsa_kernarg_size 400
		.amdhsa_user_sgpr_count 6
		.amdhsa_user_sgpr_private_segment_buffer 1
		.amdhsa_user_sgpr_dispatch_ptr 0
		.amdhsa_user_sgpr_queue_ptr 0
		.amdhsa_user_sgpr_kernarg_segment_ptr 1
		.amdhsa_user_sgpr_dispatch_id 0
		.amdhsa_user_sgpr_flat_scratch_init 0
		.amdhsa_user_sgpr_private_segment_size 0
		.amdhsa_wavefront_size32 1
		.amdhsa_uses_dynamic_stack 0
		.amdhsa_system_sgpr_private_segment_wavefront_offset 0
		.amdhsa_system_sgpr_workgroup_id_x 1
		.amdhsa_system_sgpr_workgroup_id_y 0
		.amdhsa_system_sgpr_workgroup_id_z 1
		.amdhsa_system_sgpr_workgroup_info 0
		.amdhsa_system_vgpr_workitem_id 1
		.amdhsa_next_free_vgpr 42
		.amdhsa_next_free_sgpr 28
		.amdhsa_reserve_vcc 1
		.amdhsa_reserve_flat_scratch 0
		.amdhsa_float_round_mode_32 0
		.amdhsa_float_round_mode_16_64 0
		.amdhsa_float_denorm_mode_32 3
		.amdhsa_float_denorm_mode_16_64 3
		.amdhsa_dx10_clamp 1
		.amdhsa_ieee_mode 1
		.amdhsa_fp16_overflow 0
		.amdhsa_workgroup_processor_mode 1
		.amdhsa_memory_ordered 1
		.amdhsa_forward_progress 1
		.amdhsa_shared_vgpr_count 0
		.amdhsa_exception_fp_ieee_invalid_op 0
		.amdhsa_exception_fp_denorm_src 0
		.amdhsa_exception_fp_ieee_div_zero 0
		.amdhsa_exception_fp_ieee_overflow 0
		.amdhsa_exception_fp_ieee_underflow 0
		.amdhsa_exception_fp_ieee_inexact 0
		.amdhsa_exception_int_div_zero 0
	.end_amdhsa_kernel
	.section	.text._ZL20rocblas_gemvn_kernelILi32ELi16Ei16rocblas_bfloat16ffEviiT3_lPKT2_lT1_lS4_lS5_lS1_lPT4_lS5_li,"axG",@progbits,_ZL20rocblas_gemvn_kernelILi32ELi16Ei16rocblas_bfloat16ffEviiT3_lPKT2_lT1_lS4_lS5_lS1_lPT4_lS5_li,comdat
.Lfunc_end636:
	.size	_ZL20rocblas_gemvn_kernelILi32ELi16Ei16rocblas_bfloat16ffEviiT3_lPKT2_lT1_lS4_lS5_lS1_lPT4_lS5_li, .Lfunc_end636-_ZL20rocblas_gemvn_kernelILi32ELi16Ei16rocblas_bfloat16ffEviiT3_lPKT2_lT1_lS4_lS5_lS1_lPT4_lS5_li
                                        ; -- End function
	.set _ZL20rocblas_gemvn_kernelILi32ELi16Ei16rocblas_bfloat16ffEviiT3_lPKT2_lT1_lS4_lS5_lS1_lPT4_lS5_li.num_vgpr, 42
	.set _ZL20rocblas_gemvn_kernelILi32ELi16Ei16rocblas_bfloat16ffEviiT3_lPKT2_lT1_lS4_lS5_lS1_lPT4_lS5_li.num_agpr, 0
	.set _ZL20rocblas_gemvn_kernelILi32ELi16Ei16rocblas_bfloat16ffEviiT3_lPKT2_lT1_lS4_lS5_lS1_lPT4_lS5_li.numbered_sgpr, 28
	.set _ZL20rocblas_gemvn_kernelILi32ELi16Ei16rocblas_bfloat16ffEviiT3_lPKT2_lT1_lS4_lS5_lS1_lPT4_lS5_li.num_named_barrier, 0
	.set _ZL20rocblas_gemvn_kernelILi32ELi16Ei16rocblas_bfloat16ffEviiT3_lPKT2_lT1_lS4_lS5_lS1_lPT4_lS5_li.private_seg_size, 0
	.set _ZL20rocblas_gemvn_kernelILi32ELi16Ei16rocblas_bfloat16ffEviiT3_lPKT2_lT1_lS4_lS5_lS1_lPT4_lS5_li.uses_vcc, 1
	.set _ZL20rocblas_gemvn_kernelILi32ELi16Ei16rocblas_bfloat16ffEviiT3_lPKT2_lT1_lS4_lS5_lS1_lPT4_lS5_li.uses_flat_scratch, 0
	.set _ZL20rocblas_gemvn_kernelILi32ELi16Ei16rocblas_bfloat16ffEviiT3_lPKT2_lT1_lS4_lS5_lS1_lPT4_lS5_li.has_dyn_sized_stack, 0
	.set _ZL20rocblas_gemvn_kernelILi32ELi16Ei16rocblas_bfloat16ffEviiT3_lPKT2_lT1_lS4_lS5_lS1_lPT4_lS5_li.has_recursion, 0
	.set _ZL20rocblas_gemvn_kernelILi32ELi16Ei16rocblas_bfloat16ffEviiT3_lPKT2_lT1_lS4_lS5_lS1_lPT4_lS5_li.has_indirect_call, 0
	.section	.AMDGPU.csdata,"",@progbits
; Kernel info:
; codeLenInByte = 2900
; TotalNumSgprs: 30
; NumVgprs: 42
; ScratchSize: 0
; MemoryBound: 0
; FloatMode: 240
; IeeeMode: 1
; LDSByteSize: 8192 bytes/workgroup (compile time only)
; SGPRBlocks: 0
; VGPRBlocks: 5
; NumSGPRsForWavesPerEU: 30
; NumVGPRsForWavesPerEU: 42
; Occupancy: 16
; WaveLimiterHint : 1
; COMPUTE_PGM_RSRC2:SCRATCH_EN: 0
; COMPUTE_PGM_RSRC2:USER_SGPR: 6
; COMPUTE_PGM_RSRC2:TRAP_HANDLER: 0
; COMPUTE_PGM_RSRC2:TGID_X_EN: 1
; COMPUTE_PGM_RSRC2:TGID_Y_EN: 0
; COMPUTE_PGM_RSRC2:TGID_Z_EN: 1
; COMPUTE_PGM_RSRC2:TIDIG_COMP_CNT: 1
	.section	.text._ZL20rocblas_gemvn_kernelILi32ELi16El16rocblas_bfloat16ffEviiT3_lPKT2_lT1_lS4_lS5_lS1_lPT4_lS5_li,"axG",@progbits,_ZL20rocblas_gemvn_kernelILi32ELi16El16rocblas_bfloat16ffEviiT3_lPKT2_lT1_lS4_lS5_lS1_lPT4_lS5_li,comdat
	.globl	_ZL20rocblas_gemvn_kernelILi32ELi16El16rocblas_bfloat16ffEviiT3_lPKT2_lT1_lS4_lS5_lS1_lPT4_lS5_li ; -- Begin function _ZL20rocblas_gemvn_kernelILi32ELi16El16rocblas_bfloat16ffEviiT3_lPKT2_lT1_lS4_lS5_lS1_lPT4_lS5_li
	.p2align	8
	.type	_ZL20rocblas_gemvn_kernelILi32ELi16El16rocblas_bfloat16ffEviiT3_lPKT2_lT1_lS4_lS5_lS1_lPT4_lS5_li,@function
_ZL20rocblas_gemvn_kernelILi32ELi16El16rocblas_bfloat16ffEviiT3_lPKT2_lT1_lS4_lS5_lS1_lPT4_lS5_li: ; @_ZL20rocblas_gemvn_kernelILi32ELi16El16rocblas_bfloat16ffEviiT3_lPKT2_lT1_lS4_lS5_lS1_lPT4_lS5_li
; %bb.0:
	s_load_dwordx2 s[0:1], s[4:5], 0x9c
	s_waitcnt lgkmcnt(0)
	s_lshr_b32 s2, s0, 16
	s_and_b32 s0, s0, 0xffff
	s_and_b32 s1, s1, 0xffff
	s_mul_i32 s0, s2, s0
	s_mul_i32 s0, s0, s1
	s_cmpk_lg_i32 s0, 0x200
	s_cbranch_scc1 .LBB637_50
; %bb.1:
	s_clause 0x1
	s_load_dwordx4 s[28:31], s[4:5], 0x0
	s_load_dword s36, s[4:5], 0x58
	s_mov_b32 s37, 0
	s_waitcnt lgkmcnt(0)
	v_cmp_eq_f32_e64 s0, s30, 0
	v_cmp_eq_f32_e64 s1, s36, 1.0
	s_and_b32 s0, s0, s1
	s_and_b32 vcc_lo, exec_lo, s0
	s_cbranch_vccnz .LBB637_50
; %bb.2:
	s_load_dwordx8 s[20:27], s[4:5], 0x68
	v_lshlrev_b32_e32 v14, 5, v1
	v_add_nc_u32_e32 v13, v14, v0
	s_waitcnt lgkmcnt(0)
	s_mul_i32 s1, s27, s7
	s_mul_hi_u32 s2, s26, s7
	s_mul_i32 s0, s26, s7
	s_add_i32 s1, s2, s1
	v_cmp_neq_f32_e64 s2, s30, 0
	s_lshl_b64 s[0:1], s[0:1], 2
	s_add_u32 s3, s20, s0
	s_addc_u32 s8, s21, s1
	s_lshl_b64 s[0:1], s[22:23], 2
	s_add_u32 s31, s3, s0
	v_cmp_gt_u32_e64 s0, 0x80, v13
	s_addc_u32 s33, s8, s1
	s_and_b32 vcc_lo, exec_lo, s2
	s_cbranch_vccnz .LBB637_9
; %bb.3:
	s_mov_b32 s1, 0
                                        ; implicit-def: $vgpr3
                                        ; implicit-def: $vgpr4_vgpr5
	s_and_saveexec_b32 s2, s0
	s_cbranch_execz .LBB637_10
; %bb.4:
	v_lshl_or_b32 v2, s6, 7, v13
	v_mov_b32_e32 v3, 0
	s_ashr_i32 s9, s28, 31
	s_mov_b32 s8, s28
	s_mov_b32 s3, 0
	s_mov_b32 s0, exec_lo
                                        ; implicit-def: $vgpr4_vgpr5
	v_cmpx_gt_i64_e64 s[8:9], v[2:3]
	s_cbranch_execz .LBB637_8
; %bb.5:
	v_mad_u64_u32 v[4:5], null, s24, v2, 0
	v_cmp_eq_f32_e64 s3, s36, 0
	s_and_b32 vcc_lo, exec_lo, s3
	v_mad_u64_u32 v[5:6], null, s25, v2, v[5:6]
	s_cbranch_vccnz .LBB637_7
; %bb.6:
	v_lshlrev_b64 v[2:3], 2, v[4:5]
	v_add_co_u32 v2, vcc_lo, s31, v2
	v_add_co_ci_u32_e64 v3, null, s33, v3, vcc_lo
	global_load_dword v2, v[2:3], off
	s_waitcnt vmcnt(0)
	v_mul_f32_e32 v3, s36, v2
.LBB637_7:
	s_mov_b32 s3, exec_lo
.LBB637_8:
	s_or_b32 exec_lo, exec_lo, s0
	s_and_b32 s37, s3, exec_lo
	s_or_b32 exec_lo, exec_lo, s2
	s_and_b32 vcc_lo, exec_lo, s1
	s_cbranch_vccnz .LBB637_11
	s_branch .LBB637_48
.LBB637_9:
                                        ; implicit-def: $vgpr3
                                        ; implicit-def: $vgpr4_vgpr5
	s_cbranch_execnz .LBB637_11
	s_branch .LBB637_48
.LBB637_10:
	s_or_b32 exec_lo, exec_lo, s2
	s_and_b32 vcc_lo, exec_lo, s1
	s_cbranch_vccz .LBB637_48
.LBB637_11:
	s_load_dwordx16 s[8:23], s[4:5], 0x18
	s_ashr_i32 s0, s29, 31
	s_lshl_b32 s5, s6, 7
	s_lshr_b32 s0, s0, 26
	v_lshlrev_b32_e32 v19, 2, v1
	v_mov_b32_e32 v15, 0
	v_mov_b32_e32 v16, 0
	v_mov_b32_e32 v17, 0
	v_mov_b32_e32 v18, 0
	v_add_nc_u32_e32 v2, s5, v0
	s_add_i32 s38, s29, s0
	s_mov_b32 s39, exec_lo
	s_andn2_b32 s38, s38, 63
	s_waitcnt lgkmcnt(0)
	s_mul_i32 s0, s15, s7
	s_mul_hi_u32 s1, s14, s7
	s_mul_i32 s2, s23, s7
	s_mul_hi_u32 s3, s22, s7
	s_mul_i32 s14, s14, s7
	s_add_i32 s15, s1, s0
	s_add_i32 s23, s3, s2
	s_mul_i32 s22, s22, s7
	v_cmpx_gt_i32_e64 s38, v19
	s_cbranch_execz .LBB637_23
; %bb.12:
	v_lshlrev_b32_e32 v30, 2, v1
	v_mad_u64_u32 v[4:5], null, s20, v1, 0
	v_add_nc_u32_e32 v11, 32, v2
	v_add_nc_u32_e32 v12, 64, v2
	v_or_b32_e32 v15, 3, v30
	s_lshl_b64 s[0:1], s[22:23], 1
	s_lshl_b64 s[6:7], s[18:19], 1
	s_add_u32 s4, s16, s0
	s_addc_u32 s42, s17, s1
	v_mad_u64_u32 v[6:7], null, s12, v15, 0
	v_cmp_gt_i32_e64 s0, s28, v11
	v_cmp_gt_i32_e64 s1, s28, v12
	v_add_nc_u32_e32 v16, 0x60, v2
	v_or_b32_e32 v24, 2, v30
	s_lshl_b64 s[34:35], s[10:11], 1
	s_lshl_b64 s[26:27], s[20:21], 7
	v_mad_u64_u32 v[8:9], null, s21, v1, v[5:6]
	v_mad_u64_u32 v[9:10], null, s20, v15, 0
	v_cmp_gt_i32_e64 s2, s28, v16
	s_lshl_b64 s[40:41], s[14:15], 1
	v_mad_u64_u32 v[28:29], null, s20, v24, 0
	v_mov_b32_e32 v5, v8
	v_mad_u64_u32 v[7:8], null, s13, v15, v[7:8]
	v_mad_u64_u32 v[32:33], null, s12, v30, s[12:13]
	v_lshlrev_b64 v[11:12], 3, v[4:5]
	v_mov_b32_e32 v5, v10
	v_mov_b32_e32 v8, v29
	v_ashrrev_i32_e32 v3, 31, v2
	v_lshlrev_b64 v[6:7], 1, v[6:7]
	v_cmp_gt_i32_e32 vcc_lo, s28, v2
	v_add_co_u32 v20, s3, s4, v11
	v_add_co_ci_u32_e64 v21, null, s42, v12, s3
	v_mad_u64_u32 v[15:16], null, s21, v15, v[5:6]
	v_mad_u64_u32 v[11:12], null, s12, v1, 0
	s_add_u32 s3, s8, s34
	s_addc_u32 s34, s9, s35
	s_add_u32 s35, s3, s40
	s_addc_u32 s34, s34, s41
	v_mov_b32_e32 v10, v15
	v_mad_u64_u32 v[15:16], null, s12, v24, 0
	v_mov_b32_e32 v5, v12
	v_add_co_u32 v22, s3, s35, v6
	v_add_co_ci_u32_e64 v23, null, s34, v7, s3
	v_mad_u64_u32 v[17:18], null, s13, v1, v[5:6]
	v_lshlrev_b64 v[6:7], 1, v[9:10]
	v_mov_b32_e32 v5, v16
	v_lshlrev_b64 v[3:4], 1, v[2:3]
	s_mov_b32 s40, 0
	v_mad_u64_u32 v[9:10], null, s13, v24, v[5:6]
	v_mov_b32_e32 v12, v17
	v_mad_u64_u32 v[17:18], null, s20, v30, s[20:21]
	v_mad_u64_u32 v[26:27], null, s21, v24, v[8:9]
	v_add_co_u32 v24, s3, s4, v6
	v_add_co_ci_u32_e64 v25, null, s42, v7, s3
	v_lshlrev_b64 v[6:7], 3, v[11:12]
	v_mov_b32_e32 v5, v18
	v_mov_b32_e32 v16, v9
	;; [unrolled: 1-line block ×3, first 2 shown]
	v_add_co_u32 v26, s3, s35, v6
	v_mad_u64_u32 v[8:9], null, s21, v30, v[5:6]
	v_add_co_ci_u32_e64 v27, null, s34, v7, s3
	v_lshlrev_b64 v[6:7], 1, v[15:16]
	v_mov_b32_e32 v5, v33
	v_mov_b32_e32 v15, 0
	;; [unrolled: 1-line block ×4, first 2 shown]
	v_mad_u64_u32 v[9:10], null, s13, v30, v[5:6]
	v_lshlrev_b64 v[10:11], 1, v[28:29]
	v_add_co_u32 v28, s3, s35, v6
	v_lshlrev_b64 v[5:6], 1, v[17:18]
	v_add_co_ci_u32_e64 v29, null, s34, v7, s3
	v_mov_b32_e32 v33, v9
	v_add_co_u32 v30, s3, s4, v10
	v_add_co_ci_u32_e64 v31, null, s42, v11, s3
	v_lshlrev_b64 v[7:8], 1, v[32:33]
	v_add_co_u32 v32, s3, s4, v5
	v_add_co_ci_u32_e64 v33, null, s42, v6, s3
	v_mov_b32_e32 v17, 0
	v_add_co_u32 v34, s3, s35, v7
	v_add_co_ci_u32_e64 v35, null, s34, v8, s3
	v_mov_b32_e32 v18, 0
	s_lshl_b64 s[34:35], s[12:13], 7
	s_branch .LBB637_17
.LBB637_13:                             ;   in Loop: Header=BB637_17 Depth=1
	s_or_b32 exec_lo, exec_lo, s42
	s_waitcnt vmcnt(3)
	v_lshlrev_b32_e32 v5, 16, v51
	s_waitcnt vmcnt(2)
	v_lshlrev_b32_e32 v6, 16, v50
	v_fmac_f32_e32 v17, v43, v5
	s_waitcnt vmcnt(1)
	v_lshlrev_b32_e32 v5, 16, v49
	v_fmac_f32_e32 v17, v39, v6
	v_fmac_f32_e32 v17, v41, v5
	s_waitcnt vmcnt(0)
	v_lshlrev_b32_e32 v5, 16, v48
	v_fmac_f32_e32 v17, v37, v5
.LBB637_14:                             ;   in Loop: Header=BB637_17 Depth=1
	s_or_b32 exec_lo, exec_lo, s41
	s_waitcnt vmcnt(3)
	v_lshlrev_b32_e32 v5, 16, v47
	s_waitcnt vmcnt(2)
	v_lshlrev_b32_e32 v6, 16, v46
	v_fmac_f32_e32 v16, v43, v5
	s_waitcnt vmcnt(1)
	v_lshlrev_b32_e32 v5, 16, v45
	v_fmac_f32_e32 v16, v39, v6
	v_fmac_f32_e32 v16, v41, v5
	s_waitcnt vmcnt(0)
	v_lshlrev_b32_e32 v5, 16, v44
	v_fmac_f32_e32 v16, v37, v5
.LBB637_15:                             ;   in Loop: Header=BB637_17 Depth=1
	s_or_b32 exec_lo, exec_lo, s3
	s_waitcnt vmcnt(3)
	v_lshlrev_b32_e32 v5, 16, v42
	s_waitcnt vmcnt(2)
	v_lshlrev_b32_e32 v6, 16, v40
	v_fmac_f32_e32 v15, v43, v5
	s_waitcnt vmcnt(1)
	v_lshlrev_b32_e32 v5, 16, v38
	v_fmac_f32_e32 v15, v39, v6
	v_fmac_f32_e32 v15, v41, v5
	s_waitcnt vmcnt(0)
	v_lshlrev_b32_e32 v5, 16, v36
	v_fmac_f32_e32 v15, v37, v5
.LBB637_16:                             ;   in Loop: Header=BB637_17 Depth=1
	s_or_b32 exec_lo, exec_lo, s4
	v_add_co_u32 v20, s3, v20, s26
	v_add_co_ci_u32_e64 v21, null, s27, v21, s3
	v_add_co_u32 v22, s3, v22, s34
	v_add_co_ci_u32_e64 v23, null, s35, v23, s3
	;; [unrolled: 2-line block ×4, first 2 shown]
	v_add_co_u32 v28, s3, v28, s34
	v_add_nc_u32_e32 v19, 64, v19
	v_add_co_ci_u32_e64 v29, null, s35, v29, s3
	v_add_co_u32 v30, s3, v30, s26
	v_add_co_ci_u32_e64 v31, null, s27, v31, s3
	v_add_co_u32 v32, s3, v32, s26
	v_add_co_ci_u32_e64 v33, null, s27, v33, s3
	v_cmp_le_i32_e64 s3, s38, v19
	v_add_co_u32 v34, s4, v34, s34
	v_add_co_ci_u32_e64 v35, null, s35, v35, s4
	s_or_b32 s40, s3, s40
	s_andn2_b32 exec_lo, exec_lo, s40
	s_cbranch_execz .LBB637_22
.LBB637_17:                             ; =>This Inner Loop Header: Depth=1
	s_and_saveexec_b32 s4, vcc_lo
	s_cbranch_execz .LBB637_16
; %bb.18:                               ;   in Loop: Header=BB637_17 Depth=1
	v_add_co_u32 v5, s3, v20, s6
	v_add_co_ci_u32_e64 v6, null, s7, v21, s3
	v_add_co_u32 v7, s3, v32, s6
	v_add_co_ci_u32_e64 v8, null, s7, v33, s3
	;; [unrolled: 2-line block ×4, first 2 shown]
	global_load_ushort v37, v[5:6], off
	global_load_ushort v39, v[7:8], off
	;; [unrolled: 1-line block ×4, first 2 shown]
	v_add_co_u32 v5, s3, v26, v3
	v_add_co_ci_u32_e64 v6, null, v27, v4, s3
	v_add_co_u32 v9, s3, v34, v3
	v_add_co_ci_u32_e64 v10, null, v35, v4, s3
	v_add_co_u32 v7, s3, v28, v3
	v_add_co_ci_u32_e64 v8, null, v29, v4, s3
	v_add_co_u32 v11, s3, v22, v3
	v_add_co_ci_u32_e64 v12, null, v23, v4, s3
	global_load_ushort v42, v[5:6], off
	global_load_ushort v40, v[9:10], off
	;; [unrolled: 1-line block ×4, first 2 shown]
	s_waitcnt vmcnt(7)
	v_lshlrev_b32_e32 v43, 16, v37
	s_waitcnt vmcnt(6)
	v_lshlrev_b32_e32 v39, 16, v39
	;; [unrolled: 2-line block ×4, first 2 shown]
	s_and_saveexec_b32 s3, s0
	s_cbranch_execz .LBB637_15
; %bb.19:                               ;   in Loop: Header=BB637_17 Depth=1
	global_load_ushort v47, v[5:6], off offset:64
	global_load_ushort v46, v[9:10], off offset:64
	global_load_ushort v45, v[7:8], off offset:64
	global_load_ushort v44, v[11:12], off offset:64
	s_and_saveexec_b32 s41, s1
	s_cbranch_execz .LBB637_14
; %bb.20:                               ;   in Loop: Header=BB637_17 Depth=1
	global_load_ushort v51, v[5:6], off offset:128
	global_load_ushort v50, v[9:10], off offset:128
	global_load_ushort v49, v[7:8], off offset:128
	global_load_ushort v48, v[11:12], off offset:128
	;; [unrolled: 7-line block ×3, first 2 shown]
	s_waitcnt vmcnt(3)
	v_lshlrev_b32_e32 v5, 16, v5
	s_waitcnt vmcnt(2)
	v_lshlrev_b32_e32 v6, 16, v6
	v_fmac_f32_e32 v18, v43, v5
	s_waitcnt vmcnt(1)
	v_lshlrev_b32_e32 v5, 16, v7
	v_fmac_f32_e32 v18, v39, v6
	;; [unrolled: 3-line block ×3, first 2 shown]
	v_fmac_f32_e32 v18, v37, v6
	s_branch .LBB637_13
.LBB637_22:
	s_or_b32 exec_lo, exec_lo, s40
.LBB637_23:
	s_or_b32 exec_lo, exec_lo, s39
	s_sub_i32 s0, s29, s38
	s_cmp_lt_i32 s0, 1
	s_cbranch_scc1 .LBB637_41
; %bb.24:
	v_cmp_gt_i32_e32 vcc_lo, s29, v19
	v_mov_b32_e32 v12, 0
	v_or_b32_e32 v4, 1, v19
	v_mov_b32_e32 v11, 0
	v_mov_b32_e32 v21, 0
	;; [unrolled: 1-line block ×3, first 2 shown]
	s_and_saveexec_b32 s1, vcc_lo
	s_cbranch_execz .LBB637_32
; %bb.25:
	v_mad_u64_u32 v[5:6], null, s20, v19, 0
	s_lshl_b64 s[2:3], s[22:23], 1
	v_mov_b32_e32 v20, 0
	s_add_u32 s0, s16, s2
	s_addc_u32 s2, s17, s3
	s_lshl_b64 s[6:7], s[18:19], 1
	v_mov_b32_e32 v11, 0
	v_mov_b32_e32 v3, v6
	s_add_u32 s3, s0, s6
	s_addc_u32 s4, s2, s7
	v_mov_b32_e32 v12, 0
	s_mov_b32 s2, exec_lo
	v_mad_u64_u32 v[6:7], null, s21, v19, v[3:4]
	v_lshlrev_b64 v[5:6], 1, v[5:6]
	v_add_co_u32 v5, s0, s3, v5
	v_add_co_ci_u32_e64 v6, null, s4, v6, s0
	global_load_ushort v3, v[5:6], off
	v_cmpx_gt_i32_e64 s29, v4
	s_cbranch_execz .LBB637_31
; %bb.26:
	v_mad_u64_u32 v[5:6], null, s20, v4, 0
	v_mov_b32_e32 v11, 0
	v_mov_b32_e32 v12, 0
	s_mov_b32 s6, exec_lo
	v_mad_u64_u32 v[6:7], null, s21, v4, v[6:7]
	v_lshlrev_b64 v[5:6], 1, v[5:6]
	v_add_co_u32 v5, s0, s3, v5
	v_add_co_ci_u32_e64 v6, null, s4, v6, s0
	global_load_ushort v5, v[5:6], off
	v_or_b32_e32 v6, 2, v19
	v_cmpx_gt_i32_e64 s29, v6
	s_cbranch_execz .LBB637_30
; %bb.27:
	v_mad_u64_u32 v[7:8], null, s20, v6, 0
	v_mov_b32_e32 v11, 0
	s_mov_b32 s7, exec_lo
	v_mad_u64_u32 v[8:9], null, s21, v6, v[8:9]
	v_lshlrev_b64 v[6:7], 1, v[7:8]
	v_add_co_u32 v6, s0, s3, v6
	v_add_co_ci_u32_e64 v7, null, s4, v7, s0
	global_load_ushort v6, v[6:7], off
	v_or_b32_e32 v7, 3, v19
	v_cmpx_gt_i32_e64 s29, v7
	s_cbranch_execz .LBB637_29
; %bb.28:
	v_mad_u64_u32 v[8:9], null, s20, v7, 0
	v_mad_u64_u32 v[9:10], null, s21, v7, v[9:10]
	v_lshlrev_b64 v[7:8], 1, v[8:9]
	v_add_co_u32 v7, s0, s3, v7
	v_add_co_ci_u32_e64 v8, null, s4, v8, s0
	global_load_ushort v7, v[7:8], off
	s_waitcnt vmcnt(0)
	v_lshlrev_b32_e32 v11, 16, v7
.LBB637_29:
	s_or_b32 exec_lo, exec_lo, s7
	s_waitcnt vmcnt(0)
	v_lshlrev_b32_e32 v12, 16, v6
.LBB637_30:
	s_or_b32 exec_lo, exec_lo, s6
	s_waitcnt vmcnt(0)
	v_lshlrev_b32_e32 v20, 16, v5
.LBB637_31:
	s_or_b32 exec_lo, exec_lo, s2
	s_waitcnt vmcnt(0)
	v_lshlrev_b32_e32 v21, 16, v3
.LBB637_32:
	s_or_b32 exec_lo, exec_lo, s1
	s_mov_b32 s1, exec_lo
	v_cmpx_gt_i32_e64 s28, v2
	s_cbranch_execz .LBB637_40
; %bb.33:
	v_mad_u64_u32 v[5:6], null, s12, v19, 0
	v_mad_u64_u32 v[7:8], null, s12, v4, 0
	v_ashrrev_i32_e32 v3, 31, v2
	v_or_b32_e32 v29, 2, v19
	s_lshl_b64 s[2:3], s[14:15], 1
	s_add_u32 s0, s8, s2
	v_cndmask_b32_e32 v5, 0, v5, vcc_lo
	v_mad_u64_u32 v[9:10], null, s13, v19, v[6:7]
	v_or_b32_e32 v19, 3, v19
	v_lshlrev_b64 v[22:23], 1, v[2:3]
	v_mad_u64_u32 v[24:25], null, s12, v29, 0
	v_mov_b32_e32 v3, v8
	s_addc_u32 s4, s9, s3
	v_cndmask_b32_e32 v6, 0, v9, vcc_lo
	v_cmp_gt_i32_e32 vcc_lo, s29, v4
	s_lshl_b64 s[2:3], s[10:11], 1
	v_mad_u64_u32 v[8:9], null, s12, v19, 0
	v_lshlrev_b64 v[5:6], 1, v[5:6]
	v_mad_u64_u32 v[26:27], null, s13, v4, v[3:4]
	s_add_u32 s2, s0, s2
	v_cndmask_b32_e32 v27, 0, v7, vcc_lo
	v_mov_b32_e32 v7, v25
	s_addc_u32 s3, s4, s3
	v_add_co_u32 v3, s0, s2, v5
	v_add_co_ci_u32_e64 v4, null, s3, v6, s0
	v_cndmask_b32_e32 v28, 0, v26, vcc_lo
	v_mad_u64_u32 v[25:26], null, s13, v29, v[7:8]
	v_mov_b32_e32 v7, v9
	v_add_co_u32 v3, vcc_lo, v3, v22
	v_add_co_ci_u32_e64 v4, null, v4, v23, vcc_lo
	v_cmp_gt_i32_e32 vcc_lo, s29, v29
	v_lshlrev_b64 v[5:6], 1, v[27:28]
	v_mad_u64_u32 v[26:27], null, s13, v19, v[7:8]
	v_cndmask_b32_e32 v9, 0, v24, vcc_lo
	v_cndmask_b32_e32 v10, 0, v25, vcc_lo
	v_cmp_gt_i32_e32 vcc_lo, s29, v19
	v_add_co_u32 v5, s0, s2, v5
	v_add_co_ci_u32_e64 v6, null, s3, v6, s0
	v_cndmask_b32_e32 v7, 0, v8, vcc_lo
	v_cndmask_b32_e32 v8, 0, v26, vcc_lo
	v_lshlrev_b64 v[9:10], 1, v[9:10]
	v_add_co_u32 v5, s0, v5, v22
	v_add_co_ci_u32_e64 v6, null, v6, v23, s0
	v_lshlrev_b64 v[7:8], 1, v[7:8]
	v_add_co_u32 v9, vcc_lo, s2, v9
	v_add_co_ci_u32_e64 v10, null, s3, v10, vcc_lo
	s_clause 0x1
	global_load_ushort v19, v[3:4], off
	global_load_ushort v24, v[5:6], off
	v_add_co_u32 v25, vcc_lo, s2, v7
	v_add_co_ci_u32_e64 v26, null, s3, v8, vcc_lo
	v_add_co_u32 v7, vcc_lo, v9, v22
	v_add_co_ci_u32_e64 v8, null, v10, v23, vcc_lo
	v_add_co_u32 v9, vcc_lo, v25, v22
	v_add_co_ci_u32_e64 v10, null, v26, v23, vcc_lo
	s_clause 0x1
	global_load_ushort v22, v[7:8], off
	global_load_ushort v23, v[9:10], off
	s_mov_b32 s0, exec_lo
	s_waitcnt vmcnt(3)
	v_lshlrev_b32_e32 v19, 16, v19
	s_waitcnt vmcnt(2)
	v_lshlrev_b32_e32 v24, 16, v24
	v_fmac_f32_e32 v15, v21, v19
	v_fmac_f32_e32 v15, v20, v24
	v_add_nc_u32_e32 v24, 32, v2
	s_waitcnt vmcnt(1)
	v_lshlrev_b32_e32 v22, 16, v22
	s_waitcnt vmcnt(0)
	v_lshlrev_b32_e32 v19, 16, v23
	v_fmac_f32_e32 v15, v12, v22
	v_cmpx_gt_i32_e64 s28, v24
	s_cbranch_execz .LBB637_39
; %bb.34:
	s_clause 0x3
	global_load_ushort v22, v[3:4], off offset:64
	global_load_ushort v23, v[5:6], off offset:64
	;; [unrolled: 1-line block ×4, first 2 shown]
	s_mov_b32 s2, exec_lo
	s_waitcnt vmcnt(3)
	v_lshlrev_b32_e32 v22, 16, v22
	s_waitcnt vmcnt(2)
	v_lshlrev_b32_e32 v23, 16, v23
	;; [unrolled: 2-line block ×3, first 2 shown]
	v_fmac_f32_e32 v16, v21, v22
	s_waitcnt vmcnt(0)
	v_lshlrev_b32_e32 v22, 16, v25
	v_fmac_f32_e32 v16, v20, v23
	v_add_nc_u32_e32 v23, 64, v2
	v_fmac_f32_e32 v16, v12, v24
	v_cmpx_gt_i32_e64 s28, v23
	s_cbranch_execz .LBB637_38
; %bb.35:
	s_clause 0x3
	global_load_ushort v23, v[3:4], off offset:128
	global_load_ushort v24, v[5:6], off offset:128
	;; [unrolled: 1-line block ×4, first 2 shown]
	s_mov_b32 s3, exec_lo
	s_waitcnt vmcnt(3)
	v_lshlrev_b32_e32 v23, 16, v23
	s_waitcnt vmcnt(2)
	v_lshlrev_b32_e32 v24, 16, v24
	v_fmac_f32_e32 v17, v21, v23
	s_waitcnt vmcnt(1)
	v_lshlrev_b32_e32 v23, 16, v25
	v_fmac_f32_e32 v17, v20, v24
	v_add_nc_u32_e32 v24, 0x60, v2
	s_waitcnt vmcnt(0)
	v_lshlrev_b32_e32 v2, 16, v26
	v_fmac_f32_e32 v17, v12, v23
	v_cmpx_gt_i32_e64 s28, v24
	s_cbranch_execz .LBB637_37
; %bb.36:
	s_clause 0x3
	global_load_ushort v3, v[3:4], off offset:192
	global_load_ushort v4, v[5:6], off offset:192
	;; [unrolled: 1-line block ×4, first 2 shown]
	s_waitcnt vmcnt(3)
	v_lshlrev_b32_e32 v3, 16, v3
	s_waitcnt vmcnt(2)
	v_lshlrev_b32_e32 v4, 16, v4
	v_fmac_f32_e32 v18, v21, v3
	s_waitcnt vmcnt(1)
	v_lshlrev_b32_e32 v3, 16, v5
	v_fmac_f32_e32 v18, v20, v4
	;; [unrolled: 3-line block ×3, first 2 shown]
	v_fmac_f32_e32 v18, v11, v4
.LBB637_37:
	s_or_b32 exec_lo, exec_lo, s3
	v_fmac_f32_e32 v17, v11, v2
.LBB637_38:
	s_or_b32 exec_lo, exec_lo, s2
	v_fmac_f32_e32 v16, v11, v22
.LBB637_39:
	s_or_b32 exec_lo, exec_lo, s0
	v_fmac_f32_e32 v15, v11, v19
.LBB637_40:
	s_or_b32 exec_lo, exec_lo, s1
.LBB637_41:
	v_lshlrev_b32_e32 v0, 2, v0
	s_mov_b32 s0, exec_lo
                                        ; implicit-def: $vgpr3
                                        ; implicit-def: $vgpr4_vgpr5
	v_lshl_add_u32 v1, v1, 9, v0
	ds_write2_b32 v1, v15, v16 offset1:32
	ds_write2_b32 v1, v17, v18 offset0:64 offset1:96
	s_waitcnt lgkmcnt(0)
	s_barrier
	buffer_gl0_inv
	v_cmpx_gt_u32_e32 0x80, v13
	s_cbranch_execz .LBB637_47
; %bb.42:
	v_lshl_add_u32 v6, v14, 2, v0
	s_mov_b32 s2, s37
	s_mov_b32 s1, exec_lo
	ds_read2st64_b32 v[0:1], v6 offset1:2
	ds_read2st64_b32 v[2:3], v6 offset0:4 offset1:6
	ds_read2st64_b32 v[4:5], v6 offset0:8 offset1:10
	s_waitcnt lgkmcnt(2)
	v_add_f32_e32 v7, v0, v1
	ds_read2st64_b32 v[0:1], v6 offset0:12 offset1:14
	s_waitcnt lgkmcnt(2)
	v_add_f32_e32 v2, v2, v7
	v_add_f32_e32 v7, v3, v2
	ds_read2st64_b32 v[2:3], v6 offset0:16 offset1:18
	s_waitcnt lgkmcnt(2)
	v_add_f32_e32 v4, v4, v7
	;; [unrolled: 4-line block ×3, first 2 shown]
	v_add_f32_e32 v0, v1, v0
	s_waitcnt lgkmcnt(1)
	v_add_f32_e32 v2, v2, v0
	ds_read2st64_b32 v[0:1], v6 offset0:24 offset1:26
	v_add_f32_e32 v2, v3, v2
	s_waitcnt lgkmcnt(1)
	v_add_f32_e32 v4, v4, v2
	ds_read2st64_b32 v[2:3], v6 offset0:28 offset1:30
	v_add_f32_e32 v4, v5, v4
	s_waitcnt lgkmcnt(1)
	v_add_f32_e32 v0, v0, v4
                                        ; implicit-def: $vgpr4_vgpr5
	v_add_f32_e32 v0, v1, v0
	v_or_b32_e32 v1, s5, v13
	s_waitcnt lgkmcnt(0)
	v_add_f32_e32 v0, v2, v0
	v_add_f32_e32 v0, v3, v0
                                        ; implicit-def: $vgpr3
	ds_write_b32 v6, v0
	v_cmpx_gt_i32_e64 s28, v1
	s_cbranch_execz .LBB637_46
; %bb.43:
	v_ashrrev_i32_e32 v2, 31, v1
	v_mul_lo_u32 v6, s25, v1
	v_mad_u64_u32 v[4:5], null, s24, v1, 0
	v_cmp_eq_f32_e64 s2, s36, 0
	v_mul_lo_u32 v1, s24, v2
	v_mul_f32_e32 v3, s30, v0
	s_and_b32 vcc_lo, exec_lo, s2
	v_add3_u32 v5, v5, v1, v6
	s_cbranch_vccnz .LBB637_45
; %bb.44:
	v_lshlrev_b64 v[0:1], 2, v[4:5]
	v_add_co_u32 v0, vcc_lo, s31, v0
	v_add_co_ci_u32_e64 v1, null, s33, v1, vcc_lo
	global_load_dword v0, v[0:1], off
	s_waitcnt vmcnt(0)
	v_fmac_f32_e32 v3, s36, v0
.LBB637_45:
	s_or_b32 s2, s37, exec_lo
.LBB637_46:
	s_or_b32 exec_lo, exec_lo, s1
	s_andn2_b32 s1, s37, exec_lo
	s_and_b32 s2, s2, exec_lo
	s_or_b32 s37, s1, s2
.LBB637_47:
	s_or_b32 exec_lo, exec_lo, s0
.LBB637_48:
	s_and_saveexec_b32 s0, s37
	s_cbranch_execz .LBB637_50
; %bb.49:
	v_lshlrev_b64 v[0:1], 2, v[4:5]
	v_add_co_u32 v0, vcc_lo, s31, v0
	v_add_co_ci_u32_e64 v1, null, s33, v1, vcc_lo
	global_store_dword v[0:1], v3, off
.LBB637_50:
	s_endpgm
	.section	.rodata,"a",@progbits
	.p2align	6, 0x0
	.amdhsa_kernel _ZL20rocblas_gemvn_kernelILi32ELi16El16rocblas_bfloat16ffEviiT3_lPKT2_lT1_lS4_lS5_lS1_lPT4_lS5_li
		.amdhsa_group_segment_fixed_size 8192
		.amdhsa_private_segment_fixed_size 0
		.amdhsa_kernarg_size 400
		.amdhsa_user_sgpr_count 6
		.amdhsa_user_sgpr_private_segment_buffer 1
		.amdhsa_user_sgpr_dispatch_ptr 0
		.amdhsa_user_sgpr_queue_ptr 0
		.amdhsa_user_sgpr_kernarg_segment_ptr 1
		.amdhsa_user_sgpr_dispatch_id 0
		.amdhsa_user_sgpr_flat_scratch_init 0
		.amdhsa_user_sgpr_private_segment_size 0
		.amdhsa_wavefront_size32 1
		.amdhsa_uses_dynamic_stack 0
		.amdhsa_system_sgpr_private_segment_wavefront_offset 0
		.amdhsa_system_sgpr_workgroup_id_x 1
		.amdhsa_system_sgpr_workgroup_id_y 0
		.amdhsa_system_sgpr_workgroup_id_z 1
		.amdhsa_system_sgpr_workgroup_info 0
		.amdhsa_system_vgpr_workitem_id 1
		.amdhsa_next_free_vgpr 52
		.amdhsa_next_free_sgpr 43
		.amdhsa_reserve_vcc 1
		.amdhsa_reserve_flat_scratch 0
		.amdhsa_float_round_mode_32 0
		.amdhsa_float_round_mode_16_64 0
		.amdhsa_float_denorm_mode_32 3
		.amdhsa_float_denorm_mode_16_64 3
		.amdhsa_dx10_clamp 1
		.amdhsa_ieee_mode 1
		.amdhsa_fp16_overflow 0
		.amdhsa_workgroup_processor_mode 1
		.amdhsa_memory_ordered 1
		.amdhsa_forward_progress 1
		.amdhsa_shared_vgpr_count 0
		.amdhsa_exception_fp_ieee_invalid_op 0
		.amdhsa_exception_fp_denorm_src 0
		.amdhsa_exception_fp_ieee_div_zero 0
		.amdhsa_exception_fp_ieee_overflow 0
		.amdhsa_exception_fp_ieee_underflow 0
		.amdhsa_exception_fp_ieee_inexact 0
		.amdhsa_exception_int_div_zero 0
	.end_amdhsa_kernel
	.section	.text._ZL20rocblas_gemvn_kernelILi32ELi16El16rocblas_bfloat16ffEviiT3_lPKT2_lT1_lS4_lS5_lS1_lPT4_lS5_li,"axG",@progbits,_ZL20rocblas_gemvn_kernelILi32ELi16El16rocblas_bfloat16ffEviiT3_lPKT2_lT1_lS4_lS5_lS1_lPT4_lS5_li,comdat
.Lfunc_end637:
	.size	_ZL20rocblas_gemvn_kernelILi32ELi16El16rocblas_bfloat16ffEviiT3_lPKT2_lT1_lS4_lS5_lS1_lPT4_lS5_li, .Lfunc_end637-_ZL20rocblas_gemvn_kernelILi32ELi16El16rocblas_bfloat16ffEviiT3_lPKT2_lT1_lS4_lS5_lS1_lPT4_lS5_li
                                        ; -- End function
	.set _ZL20rocblas_gemvn_kernelILi32ELi16El16rocblas_bfloat16ffEviiT3_lPKT2_lT1_lS4_lS5_lS1_lPT4_lS5_li.num_vgpr, 52
	.set _ZL20rocblas_gemvn_kernelILi32ELi16El16rocblas_bfloat16ffEviiT3_lPKT2_lT1_lS4_lS5_lS1_lPT4_lS5_li.num_agpr, 0
	.set _ZL20rocblas_gemvn_kernelILi32ELi16El16rocblas_bfloat16ffEviiT3_lPKT2_lT1_lS4_lS5_lS1_lPT4_lS5_li.numbered_sgpr, 43
	.set _ZL20rocblas_gemvn_kernelILi32ELi16El16rocblas_bfloat16ffEviiT3_lPKT2_lT1_lS4_lS5_lS1_lPT4_lS5_li.num_named_barrier, 0
	.set _ZL20rocblas_gemvn_kernelILi32ELi16El16rocblas_bfloat16ffEviiT3_lPKT2_lT1_lS4_lS5_lS1_lPT4_lS5_li.private_seg_size, 0
	.set _ZL20rocblas_gemvn_kernelILi32ELi16El16rocblas_bfloat16ffEviiT3_lPKT2_lT1_lS4_lS5_lS1_lPT4_lS5_li.uses_vcc, 1
	.set _ZL20rocblas_gemvn_kernelILi32ELi16El16rocblas_bfloat16ffEviiT3_lPKT2_lT1_lS4_lS5_lS1_lPT4_lS5_li.uses_flat_scratch, 0
	.set _ZL20rocblas_gemvn_kernelILi32ELi16El16rocblas_bfloat16ffEviiT3_lPKT2_lT1_lS4_lS5_lS1_lPT4_lS5_li.has_dyn_sized_stack, 0
	.set _ZL20rocblas_gemvn_kernelILi32ELi16El16rocblas_bfloat16ffEviiT3_lPKT2_lT1_lS4_lS5_lS1_lPT4_lS5_li.has_recursion, 0
	.set _ZL20rocblas_gemvn_kernelILi32ELi16El16rocblas_bfloat16ffEviiT3_lPKT2_lT1_lS4_lS5_lS1_lPT4_lS5_li.has_indirect_call, 0
	.section	.AMDGPU.csdata,"",@progbits
; Kernel info:
; codeLenInByte = 3276
; TotalNumSgprs: 45
; NumVgprs: 52
; ScratchSize: 0
; MemoryBound: 0
; FloatMode: 240
; IeeeMode: 1
; LDSByteSize: 8192 bytes/workgroup (compile time only)
; SGPRBlocks: 0
; VGPRBlocks: 6
; NumSGPRsForWavesPerEU: 45
; NumVGPRsForWavesPerEU: 52
; Occupancy: 16
; WaveLimiterHint : 1
; COMPUTE_PGM_RSRC2:SCRATCH_EN: 0
; COMPUTE_PGM_RSRC2:USER_SGPR: 6
; COMPUTE_PGM_RSRC2:TRAP_HANDLER: 0
; COMPUTE_PGM_RSRC2:TGID_X_EN: 1
; COMPUTE_PGM_RSRC2:TGID_Y_EN: 0
; COMPUTE_PGM_RSRC2:TGID_Z_EN: 1
; COMPUTE_PGM_RSRC2:TIDIG_COMP_CNT: 1
	.section	.text._ZL20rocblas_gemvn_kernelILi64ELi16Ei16rocblas_bfloat16PKffEviiT3_lPKT2_lT1_lS6_lS7_lS3_lPT4_lS7_li,"axG",@progbits,_ZL20rocblas_gemvn_kernelILi64ELi16Ei16rocblas_bfloat16PKffEviiT3_lPKT2_lT1_lS6_lS7_lS3_lPT4_lS7_li,comdat
	.globl	_ZL20rocblas_gemvn_kernelILi64ELi16Ei16rocblas_bfloat16PKffEviiT3_lPKT2_lT1_lS6_lS7_lS3_lPT4_lS7_li ; -- Begin function _ZL20rocblas_gemvn_kernelILi64ELi16Ei16rocblas_bfloat16PKffEviiT3_lPKT2_lT1_lS6_lS7_lS3_lPT4_lS7_li
	.p2align	8
	.type	_ZL20rocblas_gemvn_kernelILi64ELi16Ei16rocblas_bfloat16PKffEviiT3_lPKT2_lT1_lS6_lS7_lS3_lPT4_lS7_li,@function
_ZL20rocblas_gemvn_kernelILi64ELi16Ei16rocblas_bfloat16PKffEviiT3_lPKT2_lT1_lS6_lS7_lS3_lPT4_lS7_li: ; @_ZL20rocblas_gemvn_kernelILi64ELi16Ei16rocblas_bfloat16PKffEviiT3_lPKT2_lT1_lS6_lS7_lS3_lPT4_lS7_li
; %bb.0:
	s_load_dwordx2 s[0:1], s[4:5], 0x9c
	s_waitcnt lgkmcnt(0)
	s_lshr_b32 s2, s0, 16
	s_and_b32 s0, s0, 0xffff
	s_and_b32 s1, s1, 0xffff
	s_mul_i32 s0, s2, s0
	s_mul_i32 s0, s0, s1
	s_cmpk_lg_i32 s0, 0x400
	s_cbranch_scc1 .LBB638_50
; %bb.1:
	s_clause 0x1
	s_load_dwordx8 s[16:23], s[4:5], 0x8
	s_load_dwordx8 s[8:15], s[4:5], 0x50
	s_waitcnt lgkmcnt(0)
	s_mul_i32 s1, s19, s7
	s_mul_hi_u32 s2, s18, s7
	s_mul_i32 s0, s18, s7
	s_add_i32 s1, s2, s1
	s_mul_i32 s2, s13, s7
	s_lshl_b64 s[0:1], s[0:1], 2
	s_mul_hi_u32 s3, s12, s7
	s_add_u32 s0, s16, s0
	s_addc_u32 s1, s17, s1
	s_add_i32 s3, s3, s2
	s_mul_i32 s2, s12, s7
	s_mov_b32 s18, 0
	s_lshl_b64 s[2:3], s[2:3], 2
	s_add_u32 s2, s10, s2
	s_addc_u32 s3, s11, s3
	s_load_dword s17, s[0:1], 0x0
	s_load_dword s16, s[2:3], 0x0
	s_waitcnt lgkmcnt(0)
	v_cmp_eq_f32_e64 s0, s17, 0
	v_cmp_eq_f32_e64 s1, s16, 1.0
	s_and_b32 s0, s0, s1
	s_and_b32 vcc_lo, exec_lo, s0
	s_cbranch_vccnz .LBB638_50
; %bb.2:
	s_clause 0x3
	s_load_dwordx2 s[0:1], s[4:5], 0x80
	s_load_dwordx2 s[2:3], s[4:5], 0x70
	s_load_dword s19, s[4:5], 0x78
	s_load_dwordx2 s[10:11], s[4:5], 0x0
	v_lshlrev_b32_e32 v14, 6, v1
	v_cmp_neq_f32_e64 s24, s17, 0
	v_add_nc_u32_e32 v13, v14, v0
	s_waitcnt lgkmcnt(0)
	s_mul_i32 s1, s1, s7
	s_mul_hi_u32 s12, s0, s7
	s_mul_i32 s0, s0, s7
	s_add_i32 s1, s12, s1
	s_lshl_b64 s[0:1], s[0:1], 2
	s_add_u32 s12, s14, s0
	s_addc_u32 s13, s15, s1
	s_lshl_b64 s[0:1], s[2:3], 2
	s_add_u32 s12, s12, s0
	v_cmp_gt_u32_e64 s0, 0x100, v13
	s_addc_u32 s13, s13, s1
	s_and_b32 vcc_lo, exec_lo, s24
	s_cbranch_vccnz .LBB638_9
; %bb.3:
	s_mov_b32 s1, 0
                                        ; implicit-def: $vgpr3
                                        ; implicit-def: $vgpr4_vgpr5
	s_and_saveexec_b32 s2, s0
	s_cbranch_execz .LBB638_10
; %bb.4:
	v_lshl_or_b32 v2, s6, 8, v13
	v_mov_b32_e32 v3, 0
	s_ashr_i32 s15, s10, 31
	s_mov_b32 s14, s10
	s_mov_b32 s3, 0
	s_mov_b32 s0, exec_lo
                                        ; implicit-def: $vgpr4_vgpr5
	v_cmpx_gt_i64_e64 s[14:15], v[2:3]
	s_cbranch_execz .LBB638_8
; %bb.5:
	v_mad_u64_u32 v[4:5], null, s19, v2, 0
	s_ashr_i32 s3, s19, 31
	v_mad_u64_u32 v[5:6], null, s3, v2, v[5:6]
	v_cmp_eq_f32_e64 s3, s16, 0
	s_and_b32 vcc_lo, exec_lo, s3
	s_cbranch_vccnz .LBB638_7
; %bb.6:
	v_lshlrev_b64 v[2:3], 2, v[4:5]
	v_add_co_u32 v2, vcc_lo, s12, v2
	v_add_co_ci_u32_e64 v3, null, s13, v3, vcc_lo
	global_load_dword v2, v[2:3], off
	s_waitcnt vmcnt(0)
	v_mul_f32_e32 v3, s16, v2
.LBB638_7:
	s_mov_b32 s3, exec_lo
.LBB638_8:
	s_or_b32 exec_lo, exec_lo, s0
	s_and_b32 s18, s3, exec_lo
	s_or_b32 exec_lo, exec_lo, s2
	s_and_b32 vcc_lo, exec_lo, s1
	s_cbranch_vccnz .LBB638_11
	s_branch .LBB638_48
.LBB638_9:
                                        ; implicit-def: $vgpr3
                                        ; implicit-def: $vgpr4_vgpr5
	s_cbranch_execnz .LBB638_11
	s_branch .LBB638_48
.LBB638_10:
	s_or_b32 exec_lo, exec_lo, s2
	s_and_b32 vcc_lo, exec_lo, s1
	s_cbranch_vccz .LBB638_48
.LBB638_11:
	s_clause 0x3
	s_load_dwordx4 s[0:3], s[4:5], 0x30
	s_load_dword s14, s[4:5], 0x28
	s_load_dwordx2 s[24:25], s[4:5], 0x40
	s_load_dword s4, s[4:5], 0x48
	s_mul_i32 s9, s9, s7
	v_lshlrev_b32_e32 v20, 2, v1
	v_mov_b32_e32 v15, 0
	v_mov_b32_e32 v16, 0
	v_mov_b32_e32 v17, 0
	v_mov_b32_e32 v18, 0
	s_waitcnt lgkmcnt(0)
	s_mul_i32 s1, s1, s7
	s_mul_hi_u32 s15, s0, s7
	s_mul_i32 s0, s0, s7
	s_add_i32 s1, s15, s1
	s_mul_hi_u32 s15, s8, s7
	s_lshl_b64 s[0:1], s[0:1], 1
	s_add_u32 s26, s20, s0
	s_addc_u32 s21, s21, s1
	s_lshl_b64 s[0:1], s[22:23], 1
	s_mul_i32 s20, s8, s7
	s_add_u32 s7, s26, s0
	s_addc_u32 s8, s21, s1
	s_add_i32 s21, s15, s9
	s_lshl_b64 s[0:1], s[20:21], 1
	s_mov_b32 s20, exec_lo
	s_add_u32 s2, s2, s0
	s_addc_u32 s3, s3, s1
	s_lshl_b64 s[0:1], s[24:25], 1
	s_add_u32 s9, s2, s0
	s_addc_u32 s15, s3, s1
	s_ashr_i32 s0, s11, 31
	s_lshl_b32 s5, s6, 8
	s_lshr_b32 s0, s0, 26
	v_add_nc_u32_e32 v19, s5, v0
	s_add_i32 s0, s11, s0
	s_and_b32 s6, s0, 0xffffffc0
	v_cmpx_gt_i32_e64 s6, v20
	s_cbranch_execz .LBB638_23
; %bb.12:
	v_add_nc_u32_e32 v5, 0xc0, v19
	v_mul_lo_u32 v3, s14, v20
	v_add_nc_u32_e32 v2, 64, v19
	v_add_nc_u32_e32 v6, 2, v20
	;; [unrolled: 1-line block ×3, first 2 shown]
	v_cmp_gt_i32_e64 s2, s10, v5
	v_mul_lo_u32 v5, v1, s14
	v_add_nc_u32_e32 v7, 3, v20
	v_mul_lo_u32 v8, v1, s4
	v_cmp_gt_i32_e64 s0, s10, v2
	v_add3_u32 v21, v3, s14, v0
	v_mad_u64_u32 v[2:3], null, s14, v6, v[0:1]
	v_cmp_gt_i32_e64 s1, s10, v4
	v_mad_u64_u32 v[3:4], null, s14, v7, v[0:1]
	v_lshl_add_u32 v22, v5, 2, v0
	v_mad_u64_u32 v[4:5], null, s4, v20, s[4:5]
	v_mul_lo_u32 v23, s4, v6
	v_mul_lo_u32 v24, s4, v7
	v_lshlrev_b32_e32 v25, 2, v8
	v_mov_b32_e32 v15, 0
	v_mov_b32_e32 v16, 0
	;; [unrolled: 1-line block ×4, first 2 shown]
	s_lshl_b32 s21, s14, 6
	s_lshl_b32 s23, s4, 6
	s_mov_b32 s22, 0
	s_mov_b32 s24, 0
	v_cmp_gt_i32_e32 vcc_lo, s10, v19
	s_branch .LBB638_17
.LBB638_13:                             ;   in Loop: Header=BB638_17 Depth=1
	s_or_b32 exec_lo, exec_lo, s27
	s_waitcnt vmcnt(3)
	v_lshlrev_b32_e32 v5, 16, v41
	s_waitcnt vmcnt(2)
	v_lshlrev_b32_e32 v6, 16, v40
	v_fmac_f32_e32 v17, v33, v5
	s_waitcnt vmcnt(1)
	v_lshlrev_b32_e32 v5, 16, v39
	v_fmac_f32_e32 v17, v29, v6
	v_fmac_f32_e32 v17, v31, v5
	s_waitcnt vmcnt(0)
	v_lshlrev_b32_e32 v5, 16, v38
	v_fmac_f32_e32 v17, v27, v5
.LBB638_14:                             ;   in Loop: Header=BB638_17 Depth=1
	s_or_b32 exec_lo, exec_lo, s26
	s_waitcnt vmcnt(3)
	v_lshlrev_b32_e32 v5, 16, v37
	s_waitcnt vmcnt(2)
	v_lshlrev_b32_e32 v6, 16, v36
	v_fmac_f32_e32 v16, v33, v5
	s_waitcnt vmcnt(1)
	v_lshlrev_b32_e32 v5, 16, v35
	v_fmac_f32_e32 v16, v29, v6
	v_fmac_f32_e32 v16, v31, v5
	s_waitcnt vmcnt(0)
	v_lshlrev_b32_e32 v5, 16, v34
	v_fmac_f32_e32 v16, v27, v5
.LBB638_15:                             ;   in Loop: Header=BB638_17 Depth=1
	s_or_b32 exec_lo, exec_lo, s3
	s_waitcnt vmcnt(3)
	v_lshlrev_b32_e32 v5, 16, v32
	s_waitcnt vmcnt(2)
	v_lshlrev_b32_e32 v6, 16, v30
	v_fmac_f32_e32 v15, v33, v5
	s_waitcnt vmcnt(1)
	v_lshlrev_b32_e32 v5, 16, v28
	v_fmac_f32_e32 v15, v29, v6
	v_fmac_f32_e32 v15, v31, v5
	s_waitcnt vmcnt(0)
	v_lshlrev_b32_e32 v5, 16, v26
	v_fmac_f32_e32 v15, v27, v5
.LBB638_16:                             ;   in Loop: Header=BB638_17 Depth=1
	s_or_b32 exec_lo, exec_lo, s25
	v_add_nc_u32_e32 v20, 64, v20
	v_add_nc_u32_e32 v21, s21, v21
	;; [unrolled: 1-line block ×5, first 2 shown]
	v_cmp_le_i32_e64 s3, s6, v20
	s_add_i32 s24, s24, s23
	s_or_b32 s22, s3, s22
	s_andn2_b32 exec_lo, exec_lo, s22
	s_cbranch_execz .LBB638_22
.LBB638_17:                             ; =>This Inner Loop Header: Depth=1
	s_and_saveexec_b32 s25, vcc_lo
	s_cbranch_execz .LBB638_16
; %bb.18:                               ;   in Loop: Header=BB638_17 Depth=1
	v_add_nc_u32_e32 v5, s24, v25
	v_add_nc_u32_e32 v7, s24, v4
	;; [unrolled: 1-line block ×5, first 2 shown]
	v_ashrrev_i32_e32 v6, 31, v5
	v_ashrrev_i32_e32 v8, 31, v7
	;; [unrolled: 1-line block ×5, first 2 shown]
	v_lshlrev_b64 v[5:6], 1, v[5:6]
	v_lshlrev_b64 v[7:8], 1, v[7:8]
	;; [unrolled: 1-line block ×4, first 2 shown]
	v_add_nc_u32_e32 v28, s5, v21
	v_add_nc_u32_e32 v30, s5, v2
	v_add_co_u32 v5, s3, s9, v5
	v_add_co_ci_u32_e64 v6, null, s15, v6, s3
	v_add_co_u32 v7, s3, s9, v7
	v_add_co_ci_u32_e64 v8, null, s15, v8, s3
	;; [unrolled: 2-line block ×4, first 2 shown]
	v_lshlrev_b64 v[26:27], 1, v[26:27]
	s_clause 0x3
	global_load_ushort v33, v[5:6], off
	global_load_ushort v34, v[7:8], off
	;; [unrolled: 1-line block ×4, first 2 shown]
	v_add_nc_u32_e32 v9, s5, v3
	v_ashrrev_i32_e32 v29, 31, v28
	v_ashrrev_i32_e32 v31, 31, v30
	v_add_co_u32 v5, s3, s7, v26
	v_ashrrev_i32_e32 v10, 31, v9
	v_lshlrev_b64 v[7:8], 1, v[28:29]
	v_add_co_ci_u32_e64 v6, null, s8, v27, s3
	v_lshlrev_b64 v[26:27], 1, v[30:31]
	v_lshlrev_b64 v[9:10], 1, v[9:10]
	v_add_co_u32 v11, s3, s7, v7
	v_add_co_ci_u32_e64 v12, null, s8, v8, s3
	v_add_co_u32 v7, s3, s7, v26
	v_add_co_ci_u32_e64 v8, null, s8, v27, s3
	;; [unrolled: 2-line block ×3, first 2 shown]
	s_clause 0x3
	global_load_ushort v32, v[5:6], off
	global_load_ushort v30, v[11:12], off
	;; [unrolled: 1-line block ×4, first 2 shown]
	s_waitcnt vmcnt(7)
	v_lshlrev_b32_e32 v33, 16, v33
	s_waitcnt vmcnt(6)
	v_lshlrev_b32_e32 v29, 16, v34
	;; [unrolled: 2-line block ×4, first 2 shown]
	s_and_saveexec_b32 s3, s0
	s_cbranch_execz .LBB638_15
; %bb.19:                               ;   in Loop: Header=BB638_17 Depth=1
	s_clause 0x3
	global_load_ushort v37, v[5:6], off offset:128
	global_load_ushort v36, v[11:12], off offset:128
	global_load_ushort v35, v[7:8], off offset:128
	global_load_ushort v34, v[9:10], off offset:128
	s_and_saveexec_b32 s26, s1
	s_cbranch_execz .LBB638_14
; %bb.20:                               ;   in Loop: Header=BB638_17 Depth=1
	s_clause 0x3
	global_load_ushort v41, v[5:6], off offset:256
	global_load_ushort v40, v[11:12], off offset:256
	global_load_ushort v39, v[7:8], off offset:256
	global_load_ushort v38, v[9:10], off offset:256
	;; [unrolled: 8-line block ×3, first 2 shown]
	s_waitcnt vmcnt(3)
	v_lshlrev_b32_e32 v5, 16, v5
	s_waitcnt vmcnt(2)
	v_lshlrev_b32_e32 v6, 16, v6
	v_fmac_f32_e32 v18, v33, v5
	s_waitcnt vmcnt(1)
	v_lshlrev_b32_e32 v5, 16, v7
	v_fmac_f32_e32 v18, v29, v6
	;; [unrolled: 3-line block ×3, first 2 shown]
	v_fmac_f32_e32 v18, v27, v6
	s_branch .LBB638_13
.LBB638_22:
	s_or_b32 exec_lo, exec_lo, s22
.LBB638_23:
	s_or_b32 exec_lo, exec_lo, s20
	s_sub_i32 s0, s11, s6
	s_cmp_lt_i32 s0, 1
	s_cbranch_scc1 .LBB638_41
; %bb.24:
	v_cmp_gt_i32_e32 vcc_lo, s11, v20
	v_mov_b32_e32 v11, 0
	v_or_b32_e32 v2, 1, v20
	v_mov_b32_e32 v10, 0
	v_mov_b32_e32 v21, 0
	;; [unrolled: 1-line block ×3, first 2 shown]
	s_and_saveexec_b32 s1, vcc_lo
	s_cbranch_execz .LBB638_32
; %bb.25:
	v_mul_lo_u32 v3, v20, s4
	v_mov_b32_e32 v12, 0
	v_mov_b32_e32 v10, 0
	;; [unrolled: 1-line block ×3, first 2 shown]
	s_mov_b32 s2, exec_lo
	v_ashrrev_i32_e32 v4, 31, v3
	v_lshlrev_b64 v[3:4], 1, v[3:4]
	v_add_co_u32 v3, s0, s9, v3
	v_add_co_ci_u32_e64 v4, null, s15, v4, s0
	global_load_ushort v3, v[3:4], off
	v_cmpx_gt_i32_e64 s11, v2
	s_cbranch_execz .LBB638_31
; %bb.26:
	v_mul_lo_u32 v4, v2, s4
	v_mov_b32_e32 v10, 0
	v_mov_b32_e32 v11, 0
	s_mov_b32 s3, exec_lo
	v_ashrrev_i32_e32 v5, 31, v4
	v_lshlrev_b64 v[4:5], 1, v[4:5]
	v_add_co_u32 v4, s0, s9, v4
	v_add_co_ci_u32_e64 v5, null, s15, v5, s0
	global_load_ushort v4, v[4:5], off
	v_or_b32_e32 v5, 2, v20
	v_cmpx_gt_i32_e64 s11, v5
	s_cbranch_execz .LBB638_30
; %bb.27:
	v_mul_lo_u32 v5, v5, s4
	v_mov_b32_e32 v10, 0
	s_mov_b32 s6, exec_lo
	v_ashrrev_i32_e32 v6, 31, v5
	v_lshlrev_b64 v[5:6], 1, v[5:6]
	v_add_co_u32 v5, s0, s9, v5
	v_add_co_ci_u32_e64 v6, null, s15, v6, s0
	global_load_ushort v5, v[5:6], off
	v_or_b32_e32 v6, 3, v20
	v_cmpx_gt_i32_e64 s11, v6
	s_cbranch_execz .LBB638_29
; %bb.28:
	v_mul_lo_u32 v6, v6, s4
	v_ashrrev_i32_e32 v7, 31, v6
	v_lshlrev_b64 v[6:7], 1, v[6:7]
	v_add_co_u32 v6, s0, s9, v6
	v_add_co_ci_u32_e64 v7, null, s15, v7, s0
	global_load_ushort v6, v[6:7], off
	s_waitcnt vmcnt(0)
	v_lshlrev_b32_e32 v10, 16, v6
.LBB638_29:
	s_or_b32 exec_lo, exec_lo, s6
	s_waitcnt vmcnt(0)
	v_lshlrev_b32_e32 v11, 16, v5
.LBB638_30:
	s_or_b32 exec_lo, exec_lo, s3
	s_waitcnt vmcnt(0)
	v_lshlrev_b32_e32 v12, 16, v4
.LBB638_31:
	s_or_b32 exec_lo, exec_lo, s2
	s_waitcnt vmcnt(0)
	v_lshlrev_b32_e32 v21, 16, v3
.LBB638_32:
	s_or_b32 exec_lo, exec_lo, s1
	s_mov_b32 s1, exec_lo
	v_cmpx_gt_i32_e64 s10, v19
	s_cbranch_execz .LBB638_40
; %bb.33:
	v_mul_lo_u32 v3, v20, s14
	v_mul_lo_u32 v4, v2, s14
	v_or_b32_e32 v5, 2, v20
	v_or_b32_e32 v6, 3, v20
	s_mov_b32 s0, exec_lo
	v_mul_lo_u32 v7, v5, s14
	v_cndmask_b32_e32 v3, 0, v3, vcc_lo
	v_cmp_gt_i32_e32 vcc_lo, s11, v2
	v_mul_lo_u32 v8, v6, s14
	v_add_nc_u32_e32 v2, v3, v19
	v_cndmask_b32_e32 v4, 0, v4, vcc_lo
	v_cmp_gt_i32_e32 vcc_lo, s11, v5
	v_ashrrev_i32_e32 v3, 31, v2
	v_add_nc_u32_e32 v4, v4, v19
	v_cndmask_b32_e32 v7, 0, v7, vcc_lo
	v_cmp_gt_i32_e32 vcc_lo, s11, v6
	v_lshlrev_b64 v[2:3], 1, v[2:3]
	v_ashrrev_i32_e32 v5, 31, v4
	v_add_nc_u32_e32 v6, v7, v19
	v_cndmask_b32_e32 v8, 0, v8, vcc_lo
	v_lshlrev_b64 v[4:5], 1, v[4:5]
	v_ashrrev_i32_e32 v7, 31, v6
	v_add_nc_u32_e32 v8, v8, v19
	v_add_co_u32 v2, vcc_lo, s7, v2
	v_add_co_ci_u32_e64 v3, null, s8, v3, vcc_lo
	v_ashrrev_i32_e32 v9, 31, v8
	v_add_co_u32 v4, vcc_lo, s7, v4
	v_add_co_ci_u32_e64 v5, null, s8, v5, vcc_lo
	v_lshlrev_b64 v[6:7], 1, v[6:7]
	v_lshlrev_b64 v[8:9], 1, v[8:9]
	s_clause 0x1
	global_load_ushort v20, v[2:3], off
	global_load_ushort v22, v[4:5], off
	v_add_co_u32 v6, vcc_lo, s7, v6
	v_add_co_ci_u32_e64 v7, null, s8, v7, vcc_lo
	v_add_co_u32 v8, vcc_lo, s7, v8
	v_add_co_ci_u32_e64 v9, null, s8, v9, vcc_lo
	s_clause 0x1
	global_load_ushort v23, v[6:7], off
	global_load_ushort v24, v[8:9], off
	s_waitcnt vmcnt(3)
	v_lshlrev_b32_e32 v20, 16, v20
	s_waitcnt vmcnt(2)
	v_lshlrev_b32_e32 v22, 16, v22
	v_fmac_f32_e32 v15, v21, v20
	v_fmac_f32_e32 v15, v12, v22
	v_add_nc_u32_e32 v22, 64, v19
	s_waitcnt vmcnt(1)
	v_lshlrev_b32_e32 v23, 16, v23
	s_waitcnt vmcnt(0)
	v_lshlrev_b32_e32 v20, 16, v24
	v_fmac_f32_e32 v15, v11, v23
	v_cmpx_gt_i32_e64 s10, v22
	s_cbranch_execz .LBB638_39
; %bb.34:
	s_clause 0x3
	global_load_ushort v22, v[2:3], off offset:128
	global_load_ushort v23, v[4:5], off offset:128
	;; [unrolled: 1-line block ×4, first 2 shown]
	s_mov_b32 s2, exec_lo
	s_waitcnt vmcnt(3)
	v_lshlrev_b32_e32 v22, 16, v22
	s_waitcnt vmcnt(2)
	v_lshlrev_b32_e32 v23, 16, v23
	;; [unrolled: 2-line block ×3, first 2 shown]
	v_fmac_f32_e32 v16, v21, v22
	s_waitcnt vmcnt(0)
	v_lshlrev_b32_e32 v22, 16, v25
	v_fmac_f32_e32 v16, v12, v23
	v_add_nc_u32_e32 v23, 0x80, v19
	v_fmac_f32_e32 v16, v11, v24
	v_cmpx_gt_i32_e64 s10, v23
	s_cbranch_execz .LBB638_38
; %bb.35:
	s_clause 0x3
	global_load_ushort v23, v[2:3], off offset:256
	global_load_ushort v24, v[4:5], off offset:256
	;; [unrolled: 1-line block ×4, first 2 shown]
	s_mov_b32 s3, exec_lo
	s_waitcnt vmcnt(3)
	v_lshlrev_b32_e32 v23, 16, v23
	s_waitcnt vmcnt(2)
	v_lshlrev_b32_e32 v24, 16, v24
	v_fmac_f32_e32 v17, v21, v23
	s_waitcnt vmcnt(1)
	v_lshlrev_b32_e32 v23, 16, v25
	v_fmac_f32_e32 v17, v12, v24
	v_add_nc_u32_e32 v24, 0xc0, v19
	s_waitcnt vmcnt(0)
	v_lshlrev_b32_e32 v19, 16, v26
	v_fmac_f32_e32 v17, v11, v23
	v_cmpx_gt_i32_e64 s10, v24
	s_cbranch_execz .LBB638_37
; %bb.36:
	s_clause 0x3
	global_load_ushort v2, v[2:3], off offset:384
	global_load_ushort v3, v[4:5], off offset:384
	;; [unrolled: 1-line block ×4, first 2 shown]
	s_waitcnt vmcnt(3)
	v_lshlrev_b32_e32 v2, 16, v2
	s_waitcnt vmcnt(2)
	v_lshlrev_b32_e32 v3, 16, v3
	v_fmac_f32_e32 v18, v21, v2
	s_waitcnt vmcnt(1)
	v_lshlrev_b32_e32 v2, 16, v4
	v_fmac_f32_e32 v18, v12, v3
	;; [unrolled: 3-line block ×3, first 2 shown]
	v_fmac_f32_e32 v18, v10, v3
.LBB638_37:
	s_or_b32 exec_lo, exec_lo, s3
	v_fmac_f32_e32 v17, v10, v19
.LBB638_38:
	s_or_b32 exec_lo, exec_lo, s2
	v_fmac_f32_e32 v16, v10, v22
.LBB638_39:
	s_or_b32 exec_lo, exec_lo, s0
	v_fmac_f32_e32 v15, v10, v20
.LBB638_40:
	s_or_b32 exec_lo, exec_lo, s1
.LBB638_41:
	v_lshlrev_b32_e32 v0, 2, v0
	s_mov_b32 s0, exec_lo
                                        ; implicit-def: $vgpr3
                                        ; implicit-def: $vgpr4_vgpr5
	v_lshl_add_u32 v1, v1, 10, v0
	ds_write2st64_b32 v1, v15, v16 offset1:1
	ds_write2st64_b32 v1, v17, v18 offset0:2 offset1:3
	s_waitcnt lgkmcnt(0)
	s_barrier
	buffer_gl0_inv
	v_cmpx_gt_u32_e32 0x100, v13
	s_cbranch_execz .LBB638_47
; %bb.42:
	v_lshl_add_u32 v6, v14, 2, v0
	s_mov_b32 s2, s18
	s_mov_b32 s1, exec_lo
	ds_read2st64_b32 v[0:1], v6 offset1:4
	ds_read2st64_b32 v[2:3], v6 offset0:8 offset1:12
	ds_read2st64_b32 v[4:5], v6 offset0:16 offset1:20
	s_waitcnt lgkmcnt(2)
	v_add_f32_e32 v7, v0, v1
	ds_read2st64_b32 v[0:1], v6 offset0:24 offset1:28
	s_waitcnt lgkmcnt(2)
	v_add_f32_e32 v2, v2, v7
	v_add_f32_e32 v7, v3, v2
	ds_read2st64_b32 v[2:3], v6 offset0:32 offset1:36
	s_waitcnt lgkmcnt(2)
	v_add_f32_e32 v4, v4, v7
	;; [unrolled: 4-line block ×3, first 2 shown]
	v_add_f32_e32 v0, v1, v0
	s_waitcnt lgkmcnt(1)
	v_add_f32_e32 v2, v2, v0
	ds_read2st64_b32 v[0:1], v6 offset0:48 offset1:52
	v_add_f32_e32 v2, v3, v2
	s_waitcnt lgkmcnt(1)
	v_add_f32_e32 v4, v4, v2
	ds_read2st64_b32 v[2:3], v6 offset0:56 offset1:60
	v_add_f32_e32 v4, v5, v4
	s_waitcnt lgkmcnt(1)
	v_add_f32_e32 v0, v0, v4
                                        ; implicit-def: $vgpr4_vgpr5
	v_add_f32_e32 v0, v1, v0
	v_or_b32_e32 v1, s5, v13
	s_waitcnt lgkmcnt(0)
	v_add_f32_e32 v0, v2, v0
	v_add_f32_e32 v0, v3, v0
                                        ; implicit-def: $vgpr3
	ds_write_b32 v6, v0
	v_cmpx_gt_i32_e64 s10, v1
	s_cbranch_execz .LBB638_46
; %bb.43:
	v_mul_lo_u32 v4, s19, v1
	v_cmp_eq_f32_e64 s2, s16, 0
	v_mul_f32_e32 v3, s17, v0
	s_and_b32 vcc_lo, exec_lo, s2
	v_ashrrev_i32_e32 v5, 31, v4
	s_cbranch_vccnz .LBB638_45
; %bb.44:
	v_lshlrev_b64 v[0:1], 2, v[4:5]
	v_add_co_u32 v0, vcc_lo, s12, v0
	v_add_co_ci_u32_e64 v1, null, s13, v1, vcc_lo
	global_load_dword v0, v[0:1], off
	s_waitcnt vmcnt(0)
	v_fmac_f32_e32 v3, s16, v0
.LBB638_45:
	s_or_b32 s2, s18, exec_lo
.LBB638_46:
	s_or_b32 exec_lo, exec_lo, s1
	s_andn2_b32 s1, s18, exec_lo
	s_and_b32 s2, s2, exec_lo
	s_or_b32 s18, s1, s2
.LBB638_47:
	s_or_b32 exec_lo, exec_lo, s0
.LBB638_48:
	s_and_saveexec_b32 s0, s18
	s_cbranch_execz .LBB638_50
; %bb.49:
	v_lshlrev_b64 v[0:1], 2, v[4:5]
	v_add_co_u32 v0, vcc_lo, s12, v0
	v_add_co_ci_u32_e64 v1, null, s13, v1, vcc_lo
	global_store_dword v[0:1], v3, off
.LBB638_50:
	s_endpgm
	.section	.rodata,"a",@progbits
	.p2align	6, 0x0
	.amdhsa_kernel _ZL20rocblas_gemvn_kernelILi64ELi16Ei16rocblas_bfloat16PKffEviiT3_lPKT2_lT1_lS6_lS7_lS3_lPT4_lS7_li
		.amdhsa_group_segment_fixed_size 16384
		.amdhsa_private_segment_fixed_size 0
		.amdhsa_kernarg_size 400
		.amdhsa_user_sgpr_count 6
		.amdhsa_user_sgpr_private_segment_buffer 1
		.amdhsa_user_sgpr_dispatch_ptr 0
		.amdhsa_user_sgpr_queue_ptr 0
		.amdhsa_user_sgpr_kernarg_segment_ptr 1
		.amdhsa_user_sgpr_dispatch_id 0
		.amdhsa_user_sgpr_flat_scratch_init 0
		.amdhsa_user_sgpr_private_segment_size 0
		.amdhsa_wavefront_size32 1
		.amdhsa_uses_dynamic_stack 0
		.amdhsa_system_sgpr_private_segment_wavefront_offset 0
		.amdhsa_system_sgpr_workgroup_id_x 1
		.amdhsa_system_sgpr_workgroup_id_y 0
		.amdhsa_system_sgpr_workgroup_id_z 1
		.amdhsa_system_sgpr_workgroup_info 0
		.amdhsa_system_vgpr_workitem_id 1
		.amdhsa_next_free_vgpr 42
		.amdhsa_next_free_sgpr 28
		.amdhsa_reserve_vcc 1
		.amdhsa_reserve_flat_scratch 0
		.amdhsa_float_round_mode_32 0
		.amdhsa_float_round_mode_16_64 0
		.amdhsa_float_denorm_mode_32 3
		.amdhsa_float_denorm_mode_16_64 3
		.amdhsa_dx10_clamp 1
		.amdhsa_ieee_mode 1
		.amdhsa_fp16_overflow 0
		.amdhsa_workgroup_processor_mode 1
		.amdhsa_memory_ordered 1
		.amdhsa_forward_progress 1
		.amdhsa_shared_vgpr_count 0
		.amdhsa_exception_fp_ieee_invalid_op 0
		.amdhsa_exception_fp_denorm_src 0
		.amdhsa_exception_fp_ieee_div_zero 0
		.amdhsa_exception_fp_ieee_overflow 0
		.amdhsa_exception_fp_ieee_underflow 0
		.amdhsa_exception_fp_ieee_inexact 0
		.amdhsa_exception_int_div_zero 0
	.end_amdhsa_kernel
	.section	.text._ZL20rocblas_gemvn_kernelILi64ELi16Ei16rocblas_bfloat16PKffEviiT3_lPKT2_lT1_lS6_lS7_lS3_lPT4_lS7_li,"axG",@progbits,_ZL20rocblas_gemvn_kernelILi64ELi16Ei16rocblas_bfloat16PKffEviiT3_lPKT2_lT1_lS6_lS7_lS3_lPT4_lS7_li,comdat
.Lfunc_end638:
	.size	_ZL20rocblas_gemvn_kernelILi64ELi16Ei16rocblas_bfloat16PKffEviiT3_lPKT2_lT1_lS6_lS7_lS3_lPT4_lS7_li, .Lfunc_end638-_ZL20rocblas_gemvn_kernelILi64ELi16Ei16rocblas_bfloat16PKffEviiT3_lPKT2_lT1_lS6_lS7_lS3_lPT4_lS7_li
                                        ; -- End function
	.set _ZL20rocblas_gemvn_kernelILi64ELi16Ei16rocblas_bfloat16PKffEviiT3_lPKT2_lT1_lS6_lS7_lS3_lPT4_lS7_li.num_vgpr, 42
	.set _ZL20rocblas_gemvn_kernelILi64ELi16Ei16rocblas_bfloat16PKffEviiT3_lPKT2_lT1_lS6_lS7_lS3_lPT4_lS7_li.num_agpr, 0
	.set _ZL20rocblas_gemvn_kernelILi64ELi16Ei16rocblas_bfloat16PKffEviiT3_lPKT2_lT1_lS6_lS7_lS3_lPT4_lS7_li.numbered_sgpr, 28
	.set _ZL20rocblas_gemvn_kernelILi64ELi16Ei16rocblas_bfloat16PKffEviiT3_lPKT2_lT1_lS6_lS7_lS3_lPT4_lS7_li.num_named_barrier, 0
	.set _ZL20rocblas_gemvn_kernelILi64ELi16Ei16rocblas_bfloat16PKffEviiT3_lPKT2_lT1_lS6_lS7_lS3_lPT4_lS7_li.private_seg_size, 0
	.set _ZL20rocblas_gemvn_kernelILi64ELi16Ei16rocblas_bfloat16PKffEviiT3_lPKT2_lT1_lS6_lS7_lS3_lPT4_lS7_li.uses_vcc, 1
	.set _ZL20rocblas_gemvn_kernelILi64ELi16Ei16rocblas_bfloat16PKffEviiT3_lPKT2_lT1_lS6_lS7_lS3_lPT4_lS7_li.uses_flat_scratch, 0
	.set _ZL20rocblas_gemvn_kernelILi64ELi16Ei16rocblas_bfloat16PKffEviiT3_lPKT2_lT1_lS6_lS7_lS3_lPT4_lS7_li.has_dyn_sized_stack, 0
	.set _ZL20rocblas_gemvn_kernelILi64ELi16Ei16rocblas_bfloat16PKffEviiT3_lPKT2_lT1_lS6_lS7_lS3_lPT4_lS7_li.has_recursion, 0
	.set _ZL20rocblas_gemvn_kernelILi64ELi16Ei16rocblas_bfloat16PKffEviiT3_lPKT2_lT1_lS6_lS7_lS3_lPT4_lS7_li.has_indirect_call, 0
	.section	.AMDGPU.csdata,"",@progbits
; Kernel info:
; codeLenInByte = 2976
; TotalNumSgprs: 30
; NumVgprs: 42
; ScratchSize: 0
; MemoryBound: 0
; FloatMode: 240
; IeeeMode: 1
; LDSByteSize: 16384 bytes/workgroup (compile time only)
; SGPRBlocks: 0
; VGPRBlocks: 5
; NumSGPRsForWavesPerEU: 30
; NumVGPRsForWavesPerEU: 42
; Occupancy: 16
; WaveLimiterHint : 1
; COMPUTE_PGM_RSRC2:SCRATCH_EN: 0
; COMPUTE_PGM_RSRC2:USER_SGPR: 6
; COMPUTE_PGM_RSRC2:TRAP_HANDLER: 0
; COMPUTE_PGM_RSRC2:TGID_X_EN: 1
; COMPUTE_PGM_RSRC2:TGID_Y_EN: 0
; COMPUTE_PGM_RSRC2:TGID_Z_EN: 1
; COMPUTE_PGM_RSRC2:TIDIG_COMP_CNT: 1
	.section	.text._ZL20rocblas_gemvn_kernelILi64ELi16El16rocblas_bfloat16PKffEviiT3_lPKT2_lT1_lS6_lS7_lS3_lPT4_lS7_li,"axG",@progbits,_ZL20rocblas_gemvn_kernelILi64ELi16El16rocblas_bfloat16PKffEviiT3_lPKT2_lT1_lS6_lS7_lS3_lPT4_lS7_li,comdat
	.globl	_ZL20rocblas_gemvn_kernelILi64ELi16El16rocblas_bfloat16PKffEviiT3_lPKT2_lT1_lS6_lS7_lS3_lPT4_lS7_li ; -- Begin function _ZL20rocblas_gemvn_kernelILi64ELi16El16rocblas_bfloat16PKffEviiT3_lPKT2_lT1_lS6_lS7_lS3_lPT4_lS7_li
	.p2align	8
	.type	_ZL20rocblas_gemvn_kernelILi64ELi16El16rocblas_bfloat16PKffEviiT3_lPKT2_lT1_lS6_lS7_lS3_lPT4_lS7_li,@function
_ZL20rocblas_gemvn_kernelILi64ELi16El16rocblas_bfloat16PKffEviiT3_lPKT2_lT1_lS6_lS7_lS3_lPT4_lS7_li: ; @_ZL20rocblas_gemvn_kernelILi64ELi16El16rocblas_bfloat16PKffEviiT3_lPKT2_lT1_lS6_lS7_lS3_lPT4_lS7_li
; %bb.0:
	s_load_dwordx2 s[0:1], s[4:5], 0x9c
	s_waitcnt lgkmcnt(0)
	s_lshr_b32 s2, s0, 16
	s_and_b32 s0, s0, 0xffff
	s_and_b32 s1, s1, 0xffff
	s_mul_i32 s0, s2, s0
	s_mul_i32 s0, s0, s1
	s_cmpk_lg_i32 s0, 0x400
	s_cbranch_scc1 .LBB639_50
; %bb.1:
	s_clause 0x1
	s_load_dwordx16 s[36:51], s[4:5], 0x8
	s_load_dwordx16 s[8:23], s[4:5], 0x48
	s_mov_b32 s26, 0
	s_waitcnt lgkmcnt(0)
	s_mul_i32 s1, s39, s7
	s_mul_hi_u32 s2, s38, s7
	s_mul_i32 s0, s38, s7
	s_add_i32 s1, s2, s1
	s_mul_i32 s2, s15, s7
	s_lshl_b64 s[0:1], s[0:1], 2
	s_mul_hi_u32 s3, s14, s7
	s_add_u32 s0, s36, s0
	s_addc_u32 s1, s37, s1
	s_add_i32 s3, s3, s2
	s_mul_i32 s2, s14, s7
	s_lshl_b64 s[2:3], s[2:3], 2
	s_add_u32 s2, s12, s2
	s_addc_u32 s3, s13, s3
	s_load_dword s25, s[0:1], 0x0
	s_load_dword s24, s[2:3], 0x0
	s_waitcnt lgkmcnt(0)
	v_cmp_eq_f32_e64 s0, s25, 0
	v_cmp_eq_f32_e64 s1, s24, 1.0
	s_and_b32 s0, s0, s1
	s_and_b32 vcc_lo, exec_lo, s0
	s_cbranch_vccnz .LBB639_50
; %bb.2:
	s_load_dwordx2 s[12:13], s[4:5], 0x0
	v_lshlrev_b32_e32 v14, 6, v1
	s_mul_i32 s0, s23, s7
	s_mul_hi_u32 s1, s22, s7
	v_cmp_neq_f32_e64 s4, s25, 0
	s_add_i32 s1, s1, s0
	s_mul_i32 s0, s22, s7
	v_add_nc_u32_e32 v13, v14, v0
	s_lshl_b64 s[0:1], s[0:1], 2
	s_add_u32 s2, s16, s0
	s_addc_u32 s3, s17, s1
	s_lshl_b64 s[0:1], s[18:19], 2
	s_add_u32 s5, s2, s0
	v_cmp_gt_u32_e64 s0, 0x100, v13
	s_addc_u32 s22, s3, s1
	s_and_b32 vcc_lo, exec_lo, s4
	s_cbranch_vccnz .LBB639_9
; %bb.3:
	s_mov_b32 s1, 0
                                        ; implicit-def: $vgpr3
                                        ; implicit-def: $vgpr4_vgpr5
	s_and_saveexec_b32 s2, s0
	s_cbranch_execz .LBB639_10
; %bb.4:
	v_lshl_or_b32 v2, s6, 8, v13
	v_mov_b32_e32 v3, 0
	s_waitcnt lgkmcnt(0)
	s_ashr_i32 s15, s12, 31
	s_mov_b32 s14, s12
	s_mov_b32 s3, 0
	s_mov_b32 s0, exec_lo
                                        ; implicit-def: $vgpr4_vgpr5
	v_cmpx_gt_i64_e64 s[14:15], v[2:3]
	s_cbranch_execz .LBB639_8
; %bb.5:
	v_mad_u64_u32 v[4:5], null, s20, v2, 0
	v_cmp_eq_f32_e64 s3, s24, 0
	s_and_b32 vcc_lo, exec_lo, s3
	v_mad_u64_u32 v[5:6], null, s21, v2, v[5:6]
	s_cbranch_vccnz .LBB639_7
; %bb.6:
	v_lshlrev_b64 v[2:3], 2, v[4:5]
	v_add_co_u32 v2, vcc_lo, s5, v2
	v_add_co_ci_u32_e64 v3, null, s22, v3, vcc_lo
	global_load_dword v2, v[2:3], off
	s_waitcnt vmcnt(0)
	v_mul_f32_e32 v3, s24, v2
.LBB639_7:
	s_mov_b32 s3, exec_lo
.LBB639_8:
	s_or_b32 exec_lo, exec_lo, s0
	s_and_b32 s26, s3, exec_lo
	s_or_b32 exec_lo, exec_lo, s2
	s_and_b32 vcc_lo, exec_lo, s1
	s_cbranch_vccnz .LBB639_11
	s_branch .LBB639_48
.LBB639_9:
                                        ; implicit-def: $vgpr3
                                        ; implicit-def: $vgpr4_vgpr5
	s_cbranch_execnz .LBB639_11
	s_branch .LBB639_48
.LBB639_10:
	s_or_b32 exec_lo, exec_lo, s2
	s_and_b32 vcc_lo, exec_lo, s1
	s_cbranch_vccz .LBB639_48
.LBB639_11:
	s_mul_i32 s0, s47, s7
	s_mul_hi_u32 s1, s46, s7
	s_lshl_b32 s23, s6, 8
	s_add_i32 s15, s1, s0
	s_waitcnt lgkmcnt(0)
	s_ashr_i32 s1, s13, 31
	v_lshlrev_b32_e32 v19, 2, v1
	s_lshr_b32 s1, s1, 26
	v_add_nc_u32_e32 v2, s23, v0
	v_mov_b32_e32 v15, 0
	v_mov_b32_e32 v16, 0
	;; [unrolled: 1-line block ×4, first 2 shown]
	s_mul_i32 s0, s11, s7
	s_mul_hi_u32 s2, s10, s7
	s_add_i32 s27, s13, s1
	s_mul_i32 s14, s46, s7
	s_andn2_b32 s27, s27, 63
	s_add_i32 s11, s2, s0
	s_mul_i32 s10, s10, s7
	s_mov_b32 s28, exec_lo
	v_cmpx_gt_i32_e64 s27, v19
	s_cbranch_execz .LBB639_23
; %bb.12:
	v_lshlrev_b32_e32 v30, 2, v1
	v_mad_u64_u32 v[4:5], null, s8, v1, 0
	v_add_nc_u32_e32 v11, 64, v2
	v_add_nc_u32_e32 v12, 0x80, v2
	v_or_b32_e32 v15, 3, v30
	s_lshl_b64 s[0:1], s[10:11], 1
	s_lshl_b64 s[6:7], s[50:51], 1
	s_add_u32 s4, s48, s0
	s_addc_u32 s29, s49, s1
	v_mad_u64_u32 v[6:7], null, s44, v15, 0
	v_cmp_gt_i32_e64 s0, s12, v11
	v_cmp_gt_i32_e64 s1, s12, v12
	v_add_nc_u32_e32 v16, 0xc0, v2
	v_or_b32_e32 v24, 2, v30
	s_lshl_b64 s[18:19], s[42:43], 1
	s_lshl_b64 s[16:17], s[8:9], 7
	v_mad_u64_u32 v[8:9], null, s9, v1, v[5:6]
	v_mad_u64_u32 v[9:10], null, s8, v15, 0
	v_cmp_gt_i32_e64 s2, s12, v16
	s_lshl_b64 s[30:31], s[14:15], 1
	v_mad_u64_u32 v[28:29], null, s8, v24, 0
	v_mov_b32_e32 v5, v8
	v_mad_u64_u32 v[7:8], null, s45, v15, v[7:8]
	v_mad_u64_u32 v[32:33], null, s44, v30, s[44:45]
	v_lshlrev_b64 v[11:12], 3, v[4:5]
	v_mov_b32_e32 v5, v10
	v_mov_b32_e32 v8, v29
	v_ashrrev_i32_e32 v3, 31, v2
	v_lshlrev_b64 v[6:7], 1, v[6:7]
	v_cmp_gt_i32_e32 vcc_lo, s12, v2
	v_add_co_u32 v20, s3, s4, v11
	v_add_co_ci_u32_e64 v21, null, s29, v12, s3
	v_mad_u64_u32 v[15:16], null, s9, v15, v[5:6]
	v_mad_u64_u32 v[11:12], null, s44, v1, 0
	s_add_u32 s3, s40, s18
	s_addc_u32 s18, s41, s19
	s_add_u32 s19, s3, s30
	s_addc_u32 s18, s18, s31
	v_mov_b32_e32 v10, v15
	v_mad_u64_u32 v[15:16], null, s44, v24, 0
	v_mov_b32_e32 v5, v12
	v_add_co_u32 v22, s3, s19, v6
	v_add_co_ci_u32_e64 v23, null, s18, v7, s3
	v_mad_u64_u32 v[17:18], null, s45, v1, v[5:6]
	v_lshlrev_b64 v[6:7], 1, v[9:10]
	v_mov_b32_e32 v5, v16
	v_lshlrev_b64 v[3:4], 1, v[2:3]
	v_mad_u64_u32 v[9:10], null, s45, v24, v[5:6]
	v_mov_b32_e32 v12, v17
	v_mad_u64_u32 v[17:18], null, s8, v30, s[8:9]
	v_mad_u64_u32 v[26:27], null, s9, v24, v[8:9]
	v_add_co_u32 v24, s3, s4, v6
	v_add_co_ci_u32_e64 v25, null, s29, v7, s3
	v_lshlrev_b64 v[6:7], 3, v[11:12]
	v_mov_b32_e32 v5, v18
	v_mov_b32_e32 v16, v9
	;; [unrolled: 1-line block ×3, first 2 shown]
	v_add_co_u32 v26, s3, s19, v6
	v_mad_u64_u32 v[8:9], null, s9, v30, v[5:6]
	v_add_co_ci_u32_e64 v27, null, s18, v7, s3
	v_lshlrev_b64 v[6:7], 1, v[15:16]
	v_mov_b32_e32 v5, v33
	v_mov_b32_e32 v15, 0
	;; [unrolled: 1-line block ×4, first 2 shown]
	v_mad_u64_u32 v[9:10], null, s45, v30, v[5:6]
	v_lshlrev_b64 v[10:11], 1, v[28:29]
	v_add_co_u32 v28, s3, s19, v6
	v_lshlrev_b64 v[5:6], 1, v[17:18]
	v_add_co_ci_u32_e64 v29, null, s18, v7, s3
	v_mov_b32_e32 v33, v9
	v_add_co_u32 v30, s3, s4, v10
	v_add_co_ci_u32_e64 v31, null, s29, v11, s3
	v_lshlrev_b64 v[7:8], 1, v[32:33]
	v_add_co_u32 v32, s3, s4, v5
	v_add_co_ci_u32_e64 v33, null, s29, v6, s3
	v_mov_b32_e32 v17, 0
	v_add_co_u32 v34, s3, s19, v7
	v_add_co_ci_u32_e64 v35, null, s18, v8, s3
	v_mov_b32_e32 v18, 0
	s_lshl_b64 s[18:19], s[44:45], 7
	s_mov_b32 s29, 0
	s_branch .LBB639_17
.LBB639_13:                             ;   in Loop: Header=BB639_17 Depth=1
	s_or_b32 exec_lo, exec_lo, s31
	s_waitcnt vmcnt(3)
	v_lshlrev_b32_e32 v5, 16, v51
	s_waitcnt vmcnt(2)
	v_lshlrev_b32_e32 v6, 16, v50
	v_fmac_f32_e32 v17, v43, v5
	s_waitcnt vmcnt(1)
	v_lshlrev_b32_e32 v5, 16, v49
	v_fmac_f32_e32 v17, v39, v6
	v_fmac_f32_e32 v17, v41, v5
	s_waitcnt vmcnt(0)
	v_lshlrev_b32_e32 v5, 16, v48
	v_fmac_f32_e32 v17, v37, v5
.LBB639_14:                             ;   in Loop: Header=BB639_17 Depth=1
	s_or_b32 exec_lo, exec_lo, s30
	s_waitcnt vmcnt(3)
	v_lshlrev_b32_e32 v5, 16, v47
	s_waitcnt vmcnt(2)
	v_lshlrev_b32_e32 v6, 16, v46
	v_fmac_f32_e32 v16, v43, v5
	s_waitcnt vmcnt(1)
	v_lshlrev_b32_e32 v5, 16, v45
	v_fmac_f32_e32 v16, v39, v6
	v_fmac_f32_e32 v16, v41, v5
	s_waitcnt vmcnt(0)
	v_lshlrev_b32_e32 v5, 16, v44
	v_fmac_f32_e32 v16, v37, v5
.LBB639_15:                             ;   in Loop: Header=BB639_17 Depth=1
	s_or_b32 exec_lo, exec_lo, s3
	s_waitcnt vmcnt(3)
	v_lshlrev_b32_e32 v5, 16, v42
	s_waitcnt vmcnt(2)
	v_lshlrev_b32_e32 v6, 16, v40
	v_fmac_f32_e32 v15, v43, v5
	s_waitcnt vmcnt(1)
	v_lshlrev_b32_e32 v5, 16, v38
	v_fmac_f32_e32 v15, v39, v6
	v_fmac_f32_e32 v15, v41, v5
	s_waitcnt vmcnt(0)
	v_lshlrev_b32_e32 v5, 16, v36
	v_fmac_f32_e32 v15, v37, v5
.LBB639_16:                             ;   in Loop: Header=BB639_17 Depth=1
	s_or_b32 exec_lo, exec_lo, s4
	v_add_co_u32 v20, s3, v20, s16
	v_add_co_ci_u32_e64 v21, null, s17, v21, s3
	v_add_co_u32 v22, s3, v22, s18
	v_add_co_ci_u32_e64 v23, null, s19, v23, s3
	;; [unrolled: 2-line block ×4, first 2 shown]
	v_add_co_u32 v28, s3, v28, s18
	v_add_nc_u32_e32 v19, 64, v19
	v_add_co_ci_u32_e64 v29, null, s19, v29, s3
	v_add_co_u32 v30, s3, v30, s16
	v_add_co_ci_u32_e64 v31, null, s17, v31, s3
	v_add_co_u32 v32, s3, v32, s16
	v_add_co_ci_u32_e64 v33, null, s17, v33, s3
	v_cmp_le_i32_e64 s3, s27, v19
	v_add_co_u32 v34, s4, v34, s18
	v_add_co_ci_u32_e64 v35, null, s19, v35, s4
	s_or_b32 s29, s3, s29
	s_andn2_b32 exec_lo, exec_lo, s29
	s_cbranch_execz .LBB639_22
.LBB639_17:                             ; =>This Inner Loop Header: Depth=1
	s_and_saveexec_b32 s4, vcc_lo
	s_cbranch_execz .LBB639_16
; %bb.18:                               ;   in Loop: Header=BB639_17 Depth=1
	v_add_co_u32 v5, s3, v20, s6
	v_add_co_ci_u32_e64 v6, null, s7, v21, s3
	v_add_co_u32 v7, s3, v32, s6
	v_add_co_ci_u32_e64 v8, null, s7, v33, s3
	;; [unrolled: 2-line block ×4, first 2 shown]
	global_load_ushort v37, v[5:6], off
	global_load_ushort v39, v[7:8], off
	;; [unrolled: 1-line block ×4, first 2 shown]
	v_add_co_u32 v5, s3, v26, v3
	v_add_co_ci_u32_e64 v6, null, v27, v4, s3
	v_add_co_u32 v9, s3, v34, v3
	v_add_co_ci_u32_e64 v10, null, v35, v4, s3
	;; [unrolled: 2-line block ×4, first 2 shown]
	global_load_ushort v42, v[5:6], off
	global_load_ushort v40, v[9:10], off
	;; [unrolled: 1-line block ×4, first 2 shown]
	s_waitcnt vmcnt(7)
	v_lshlrev_b32_e32 v43, 16, v37
	s_waitcnt vmcnt(6)
	v_lshlrev_b32_e32 v39, 16, v39
	;; [unrolled: 2-line block ×4, first 2 shown]
	s_and_saveexec_b32 s3, s0
	s_cbranch_execz .LBB639_15
; %bb.19:                               ;   in Loop: Header=BB639_17 Depth=1
	global_load_ushort v47, v[5:6], off offset:128
	global_load_ushort v46, v[9:10], off offset:128
	global_load_ushort v45, v[7:8], off offset:128
	global_load_ushort v44, v[11:12], off offset:128
	s_and_saveexec_b32 s30, s1
	s_cbranch_execz .LBB639_14
; %bb.20:                               ;   in Loop: Header=BB639_17 Depth=1
	global_load_ushort v51, v[5:6], off offset:256
	global_load_ushort v50, v[9:10], off offset:256
	global_load_ushort v49, v[7:8], off offset:256
	global_load_ushort v48, v[11:12], off offset:256
	;; [unrolled: 7-line block ×3, first 2 shown]
	s_waitcnt vmcnt(3)
	v_lshlrev_b32_e32 v5, 16, v5
	s_waitcnt vmcnt(2)
	v_lshlrev_b32_e32 v6, 16, v6
	v_fmac_f32_e32 v18, v43, v5
	s_waitcnt vmcnt(1)
	v_lshlrev_b32_e32 v5, 16, v7
	v_fmac_f32_e32 v18, v39, v6
	;; [unrolled: 3-line block ×3, first 2 shown]
	v_fmac_f32_e32 v18, v37, v6
	s_branch .LBB639_13
.LBB639_22:
	s_or_b32 exec_lo, exec_lo, s29
.LBB639_23:
	s_or_b32 exec_lo, exec_lo, s28
	s_sub_i32 s0, s13, s27
	s_cmp_lt_i32 s0, 1
	s_cbranch_scc1 .LBB639_41
; %bb.24:
	v_cmp_gt_i32_e32 vcc_lo, s13, v19
	v_mov_b32_e32 v12, 0
	v_or_b32_e32 v4, 1, v19
	v_mov_b32_e32 v11, 0
	v_mov_b32_e32 v21, 0
	;; [unrolled: 1-line block ×3, first 2 shown]
	s_and_saveexec_b32 s1, vcc_lo
	s_cbranch_execz .LBB639_32
; %bb.25:
	v_mad_u64_u32 v[5:6], null, s8, v19, 0
	s_lshl_b64 s[2:3], s[10:11], 1
	v_mov_b32_e32 v20, 0
	s_add_u32 s0, s48, s2
	s_addc_u32 s2, s49, s3
	s_lshl_b64 s[6:7], s[50:51], 1
	v_mov_b32_e32 v11, 0
	v_mov_b32_e32 v3, v6
	s_add_u32 s3, s0, s6
	s_addc_u32 s4, s2, s7
	v_mov_b32_e32 v12, 0
	s_mov_b32 s2, exec_lo
	v_mad_u64_u32 v[6:7], null, s9, v19, v[3:4]
	v_lshlrev_b64 v[5:6], 1, v[5:6]
	v_add_co_u32 v5, s0, s3, v5
	v_add_co_ci_u32_e64 v6, null, s4, v6, s0
	global_load_ushort v3, v[5:6], off
	v_cmpx_gt_i32_e64 s13, v4
	s_cbranch_execz .LBB639_31
; %bb.26:
	v_mad_u64_u32 v[5:6], null, s8, v4, 0
	v_mov_b32_e32 v11, 0
	v_mov_b32_e32 v12, 0
	s_mov_b32 s6, exec_lo
	v_mad_u64_u32 v[6:7], null, s9, v4, v[6:7]
	v_lshlrev_b64 v[5:6], 1, v[5:6]
	v_add_co_u32 v5, s0, s3, v5
	v_add_co_ci_u32_e64 v6, null, s4, v6, s0
	global_load_ushort v5, v[5:6], off
	v_or_b32_e32 v6, 2, v19
	v_cmpx_gt_i32_e64 s13, v6
	s_cbranch_execz .LBB639_30
; %bb.27:
	v_mad_u64_u32 v[7:8], null, s8, v6, 0
	v_mov_b32_e32 v11, 0
	s_mov_b32 s7, exec_lo
	v_mad_u64_u32 v[8:9], null, s9, v6, v[8:9]
	v_lshlrev_b64 v[6:7], 1, v[7:8]
	v_add_co_u32 v6, s0, s3, v6
	v_add_co_ci_u32_e64 v7, null, s4, v7, s0
	global_load_ushort v6, v[6:7], off
	v_or_b32_e32 v7, 3, v19
	v_cmpx_gt_i32_e64 s13, v7
	s_cbranch_execz .LBB639_29
; %bb.28:
	v_mad_u64_u32 v[8:9], null, s8, v7, 0
	v_mad_u64_u32 v[9:10], null, s9, v7, v[9:10]
	v_lshlrev_b64 v[7:8], 1, v[8:9]
	v_add_co_u32 v7, s0, s3, v7
	v_add_co_ci_u32_e64 v8, null, s4, v8, s0
	global_load_ushort v7, v[7:8], off
	s_waitcnt vmcnt(0)
	v_lshlrev_b32_e32 v11, 16, v7
.LBB639_29:
	s_or_b32 exec_lo, exec_lo, s7
	s_waitcnt vmcnt(0)
	v_lshlrev_b32_e32 v12, 16, v6
.LBB639_30:
	s_or_b32 exec_lo, exec_lo, s6
	s_waitcnt vmcnt(0)
	v_lshlrev_b32_e32 v20, 16, v5
.LBB639_31:
	s_or_b32 exec_lo, exec_lo, s2
	s_waitcnt vmcnt(0)
	v_lshlrev_b32_e32 v21, 16, v3
.LBB639_32:
	s_or_b32 exec_lo, exec_lo, s1
	s_mov_b32 s1, exec_lo
	v_cmpx_gt_i32_e64 s12, v2
	s_cbranch_execz .LBB639_40
; %bb.33:
	v_mad_u64_u32 v[5:6], null, s44, v19, 0
	v_mad_u64_u32 v[7:8], null, s44, v4, 0
	v_ashrrev_i32_e32 v3, 31, v2
	v_or_b32_e32 v29, 2, v19
	s_lshl_b64 s[2:3], s[14:15], 1
	s_add_u32 s0, s40, s2
	v_cndmask_b32_e32 v5, 0, v5, vcc_lo
	v_mad_u64_u32 v[9:10], null, s45, v19, v[6:7]
	v_or_b32_e32 v19, 3, v19
	v_lshlrev_b64 v[22:23], 1, v[2:3]
	v_mad_u64_u32 v[24:25], null, s44, v29, 0
	v_mov_b32_e32 v3, v8
	s_addc_u32 s4, s41, s3
	v_cndmask_b32_e32 v6, 0, v9, vcc_lo
	v_cmp_gt_i32_e32 vcc_lo, s13, v4
	s_lshl_b64 s[2:3], s[42:43], 1
	v_mad_u64_u32 v[8:9], null, s44, v19, 0
	v_lshlrev_b64 v[5:6], 1, v[5:6]
	v_mad_u64_u32 v[26:27], null, s45, v4, v[3:4]
	s_add_u32 s2, s0, s2
	v_cndmask_b32_e32 v27, 0, v7, vcc_lo
	v_mov_b32_e32 v7, v25
	s_addc_u32 s3, s4, s3
	v_add_co_u32 v3, s0, s2, v5
	v_add_co_ci_u32_e64 v4, null, s3, v6, s0
	v_cndmask_b32_e32 v28, 0, v26, vcc_lo
	v_mad_u64_u32 v[25:26], null, s45, v29, v[7:8]
	v_mov_b32_e32 v7, v9
	v_add_co_u32 v3, vcc_lo, v3, v22
	v_add_co_ci_u32_e64 v4, null, v4, v23, vcc_lo
	v_cmp_gt_i32_e32 vcc_lo, s13, v29
	v_lshlrev_b64 v[5:6], 1, v[27:28]
	v_mad_u64_u32 v[26:27], null, s45, v19, v[7:8]
	v_cndmask_b32_e32 v9, 0, v24, vcc_lo
	v_cndmask_b32_e32 v10, 0, v25, vcc_lo
	v_cmp_gt_i32_e32 vcc_lo, s13, v19
	v_add_co_u32 v5, s0, s2, v5
	v_add_co_ci_u32_e64 v6, null, s3, v6, s0
	v_cndmask_b32_e32 v7, 0, v8, vcc_lo
	v_cndmask_b32_e32 v8, 0, v26, vcc_lo
	v_lshlrev_b64 v[9:10], 1, v[9:10]
	v_add_co_u32 v5, s0, v5, v22
	v_add_co_ci_u32_e64 v6, null, v6, v23, s0
	v_lshlrev_b64 v[7:8], 1, v[7:8]
	v_add_co_u32 v9, vcc_lo, s2, v9
	v_add_co_ci_u32_e64 v10, null, s3, v10, vcc_lo
	s_clause 0x1
	global_load_ushort v19, v[3:4], off
	global_load_ushort v24, v[5:6], off
	v_add_co_u32 v25, vcc_lo, s2, v7
	v_add_co_ci_u32_e64 v26, null, s3, v8, vcc_lo
	v_add_co_u32 v7, vcc_lo, v9, v22
	v_add_co_ci_u32_e64 v8, null, v10, v23, vcc_lo
	;; [unrolled: 2-line block ×3, first 2 shown]
	s_clause 0x1
	global_load_ushort v22, v[7:8], off
	global_load_ushort v23, v[9:10], off
	s_mov_b32 s0, exec_lo
	s_waitcnt vmcnt(3)
	v_lshlrev_b32_e32 v19, 16, v19
	s_waitcnt vmcnt(2)
	v_lshlrev_b32_e32 v24, 16, v24
	v_fmac_f32_e32 v15, v21, v19
	v_fmac_f32_e32 v15, v20, v24
	v_add_nc_u32_e32 v24, 64, v2
	s_waitcnt vmcnt(1)
	v_lshlrev_b32_e32 v22, 16, v22
	s_waitcnt vmcnt(0)
	v_lshlrev_b32_e32 v19, 16, v23
	v_fmac_f32_e32 v15, v12, v22
	v_cmpx_gt_i32_e64 s12, v24
	s_cbranch_execz .LBB639_39
; %bb.34:
	s_clause 0x3
	global_load_ushort v22, v[3:4], off offset:128
	global_load_ushort v23, v[5:6], off offset:128
	;; [unrolled: 1-line block ×4, first 2 shown]
	s_mov_b32 s2, exec_lo
	s_waitcnt vmcnt(3)
	v_lshlrev_b32_e32 v22, 16, v22
	s_waitcnt vmcnt(2)
	v_lshlrev_b32_e32 v23, 16, v23
	;; [unrolled: 2-line block ×3, first 2 shown]
	v_fmac_f32_e32 v16, v21, v22
	s_waitcnt vmcnt(0)
	v_lshlrev_b32_e32 v22, 16, v25
	v_fmac_f32_e32 v16, v20, v23
	v_add_nc_u32_e32 v23, 0x80, v2
	v_fmac_f32_e32 v16, v12, v24
	v_cmpx_gt_i32_e64 s12, v23
	s_cbranch_execz .LBB639_38
; %bb.35:
	s_clause 0x3
	global_load_ushort v23, v[3:4], off offset:256
	global_load_ushort v24, v[5:6], off offset:256
	;; [unrolled: 1-line block ×4, first 2 shown]
	s_mov_b32 s3, exec_lo
	s_waitcnt vmcnt(3)
	v_lshlrev_b32_e32 v23, 16, v23
	s_waitcnt vmcnt(2)
	v_lshlrev_b32_e32 v24, 16, v24
	v_fmac_f32_e32 v17, v21, v23
	s_waitcnt vmcnt(1)
	v_lshlrev_b32_e32 v23, 16, v25
	v_fmac_f32_e32 v17, v20, v24
	v_add_nc_u32_e32 v24, 0xc0, v2
	s_waitcnt vmcnt(0)
	v_lshlrev_b32_e32 v2, 16, v26
	v_fmac_f32_e32 v17, v12, v23
	v_cmpx_gt_i32_e64 s12, v24
	s_cbranch_execz .LBB639_37
; %bb.36:
	s_clause 0x3
	global_load_ushort v3, v[3:4], off offset:384
	global_load_ushort v4, v[5:6], off offset:384
	;; [unrolled: 1-line block ×4, first 2 shown]
	s_waitcnt vmcnt(3)
	v_lshlrev_b32_e32 v3, 16, v3
	s_waitcnt vmcnt(2)
	v_lshlrev_b32_e32 v4, 16, v4
	v_fmac_f32_e32 v18, v21, v3
	s_waitcnt vmcnt(1)
	v_lshlrev_b32_e32 v3, 16, v5
	v_fmac_f32_e32 v18, v20, v4
	;; [unrolled: 3-line block ×3, first 2 shown]
	v_fmac_f32_e32 v18, v11, v4
.LBB639_37:
	s_or_b32 exec_lo, exec_lo, s3
	v_fmac_f32_e32 v17, v11, v2
.LBB639_38:
	s_or_b32 exec_lo, exec_lo, s2
	v_fmac_f32_e32 v16, v11, v22
.LBB639_39:
	s_or_b32 exec_lo, exec_lo, s0
	v_fmac_f32_e32 v15, v11, v19
.LBB639_40:
	s_or_b32 exec_lo, exec_lo, s1
.LBB639_41:
	v_lshlrev_b32_e32 v0, 2, v0
	s_mov_b32 s0, exec_lo
                                        ; implicit-def: $vgpr3
                                        ; implicit-def: $vgpr4_vgpr5
	v_lshl_add_u32 v1, v1, 10, v0
	ds_write2st64_b32 v1, v15, v16 offset1:1
	ds_write2st64_b32 v1, v17, v18 offset0:2 offset1:3
	s_waitcnt lgkmcnt(0)
	s_barrier
	buffer_gl0_inv
	v_cmpx_gt_u32_e32 0x100, v13
	s_cbranch_execz .LBB639_47
; %bb.42:
	v_lshl_add_u32 v6, v14, 2, v0
	s_mov_b32 s2, s26
	s_mov_b32 s1, exec_lo
	ds_read2st64_b32 v[0:1], v6 offset1:4
	ds_read2st64_b32 v[2:3], v6 offset0:8 offset1:12
	ds_read2st64_b32 v[4:5], v6 offset0:16 offset1:20
	s_waitcnt lgkmcnt(2)
	v_add_f32_e32 v7, v0, v1
	ds_read2st64_b32 v[0:1], v6 offset0:24 offset1:28
	s_waitcnt lgkmcnt(2)
	v_add_f32_e32 v2, v2, v7
	v_add_f32_e32 v7, v3, v2
	ds_read2st64_b32 v[2:3], v6 offset0:32 offset1:36
	s_waitcnt lgkmcnt(2)
	v_add_f32_e32 v4, v4, v7
	;; [unrolled: 4-line block ×3, first 2 shown]
	v_add_f32_e32 v0, v1, v0
	s_waitcnt lgkmcnt(1)
	v_add_f32_e32 v2, v2, v0
	ds_read2st64_b32 v[0:1], v6 offset0:48 offset1:52
	v_add_f32_e32 v2, v3, v2
	s_waitcnt lgkmcnt(1)
	v_add_f32_e32 v4, v4, v2
	ds_read2st64_b32 v[2:3], v6 offset0:56 offset1:60
	v_add_f32_e32 v4, v5, v4
	s_waitcnt lgkmcnt(1)
	v_add_f32_e32 v0, v0, v4
                                        ; implicit-def: $vgpr4_vgpr5
	v_add_f32_e32 v0, v1, v0
	v_or_b32_e32 v1, s23, v13
	s_waitcnt lgkmcnt(0)
	v_add_f32_e32 v0, v2, v0
	v_add_f32_e32 v0, v3, v0
                                        ; implicit-def: $vgpr3
	ds_write_b32 v6, v0
	v_cmpx_gt_i32_e64 s12, v1
	s_cbranch_execz .LBB639_46
; %bb.43:
	v_ashrrev_i32_e32 v2, 31, v1
	v_mul_lo_u32 v6, s21, v1
	v_mad_u64_u32 v[4:5], null, s20, v1, 0
	v_cmp_eq_f32_e64 s2, s24, 0
	v_mul_lo_u32 v1, s20, v2
	v_mul_f32_e32 v3, s25, v0
	s_and_b32 vcc_lo, exec_lo, s2
	v_add3_u32 v5, v5, v1, v6
	s_cbranch_vccnz .LBB639_45
; %bb.44:
	v_lshlrev_b64 v[0:1], 2, v[4:5]
	v_add_co_u32 v0, vcc_lo, s5, v0
	v_add_co_ci_u32_e64 v1, null, s22, v1, vcc_lo
	global_load_dword v0, v[0:1], off
	s_waitcnt vmcnt(0)
	v_fmac_f32_e32 v3, s24, v0
.LBB639_45:
	s_or_b32 s2, s26, exec_lo
.LBB639_46:
	s_or_b32 exec_lo, exec_lo, s1
	s_andn2_b32 s1, s26, exec_lo
	s_and_b32 s2, s2, exec_lo
	s_or_b32 s26, s1, s2
.LBB639_47:
	s_or_b32 exec_lo, exec_lo, s0
.LBB639_48:
	s_and_saveexec_b32 s0, s26
	s_cbranch_execz .LBB639_50
; %bb.49:
	v_lshlrev_b64 v[0:1], 2, v[4:5]
	v_add_co_u32 v0, vcc_lo, s5, v0
	v_add_co_ci_u32_e64 v1, null, s22, v1, vcc_lo
	global_store_dword v[0:1], v3, off
.LBB639_50:
	s_endpgm
	.section	.rodata,"a",@progbits
	.p2align	6, 0x0
	.amdhsa_kernel _ZL20rocblas_gemvn_kernelILi64ELi16El16rocblas_bfloat16PKffEviiT3_lPKT2_lT1_lS6_lS7_lS3_lPT4_lS7_li
		.amdhsa_group_segment_fixed_size 16384
		.amdhsa_private_segment_fixed_size 0
		.amdhsa_kernarg_size 400
		.amdhsa_user_sgpr_count 6
		.amdhsa_user_sgpr_private_segment_buffer 1
		.amdhsa_user_sgpr_dispatch_ptr 0
		.amdhsa_user_sgpr_queue_ptr 0
		.amdhsa_user_sgpr_kernarg_segment_ptr 1
		.amdhsa_user_sgpr_dispatch_id 0
		.amdhsa_user_sgpr_flat_scratch_init 0
		.amdhsa_user_sgpr_private_segment_size 0
		.amdhsa_wavefront_size32 1
		.amdhsa_uses_dynamic_stack 0
		.amdhsa_system_sgpr_private_segment_wavefront_offset 0
		.amdhsa_system_sgpr_workgroup_id_x 1
		.amdhsa_system_sgpr_workgroup_id_y 0
		.amdhsa_system_sgpr_workgroup_id_z 1
		.amdhsa_system_sgpr_workgroup_info 0
		.amdhsa_system_vgpr_workitem_id 1
		.amdhsa_next_free_vgpr 52
		.amdhsa_next_free_sgpr 52
		.amdhsa_reserve_vcc 1
		.amdhsa_reserve_flat_scratch 0
		.amdhsa_float_round_mode_32 0
		.amdhsa_float_round_mode_16_64 0
		.amdhsa_float_denorm_mode_32 3
		.amdhsa_float_denorm_mode_16_64 3
		.amdhsa_dx10_clamp 1
		.amdhsa_ieee_mode 1
		.amdhsa_fp16_overflow 0
		.amdhsa_workgroup_processor_mode 1
		.amdhsa_memory_ordered 1
		.amdhsa_forward_progress 1
		.amdhsa_shared_vgpr_count 0
		.amdhsa_exception_fp_ieee_invalid_op 0
		.amdhsa_exception_fp_denorm_src 0
		.amdhsa_exception_fp_ieee_div_zero 0
		.amdhsa_exception_fp_ieee_overflow 0
		.amdhsa_exception_fp_ieee_underflow 0
		.amdhsa_exception_fp_ieee_inexact 0
		.amdhsa_exception_int_div_zero 0
	.end_amdhsa_kernel
	.section	.text._ZL20rocblas_gemvn_kernelILi64ELi16El16rocblas_bfloat16PKffEviiT3_lPKT2_lT1_lS6_lS7_lS3_lPT4_lS7_li,"axG",@progbits,_ZL20rocblas_gemvn_kernelILi64ELi16El16rocblas_bfloat16PKffEviiT3_lPKT2_lT1_lS6_lS7_lS3_lPT4_lS7_li,comdat
.Lfunc_end639:
	.size	_ZL20rocblas_gemvn_kernelILi64ELi16El16rocblas_bfloat16PKffEviiT3_lPKT2_lT1_lS6_lS7_lS3_lPT4_lS7_li, .Lfunc_end639-_ZL20rocblas_gemvn_kernelILi64ELi16El16rocblas_bfloat16PKffEviiT3_lPKT2_lT1_lS6_lS7_lS3_lPT4_lS7_li
                                        ; -- End function
	.set _ZL20rocblas_gemvn_kernelILi64ELi16El16rocblas_bfloat16PKffEviiT3_lPKT2_lT1_lS6_lS7_lS3_lPT4_lS7_li.num_vgpr, 52
	.set _ZL20rocblas_gemvn_kernelILi64ELi16El16rocblas_bfloat16PKffEviiT3_lPKT2_lT1_lS6_lS7_lS3_lPT4_lS7_li.num_agpr, 0
	.set _ZL20rocblas_gemvn_kernelILi64ELi16El16rocblas_bfloat16PKffEviiT3_lPKT2_lT1_lS6_lS7_lS3_lPT4_lS7_li.numbered_sgpr, 52
	.set _ZL20rocblas_gemvn_kernelILi64ELi16El16rocblas_bfloat16PKffEviiT3_lPKT2_lT1_lS6_lS7_lS3_lPT4_lS7_li.num_named_barrier, 0
	.set _ZL20rocblas_gemvn_kernelILi64ELi16El16rocblas_bfloat16PKffEviiT3_lPKT2_lT1_lS6_lS7_lS3_lPT4_lS7_li.private_seg_size, 0
	.set _ZL20rocblas_gemvn_kernelILi64ELi16El16rocblas_bfloat16PKffEviiT3_lPKT2_lT1_lS6_lS7_lS3_lPT4_lS7_li.uses_vcc, 1
	.set _ZL20rocblas_gemvn_kernelILi64ELi16El16rocblas_bfloat16PKffEviiT3_lPKT2_lT1_lS6_lS7_lS3_lPT4_lS7_li.uses_flat_scratch, 0
	.set _ZL20rocblas_gemvn_kernelILi64ELi16El16rocblas_bfloat16PKffEviiT3_lPKT2_lT1_lS6_lS7_lS3_lPT4_lS7_li.has_dyn_sized_stack, 0
	.set _ZL20rocblas_gemvn_kernelILi64ELi16El16rocblas_bfloat16PKffEviiT3_lPKT2_lT1_lS6_lS7_lS3_lPT4_lS7_li.has_recursion, 0
	.set _ZL20rocblas_gemvn_kernelILi64ELi16El16rocblas_bfloat16PKffEviiT3_lPKT2_lT1_lS6_lS7_lS3_lPT4_lS7_li.has_indirect_call, 0
	.section	.AMDGPU.csdata,"",@progbits
; Kernel info:
; codeLenInByte = 3352
; TotalNumSgprs: 54
; NumVgprs: 52
; ScratchSize: 0
; MemoryBound: 0
; FloatMode: 240
; IeeeMode: 1
; LDSByteSize: 16384 bytes/workgroup (compile time only)
; SGPRBlocks: 0
; VGPRBlocks: 6
; NumSGPRsForWavesPerEU: 54
; NumVGPRsForWavesPerEU: 52
; Occupancy: 16
; WaveLimiterHint : 0
; COMPUTE_PGM_RSRC2:SCRATCH_EN: 0
; COMPUTE_PGM_RSRC2:USER_SGPR: 6
; COMPUTE_PGM_RSRC2:TRAP_HANDLER: 0
; COMPUTE_PGM_RSRC2:TGID_X_EN: 1
; COMPUTE_PGM_RSRC2:TGID_Y_EN: 0
; COMPUTE_PGM_RSRC2:TGID_Z_EN: 1
; COMPUTE_PGM_RSRC2:TIDIG_COMP_CNT: 1
	.section	.text._ZL20rocblas_gemvn_kernelILi64ELi16Ei16rocblas_bfloat16ffEviiT3_lPKT2_lT1_lS4_lS5_lS1_lPT4_lS5_li,"axG",@progbits,_ZL20rocblas_gemvn_kernelILi64ELi16Ei16rocblas_bfloat16ffEviiT3_lPKT2_lT1_lS4_lS5_lS1_lPT4_lS5_li,comdat
	.globl	_ZL20rocblas_gemvn_kernelILi64ELi16Ei16rocblas_bfloat16ffEviiT3_lPKT2_lT1_lS4_lS5_lS1_lPT4_lS5_li ; -- Begin function _ZL20rocblas_gemvn_kernelILi64ELi16Ei16rocblas_bfloat16ffEviiT3_lPKT2_lT1_lS4_lS5_lS1_lPT4_lS5_li
	.p2align	8
	.type	_ZL20rocblas_gemvn_kernelILi64ELi16Ei16rocblas_bfloat16ffEviiT3_lPKT2_lT1_lS4_lS5_lS1_lPT4_lS5_li,@function
_ZL20rocblas_gemvn_kernelILi64ELi16Ei16rocblas_bfloat16ffEviiT3_lPKT2_lT1_lS4_lS5_lS1_lPT4_lS5_li: ; @_ZL20rocblas_gemvn_kernelILi64ELi16Ei16rocblas_bfloat16ffEviiT3_lPKT2_lT1_lS4_lS5_lS1_lPT4_lS5_li
; %bb.0:
	s_load_dwordx2 s[0:1], s[4:5], 0x9c
	s_waitcnt lgkmcnt(0)
	s_lshr_b32 s2, s0, 16
	s_and_b32 s0, s0, 0xffff
	s_and_b32 s1, s1, 0xffff
	s_mul_i32 s0, s2, s0
	s_mul_i32 s0, s0, s1
	s_cmpk_lg_i32 s0, 0x400
	s_cbranch_scc1 .LBB640_50
; %bb.1:
	s_clause 0x1
	s_load_dwordx4 s[8:11], s[4:5], 0x0
	s_load_dword s13, s[4:5], 0x58
	s_mov_b32 s14, 0
	s_waitcnt lgkmcnt(0)
	v_cmp_eq_f32_e64 s0, s10, 0
	v_cmp_eq_f32_e64 s1, s13, 1.0
	s_and_b32 s0, s0, s1
	s_and_b32 vcc_lo, exec_lo, s0
	s_cbranch_vccnz .LBB640_50
; %bb.2:
	s_clause 0x2
	s_load_dwordx2 s[16:17], s[4:5], 0x80
	s_load_dwordx4 s[0:3], s[4:5], 0x68
	s_load_dword s15, s[4:5], 0x78
	v_lshlrev_b32_e32 v14, 6, v1
	v_cmp_neq_f32_e64 s18, s10, 0
	v_add_nc_u32_e32 v13, v14, v0
	s_waitcnt lgkmcnt(0)
	s_mul_i32 s11, s17, s7
	s_mul_hi_u32 s12, s16, s7
	s_mul_i32 s16, s16, s7
	s_add_i32 s17, s12, s11
	s_lshl_b64 s[16:17], s[16:17], 2
	s_add_u32 s11, s0, s16
	s_addc_u32 s12, s1, s17
	s_lshl_b64 s[0:1], s[2:3], 2
	s_add_u32 s11, s11, s0
	v_cmp_gt_u32_e64 s0, 0x100, v13
	s_addc_u32 s12, s12, s1
	s_and_b32 vcc_lo, exec_lo, s18
	s_cbranch_vccnz .LBB640_9
; %bb.3:
	s_mov_b32 s1, 0
                                        ; implicit-def: $vgpr3
                                        ; implicit-def: $vgpr4_vgpr5
	s_and_saveexec_b32 s2, s0
	s_cbranch_execz .LBB640_10
; %bb.4:
	v_lshl_or_b32 v2, s6, 8, v13
	v_mov_b32_e32 v3, 0
	s_ashr_i32 s17, s8, 31
	s_mov_b32 s16, s8
	s_mov_b32 s3, 0
	s_mov_b32 s0, exec_lo
                                        ; implicit-def: $vgpr4_vgpr5
	v_cmpx_gt_i64_e64 s[16:17], v[2:3]
	s_cbranch_execz .LBB640_8
; %bb.5:
	v_mad_u64_u32 v[4:5], null, s15, v2, 0
	s_ashr_i32 s3, s15, 31
	v_mad_u64_u32 v[5:6], null, s3, v2, v[5:6]
	v_cmp_eq_f32_e64 s3, s13, 0
	s_and_b32 vcc_lo, exec_lo, s3
	s_cbranch_vccnz .LBB640_7
; %bb.6:
	v_lshlrev_b64 v[2:3], 2, v[4:5]
	v_add_co_u32 v2, vcc_lo, s11, v2
	v_add_co_ci_u32_e64 v3, null, s12, v3, vcc_lo
	global_load_dword v2, v[2:3], off
	s_waitcnt vmcnt(0)
	v_mul_f32_e32 v3, s13, v2
.LBB640_7:
	s_mov_b32 s3, exec_lo
.LBB640_8:
	s_or_b32 exec_lo, exec_lo, s0
	s_and_b32 s14, s3, exec_lo
	s_or_b32 exec_lo, exec_lo, s2
	s_and_b32 vcc_lo, exec_lo, s1
	s_cbranch_vccnz .LBB640_11
	s_branch .LBB640_48
.LBB640_9:
                                        ; implicit-def: $vgpr3
                                        ; implicit-def: $vgpr4_vgpr5
	s_cbranch_execnz .LBB640_11
	s_branch .LBB640_48
.LBB640_10:
	s_or_b32 exec_lo, exec_lo, s2
	s_and_b32 vcc_lo, exec_lo, s1
	s_cbranch_vccz .LBB640_48
.LBB640_11:
	s_clause 0x5
	s_load_dwordx4 s[0:3], s[4:5], 0x30
	s_load_dwordx2 s[18:19], s[4:5], 0x50
	s_load_dwordx4 s[20:23], s[4:5], 0x18
	s_load_dword s16, s[4:5], 0x28
	s_load_dwordx2 s[24:25], s[4:5], 0x40
	s_load_dword s4, s[4:5], 0x48
	v_lshlrev_b32_e32 v20, 2, v1
	v_mov_b32_e32 v15, 0
	v_mov_b32_e32 v16, 0
	;; [unrolled: 1-line block ×4, first 2 shown]
	s_waitcnt lgkmcnt(0)
	s_mul_i32 s1, s1, s7
	s_mul_hi_u32 s17, s0, s7
	s_mul_i32 s0, s0, s7
	s_add_i32 s1, s17, s1
	s_mul_i32 s19, s19, s7
	s_lshl_b64 s[0:1], s[0:1], 1
	s_mul_hi_u32 s26, s18, s7
	s_add_u32 s17, s20, s0
	s_addc_u32 s20, s21, s1
	s_lshl_b64 s[0:1], s[22:23], 1
	s_mul_i32 s18, s18, s7
	s_add_u32 s7, s17, s0
	s_addc_u32 s17, s20, s1
	s_add_i32 s19, s26, s19
	s_mov_b32 s20, exec_lo
	s_lshl_b64 s[0:1], s[18:19], 1
	s_add_u32 s2, s2, s0
	s_addc_u32 s3, s3, s1
	s_lshl_b64 s[0:1], s[24:25], 1
	s_add_u32 s18, s2, s0
	s_addc_u32 s19, s3, s1
	s_ashr_i32 s0, s9, 31
	s_lshl_b32 s5, s6, 8
	s_lshr_b32 s0, s0, 26
	v_add_nc_u32_e32 v19, s5, v0
	s_add_i32 s0, s9, s0
	s_and_b32 s6, s0, 0xffffffc0
	v_cmpx_gt_i32_e64 s6, v20
	s_cbranch_execz .LBB640_23
; %bb.12:
	v_add_nc_u32_e32 v5, 0xc0, v19
	v_mul_lo_u32 v3, s16, v20
	v_add_nc_u32_e32 v2, 64, v19
	v_add_nc_u32_e32 v6, 2, v20
	;; [unrolled: 1-line block ×3, first 2 shown]
	v_cmp_gt_i32_e64 s2, s8, v5
	v_mul_lo_u32 v5, v1, s16
	v_add_nc_u32_e32 v7, 3, v20
	v_mul_lo_u32 v8, v1, s4
	v_cmp_gt_i32_e64 s0, s8, v2
	v_add3_u32 v21, v3, s16, v0
	v_mad_u64_u32 v[2:3], null, s16, v6, v[0:1]
	v_cmp_gt_i32_e64 s1, s8, v4
	v_mad_u64_u32 v[3:4], null, s16, v7, v[0:1]
	v_lshl_add_u32 v22, v5, 2, v0
	v_mad_u64_u32 v[4:5], null, s4, v20, s[4:5]
	v_mul_lo_u32 v23, s4, v6
	v_mul_lo_u32 v24, s4, v7
	v_lshlrev_b32_e32 v25, 2, v8
	v_mov_b32_e32 v15, 0
	v_mov_b32_e32 v16, 0
	;; [unrolled: 1-line block ×4, first 2 shown]
	s_lshl_b32 s21, s16, 6
	s_lshl_b32 s23, s4, 6
	s_mov_b32 s22, 0
	s_mov_b32 s24, 0
	v_cmp_gt_i32_e32 vcc_lo, s8, v19
	s_branch .LBB640_17
.LBB640_13:                             ;   in Loop: Header=BB640_17 Depth=1
	s_or_b32 exec_lo, exec_lo, s27
	s_waitcnt vmcnt(3)
	v_lshlrev_b32_e32 v5, 16, v41
	s_waitcnt vmcnt(2)
	v_lshlrev_b32_e32 v6, 16, v40
	v_fmac_f32_e32 v17, v33, v5
	s_waitcnt vmcnt(1)
	v_lshlrev_b32_e32 v5, 16, v39
	v_fmac_f32_e32 v17, v29, v6
	v_fmac_f32_e32 v17, v31, v5
	s_waitcnt vmcnt(0)
	v_lshlrev_b32_e32 v5, 16, v38
	v_fmac_f32_e32 v17, v27, v5
.LBB640_14:                             ;   in Loop: Header=BB640_17 Depth=1
	s_or_b32 exec_lo, exec_lo, s26
	s_waitcnt vmcnt(3)
	v_lshlrev_b32_e32 v5, 16, v37
	s_waitcnt vmcnt(2)
	v_lshlrev_b32_e32 v6, 16, v36
	v_fmac_f32_e32 v16, v33, v5
	s_waitcnt vmcnt(1)
	v_lshlrev_b32_e32 v5, 16, v35
	v_fmac_f32_e32 v16, v29, v6
	v_fmac_f32_e32 v16, v31, v5
	s_waitcnt vmcnt(0)
	v_lshlrev_b32_e32 v5, 16, v34
	v_fmac_f32_e32 v16, v27, v5
.LBB640_15:                             ;   in Loop: Header=BB640_17 Depth=1
	s_or_b32 exec_lo, exec_lo, s3
	s_waitcnt vmcnt(3)
	v_lshlrev_b32_e32 v5, 16, v32
	s_waitcnt vmcnt(2)
	v_lshlrev_b32_e32 v6, 16, v30
	v_fmac_f32_e32 v15, v33, v5
	s_waitcnt vmcnt(1)
	v_lshlrev_b32_e32 v5, 16, v28
	v_fmac_f32_e32 v15, v29, v6
	v_fmac_f32_e32 v15, v31, v5
	s_waitcnt vmcnt(0)
	v_lshlrev_b32_e32 v5, 16, v26
	v_fmac_f32_e32 v15, v27, v5
.LBB640_16:                             ;   in Loop: Header=BB640_17 Depth=1
	s_or_b32 exec_lo, exec_lo, s25
	v_add_nc_u32_e32 v20, 64, v20
	v_add_nc_u32_e32 v21, s21, v21
	;; [unrolled: 1-line block ×5, first 2 shown]
	v_cmp_le_i32_e64 s3, s6, v20
	s_add_i32 s24, s24, s23
	s_or_b32 s22, s3, s22
	s_andn2_b32 exec_lo, exec_lo, s22
	s_cbranch_execz .LBB640_22
.LBB640_17:                             ; =>This Inner Loop Header: Depth=1
	s_and_saveexec_b32 s25, vcc_lo
	s_cbranch_execz .LBB640_16
; %bb.18:                               ;   in Loop: Header=BB640_17 Depth=1
	v_add_nc_u32_e32 v5, s24, v25
	v_add_nc_u32_e32 v7, s24, v4
	;; [unrolled: 1-line block ×5, first 2 shown]
	v_ashrrev_i32_e32 v6, 31, v5
	v_ashrrev_i32_e32 v8, 31, v7
	;; [unrolled: 1-line block ×5, first 2 shown]
	v_lshlrev_b64 v[5:6], 1, v[5:6]
	v_lshlrev_b64 v[7:8], 1, v[7:8]
	;; [unrolled: 1-line block ×4, first 2 shown]
	v_add_nc_u32_e32 v28, s5, v21
	v_add_nc_u32_e32 v30, s5, v2
	v_add_co_u32 v5, s3, s18, v5
	v_add_co_ci_u32_e64 v6, null, s19, v6, s3
	v_add_co_u32 v7, s3, s18, v7
	v_add_co_ci_u32_e64 v8, null, s19, v8, s3
	;; [unrolled: 2-line block ×4, first 2 shown]
	v_lshlrev_b64 v[26:27], 1, v[26:27]
	s_clause 0x3
	global_load_ushort v33, v[5:6], off
	global_load_ushort v34, v[7:8], off
	;; [unrolled: 1-line block ×4, first 2 shown]
	v_add_nc_u32_e32 v9, s5, v3
	v_ashrrev_i32_e32 v29, 31, v28
	v_ashrrev_i32_e32 v31, 31, v30
	v_add_co_u32 v5, s3, s7, v26
	v_ashrrev_i32_e32 v10, 31, v9
	v_lshlrev_b64 v[7:8], 1, v[28:29]
	v_add_co_ci_u32_e64 v6, null, s17, v27, s3
	v_lshlrev_b64 v[26:27], 1, v[30:31]
	v_lshlrev_b64 v[9:10], 1, v[9:10]
	v_add_co_u32 v11, s3, s7, v7
	v_add_co_ci_u32_e64 v12, null, s17, v8, s3
	v_add_co_u32 v7, s3, s7, v26
	v_add_co_ci_u32_e64 v8, null, s17, v27, s3
	;; [unrolled: 2-line block ×3, first 2 shown]
	s_clause 0x3
	global_load_ushort v32, v[5:6], off
	global_load_ushort v30, v[11:12], off
	;; [unrolled: 1-line block ×4, first 2 shown]
	s_waitcnt vmcnt(7)
	v_lshlrev_b32_e32 v33, 16, v33
	s_waitcnt vmcnt(6)
	v_lshlrev_b32_e32 v29, 16, v34
	;; [unrolled: 2-line block ×4, first 2 shown]
	s_and_saveexec_b32 s3, s0
	s_cbranch_execz .LBB640_15
; %bb.19:                               ;   in Loop: Header=BB640_17 Depth=1
	s_clause 0x3
	global_load_ushort v37, v[5:6], off offset:128
	global_load_ushort v36, v[11:12], off offset:128
	global_load_ushort v35, v[7:8], off offset:128
	global_load_ushort v34, v[9:10], off offset:128
	s_and_saveexec_b32 s26, s1
	s_cbranch_execz .LBB640_14
; %bb.20:                               ;   in Loop: Header=BB640_17 Depth=1
	s_clause 0x3
	global_load_ushort v41, v[5:6], off offset:256
	global_load_ushort v40, v[11:12], off offset:256
	global_load_ushort v39, v[7:8], off offset:256
	global_load_ushort v38, v[9:10], off offset:256
	;; [unrolled: 8-line block ×3, first 2 shown]
	s_waitcnt vmcnt(3)
	v_lshlrev_b32_e32 v5, 16, v5
	s_waitcnt vmcnt(2)
	v_lshlrev_b32_e32 v6, 16, v6
	v_fmac_f32_e32 v18, v33, v5
	s_waitcnt vmcnt(1)
	v_lshlrev_b32_e32 v5, 16, v7
	v_fmac_f32_e32 v18, v29, v6
	;; [unrolled: 3-line block ×3, first 2 shown]
	v_fmac_f32_e32 v18, v27, v6
	s_branch .LBB640_13
.LBB640_22:
	s_or_b32 exec_lo, exec_lo, s22
.LBB640_23:
	s_or_b32 exec_lo, exec_lo, s20
	s_sub_i32 s0, s9, s6
	s_cmp_lt_i32 s0, 1
	s_cbranch_scc1 .LBB640_41
; %bb.24:
	v_cmp_gt_i32_e32 vcc_lo, s9, v20
	v_mov_b32_e32 v11, 0
	v_or_b32_e32 v2, 1, v20
	v_mov_b32_e32 v10, 0
	v_mov_b32_e32 v21, 0
	;; [unrolled: 1-line block ×3, first 2 shown]
	s_and_saveexec_b32 s1, vcc_lo
	s_cbranch_execz .LBB640_32
; %bb.25:
	v_mul_lo_u32 v3, v20, s4
	v_mov_b32_e32 v12, 0
	v_mov_b32_e32 v10, 0
	;; [unrolled: 1-line block ×3, first 2 shown]
	s_mov_b32 s2, exec_lo
	v_ashrrev_i32_e32 v4, 31, v3
	v_lshlrev_b64 v[3:4], 1, v[3:4]
	v_add_co_u32 v3, s0, s18, v3
	v_add_co_ci_u32_e64 v4, null, s19, v4, s0
	global_load_ushort v3, v[3:4], off
	v_cmpx_gt_i32_e64 s9, v2
	s_cbranch_execz .LBB640_31
; %bb.26:
	v_mul_lo_u32 v4, v2, s4
	v_mov_b32_e32 v10, 0
	v_mov_b32_e32 v11, 0
	s_mov_b32 s3, exec_lo
	v_ashrrev_i32_e32 v5, 31, v4
	v_lshlrev_b64 v[4:5], 1, v[4:5]
	v_add_co_u32 v4, s0, s18, v4
	v_add_co_ci_u32_e64 v5, null, s19, v5, s0
	global_load_ushort v4, v[4:5], off
	v_or_b32_e32 v5, 2, v20
	v_cmpx_gt_i32_e64 s9, v5
	s_cbranch_execz .LBB640_30
; %bb.27:
	v_mul_lo_u32 v5, v5, s4
	v_mov_b32_e32 v10, 0
	s_mov_b32 s6, exec_lo
	v_ashrrev_i32_e32 v6, 31, v5
	v_lshlrev_b64 v[5:6], 1, v[5:6]
	v_add_co_u32 v5, s0, s18, v5
	v_add_co_ci_u32_e64 v6, null, s19, v6, s0
	global_load_ushort v5, v[5:6], off
	v_or_b32_e32 v6, 3, v20
	v_cmpx_gt_i32_e64 s9, v6
	s_cbranch_execz .LBB640_29
; %bb.28:
	v_mul_lo_u32 v6, v6, s4
	v_ashrrev_i32_e32 v7, 31, v6
	v_lshlrev_b64 v[6:7], 1, v[6:7]
	v_add_co_u32 v6, s0, s18, v6
	v_add_co_ci_u32_e64 v7, null, s19, v7, s0
	global_load_ushort v6, v[6:7], off
	s_waitcnt vmcnt(0)
	v_lshlrev_b32_e32 v10, 16, v6
.LBB640_29:
	s_or_b32 exec_lo, exec_lo, s6
	s_waitcnt vmcnt(0)
	v_lshlrev_b32_e32 v11, 16, v5
.LBB640_30:
	s_or_b32 exec_lo, exec_lo, s3
	s_waitcnt vmcnt(0)
	v_lshlrev_b32_e32 v12, 16, v4
.LBB640_31:
	s_or_b32 exec_lo, exec_lo, s2
	s_waitcnt vmcnt(0)
	v_lshlrev_b32_e32 v21, 16, v3
.LBB640_32:
	s_or_b32 exec_lo, exec_lo, s1
	s_mov_b32 s1, exec_lo
	v_cmpx_gt_i32_e64 s8, v19
	s_cbranch_execz .LBB640_40
; %bb.33:
	v_mul_lo_u32 v3, v20, s16
	v_mul_lo_u32 v4, v2, s16
	v_or_b32_e32 v5, 2, v20
	v_or_b32_e32 v6, 3, v20
	s_mov_b32 s0, exec_lo
	v_mul_lo_u32 v7, v5, s16
	v_cndmask_b32_e32 v3, 0, v3, vcc_lo
	v_cmp_gt_i32_e32 vcc_lo, s9, v2
	v_mul_lo_u32 v8, v6, s16
	v_add_nc_u32_e32 v2, v3, v19
	v_cndmask_b32_e32 v4, 0, v4, vcc_lo
	v_cmp_gt_i32_e32 vcc_lo, s9, v5
	v_ashrrev_i32_e32 v3, 31, v2
	v_add_nc_u32_e32 v4, v4, v19
	v_cndmask_b32_e32 v7, 0, v7, vcc_lo
	v_cmp_gt_i32_e32 vcc_lo, s9, v6
	v_lshlrev_b64 v[2:3], 1, v[2:3]
	v_ashrrev_i32_e32 v5, 31, v4
	v_add_nc_u32_e32 v6, v7, v19
	v_cndmask_b32_e32 v8, 0, v8, vcc_lo
	v_lshlrev_b64 v[4:5], 1, v[4:5]
	v_ashrrev_i32_e32 v7, 31, v6
	v_add_nc_u32_e32 v8, v8, v19
	v_add_co_u32 v2, vcc_lo, s7, v2
	v_add_co_ci_u32_e64 v3, null, s17, v3, vcc_lo
	v_ashrrev_i32_e32 v9, 31, v8
	v_add_co_u32 v4, vcc_lo, s7, v4
	v_add_co_ci_u32_e64 v5, null, s17, v5, vcc_lo
	v_lshlrev_b64 v[6:7], 1, v[6:7]
	v_lshlrev_b64 v[8:9], 1, v[8:9]
	s_clause 0x1
	global_load_ushort v20, v[2:3], off
	global_load_ushort v22, v[4:5], off
	v_add_co_u32 v6, vcc_lo, s7, v6
	v_add_co_ci_u32_e64 v7, null, s17, v7, vcc_lo
	v_add_co_u32 v8, vcc_lo, s7, v8
	v_add_co_ci_u32_e64 v9, null, s17, v9, vcc_lo
	s_clause 0x1
	global_load_ushort v23, v[6:7], off
	global_load_ushort v24, v[8:9], off
	s_waitcnt vmcnt(3)
	v_lshlrev_b32_e32 v20, 16, v20
	s_waitcnt vmcnt(2)
	v_lshlrev_b32_e32 v22, 16, v22
	v_fmac_f32_e32 v15, v21, v20
	v_fmac_f32_e32 v15, v12, v22
	v_add_nc_u32_e32 v22, 64, v19
	s_waitcnt vmcnt(1)
	v_lshlrev_b32_e32 v23, 16, v23
	s_waitcnt vmcnt(0)
	v_lshlrev_b32_e32 v20, 16, v24
	v_fmac_f32_e32 v15, v11, v23
	v_cmpx_gt_i32_e64 s8, v22
	s_cbranch_execz .LBB640_39
; %bb.34:
	s_clause 0x3
	global_load_ushort v22, v[2:3], off offset:128
	global_load_ushort v23, v[4:5], off offset:128
	;; [unrolled: 1-line block ×4, first 2 shown]
	s_mov_b32 s2, exec_lo
	s_waitcnt vmcnt(3)
	v_lshlrev_b32_e32 v22, 16, v22
	s_waitcnt vmcnt(2)
	v_lshlrev_b32_e32 v23, 16, v23
	;; [unrolled: 2-line block ×3, first 2 shown]
	v_fmac_f32_e32 v16, v21, v22
	s_waitcnt vmcnt(0)
	v_lshlrev_b32_e32 v22, 16, v25
	v_fmac_f32_e32 v16, v12, v23
	v_add_nc_u32_e32 v23, 0x80, v19
	v_fmac_f32_e32 v16, v11, v24
	v_cmpx_gt_i32_e64 s8, v23
	s_cbranch_execz .LBB640_38
; %bb.35:
	s_clause 0x3
	global_load_ushort v23, v[2:3], off offset:256
	global_load_ushort v24, v[4:5], off offset:256
	;; [unrolled: 1-line block ×4, first 2 shown]
	s_mov_b32 s3, exec_lo
	s_waitcnt vmcnt(3)
	v_lshlrev_b32_e32 v23, 16, v23
	s_waitcnt vmcnt(2)
	v_lshlrev_b32_e32 v24, 16, v24
	v_fmac_f32_e32 v17, v21, v23
	s_waitcnt vmcnt(1)
	v_lshlrev_b32_e32 v23, 16, v25
	v_fmac_f32_e32 v17, v12, v24
	v_add_nc_u32_e32 v24, 0xc0, v19
	s_waitcnt vmcnt(0)
	v_lshlrev_b32_e32 v19, 16, v26
	v_fmac_f32_e32 v17, v11, v23
	v_cmpx_gt_i32_e64 s8, v24
	s_cbranch_execz .LBB640_37
; %bb.36:
	s_clause 0x3
	global_load_ushort v2, v[2:3], off offset:384
	global_load_ushort v3, v[4:5], off offset:384
	;; [unrolled: 1-line block ×4, first 2 shown]
	s_waitcnt vmcnt(3)
	v_lshlrev_b32_e32 v2, 16, v2
	s_waitcnt vmcnt(2)
	v_lshlrev_b32_e32 v3, 16, v3
	v_fmac_f32_e32 v18, v21, v2
	s_waitcnt vmcnt(1)
	v_lshlrev_b32_e32 v2, 16, v4
	v_fmac_f32_e32 v18, v12, v3
	;; [unrolled: 3-line block ×3, first 2 shown]
	v_fmac_f32_e32 v18, v10, v3
.LBB640_37:
	s_or_b32 exec_lo, exec_lo, s3
	v_fmac_f32_e32 v17, v10, v19
.LBB640_38:
	s_or_b32 exec_lo, exec_lo, s2
	v_fmac_f32_e32 v16, v10, v22
.LBB640_39:
	s_or_b32 exec_lo, exec_lo, s0
	v_fmac_f32_e32 v15, v10, v20
.LBB640_40:
	s_or_b32 exec_lo, exec_lo, s1
.LBB640_41:
	v_lshlrev_b32_e32 v0, 2, v0
	s_mov_b32 s0, exec_lo
                                        ; implicit-def: $vgpr3
                                        ; implicit-def: $vgpr4_vgpr5
	v_lshl_add_u32 v1, v1, 10, v0
	ds_write2st64_b32 v1, v15, v16 offset1:1
	ds_write2st64_b32 v1, v17, v18 offset0:2 offset1:3
	s_waitcnt lgkmcnt(0)
	s_barrier
	buffer_gl0_inv
	v_cmpx_gt_u32_e32 0x100, v13
	s_cbranch_execz .LBB640_47
; %bb.42:
	v_lshl_add_u32 v6, v14, 2, v0
	s_mov_b32 s2, s14
	s_mov_b32 s1, exec_lo
	ds_read2st64_b32 v[0:1], v6 offset1:4
	ds_read2st64_b32 v[2:3], v6 offset0:8 offset1:12
	ds_read2st64_b32 v[4:5], v6 offset0:16 offset1:20
	s_waitcnt lgkmcnt(2)
	v_add_f32_e32 v7, v0, v1
	ds_read2st64_b32 v[0:1], v6 offset0:24 offset1:28
	s_waitcnt lgkmcnt(2)
	v_add_f32_e32 v2, v2, v7
	v_add_f32_e32 v7, v3, v2
	ds_read2st64_b32 v[2:3], v6 offset0:32 offset1:36
	s_waitcnt lgkmcnt(2)
	v_add_f32_e32 v4, v4, v7
	;; [unrolled: 4-line block ×3, first 2 shown]
	v_add_f32_e32 v0, v1, v0
	s_waitcnt lgkmcnt(1)
	v_add_f32_e32 v2, v2, v0
	ds_read2st64_b32 v[0:1], v6 offset0:48 offset1:52
	v_add_f32_e32 v2, v3, v2
	s_waitcnt lgkmcnt(1)
	v_add_f32_e32 v4, v4, v2
	ds_read2st64_b32 v[2:3], v6 offset0:56 offset1:60
	v_add_f32_e32 v4, v5, v4
	s_waitcnt lgkmcnt(1)
	v_add_f32_e32 v0, v0, v4
                                        ; implicit-def: $vgpr4_vgpr5
	v_add_f32_e32 v0, v1, v0
	v_or_b32_e32 v1, s5, v13
	s_waitcnt lgkmcnt(0)
	v_add_f32_e32 v0, v2, v0
	v_add_f32_e32 v0, v3, v0
                                        ; implicit-def: $vgpr3
	ds_write_b32 v6, v0
	v_cmpx_gt_i32_e64 s8, v1
	s_cbranch_execz .LBB640_46
; %bb.43:
	v_mul_lo_u32 v4, s15, v1
	v_cmp_eq_f32_e64 s2, s13, 0
	v_mul_f32_e32 v3, s10, v0
	s_and_b32 vcc_lo, exec_lo, s2
	v_ashrrev_i32_e32 v5, 31, v4
	s_cbranch_vccnz .LBB640_45
; %bb.44:
	v_lshlrev_b64 v[0:1], 2, v[4:5]
	v_add_co_u32 v0, vcc_lo, s11, v0
	v_add_co_ci_u32_e64 v1, null, s12, v1, vcc_lo
	global_load_dword v0, v[0:1], off
	s_waitcnt vmcnt(0)
	v_fmac_f32_e32 v3, s13, v0
.LBB640_45:
	s_or_b32 s2, s14, exec_lo
.LBB640_46:
	s_or_b32 exec_lo, exec_lo, s1
	s_andn2_b32 s1, s14, exec_lo
	s_and_b32 s2, s2, exec_lo
	s_or_b32 s14, s1, s2
.LBB640_47:
	s_or_b32 exec_lo, exec_lo, s0
.LBB640_48:
	s_and_saveexec_b32 s0, s14
	s_cbranch_execz .LBB640_50
; %bb.49:
	v_lshlrev_b64 v[0:1], 2, v[4:5]
	v_add_co_u32 v0, vcc_lo, s11, v0
	v_add_co_ci_u32_e64 v1, null, s12, v1, vcc_lo
	global_store_dword v[0:1], v3, off
.LBB640_50:
	s_endpgm
	.section	.rodata,"a",@progbits
	.p2align	6, 0x0
	.amdhsa_kernel _ZL20rocblas_gemvn_kernelILi64ELi16Ei16rocblas_bfloat16ffEviiT3_lPKT2_lT1_lS4_lS5_lS1_lPT4_lS5_li
		.amdhsa_group_segment_fixed_size 16384
		.amdhsa_private_segment_fixed_size 0
		.amdhsa_kernarg_size 400
		.amdhsa_user_sgpr_count 6
		.amdhsa_user_sgpr_private_segment_buffer 1
		.amdhsa_user_sgpr_dispatch_ptr 0
		.amdhsa_user_sgpr_queue_ptr 0
		.amdhsa_user_sgpr_kernarg_segment_ptr 1
		.amdhsa_user_sgpr_dispatch_id 0
		.amdhsa_user_sgpr_flat_scratch_init 0
		.amdhsa_user_sgpr_private_segment_size 0
		.amdhsa_wavefront_size32 1
		.amdhsa_uses_dynamic_stack 0
		.amdhsa_system_sgpr_private_segment_wavefront_offset 0
		.amdhsa_system_sgpr_workgroup_id_x 1
		.amdhsa_system_sgpr_workgroup_id_y 0
		.amdhsa_system_sgpr_workgroup_id_z 1
		.amdhsa_system_sgpr_workgroup_info 0
		.amdhsa_system_vgpr_workitem_id 1
		.amdhsa_next_free_vgpr 42
		.amdhsa_next_free_sgpr 28
		.amdhsa_reserve_vcc 1
		.amdhsa_reserve_flat_scratch 0
		.amdhsa_float_round_mode_32 0
		.amdhsa_float_round_mode_16_64 0
		.amdhsa_float_denorm_mode_32 3
		.amdhsa_float_denorm_mode_16_64 3
		.amdhsa_dx10_clamp 1
		.amdhsa_ieee_mode 1
		.amdhsa_fp16_overflow 0
		.amdhsa_workgroup_processor_mode 1
		.amdhsa_memory_ordered 1
		.amdhsa_forward_progress 1
		.amdhsa_shared_vgpr_count 0
		.amdhsa_exception_fp_ieee_invalid_op 0
		.amdhsa_exception_fp_denorm_src 0
		.amdhsa_exception_fp_ieee_div_zero 0
		.amdhsa_exception_fp_ieee_overflow 0
		.amdhsa_exception_fp_ieee_underflow 0
		.amdhsa_exception_fp_ieee_inexact 0
		.amdhsa_exception_int_div_zero 0
	.end_amdhsa_kernel
	.section	.text._ZL20rocblas_gemvn_kernelILi64ELi16Ei16rocblas_bfloat16ffEviiT3_lPKT2_lT1_lS4_lS5_lS1_lPT4_lS5_li,"axG",@progbits,_ZL20rocblas_gemvn_kernelILi64ELi16Ei16rocblas_bfloat16ffEviiT3_lPKT2_lT1_lS4_lS5_lS1_lPT4_lS5_li,comdat
.Lfunc_end640:
	.size	_ZL20rocblas_gemvn_kernelILi64ELi16Ei16rocblas_bfloat16ffEviiT3_lPKT2_lT1_lS4_lS5_lS1_lPT4_lS5_li, .Lfunc_end640-_ZL20rocblas_gemvn_kernelILi64ELi16Ei16rocblas_bfloat16ffEviiT3_lPKT2_lT1_lS4_lS5_lS1_lPT4_lS5_li
                                        ; -- End function
	.set _ZL20rocblas_gemvn_kernelILi64ELi16Ei16rocblas_bfloat16ffEviiT3_lPKT2_lT1_lS4_lS5_lS1_lPT4_lS5_li.num_vgpr, 42
	.set _ZL20rocblas_gemvn_kernelILi64ELi16Ei16rocblas_bfloat16ffEviiT3_lPKT2_lT1_lS4_lS5_lS1_lPT4_lS5_li.num_agpr, 0
	.set _ZL20rocblas_gemvn_kernelILi64ELi16Ei16rocblas_bfloat16ffEviiT3_lPKT2_lT1_lS4_lS5_lS1_lPT4_lS5_li.numbered_sgpr, 28
	.set _ZL20rocblas_gemvn_kernelILi64ELi16Ei16rocblas_bfloat16ffEviiT3_lPKT2_lT1_lS4_lS5_lS1_lPT4_lS5_li.num_named_barrier, 0
	.set _ZL20rocblas_gemvn_kernelILi64ELi16Ei16rocblas_bfloat16ffEviiT3_lPKT2_lT1_lS4_lS5_lS1_lPT4_lS5_li.private_seg_size, 0
	.set _ZL20rocblas_gemvn_kernelILi64ELi16Ei16rocblas_bfloat16ffEviiT3_lPKT2_lT1_lS4_lS5_lS1_lPT4_lS5_li.uses_vcc, 1
	.set _ZL20rocblas_gemvn_kernelILi64ELi16Ei16rocblas_bfloat16ffEviiT3_lPKT2_lT1_lS4_lS5_lS1_lPT4_lS5_li.uses_flat_scratch, 0
	.set _ZL20rocblas_gemvn_kernelILi64ELi16Ei16rocblas_bfloat16ffEviiT3_lPKT2_lT1_lS4_lS5_lS1_lPT4_lS5_li.has_dyn_sized_stack, 0
	.set _ZL20rocblas_gemvn_kernelILi64ELi16Ei16rocblas_bfloat16ffEviiT3_lPKT2_lT1_lS4_lS5_lS1_lPT4_lS5_li.has_recursion, 0
	.set _ZL20rocblas_gemvn_kernelILi64ELi16Ei16rocblas_bfloat16ffEviiT3_lPKT2_lT1_lS4_lS5_lS1_lPT4_lS5_li.has_indirect_call, 0
	.section	.AMDGPU.csdata,"",@progbits
; Kernel info:
; codeLenInByte = 2908
; TotalNumSgprs: 30
; NumVgprs: 42
; ScratchSize: 0
; MemoryBound: 0
; FloatMode: 240
; IeeeMode: 1
; LDSByteSize: 16384 bytes/workgroup (compile time only)
; SGPRBlocks: 0
; VGPRBlocks: 5
; NumSGPRsForWavesPerEU: 30
; NumVGPRsForWavesPerEU: 42
; Occupancy: 16
; WaveLimiterHint : 1
; COMPUTE_PGM_RSRC2:SCRATCH_EN: 0
; COMPUTE_PGM_RSRC2:USER_SGPR: 6
; COMPUTE_PGM_RSRC2:TRAP_HANDLER: 0
; COMPUTE_PGM_RSRC2:TGID_X_EN: 1
; COMPUTE_PGM_RSRC2:TGID_Y_EN: 0
; COMPUTE_PGM_RSRC2:TGID_Z_EN: 1
; COMPUTE_PGM_RSRC2:TIDIG_COMP_CNT: 1
	.section	.text._ZL20rocblas_gemvn_kernelILi64ELi16El16rocblas_bfloat16ffEviiT3_lPKT2_lT1_lS4_lS5_lS1_lPT4_lS5_li,"axG",@progbits,_ZL20rocblas_gemvn_kernelILi64ELi16El16rocblas_bfloat16ffEviiT3_lPKT2_lT1_lS4_lS5_lS1_lPT4_lS5_li,comdat
	.globl	_ZL20rocblas_gemvn_kernelILi64ELi16El16rocblas_bfloat16ffEviiT3_lPKT2_lT1_lS4_lS5_lS1_lPT4_lS5_li ; -- Begin function _ZL20rocblas_gemvn_kernelILi64ELi16El16rocblas_bfloat16ffEviiT3_lPKT2_lT1_lS4_lS5_lS1_lPT4_lS5_li
	.p2align	8
	.type	_ZL20rocblas_gemvn_kernelILi64ELi16El16rocblas_bfloat16ffEviiT3_lPKT2_lT1_lS4_lS5_lS1_lPT4_lS5_li,@function
_ZL20rocblas_gemvn_kernelILi64ELi16El16rocblas_bfloat16ffEviiT3_lPKT2_lT1_lS4_lS5_lS1_lPT4_lS5_li: ; @_ZL20rocblas_gemvn_kernelILi64ELi16El16rocblas_bfloat16ffEviiT3_lPKT2_lT1_lS4_lS5_lS1_lPT4_lS5_li
; %bb.0:
	s_load_dwordx2 s[0:1], s[4:5], 0x9c
	s_waitcnt lgkmcnt(0)
	s_lshr_b32 s2, s0, 16
	s_and_b32 s0, s0, 0xffff
	s_and_b32 s1, s1, 0xffff
	s_mul_i32 s0, s2, s0
	s_mul_i32 s0, s0, s1
	s_cmpk_lg_i32 s0, 0x400
	s_cbranch_scc1 .LBB641_50
; %bb.1:
	s_clause 0x1
	s_load_dwordx4 s[28:31], s[4:5], 0x0
	s_load_dword s36, s[4:5], 0x58
	s_mov_b32 s37, 0
	s_waitcnt lgkmcnt(0)
	v_cmp_eq_f32_e64 s0, s30, 0
	v_cmp_eq_f32_e64 s1, s36, 1.0
	s_and_b32 s0, s0, s1
	s_and_b32 vcc_lo, exec_lo, s0
	s_cbranch_vccnz .LBB641_50
; %bb.2:
	s_load_dwordx8 s[20:27], s[4:5], 0x68
	v_lshlrev_b32_e32 v14, 6, v1
	v_add_nc_u32_e32 v13, v14, v0
	s_waitcnt lgkmcnt(0)
	s_mul_i32 s1, s27, s7
	s_mul_hi_u32 s2, s26, s7
	s_mul_i32 s0, s26, s7
	s_add_i32 s1, s2, s1
	v_cmp_neq_f32_e64 s2, s30, 0
	s_lshl_b64 s[0:1], s[0:1], 2
	s_add_u32 s3, s20, s0
	s_addc_u32 s8, s21, s1
	s_lshl_b64 s[0:1], s[22:23], 2
	s_add_u32 s31, s3, s0
	v_cmp_gt_u32_e64 s0, 0x100, v13
	s_addc_u32 s33, s8, s1
	s_and_b32 vcc_lo, exec_lo, s2
	s_cbranch_vccnz .LBB641_9
; %bb.3:
	s_mov_b32 s1, 0
                                        ; implicit-def: $vgpr3
                                        ; implicit-def: $vgpr4_vgpr5
	s_and_saveexec_b32 s2, s0
	s_cbranch_execz .LBB641_10
; %bb.4:
	v_lshl_or_b32 v2, s6, 8, v13
	v_mov_b32_e32 v3, 0
	s_ashr_i32 s9, s28, 31
	s_mov_b32 s8, s28
	s_mov_b32 s3, 0
	s_mov_b32 s0, exec_lo
                                        ; implicit-def: $vgpr4_vgpr5
	v_cmpx_gt_i64_e64 s[8:9], v[2:3]
	s_cbranch_execz .LBB641_8
; %bb.5:
	v_mad_u64_u32 v[4:5], null, s24, v2, 0
	v_cmp_eq_f32_e64 s3, s36, 0
	s_and_b32 vcc_lo, exec_lo, s3
	v_mad_u64_u32 v[5:6], null, s25, v2, v[5:6]
	s_cbranch_vccnz .LBB641_7
; %bb.6:
	v_lshlrev_b64 v[2:3], 2, v[4:5]
	v_add_co_u32 v2, vcc_lo, s31, v2
	v_add_co_ci_u32_e64 v3, null, s33, v3, vcc_lo
	global_load_dword v2, v[2:3], off
	s_waitcnt vmcnt(0)
	v_mul_f32_e32 v3, s36, v2
.LBB641_7:
	s_mov_b32 s3, exec_lo
.LBB641_8:
	s_or_b32 exec_lo, exec_lo, s0
	s_and_b32 s37, s3, exec_lo
	s_or_b32 exec_lo, exec_lo, s2
	s_and_b32 vcc_lo, exec_lo, s1
	s_cbranch_vccnz .LBB641_11
	s_branch .LBB641_48
.LBB641_9:
                                        ; implicit-def: $vgpr3
                                        ; implicit-def: $vgpr4_vgpr5
	s_cbranch_execnz .LBB641_11
	s_branch .LBB641_48
.LBB641_10:
	s_or_b32 exec_lo, exec_lo, s2
	s_and_b32 vcc_lo, exec_lo, s1
	s_cbranch_vccz .LBB641_48
.LBB641_11:
	s_load_dwordx16 s[8:23], s[4:5], 0x18
	s_ashr_i32 s0, s29, 31
	s_lshl_b32 s5, s6, 8
	s_lshr_b32 s0, s0, 26
	v_lshlrev_b32_e32 v19, 2, v1
	v_mov_b32_e32 v15, 0
	v_mov_b32_e32 v16, 0
	;; [unrolled: 1-line block ×4, first 2 shown]
	v_add_nc_u32_e32 v2, s5, v0
	s_add_i32 s38, s29, s0
	s_mov_b32 s39, exec_lo
	s_andn2_b32 s38, s38, 63
	s_waitcnt lgkmcnt(0)
	s_mul_i32 s0, s15, s7
	s_mul_hi_u32 s1, s14, s7
	s_mul_i32 s2, s23, s7
	s_mul_hi_u32 s3, s22, s7
	s_mul_i32 s14, s14, s7
	s_add_i32 s15, s1, s0
	s_add_i32 s23, s3, s2
	s_mul_i32 s22, s22, s7
	v_cmpx_gt_i32_e64 s38, v19
	s_cbranch_execz .LBB641_23
; %bb.12:
	v_lshlrev_b32_e32 v30, 2, v1
	v_mad_u64_u32 v[4:5], null, s20, v1, 0
	v_add_nc_u32_e32 v11, 64, v2
	v_add_nc_u32_e32 v12, 0x80, v2
	v_or_b32_e32 v15, 3, v30
	s_lshl_b64 s[0:1], s[22:23], 1
	s_lshl_b64 s[6:7], s[18:19], 1
	s_add_u32 s4, s16, s0
	s_addc_u32 s42, s17, s1
	v_mad_u64_u32 v[6:7], null, s12, v15, 0
	v_cmp_gt_i32_e64 s0, s28, v11
	v_cmp_gt_i32_e64 s1, s28, v12
	v_add_nc_u32_e32 v16, 0xc0, v2
	v_or_b32_e32 v24, 2, v30
	s_lshl_b64 s[34:35], s[10:11], 1
	s_lshl_b64 s[26:27], s[20:21], 7
	v_mad_u64_u32 v[8:9], null, s21, v1, v[5:6]
	v_mad_u64_u32 v[9:10], null, s20, v15, 0
	v_cmp_gt_i32_e64 s2, s28, v16
	s_lshl_b64 s[40:41], s[14:15], 1
	v_mad_u64_u32 v[28:29], null, s20, v24, 0
	v_mov_b32_e32 v5, v8
	v_mad_u64_u32 v[7:8], null, s13, v15, v[7:8]
	v_mad_u64_u32 v[32:33], null, s12, v30, s[12:13]
	v_lshlrev_b64 v[11:12], 3, v[4:5]
	v_mov_b32_e32 v5, v10
	v_mov_b32_e32 v8, v29
	v_ashrrev_i32_e32 v3, 31, v2
	v_lshlrev_b64 v[6:7], 1, v[6:7]
	v_cmp_gt_i32_e32 vcc_lo, s28, v2
	v_add_co_u32 v20, s3, s4, v11
	v_add_co_ci_u32_e64 v21, null, s42, v12, s3
	v_mad_u64_u32 v[15:16], null, s21, v15, v[5:6]
	v_mad_u64_u32 v[11:12], null, s12, v1, 0
	s_add_u32 s3, s8, s34
	s_addc_u32 s34, s9, s35
	s_add_u32 s35, s3, s40
	s_addc_u32 s34, s34, s41
	v_mov_b32_e32 v10, v15
	v_mad_u64_u32 v[15:16], null, s12, v24, 0
	v_mov_b32_e32 v5, v12
	v_add_co_u32 v22, s3, s35, v6
	v_add_co_ci_u32_e64 v23, null, s34, v7, s3
	v_mad_u64_u32 v[17:18], null, s13, v1, v[5:6]
	v_lshlrev_b64 v[6:7], 1, v[9:10]
	v_mov_b32_e32 v5, v16
	v_lshlrev_b64 v[3:4], 1, v[2:3]
	s_mov_b32 s40, 0
	v_mad_u64_u32 v[9:10], null, s13, v24, v[5:6]
	v_mov_b32_e32 v12, v17
	v_mad_u64_u32 v[17:18], null, s20, v30, s[20:21]
	v_mad_u64_u32 v[26:27], null, s21, v24, v[8:9]
	v_add_co_u32 v24, s3, s4, v6
	v_add_co_ci_u32_e64 v25, null, s42, v7, s3
	v_lshlrev_b64 v[6:7], 3, v[11:12]
	v_mov_b32_e32 v5, v18
	v_mov_b32_e32 v16, v9
	;; [unrolled: 1-line block ×3, first 2 shown]
	v_add_co_u32 v26, s3, s35, v6
	v_mad_u64_u32 v[8:9], null, s21, v30, v[5:6]
	v_add_co_ci_u32_e64 v27, null, s34, v7, s3
	v_lshlrev_b64 v[6:7], 1, v[15:16]
	v_mov_b32_e32 v5, v33
	v_mov_b32_e32 v15, 0
	;; [unrolled: 1-line block ×4, first 2 shown]
	v_mad_u64_u32 v[9:10], null, s13, v30, v[5:6]
	v_lshlrev_b64 v[10:11], 1, v[28:29]
	v_add_co_u32 v28, s3, s35, v6
	v_lshlrev_b64 v[5:6], 1, v[17:18]
	v_add_co_ci_u32_e64 v29, null, s34, v7, s3
	v_mov_b32_e32 v33, v9
	v_add_co_u32 v30, s3, s4, v10
	v_add_co_ci_u32_e64 v31, null, s42, v11, s3
	v_lshlrev_b64 v[7:8], 1, v[32:33]
	v_add_co_u32 v32, s3, s4, v5
	v_add_co_ci_u32_e64 v33, null, s42, v6, s3
	v_mov_b32_e32 v17, 0
	v_add_co_u32 v34, s3, s35, v7
	v_add_co_ci_u32_e64 v35, null, s34, v8, s3
	v_mov_b32_e32 v18, 0
	s_lshl_b64 s[34:35], s[12:13], 7
	s_branch .LBB641_17
.LBB641_13:                             ;   in Loop: Header=BB641_17 Depth=1
	s_or_b32 exec_lo, exec_lo, s42
	s_waitcnt vmcnt(3)
	v_lshlrev_b32_e32 v5, 16, v51
	s_waitcnt vmcnt(2)
	v_lshlrev_b32_e32 v6, 16, v50
	v_fmac_f32_e32 v17, v43, v5
	s_waitcnt vmcnt(1)
	v_lshlrev_b32_e32 v5, 16, v49
	v_fmac_f32_e32 v17, v39, v6
	v_fmac_f32_e32 v17, v41, v5
	s_waitcnt vmcnt(0)
	v_lshlrev_b32_e32 v5, 16, v48
	v_fmac_f32_e32 v17, v37, v5
.LBB641_14:                             ;   in Loop: Header=BB641_17 Depth=1
	s_or_b32 exec_lo, exec_lo, s41
	s_waitcnt vmcnt(3)
	v_lshlrev_b32_e32 v5, 16, v47
	s_waitcnt vmcnt(2)
	v_lshlrev_b32_e32 v6, 16, v46
	v_fmac_f32_e32 v16, v43, v5
	s_waitcnt vmcnt(1)
	v_lshlrev_b32_e32 v5, 16, v45
	v_fmac_f32_e32 v16, v39, v6
	v_fmac_f32_e32 v16, v41, v5
	s_waitcnt vmcnt(0)
	v_lshlrev_b32_e32 v5, 16, v44
	v_fmac_f32_e32 v16, v37, v5
.LBB641_15:                             ;   in Loop: Header=BB641_17 Depth=1
	s_or_b32 exec_lo, exec_lo, s3
	s_waitcnt vmcnt(3)
	v_lshlrev_b32_e32 v5, 16, v42
	s_waitcnt vmcnt(2)
	v_lshlrev_b32_e32 v6, 16, v40
	v_fmac_f32_e32 v15, v43, v5
	s_waitcnt vmcnt(1)
	v_lshlrev_b32_e32 v5, 16, v38
	v_fmac_f32_e32 v15, v39, v6
	v_fmac_f32_e32 v15, v41, v5
	s_waitcnt vmcnt(0)
	v_lshlrev_b32_e32 v5, 16, v36
	v_fmac_f32_e32 v15, v37, v5
.LBB641_16:                             ;   in Loop: Header=BB641_17 Depth=1
	s_or_b32 exec_lo, exec_lo, s4
	v_add_co_u32 v20, s3, v20, s26
	v_add_co_ci_u32_e64 v21, null, s27, v21, s3
	v_add_co_u32 v22, s3, v22, s34
	v_add_co_ci_u32_e64 v23, null, s35, v23, s3
	;; [unrolled: 2-line block ×4, first 2 shown]
	v_add_co_u32 v28, s3, v28, s34
	v_add_nc_u32_e32 v19, 64, v19
	v_add_co_ci_u32_e64 v29, null, s35, v29, s3
	v_add_co_u32 v30, s3, v30, s26
	v_add_co_ci_u32_e64 v31, null, s27, v31, s3
	v_add_co_u32 v32, s3, v32, s26
	v_add_co_ci_u32_e64 v33, null, s27, v33, s3
	v_cmp_le_i32_e64 s3, s38, v19
	v_add_co_u32 v34, s4, v34, s34
	v_add_co_ci_u32_e64 v35, null, s35, v35, s4
	s_or_b32 s40, s3, s40
	s_andn2_b32 exec_lo, exec_lo, s40
	s_cbranch_execz .LBB641_22
.LBB641_17:                             ; =>This Inner Loop Header: Depth=1
	s_and_saveexec_b32 s4, vcc_lo
	s_cbranch_execz .LBB641_16
; %bb.18:                               ;   in Loop: Header=BB641_17 Depth=1
	v_add_co_u32 v5, s3, v20, s6
	v_add_co_ci_u32_e64 v6, null, s7, v21, s3
	v_add_co_u32 v7, s3, v32, s6
	v_add_co_ci_u32_e64 v8, null, s7, v33, s3
	;; [unrolled: 2-line block ×4, first 2 shown]
	global_load_ushort v37, v[5:6], off
	global_load_ushort v39, v[7:8], off
	;; [unrolled: 1-line block ×4, first 2 shown]
	v_add_co_u32 v5, s3, v26, v3
	v_add_co_ci_u32_e64 v6, null, v27, v4, s3
	v_add_co_u32 v9, s3, v34, v3
	v_add_co_ci_u32_e64 v10, null, v35, v4, s3
	v_add_co_u32 v7, s3, v28, v3
	v_add_co_ci_u32_e64 v8, null, v29, v4, s3
	v_add_co_u32 v11, s3, v22, v3
	v_add_co_ci_u32_e64 v12, null, v23, v4, s3
	global_load_ushort v42, v[5:6], off
	global_load_ushort v40, v[9:10], off
	;; [unrolled: 1-line block ×4, first 2 shown]
	s_waitcnt vmcnt(7)
	v_lshlrev_b32_e32 v43, 16, v37
	s_waitcnt vmcnt(6)
	v_lshlrev_b32_e32 v39, 16, v39
	;; [unrolled: 2-line block ×4, first 2 shown]
	s_and_saveexec_b32 s3, s0
	s_cbranch_execz .LBB641_15
; %bb.19:                               ;   in Loop: Header=BB641_17 Depth=1
	global_load_ushort v47, v[5:6], off offset:128
	global_load_ushort v46, v[9:10], off offset:128
	global_load_ushort v45, v[7:8], off offset:128
	global_load_ushort v44, v[11:12], off offset:128
	s_and_saveexec_b32 s41, s1
	s_cbranch_execz .LBB641_14
; %bb.20:                               ;   in Loop: Header=BB641_17 Depth=1
	global_load_ushort v51, v[5:6], off offset:256
	global_load_ushort v50, v[9:10], off offset:256
	global_load_ushort v49, v[7:8], off offset:256
	global_load_ushort v48, v[11:12], off offset:256
	;; [unrolled: 7-line block ×3, first 2 shown]
	s_waitcnt vmcnt(3)
	v_lshlrev_b32_e32 v5, 16, v5
	s_waitcnt vmcnt(2)
	v_lshlrev_b32_e32 v6, 16, v6
	v_fmac_f32_e32 v18, v43, v5
	s_waitcnt vmcnt(1)
	v_lshlrev_b32_e32 v5, 16, v7
	v_fmac_f32_e32 v18, v39, v6
	;; [unrolled: 3-line block ×3, first 2 shown]
	v_fmac_f32_e32 v18, v37, v6
	s_branch .LBB641_13
.LBB641_22:
	s_or_b32 exec_lo, exec_lo, s40
.LBB641_23:
	s_or_b32 exec_lo, exec_lo, s39
	s_sub_i32 s0, s29, s38
	s_cmp_lt_i32 s0, 1
	s_cbranch_scc1 .LBB641_41
; %bb.24:
	v_cmp_gt_i32_e32 vcc_lo, s29, v19
	v_mov_b32_e32 v12, 0
	v_or_b32_e32 v4, 1, v19
	v_mov_b32_e32 v11, 0
	v_mov_b32_e32 v21, 0
	v_mov_b32_e32 v20, 0
	s_and_saveexec_b32 s1, vcc_lo
	s_cbranch_execz .LBB641_32
; %bb.25:
	v_mad_u64_u32 v[5:6], null, s20, v19, 0
	s_lshl_b64 s[2:3], s[22:23], 1
	v_mov_b32_e32 v20, 0
	s_add_u32 s0, s16, s2
	s_addc_u32 s2, s17, s3
	s_lshl_b64 s[6:7], s[18:19], 1
	v_mov_b32_e32 v11, 0
	v_mov_b32_e32 v3, v6
	s_add_u32 s3, s0, s6
	s_addc_u32 s4, s2, s7
	v_mov_b32_e32 v12, 0
	s_mov_b32 s2, exec_lo
	v_mad_u64_u32 v[6:7], null, s21, v19, v[3:4]
	v_lshlrev_b64 v[5:6], 1, v[5:6]
	v_add_co_u32 v5, s0, s3, v5
	v_add_co_ci_u32_e64 v6, null, s4, v6, s0
	global_load_ushort v3, v[5:6], off
	v_cmpx_gt_i32_e64 s29, v4
	s_cbranch_execz .LBB641_31
; %bb.26:
	v_mad_u64_u32 v[5:6], null, s20, v4, 0
	v_mov_b32_e32 v11, 0
	v_mov_b32_e32 v12, 0
	s_mov_b32 s6, exec_lo
	v_mad_u64_u32 v[6:7], null, s21, v4, v[6:7]
	v_lshlrev_b64 v[5:6], 1, v[5:6]
	v_add_co_u32 v5, s0, s3, v5
	v_add_co_ci_u32_e64 v6, null, s4, v6, s0
	global_load_ushort v5, v[5:6], off
	v_or_b32_e32 v6, 2, v19
	v_cmpx_gt_i32_e64 s29, v6
	s_cbranch_execz .LBB641_30
; %bb.27:
	v_mad_u64_u32 v[7:8], null, s20, v6, 0
	v_mov_b32_e32 v11, 0
	s_mov_b32 s7, exec_lo
	v_mad_u64_u32 v[8:9], null, s21, v6, v[8:9]
	v_lshlrev_b64 v[6:7], 1, v[7:8]
	v_add_co_u32 v6, s0, s3, v6
	v_add_co_ci_u32_e64 v7, null, s4, v7, s0
	global_load_ushort v6, v[6:7], off
	v_or_b32_e32 v7, 3, v19
	v_cmpx_gt_i32_e64 s29, v7
	s_cbranch_execz .LBB641_29
; %bb.28:
	v_mad_u64_u32 v[8:9], null, s20, v7, 0
	v_mad_u64_u32 v[9:10], null, s21, v7, v[9:10]
	v_lshlrev_b64 v[7:8], 1, v[8:9]
	v_add_co_u32 v7, s0, s3, v7
	v_add_co_ci_u32_e64 v8, null, s4, v8, s0
	global_load_ushort v7, v[7:8], off
	s_waitcnt vmcnt(0)
	v_lshlrev_b32_e32 v11, 16, v7
.LBB641_29:
	s_or_b32 exec_lo, exec_lo, s7
	s_waitcnt vmcnt(0)
	v_lshlrev_b32_e32 v12, 16, v6
.LBB641_30:
	s_or_b32 exec_lo, exec_lo, s6
	s_waitcnt vmcnt(0)
	v_lshlrev_b32_e32 v20, 16, v5
.LBB641_31:
	s_or_b32 exec_lo, exec_lo, s2
	s_waitcnt vmcnt(0)
	v_lshlrev_b32_e32 v21, 16, v3
.LBB641_32:
	s_or_b32 exec_lo, exec_lo, s1
	s_mov_b32 s1, exec_lo
	v_cmpx_gt_i32_e64 s28, v2
	s_cbranch_execz .LBB641_40
; %bb.33:
	v_mad_u64_u32 v[5:6], null, s12, v19, 0
	v_mad_u64_u32 v[7:8], null, s12, v4, 0
	v_ashrrev_i32_e32 v3, 31, v2
	v_or_b32_e32 v29, 2, v19
	s_lshl_b64 s[2:3], s[14:15], 1
	s_add_u32 s0, s8, s2
	v_cndmask_b32_e32 v5, 0, v5, vcc_lo
	v_mad_u64_u32 v[9:10], null, s13, v19, v[6:7]
	v_or_b32_e32 v19, 3, v19
	v_lshlrev_b64 v[22:23], 1, v[2:3]
	v_mad_u64_u32 v[24:25], null, s12, v29, 0
	v_mov_b32_e32 v3, v8
	s_addc_u32 s4, s9, s3
	v_cndmask_b32_e32 v6, 0, v9, vcc_lo
	v_cmp_gt_i32_e32 vcc_lo, s29, v4
	s_lshl_b64 s[2:3], s[10:11], 1
	v_mad_u64_u32 v[8:9], null, s12, v19, 0
	v_lshlrev_b64 v[5:6], 1, v[5:6]
	v_mad_u64_u32 v[26:27], null, s13, v4, v[3:4]
	s_add_u32 s2, s0, s2
	v_cndmask_b32_e32 v27, 0, v7, vcc_lo
	v_mov_b32_e32 v7, v25
	s_addc_u32 s3, s4, s3
	v_add_co_u32 v3, s0, s2, v5
	v_add_co_ci_u32_e64 v4, null, s3, v6, s0
	v_cndmask_b32_e32 v28, 0, v26, vcc_lo
	v_mad_u64_u32 v[25:26], null, s13, v29, v[7:8]
	v_mov_b32_e32 v7, v9
	v_add_co_u32 v3, vcc_lo, v3, v22
	v_add_co_ci_u32_e64 v4, null, v4, v23, vcc_lo
	v_cmp_gt_i32_e32 vcc_lo, s29, v29
	v_lshlrev_b64 v[5:6], 1, v[27:28]
	v_mad_u64_u32 v[26:27], null, s13, v19, v[7:8]
	v_cndmask_b32_e32 v9, 0, v24, vcc_lo
	v_cndmask_b32_e32 v10, 0, v25, vcc_lo
	v_cmp_gt_i32_e32 vcc_lo, s29, v19
	v_add_co_u32 v5, s0, s2, v5
	v_add_co_ci_u32_e64 v6, null, s3, v6, s0
	v_cndmask_b32_e32 v7, 0, v8, vcc_lo
	v_cndmask_b32_e32 v8, 0, v26, vcc_lo
	v_lshlrev_b64 v[9:10], 1, v[9:10]
	v_add_co_u32 v5, s0, v5, v22
	v_add_co_ci_u32_e64 v6, null, v6, v23, s0
	v_lshlrev_b64 v[7:8], 1, v[7:8]
	v_add_co_u32 v9, vcc_lo, s2, v9
	v_add_co_ci_u32_e64 v10, null, s3, v10, vcc_lo
	s_clause 0x1
	global_load_ushort v19, v[3:4], off
	global_load_ushort v24, v[5:6], off
	v_add_co_u32 v25, vcc_lo, s2, v7
	v_add_co_ci_u32_e64 v26, null, s3, v8, vcc_lo
	v_add_co_u32 v7, vcc_lo, v9, v22
	v_add_co_ci_u32_e64 v8, null, v10, v23, vcc_lo
	;; [unrolled: 2-line block ×3, first 2 shown]
	s_clause 0x1
	global_load_ushort v22, v[7:8], off
	global_load_ushort v23, v[9:10], off
	s_mov_b32 s0, exec_lo
	s_waitcnt vmcnt(3)
	v_lshlrev_b32_e32 v19, 16, v19
	s_waitcnt vmcnt(2)
	v_lshlrev_b32_e32 v24, 16, v24
	v_fmac_f32_e32 v15, v21, v19
	v_fmac_f32_e32 v15, v20, v24
	v_add_nc_u32_e32 v24, 64, v2
	s_waitcnt vmcnt(1)
	v_lshlrev_b32_e32 v22, 16, v22
	s_waitcnt vmcnt(0)
	v_lshlrev_b32_e32 v19, 16, v23
	v_fmac_f32_e32 v15, v12, v22
	v_cmpx_gt_i32_e64 s28, v24
	s_cbranch_execz .LBB641_39
; %bb.34:
	s_clause 0x3
	global_load_ushort v22, v[3:4], off offset:128
	global_load_ushort v23, v[5:6], off offset:128
	;; [unrolled: 1-line block ×4, first 2 shown]
	s_mov_b32 s2, exec_lo
	s_waitcnt vmcnt(3)
	v_lshlrev_b32_e32 v22, 16, v22
	s_waitcnt vmcnt(2)
	v_lshlrev_b32_e32 v23, 16, v23
	;; [unrolled: 2-line block ×3, first 2 shown]
	v_fmac_f32_e32 v16, v21, v22
	s_waitcnt vmcnt(0)
	v_lshlrev_b32_e32 v22, 16, v25
	v_fmac_f32_e32 v16, v20, v23
	v_add_nc_u32_e32 v23, 0x80, v2
	v_fmac_f32_e32 v16, v12, v24
	v_cmpx_gt_i32_e64 s28, v23
	s_cbranch_execz .LBB641_38
; %bb.35:
	s_clause 0x3
	global_load_ushort v23, v[3:4], off offset:256
	global_load_ushort v24, v[5:6], off offset:256
	;; [unrolled: 1-line block ×4, first 2 shown]
	s_mov_b32 s3, exec_lo
	s_waitcnt vmcnt(3)
	v_lshlrev_b32_e32 v23, 16, v23
	s_waitcnt vmcnt(2)
	v_lshlrev_b32_e32 v24, 16, v24
	v_fmac_f32_e32 v17, v21, v23
	s_waitcnt vmcnt(1)
	v_lshlrev_b32_e32 v23, 16, v25
	v_fmac_f32_e32 v17, v20, v24
	v_add_nc_u32_e32 v24, 0xc0, v2
	s_waitcnt vmcnt(0)
	v_lshlrev_b32_e32 v2, 16, v26
	v_fmac_f32_e32 v17, v12, v23
	v_cmpx_gt_i32_e64 s28, v24
	s_cbranch_execz .LBB641_37
; %bb.36:
	s_clause 0x3
	global_load_ushort v3, v[3:4], off offset:384
	global_load_ushort v4, v[5:6], off offset:384
	;; [unrolled: 1-line block ×4, first 2 shown]
	s_waitcnt vmcnt(3)
	v_lshlrev_b32_e32 v3, 16, v3
	s_waitcnt vmcnt(2)
	v_lshlrev_b32_e32 v4, 16, v4
	v_fmac_f32_e32 v18, v21, v3
	s_waitcnt vmcnt(1)
	v_lshlrev_b32_e32 v3, 16, v5
	v_fmac_f32_e32 v18, v20, v4
	;; [unrolled: 3-line block ×3, first 2 shown]
	v_fmac_f32_e32 v18, v11, v4
.LBB641_37:
	s_or_b32 exec_lo, exec_lo, s3
	v_fmac_f32_e32 v17, v11, v2
.LBB641_38:
	s_or_b32 exec_lo, exec_lo, s2
	v_fmac_f32_e32 v16, v11, v22
.LBB641_39:
	s_or_b32 exec_lo, exec_lo, s0
	v_fmac_f32_e32 v15, v11, v19
.LBB641_40:
	s_or_b32 exec_lo, exec_lo, s1
.LBB641_41:
	v_lshlrev_b32_e32 v0, 2, v0
	s_mov_b32 s0, exec_lo
                                        ; implicit-def: $vgpr3
                                        ; implicit-def: $vgpr4_vgpr5
	v_lshl_add_u32 v1, v1, 10, v0
	ds_write2st64_b32 v1, v15, v16 offset1:1
	ds_write2st64_b32 v1, v17, v18 offset0:2 offset1:3
	s_waitcnt lgkmcnt(0)
	s_barrier
	buffer_gl0_inv
	v_cmpx_gt_u32_e32 0x100, v13
	s_cbranch_execz .LBB641_47
; %bb.42:
	v_lshl_add_u32 v6, v14, 2, v0
	s_mov_b32 s2, s37
	s_mov_b32 s1, exec_lo
	ds_read2st64_b32 v[0:1], v6 offset1:4
	ds_read2st64_b32 v[2:3], v6 offset0:8 offset1:12
	ds_read2st64_b32 v[4:5], v6 offset0:16 offset1:20
	s_waitcnt lgkmcnt(2)
	v_add_f32_e32 v7, v0, v1
	ds_read2st64_b32 v[0:1], v6 offset0:24 offset1:28
	s_waitcnt lgkmcnt(2)
	v_add_f32_e32 v2, v2, v7
	v_add_f32_e32 v7, v3, v2
	ds_read2st64_b32 v[2:3], v6 offset0:32 offset1:36
	s_waitcnt lgkmcnt(2)
	v_add_f32_e32 v4, v4, v7
	;; [unrolled: 4-line block ×3, first 2 shown]
	v_add_f32_e32 v0, v1, v0
	s_waitcnt lgkmcnt(1)
	v_add_f32_e32 v2, v2, v0
	ds_read2st64_b32 v[0:1], v6 offset0:48 offset1:52
	v_add_f32_e32 v2, v3, v2
	s_waitcnt lgkmcnt(1)
	v_add_f32_e32 v4, v4, v2
	ds_read2st64_b32 v[2:3], v6 offset0:56 offset1:60
	v_add_f32_e32 v4, v5, v4
	s_waitcnt lgkmcnt(1)
	v_add_f32_e32 v0, v0, v4
                                        ; implicit-def: $vgpr4_vgpr5
	v_add_f32_e32 v0, v1, v0
	v_or_b32_e32 v1, s5, v13
	s_waitcnt lgkmcnt(0)
	v_add_f32_e32 v0, v2, v0
	v_add_f32_e32 v0, v3, v0
                                        ; implicit-def: $vgpr3
	ds_write_b32 v6, v0
	v_cmpx_gt_i32_e64 s28, v1
	s_cbranch_execz .LBB641_46
; %bb.43:
	v_ashrrev_i32_e32 v2, 31, v1
	v_mul_lo_u32 v6, s25, v1
	v_mad_u64_u32 v[4:5], null, s24, v1, 0
	v_cmp_eq_f32_e64 s2, s36, 0
	v_mul_lo_u32 v1, s24, v2
	v_mul_f32_e32 v3, s30, v0
	s_and_b32 vcc_lo, exec_lo, s2
	v_add3_u32 v5, v5, v1, v6
	s_cbranch_vccnz .LBB641_45
; %bb.44:
	v_lshlrev_b64 v[0:1], 2, v[4:5]
	v_add_co_u32 v0, vcc_lo, s31, v0
	v_add_co_ci_u32_e64 v1, null, s33, v1, vcc_lo
	global_load_dword v0, v[0:1], off
	s_waitcnt vmcnt(0)
	v_fmac_f32_e32 v3, s36, v0
.LBB641_45:
	s_or_b32 s2, s37, exec_lo
.LBB641_46:
	s_or_b32 exec_lo, exec_lo, s1
	s_andn2_b32 s1, s37, exec_lo
	s_and_b32 s2, s2, exec_lo
	s_or_b32 s37, s1, s2
.LBB641_47:
	s_or_b32 exec_lo, exec_lo, s0
.LBB641_48:
	s_and_saveexec_b32 s0, s37
	s_cbranch_execz .LBB641_50
; %bb.49:
	v_lshlrev_b64 v[0:1], 2, v[4:5]
	v_add_co_u32 v0, vcc_lo, s31, v0
	v_add_co_ci_u32_e64 v1, null, s33, v1, vcc_lo
	global_store_dword v[0:1], v3, off
.LBB641_50:
	s_endpgm
	.section	.rodata,"a",@progbits
	.p2align	6, 0x0
	.amdhsa_kernel _ZL20rocblas_gemvn_kernelILi64ELi16El16rocblas_bfloat16ffEviiT3_lPKT2_lT1_lS4_lS5_lS1_lPT4_lS5_li
		.amdhsa_group_segment_fixed_size 16384
		.amdhsa_private_segment_fixed_size 0
		.amdhsa_kernarg_size 400
		.amdhsa_user_sgpr_count 6
		.amdhsa_user_sgpr_private_segment_buffer 1
		.amdhsa_user_sgpr_dispatch_ptr 0
		.amdhsa_user_sgpr_queue_ptr 0
		.amdhsa_user_sgpr_kernarg_segment_ptr 1
		.amdhsa_user_sgpr_dispatch_id 0
		.amdhsa_user_sgpr_flat_scratch_init 0
		.amdhsa_user_sgpr_private_segment_size 0
		.amdhsa_wavefront_size32 1
		.amdhsa_uses_dynamic_stack 0
		.amdhsa_system_sgpr_private_segment_wavefront_offset 0
		.amdhsa_system_sgpr_workgroup_id_x 1
		.amdhsa_system_sgpr_workgroup_id_y 0
		.amdhsa_system_sgpr_workgroup_id_z 1
		.amdhsa_system_sgpr_workgroup_info 0
		.amdhsa_system_vgpr_workitem_id 1
		.amdhsa_next_free_vgpr 52
		.amdhsa_next_free_sgpr 43
		.amdhsa_reserve_vcc 1
		.amdhsa_reserve_flat_scratch 0
		.amdhsa_float_round_mode_32 0
		.amdhsa_float_round_mode_16_64 0
		.amdhsa_float_denorm_mode_32 3
		.amdhsa_float_denorm_mode_16_64 3
		.amdhsa_dx10_clamp 1
		.amdhsa_ieee_mode 1
		.amdhsa_fp16_overflow 0
		.amdhsa_workgroup_processor_mode 1
		.amdhsa_memory_ordered 1
		.amdhsa_forward_progress 1
		.amdhsa_shared_vgpr_count 0
		.amdhsa_exception_fp_ieee_invalid_op 0
		.amdhsa_exception_fp_denorm_src 0
		.amdhsa_exception_fp_ieee_div_zero 0
		.amdhsa_exception_fp_ieee_overflow 0
		.amdhsa_exception_fp_ieee_underflow 0
		.amdhsa_exception_fp_ieee_inexact 0
		.amdhsa_exception_int_div_zero 0
	.end_amdhsa_kernel
	.section	.text._ZL20rocblas_gemvn_kernelILi64ELi16El16rocblas_bfloat16ffEviiT3_lPKT2_lT1_lS4_lS5_lS1_lPT4_lS5_li,"axG",@progbits,_ZL20rocblas_gemvn_kernelILi64ELi16El16rocblas_bfloat16ffEviiT3_lPKT2_lT1_lS4_lS5_lS1_lPT4_lS5_li,comdat
.Lfunc_end641:
	.size	_ZL20rocblas_gemvn_kernelILi64ELi16El16rocblas_bfloat16ffEviiT3_lPKT2_lT1_lS4_lS5_lS1_lPT4_lS5_li, .Lfunc_end641-_ZL20rocblas_gemvn_kernelILi64ELi16El16rocblas_bfloat16ffEviiT3_lPKT2_lT1_lS4_lS5_lS1_lPT4_lS5_li
                                        ; -- End function
	.set _ZL20rocblas_gemvn_kernelILi64ELi16El16rocblas_bfloat16ffEviiT3_lPKT2_lT1_lS4_lS5_lS1_lPT4_lS5_li.num_vgpr, 52
	.set _ZL20rocblas_gemvn_kernelILi64ELi16El16rocblas_bfloat16ffEviiT3_lPKT2_lT1_lS4_lS5_lS1_lPT4_lS5_li.num_agpr, 0
	.set _ZL20rocblas_gemvn_kernelILi64ELi16El16rocblas_bfloat16ffEviiT3_lPKT2_lT1_lS4_lS5_lS1_lPT4_lS5_li.numbered_sgpr, 43
	.set _ZL20rocblas_gemvn_kernelILi64ELi16El16rocblas_bfloat16ffEviiT3_lPKT2_lT1_lS4_lS5_lS1_lPT4_lS5_li.num_named_barrier, 0
	.set _ZL20rocblas_gemvn_kernelILi64ELi16El16rocblas_bfloat16ffEviiT3_lPKT2_lT1_lS4_lS5_lS1_lPT4_lS5_li.private_seg_size, 0
	.set _ZL20rocblas_gemvn_kernelILi64ELi16El16rocblas_bfloat16ffEviiT3_lPKT2_lT1_lS4_lS5_lS1_lPT4_lS5_li.uses_vcc, 1
	.set _ZL20rocblas_gemvn_kernelILi64ELi16El16rocblas_bfloat16ffEviiT3_lPKT2_lT1_lS4_lS5_lS1_lPT4_lS5_li.uses_flat_scratch, 0
	.set _ZL20rocblas_gemvn_kernelILi64ELi16El16rocblas_bfloat16ffEviiT3_lPKT2_lT1_lS4_lS5_lS1_lPT4_lS5_li.has_dyn_sized_stack, 0
	.set _ZL20rocblas_gemvn_kernelILi64ELi16El16rocblas_bfloat16ffEviiT3_lPKT2_lT1_lS4_lS5_lS1_lPT4_lS5_li.has_recursion, 0
	.set _ZL20rocblas_gemvn_kernelILi64ELi16El16rocblas_bfloat16ffEviiT3_lPKT2_lT1_lS4_lS5_lS1_lPT4_lS5_li.has_indirect_call, 0
	.section	.AMDGPU.csdata,"",@progbits
; Kernel info:
; codeLenInByte = 3284
; TotalNumSgprs: 45
; NumVgprs: 52
; ScratchSize: 0
; MemoryBound: 0
; FloatMode: 240
; IeeeMode: 1
; LDSByteSize: 16384 bytes/workgroup (compile time only)
; SGPRBlocks: 0
; VGPRBlocks: 6
; NumSGPRsForWavesPerEU: 45
; NumVGPRsForWavesPerEU: 52
; Occupancy: 16
; WaveLimiterHint : 1
; COMPUTE_PGM_RSRC2:SCRATCH_EN: 0
; COMPUTE_PGM_RSRC2:USER_SGPR: 6
; COMPUTE_PGM_RSRC2:TRAP_HANDLER: 0
; COMPUTE_PGM_RSRC2:TGID_X_EN: 1
; COMPUTE_PGM_RSRC2:TGID_Y_EN: 0
; COMPUTE_PGM_RSRC2:TGID_Z_EN: 1
; COMPUTE_PGM_RSRC2:TIDIG_COMP_CNT: 1
	.section	.text._ZL22rocblas_gemvtsm_kernelILb0ELi256E16rocblas_bfloat16PKffEviiT2_lPKT1_lilS6_lilS3_lPT3_lil,"axG",@progbits,_ZL22rocblas_gemvtsm_kernelILb0ELi256E16rocblas_bfloat16PKffEviiT2_lPKT1_lilS6_lilS3_lPT3_lil,comdat
	.globl	_ZL22rocblas_gemvtsm_kernelILb0ELi256E16rocblas_bfloat16PKffEviiT2_lPKT1_lilS6_lilS3_lPT3_lil ; -- Begin function _ZL22rocblas_gemvtsm_kernelILb0ELi256E16rocblas_bfloat16PKffEviiT2_lPKT1_lilS6_lilS3_lPT3_lil
	.p2align	8
	.type	_ZL22rocblas_gemvtsm_kernelILb0ELi256E16rocblas_bfloat16PKffEviiT2_lPKT1_lilS6_lilS3_lPT3_lil,@function
_ZL22rocblas_gemvtsm_kernelILb0ELi256E16rocblas_bfloat16PKffEviiT2_lPKT1_lilS6_lilS3_lPT3_lil: ; @_ZL22rocblas_gemvtsm_kernelILb0ELi256E16rocblas_bfloat16PKffEviiT2_lPKT1_lilS6_lilS3_lPT3_lil
; %bb.0:
	s_clause 0x1
	s_load_dwordx8 s[8:15], s[4:5], 0x8
	s_load_dwordx8 s[16:23], s[4:5], 0x50
	s_waitcnt lgkmcnt(0)
	s_mul_i32 s1, s11, s6
	s_mul_hi_u32 s2, s10, s6
	s_mul_i32 s0, s10, s6
	s_add_i32 s1, s2, s1
	s_mul_i32 s2, s21, s6
	s_lshl_b64 s[0:1], s[0:1], 2
	s_mul_hi_u32 s3, s20, s6
	s_add_u32 s0, s8, s0
	s_addc_u32 s1, s9, s1
	s_add_i32 s3, s3, s2
	s_mul_i32 s2, s20, s6
	s_lshl_b64 s[2:3], s[2:3], 2
	s_add_u32 s2, s18, s2
	s_addc_u32 s3, s19, s3
	s_load_dword s26, s[0:1], 0x0
	s_load_dword s7, s[2:3], 0x0
	s_waitcnt lgkmcnt(0)
	v_cmp_eq_f32_e64 s0, s26, 0
	v_cmp_eq_f32_e64 s1, s7, 1.0
	s_and_b32 s0, s0, s1
	s_and_b32 vcc_lo, exec_lo, s0
	s_cbranch_vccnz .LBB642_58
; %bb.1:
	s_clause 0x3
	s_load_dwordx2 s[0:1], s[4:5], 0x80
	s_load_dwordx2 s[18:19], s[4:5], 0x70
	s_load_dword s8, s[4:5], 0x78
	s_load_dwordx2 s[10:11], s[4:5], 0x0
	v_cmp_neq_f32_e64 s2, s26, 0
	s_and_b32 vcc_lo, exec_lo, s2
	s_waitcnt lgkmcnt(0)
	s_mul_i32 s1, s1, s6
	s_mul_hi_u32 s2, s0, s6
	s_mul_i32 s20, s0, s6
	s_add_i32 s21, s2, s1
	s_cbranch_vccnz .LBB642_9
; %bb.2:
	s_cmp_gt_i32 s11, 0
	v_cmp_neq_f32_e64 s0, s7, 0
	s_cselect_b32 s2, -1, 0
	v_cndmask_b32_e64 v1, 0, 1, s2
	s_and_b32 vcc_lo, exec_lo, s0
	v_cmp_ne_u32_e64 s0, 1, v1
	s_cbranch_vccnz .LBB642_10
; %bb.3:
	s_and_b32 vcc_lo, exec_lo, s0
	s_cbranch_vccnz .LBB642_8
; %bb.4:
	v_mad_i64_i32 v[1:2], null, s8, v0, 0
	s_lshl_b64 s[24:25], s[18:19], 2
	s_ashr_i32 s9, s8, 31
	s_lshl_b64 s[0:1], s[20:21], 2
	s_add_u32 s3, s22, s24
	s_addc_u32 s24, s23, s25
	s_add_u32 s0, s3, s0
	v_lshlrev_b64 v[1:2], 2, v[1:2]
	s_addc_u32 s1, s24, s1
	v_mov_b32_e32 v3, 0
	s_mov_b32 s3, 0
	v_add_co_u32 v1, vcc_lo, s0, v1
	v_add_co_ci_u32_e64 v2, null, s1, v2, vcc_lo
	s_lshl_b64 s[0:1], s[8:9], 10
	s_branch .LBB642_6
.LBB642_5:                              ;   in Loop: Header=BB642_6 Depth=1
	s_or_b32 exec_lo, exec_lo, s9
	v_add_co_u32 v1, vcc_lo, v1, s0
	v_add_co_ci_u32_e64 v2, null, s1, v2, vcc_lo
	s_addk_i32 s3, 0x100
	s_cmp_ge_i32 s3, s11
	s_cbranch_scc1 .LBB642_8
.LBB642_6:                              ; =>This Inner Loop Header: Depth=1
	v_add_nc_u32_e32 v4, s3, v0
	s_mov_b32 s9, exec_lo
	v_cmpx_gt_i32_e64 s11, v4
	s_cbranch_execz .LBB642_5
; %bb.7:                                ;   in Loop: Header=BB642_6 Depth=1
	global_store_dword v[1:2], v3, off
	s_branch .LBB642_5
.LBB642_8:
	s_cbranch_execz .LBB642_11
	s_branch .LBB642_16
.LBB642_9:
	s_branch .LBB642_17
.LBB642_10:
.LBB642_11:
	s_andn2_b32 vcc_lo, exec_lo, s2
	s_cbranch_vccnz .LBB642_16
; %bb.12:
	v_mad_i64_i32 v[1:2], null, s8, v0, 0
	s_lshl_b64 s[2:3], s[18:19], 2
	s_ashr_i32 s9, s8, 31
	s_lshl_b64 s[0:1], s[20:21], 2
	s_add_u32 s2, s22, s2
	s_addc_u32 s3, s23, s3
	s_add_u32 s0, s2, s0
	v_lshlrev_b64 v[1:2], 2, v[1:2]
	s_addc_u32 s1, s3, s1
	s_mov_b32 s2, 0
	v_add_co_u32 v1, vcc_lo, s0, v1
	v_add_co_ci_u32_e64 v2, null, s1, v2, vcc_lo
	s_lshl_b64 s[0:1], s[8:9], 10
	s_branch .LBB642_14
	.p2align	6
.LBB642_13:                             ;   in Loop: Header=BB642_14 Depth=1
	s_or_b32 exec_lo, exec_lo, s3
	v_add_co_u32 v1, vcc_lo, v1, s0
	v_add_co_ci_u32_e64 v2, null, s1, v2, vcc_lo
	s_addk_i32 s2, 0x100
	s_cmp_ge_i32 s2, s11
	s_cbranch_scc1 .LBB642_16
.LBB642_14:                             ; =>This Inner Loop Header: Depth=1
	v_add_nc_u32_e32 v3, s2, v0
	s_mov_b32 s3, exec_lo
	v_cmpx_gt_i32_e64 s11, v3
	s_cbranch_execz .LBB642_13
; %bb.15:                               ;   in Loop: Header=BB642_14 Depth=1
	global_load_dword v3, v[1:2], off
	s_waitcnt vmcnt(0)
	v_mul_f32_e32 v3, s7, v3
	global_store_dword v[1:2], v3, off
	s_branch .LBB642_13
.LBB642_16:
	s_cbranch_execnz .LBB642_58
.LBB642_17:
	s_clause 0x1
	s_load_dwordx4 s[0:3], s[4:5], 0x30
	s_load_dwordx2 s[24:25], s[4:5], 0x40
	s_mov_b32 s9, exec_lo
	v_cmpx_gt_i32_e64 s10, v0
	s_cbranch_execz .LBB642_23
; %bb.18:
	s_load_dword s27, s[4:5], 0x48
	s_mul_i32 s17, s17, s6
	s_mul_hi_u32 s28, s16, s6
	s_mul_i32 s16, s16, s6
	s_add_i32 s17, s28, s17
	s_lshl_b64 s[16:17], s[16:17], 1
	s_waitcnt lgkmcnt(0)
	s_add_u32 s16, s2, s16
	s_addc_u32 s17, s3, s17
	s_lshl_b64 s[2:3], s[24:25], 1
	s_add_u32 s2, s16, s2
	s_addc_u32 s3, s17, s3
	v_mad_i64_i32 v[1:2], null, s27, v0, 0
	v_lshlrev_b64 v[1:2], 1, v[1:2]
	v_add_co_u32 v1, vcc_lo, s2, v1
	v_add_co_ci_u32_e64 v2, null, s3, v2, vcc_lo
	global_load_ushort v1, v[1:2], off
	s_waitcnt vmcnt(0)
	v_lshlrev_b32_e32 v1, 16, v1
	v_mul_f32_e32 v1, s26, v1
	v_and_b32_e32 v2, 0x7f800000, v1
	v_cmp_ne_u32_e32 vcc_lo, 0x7f800000, v2
                                        ; implicit-def: $vgpr2
	s_and_saveexec_b32 s2, vcc_lo
	s_xor_b32 s2, exec_lo, s2
; %bb.19:
	v_bfe_u32 v2, v1, 16, 1
	v_add3_u32 v2, v1, v2, 0x7fff
                                        ; implicit-def: $vgpr1
; %bb.20:
	s_andn2_saveexec_b32 s2, s2
; %bb.21:
	v_mov_b32_e32 v2, 0
	v_or_b32_e32 v3, 0x10000, v1
	v_cmp_eq_u32_sdwa vcc_lo, v1, v2 src0_sel:WORD_0 src1_sel:DWORD
	v_cndmask_b32_e32 v2, v3, v1, vcc_lo
; %bb.22:
	s_or_b32 exec_lo, exec_lo, s2
	v_and_b32_e32 v1, 0xffff0000, v2
	v_lshlrev_b32_e32 v2, 2, v0
	ds_write_b32 v2, v1
.LBB642_23:
	s_or_b32 exec_lo, exec_lo, s9
	s_cmp_lt_i32 s11, 1
	s_waitcnt lgkmcnt(0)
	s_waitcnt_vscnt null, 0x0
	s_barrier
	buffer_gl0_inv
	s_cbranch_scc1 .LBB642_58
; %bb.24:
	s_load_dword s24, s[4:5], 0x28
	s_lshl_b64 s[2:3], s[20:21], 2
	s_mul_i32 s1, s1, s6
	s_mul_hi_u32 s20, s0, s6
	s_mul_i32 s0, s0, s6
	s_add_u32 s6, s22, s2
	s_addc_u32 s9, s23, s3
	s_lshl_b64 s[4:5], s[18:19], 2
	v_cmp_neq_f32_e64 s2, s7, 0
	s_add_u32 s3, s6, s4
	s_addc_u32 s4, s9, s5
	s_ashr_i32 s5, s8, 31
	v_mov_b32_e32 v9, 0
	s_waitcnt lgkmcnt(0)
	s_ashr_i32 s25, s24, 31
	s_cmp_gt_i32 s10, 0
	v_mad_i64_i32 v[1:2], null, s24, v0, 0
	s_cselect_b32 s6, -1, 0
	s_and_b32 s9, s10, 3
	s_cmp_gt_u32 s10, 3
	s_cselect_b32 s16, -1, 0
	s_and_b32 s10, s10, 0x7ffffffc
	s_cmp_lg_u32 s9, 0
	v_lshlrev_b64 v[1:2], 1, v[1:2]
	s_cselect_b32 s17, -1, 0
	s_add_i32 s1, s20, s1
	s_lshl_b64 s[14:15], s[14:15], 1
	s_lshl_b64 s[0:1], s[0:1], 1
	s_add_u32 s12, s12, s14
	s_addc_u32 s13, s13, s15
	s_add_u32 s0, s12, s0
	s_addc_u32 s1, s13, s1
	v_add_co_u32 v7, vcc_lo, s0, v1
	v_add_co_ci_u32_e64 v8, null, s1, v2, vcc_lo
	s_mov_b32 s12, 0
	v_add_co_u32 v1, vcc_lo, v7, 4
	v_add_co_ci_u32_e64 v2, null, 0, v8, vcc_lo
	s_lshl_b64 s[0:1], s[24:25], 9
	s_branch .LBB642_27
.LBB642_25:                             ;   in Loop: Header=BB642_27 Depth=1
	s_inst_prefetch 0x2
	v_add_co_u32 v3, vcc_lo, s3, v3
	v_add_co_ci_u32_e64 v4, null, s4, v4, vcc_lo
	global_store_dword v[3:4], v10, off
.LBB642_26:                             ;   in Loop: Header=BB642_27 Depth=1
	s_or_b32 exec_lo, exec_lo, s13
	v_add_co_u32 v1, vcc_lo, v1, s0
	v_add_co_ci_u32_e64 v2, null, s1, v2, vcc_lo
	v_add_co_u32 v7, vcc_lo, v7, s0
	v_add_co_ci_u32_e64 v8, null, s1, v8, vcc_lo
	s_addk_i32 s12, 0x100
	s_cmp_ge_i32 s12, s11
	s_cbranch_scc1 .LBB642_58
.LBB642_27:                             ; =>This Loop Header: Depth=1
                                        ;     Child Loop BB642_34 Depth 2
                                        ;     Child Loop BB642_54 Depth 2
	v_add_nc_u32_e32 v3, s12, v0
	s_mov_b32 s13, exec_lo
	v_cmpx_gt_i32_e64 s11, v3
	s_cbranch_execz .LBB642_26
; %bb.28:                               ;   in Loop: Header=BB642_27 Depth=1
	v_mad_u64_u32 v[4:5], null, v3, s8, 0
	s_andn2_b32 vcc_lo, exec_lo, s2
	v_mad_u64_u32 v[5:6], null, v3, s5, v[5:6]
	v_lshlrev_b64 v[3:4], 2, v[4:5]
	s_cbranch_vccnz .LBB642_30
; %bb.29:                               ;   in Loop: Header=BB642_27 Depth=1
	v_add_co_u32 v5, vcc_lo, s3, v3
	v_add_co_ci_u32_e64 v6, null, s4, v4, vcc_lo
	global_load_dword v5, v[5:6], off
	s_waitcnt vmcnt(0)
	v_mul_f32_e32 v10, s7, v5
	s_andn2_b32 vcc_lo, exec_lo, s6
	s_cbranch_vccz .LBB642_31
	s_branch .LBB642_25
.LBB642_30:                             ;   in Loop: Header=BB642_27 Depth=1
	v_mov_b32_e32 v10, 0
	s_andn2_b32 vcc_lo, exec_lo, s6
	s_cbranch_vccnz .LBB642_25
.LBB642_31:                             ;   in Loop: Header=BB642_27 Depth=1
	s_andn2_b32 vcc_lo, exec_lo, s16
	s_mov_b32 s14, 0
	s_cbranch_vccnz .LBB642_51
; %bb.32:                               ;   in Loop: Header=BB642_27 Depth=1
	v_mov_b32_e32 v6, v2
	v_mov_b32_e32 v5, v1
	s_mov_b32 s15, 0
	s_branch .LBB642_34
.LBB642_33:                             ;   in Loop: Header=BB642_34 Depth=2
	s_or_b32 exec_lo, exec_lo, s18
	v_and_b32_e32 v11, 0xffff0000, v11
	v_and_b32_e32 v12, 0xffff0000, v12
	v_add_co_u32 v5, vcc_lo, v5, 8
	v_add_co_ci_u32_e64 v6, null, 0, v6, vcc_lo
	v_add_f32_e32 v10, v10, v11
	v_and_b32_e32 v11, 0xffff0000, v13
	s_add_i32 s15, s15, 4
	s_add_i32 s14, s14, 16
	s_cmp_eq_u32 s10, s15
	v_add_f32_e32 v10, v10, v12
	v_and_b32_e32 v12, 0xffff0000, v14
	v_add_f32_e32 v10, v10, v11
	v_add_f32_e32 v10, v10, v12
	s_cbranch_scc1 .LBB642_50
.LBB642_34:                             ;   Parent Loop BB642_27 Depth=1
                                        ; =>  This Inner Loop Header: Depth=2
	global_load_ushort v11, v[5:6], off offset:-4
	v_mov_b32_e32 v12, s14
	ds_read_b32 v12, v12
	s_waitcnt vmcnt(0)
	v_lshlrev_b32_e32 v11, 16, v11
	s_waitcnt lgkmcnt(0)
	v_mul_f32_e32 v12, v12, v11
	v_and_b32_e32 v11, 0x7f800000, v12
	v_cmp_ne_u32_e32 vcc_lo, 0x7f800000, v11
                                        ; implicit-def: $vgpr11
	s_and_saveexec_b32 s18, vcc_lo
	s_xor_b32 s18, exec_lo, s18
; %bb.35:                               ;   in Loop: Header=BB642_34 Depth=2
	v_bfe_u32 v11, v12, 16, 1
	v_add3_u32 v11, v12, v11, 0x7fff
                                        ; implicit-def: $vgpr12
; %bb.36:                               ;   in Loop: Header=BB642_34 Depth=2
	s_andn2_saveexec_b32 s18, s18
; %bb.37:                               ;   in Loop: Header=BB642_34 Depth=2
	v_or_b32_e32 v11, 0x10000, v12
	v_cmp_eq_u32_sdwa vcc_lo, v12, v9 src0_sel:WORD_0 src1_sel:DWORD
	v_cndmask_b32_e32 v11, v11, v12, vcc_lo
; %bb.38:                               ;   in Loop: Header=BB642_34 Depth=2
	s_or_b32 exec_lo, exec_lo, s18
	global_load_ushort v12, v[5:6], off offset:-2
	v_mov_b32_e32 v13, s14
	ds_read_b32 v13, v13 offset:4
	s_waitcnt vmcnt(0)
	v_lshlrev_b32_e32 v12, 16, v12
	s_waitcnt lgkmcnt(0)
	v_mul_f32_e32 v13, v13, v12
	v_and_b32_e32 v12, 0x7f800000, v13
	v_cmp_ne_u32_e32 vcc_lo, 0x7f800000, v12
                                        ; implicit-def: $vgpr12
	s_and_saveexec_b32 s18, vcc_lo
	s_xor_b32 s18, exec_lo, s18
; %bb.39:                               ;   in Loop: Header=BB642_34 Depth=2
	v_bfe_u32 v12, v13, 16, 1
	v_add3_u32 v12, v13, v12, 0x7fff
                                        ; implicit-def: $vgpr13
; %bb.40:                               ;   in Loop: Header=BB642_34 Depth=2
	s_andn2_saveexec_b32 s18, s18
; %bb.41:                               ;   in Loop: Header=BB642_34 Depth=2
	v_or_b32_e32 v12, 0x10000, v13
	v_cmp_eq_u32_sdwa vcc_lo, v13, v9 src0_sel:WORD_0 src1_sel:DWORD
	v_cndmask_b32_e32 v12, v12, v13, vcc_lo
; %bb.42:                               ;   in Loop: Header=BB642_34 Depth=2
	s_or_b32 exec_lo, exec_lo, s18
	global_load_ushort v13, v[5:6], off
	v_mov_b32_e32 v14, s14
	ds_read_b32 v14, v14 offset:8
	s_waitcnt vmcnt(0)
	v_lshlrev_b32_e32 v13, 16, v13
	s_waitcnt lgkmcnt(0)
	v_mul_f32_e32 v14, v14, v13
	v_and_b32_e32 v13, 0x7f800000, v14
	v_cmp_ne_u32_e32 vcc_lo, 0x7f800000, v13
                                        ; implicit-def: $vgpr13
	s_and_saveexec_b32 s18, vcc_lo
	s_xor_b32 s18, exec_lo, s18
; %bb.43:                               ;   in Loop: Header=BB642_34 Depth=2
	v_bfe_u32 v13, v14, 16, 1
	v_add3_u32 v13, v14, v13, 0x7fff
                                        ; implicit-def: $vgpr14
; %bb.44:                               ;   in Loop: Header=BB642_34 Depth=2
	s_andn2_saveexec_b32 s18, s18
; %bb.45:                               ;   in Loop: Header=BB642_34 Depth=2
	v_or_b32_e32 v13, 0x10000, v14
	v_cmp_eq_u32_sdwa vcc_lo, v14, v9 src0_sel:WORD_0 src1_sel:DWORD
	v_cndmask_b32_e32 v13, v13, v14, vcc_lo
; %bb.46:                               ;   in Loop: Header=BB642_34 Depth=2
	s_or_b32 exec_lo, exec_lo, s18
	global_load_ushort v14, v[5:6], off offset:2
	v_mov_b32_e32 v15, s14
	ds_read_b32 v15, v15 offset:12
	s_waitcnt vmcnt(0)
	v_lshlrev_b32_e32 v14, 16, v14
	s_waitcnt lgkmcnt(0)
	v_mul_f32_e32 v15, v15, v14
	v_and_b32_e32 v14, 0x7f800000, v15
	v_cmp_ne_u32_e32 vcc_lo, 0x7f800000, v14
                                        ; implicit-def: $vgpr14
	s_and_saveexec_b32 s18, vcc_lo
	s_xor_b32 s18, exec_lo, s18
; %bb.47:                               ;   in Loop: Header=BB642_34 Depth=2
	v_bfe_u32 v14, v15, 16, 1
	v_add3_u32 v14, v15, v14, 0x7fff
                                        ; implicit-def: $vgpr15
; %bb.48:                               ;   in Loop: Header=BB642_34 Depth=2
	s_andn2_saveexec_b32 s18, s18
	s_cbranch_execz .LBB642_33
; %bb.49:                               ;   in Loop: Header=BB642_34 Depth=2
	v_or_b32_e32 v14, 0x10000, v15
	v_cmp_eq_u32_sdwa vcc_lo, v15, v9 src0_sel:WORD_0 src1_sel:DWORD
	v_cndmask_b32_e32 v14, v14, v15, vcc_lo
	s_branch .LBB642_33
.LBB642_50:                             ;   in Loop: Header=BB642_27 Depth=1
	s_mov_b32 s14, s10
.LBB642_51:                             ;   in Loop: Header=BB642_27 Depth=1
	s_andn2_b32 vcc_lo, exec_lo, s17
	s_cbranch_vccnz .LBB642_25
; %bb.52:                               ;   in Loop: Header=BB642_27 Depth=1
	s_lshl_b32 s15, s14, 1
	s_lshl_b32 s14, s14, 2
	v_add_co_u32 v5, vcc_lo, v7, s15
	v_add_co_ci_u32_e64 v6, null, 0, v8, vcc_lo
	s_mov_b32 s15, s9
	s_inst_prefetch 0x1
	s_branch .LBB642_54
	.p2align	6
.LBB642_53:                             ;   in Loop: Header=BB642_54 Depth=2
	s_or_b32 exec_lo, exec_lo, s18
	v_and_b32_e32 v11, 0xffff0000, v12
	v_add_co_u32 v5, vcc_lo, v5, 2
	v_add_co_ci_u32_e64 v6, null, 0, v6, vcc_lo
	v_add_f32_e32 v10, v10, v11
	s_add_i32 s15, s15, -1
	s_add_i32 s14, s14, 4
	s_cmp_lg_u32 s15, 0
	s_cbranch_scc0 .LBB642_25
.LBB642_54:                             ;   Parent Loop BB642_27 Depth=1
                                        ; =>  This Inner Loop Header: Depth=2
	global_load_ushort v11, v[5:6], off
	v_mov_b32_e32 v12, s14
	ds_read_b32 v12, v12
	s_waitcnt vmcnt(0)
	v_lshlrev_b32_e32 v11, 16, v11
	s_waitcnt lgkmcnt(0)
	v_mul_f32_e32 v11, v12, v11
	v_and_b32_e32 v12, 0x7f800000, v11
	v_cmp_ne_u32_e32 vcc_lo, 0x7f800000, v12
                                        ; implicit-def: $vgpr12
	s_and_saveexec_b32 s18, vcc_lo
	s_xor_b32 s18, exec_lo, s18
; %bb.55:                               ;   in Loop: Header=BB642_54 Depth=2
	v_bfe_u32 v12, v11, 16, 1
	v_add3_u32 v12, v11, v12, 0x7fff
                                        ; implicit-def: $vgpr11
; %bb.56:                               ;   in Loop: Header=BB642_54 Depth=2
	s_andn2_saveexec_b32 s18, s18
	s_cbranch_execz .LBB642_53
; %bb.57:                               ;   in Loop: Header=BB642_54 Depth=2
	v_or_b32_e32 v12, 0x10000, v11
	v_cmp_eq_u32_sdwa vcc_lo, v11, v9 src0_sel:WORD_0 src1_sel:DWORD
	v_cndmask_b32_e32 v12, v12, v11, vcc_lo
	s_branch .LBB642_53
.LBB642_58:
	s_endpgm
	.section	.rodata,"a",@progbits
	.p2align	6, 0x0
	.amdhsa_kernel _ZL22rocblas_gemvtsm_kernelILb0ELi256E16rocblas_bfloat16PKffEviiT2_lPKT1_lilS6_lilS3_lPT3_lil
		.amdhsa_group_segment_fixed_size 256
		.amdhsa_private_segment_fixed_size 0
		.amdhsa_kernarg_size 136
		.amdhsa_user_sgpr_count 6
		.amdhsa_user_sgpr_private_segment_buffer 1
		.amdhsa_user_sgpr_dispatch_ptr 0
		.amdhsa_user_sgpr_queue_ptr 0
		.amdhsa_user_sgpr_kernarg_segment_ptr 1
		.amdhsa_user_sgpr_dispatch_id 0
		.amdhsa_user_sgpr_flat_scratch_init 0
		.amdhsa_user_sgpr_private_segment_size 0
		.amdhsa_wavefront_size32 1
		.amdhsa_uses_dynamic_stack 0
		.amdhsa_system_sgpr_private_segment_wavefront_offset 0
		.amdhsa_system_sgpr_workgroup_id_x 1
		.amdhsa_system_sgpr_workgroup_id_y 0
		.amdhsa_system_sgpr_workgroup_id_z 0
		.amdhsa_system_sgpr_workgroup_info 0
		.amdhsa_system_vgpr_workitem_id 0
		.amdhsa_next_free_vgpr 16
		.amdhsa_next_free_sgpr 29
		.amdhsa_reserve_vcc 1
		.amdhsa_reserve_flat_scratch 0
		.amdhsa_float_round_mode_32 0
		.amdhsa_float_round_mode_16_64 0
		.amdhsa_float_denorm_mode_32 3
		.amdhsa_float_denorm_mode_16_64 3
		.amdhsa_dx10_clamp 1
		.amdhsa_ieee_mode 1
		.amdhsa_fp16_overflow 0
		.amdhsa_workgroup_processor_mode 1
		.amdhsa_memory_ordered 1
		.amdhsa_forward_progress 1
		.amdhsa_shared_vgpr_count 0
		.amdhsa_exception_fp_ieee_invalid_op 0
		.amdhsa_exception_fp_denorm_src 0
		.amdhsa_exception_fp_ieee_div_zero 0
		.amdhsa_exception_fp_ieee_overflow 0
		.amdhsa_exception_fp_ieee_underflow 0
		.amdhsa_exception_fp_ieee_inexact 0
		.amdhsa_exception_int_div_zero 0
	.end_amdhsa_kernel
	.section	.text._ZL22rocblas_gemvtsm_kernelILb0ELi256E16rocblas_bfloat16PKffEviiT2_lPKT1_lilS6_lilS3_lPT3_lil,"axG",@progbits,_ZL22rocblas_gemvtsm_kernelILb0ELi256E16rocblas_bfloat16PKffEviiT2_lPKT1_lilS6_lilS3_lPT3_lil,comdat
.Lfunc_end642:
	.size	_ZL22rocblas_gemvtsm_kernelILb0ELi256E16rocblas_bfloat16PKffEviiT2_lPKT1_lilS6_lilS3_lPT3_lil, .Lfunc_end642-_ZL22rocblas_gemvtsm_kernelILb0ELi256E16rocblas_bfloat16PKffEviiT2_lPKT1_lilS6_lilS3_lPT3_lil
                                        ; -- End function
	.set _ZL22rocblas_gemvtsm_kernelILb0ELi256E16rocblas_bfloat16PKffEviiT2_lPKT1_lilS6_lilS3_lPT3_lil.num_vgpr, 16
	.set _ZL22rocblas_gemvtsm_kernelILb0ELi256E16rocblas_bfloat16PKffEviiT2_lPKT1_lilS6_lilS3_lPT3_lil.num_agpr, 0
	.set _ZL22rocblas_gemvtsm_kernelILb0ELi256E16rocblas_bfloat16PKffEviiT2_lPKT1_lilS6_lilS3_lPT3_lil.numbered_sgpr, 29
	.set _ZL22rocblas_gemvtsm_kernelILb0ELi256E16rocblas_bfloat16PKffEviiT2_lPKT1_lilS6_lilS3_lPT3_lil.num_named_barrier, 0
	.set _ZL22rocblas_gemvtsm_kernelILb0ELi256E16rocblas_bfloat16PKffEviiT2_lPKT1_lilS6_lilS3_lPT3_lil.private_seg_size, 0
	.set _ZL22rocblas_gemvtsm_kernelILb0ELi256E16rocblas_bfloat16PKffEviiT2_lPKT1_lilS6_lilS3_lPT3_lil.uses_vcc, 1
	.set _ZL22rocblas_gemvtsm_kernelILb0ELi256E16rocblas_bfloat16PKffEviiT2_lPKT1_lilS6_lilS3_lPT3_lil.uses_flat_scratch, 0
	.set _ZL22rocblas_gemvtsm_kernelILb0ELi256E16rocblas_bfloat16PKffEviiT2_lPKT1_lilS6_lilS3_lPT3_lil.has_dyn_sized_stack, 0
	.set _ZL22rocblas_gemvtsm_kernelILb0ELi256E16rocblas_bfloat16PKffEviiT2_lPKT1_lilS6_lilS3_lPT3_lil.has_recursion, 0
	.set _ZL22rocblas_gemvtsm_kernelILb0ELi256E16rocblas_bfloat16PKffEviiT2_lPKT1_lilS6_lilS3_lPT3_lil.has_indirect_call, 0
	.section	.AMDGPU.csdata,"",@progbits
; Kernel info:
; codeLenInByte = 2020
; TotalNumSgprs: 31
; NumVgprs: 16
; ScratchSize: 0
; MemoryBound: 0
; FloatMode: 240
; IeeeMode: 1
; LDSByteSize: 256 bytes/workgroup (compile time only)
; SGPRBlocks: 0
; VGPRBlocks: 1
; NumSGPRsForWavesPerEU: 31
; NumVGPRsForWavesPerEU: 16
; Occupancy: 16
; WaveLimiterHint : 1
; COMPUTE_PGM_RSRC2:SCRATCH_EN: 0
; COMPUTE_PGM_RSRC2:USER_SGPR: 6
; COMPUTE_PGM_RSRC2:TRAP_HANDLER: 0
; COMPUTE_PGM_RSRC2:TGID_X_EN: 1
; COMPUTE_PGM_RSRC2:TGID_Y_EN: 0
; COMPUTE_PGM_RSRC2:TGID_Z_EN: 0
; COMPUTE_PGM_RSRC2:TIDIG_COMP_CNT: 0
	.section	.text._ZL22rocblas_gemvtsm_kernelILb0ELi256E16rocblas_bfloat16ffEviiT2_lPKT1_lilS4_lilS1_lPT3_lil,"axG",@progbits,_ZL22rocblas_gemvtsm_kernelILb0ELi256E16rocblas_bfloat16ffEviiT2_lPKT1_lilS4_lilS1_lPT3_lil,comdat
	.globl	_ZL22rocblas_gemvtsm_kernelILb0ELi256E16rocblas_bfloat16ffEviiT2_lPKT1_lilS4_lilS1_lPT3_lil ; -- Begin function _ZL22rocblas_gemvtsm_kernelILb0ELi256E16rocblas_bfloat16ffEviiT2_lPKT1_lilS4_lilS1_lPT3_lil
	.p2align	8
	.type	_ZL22rocblas_gemvtsm_kernelILb0ELi256E16rocblas_bfloat16ffEviiT2_lPKT1_lilS4_lilS1_lPT3_lil,@function
_ZL22rocblas_gemvtsm_kernelILb0ELi256E16rocblas_bfloat16ffEviiT2_lPKT1_lilS4_lilS1_lPT3_lil: ; @_ZL22rocblas_gemvtsm_kernelILb0ELi256E16rocblas_bfloat16ffEviiT2_lPKT1_lilS4_lilS1_lPT3_lil
; %bb.0:
	s_clause 0x1
	s_load_dwordx4 s[8:11], s[4:5], 0x0
	s_load_dword s7, s[4:5], 0x58
	s_waitcnt lgkmcnt(0)
	v_cmp_eq_f32_e64 s0, s10, 0
	v_cmp_eq_f32_e64 s1, s7, 1.0
	s_and_b32 s0, s0, s1
	s_and_b32 vcc_lo, exec_lo, s0
	s_cbranch_vccnz .LBB643_58
; %bb.1:
	s_clause 0x2
	s_load_dwordx2 s[0:1], s[4:5], 0x80
	s_load_dwordx4 s[12:15], s[4:5], 0x68
	s_load_dword s20, s[4:5], 0x78
	v_cmp_neq_f32_e64 s2, s10, 0
	s_and_b32 vcc_lo, exec_lo, s2
	s_waitcnt lgkmcnt(0)
	s_mul_i32 s1, s1, s6
	s_mul_hi_u32 s2, s0, s6
	s_mul_i32 s22, s0, s6
	s_add_i32 s23, s2, s1
	s_cbranch_vccnz .LBB643_9
; %bb.2:
	s_cmp_gt_i32 s9, 0
	v_cmp_neq_f32_e64 s0, s7, 0
	s_cselect_b32 s2, -1, 0
	v_cndmask_b32_e64 v1, 0, 1, s2
	s_and_b32 vcc_lo, exec_lo, s0
	v_cmp_ne_u32_e64 s0, 1, v1
	s_cbranch_vccnz .LBB643_10
; %bb.3:
	s_and_b32 vcc_lo, exec_lo, s0
	s_cbranch_vccnz .LBB643_8
; %bb.4:
	v_mad_i64_i32 v[1:2], null, s20, v0, 0
	s_lshl_b64 s[16:17], s[14:15], 2
	s_ashr_i32 s21, s20, 31
	s_lshl_b64 s[0:1], s[22:23], 2
	s_add_u32 s3, s12, s16
	s_addc_u32 s11, s13, s17
	s_add_u32 s0, s3, s0
	v_lshlrev_b64 v[1:2], 2, v[1:2]
	s_addc_u32 s1, s11, s1
	v_mov_b32_e32 v3, 0
	s_mov_b32 s3, 0
	v_add_co_u32 v1, vcc_lo, s0, v1
	v_add_co_ci_u32_e64 v2, null, s1, v2, vcc_lo
	s_lshl_b64 s[0:1], s[20:21], 10
	s_branch .LBB643_6
.LBB643_5:                              ;   in Loop: Header=BB643_6 Depth=1
	s_or_b32 exec_lo, exec_lo, s11
	v_add_co_u32 v1, vcc_lo, v1, s0
	v_add_co_ci_u32_e64 v2, null, s1, v2, vcc_lo
	s_addk_i32 s3, 0x100
	s_cmp_ge_i32 s3, s9
	s_cbranch_scc1 .LBB643_8
.LBB643_6:                              ; =>This Inner Loop Header: Depth=1
	v_add_nc_u32_e32 v4, s3, v0
	s_mov_b32 s11, exec_lo
	v_cmpx_gt_i32_e64 s9, v4
	s_cbranch_execz .LBB643_5
; %bb.7:                                ;   in Loop: Header=BB643_6 Depth=1
	global_store_dword v[1:2], v3, off
	s_branch .LBB643_5
.LBB643_8:
	s_cbranch_execz .LBB643_11
	s_branch .LBB643_16
.LBB643_9:
	s_branch .LBB643_17
.LBB643_10:
.LBB643_11:
	s_andn2_b32 vcc_lo, exec_lo, s2
	s_cbranch_vccnz .LBB643_16
; %bb.12:
	v_mad_i64_i32 v[1:2], null, s20, v0, 0
	s_lshl_b64 s[2:3], s[14:15], 2
	s_ashr_i32 s21, s20, 31
	s_lshl_b64 s[0:1], s[22:23], 2
	s_add_u32 s2, s12, s2
	s_addc_u32 s3, s13, s3
	s_add_u32 s0, s2, s0
	v_lshlrev_b64 v[1:2], 2, v[1:2]
	s_addc_u32 s1, s3, s1
	s_mov_b32 s2, 0
	v_add_co_u32 v1, vcc_lo, s0, v1
	v_add_co_ci_u32_e64 v2, null, s1, v2, vcc_lo
	s_lshl_b64 s[0:1], s[20:21], 10
	s_branch .LBB643_14
	.p2align	6
.LBB643_13:                             ;   in Loop: Header=BB643_14 Depth=1
	s_or_b32 exec_lo, exec_lo, s3
	v_add_co_u32 v1, vcc_lo, v1, s0
	v_add_co_ci_u32_e64 v2, null, s1, v2, vcc_lo
	s_addk_i32 s2, 0x100
	s_cmp_ge_i32 s2, s9
	s_cbranch_scc1 .LBB643_16
.LBB643_14:                             ; =>This Inner Loop Header: Depth=1
	v_add_nc_u32_e32 v3, s2, v0
	s_mov_b32 s3, exec_lo
	v_cmpx_gt_i32_e64 s9, v3
	s_cbranch_execz .LBB643_13
; %bb.15:                               ;   in Loop: Header=BB643_14 Depth=1
	global_load_dword v3, v[1:2], off
	s_waitcnt vmcnt(0)
	v_mul_f32_e32 v3, s7, v3
	global_store_dword v[1:2], v3, off
	s_branch .LBB643_13
.LBB643_16:
	s_cbranch_execnz .LBB643_58
.LBB643_17:
	s_clause 0x1
	s_load_dwordx4 s[0:3], s[4:5], 0x30
	s_load_dwordx2 s[16:17], s[4:5], 0x40
	s_mov_b32 s11, exec_lo
	v_cmpx_gt_i32_e64 s8, v0
	s_cbranch_execz .LBB643_23
; %bb.18:
	s_clause 0x1
	s_load_dwordx2 s[18:19], s[4:5], 0x50
	s_load_dword s21, s[4:5], 0x48
	s_waitcnt lgkmcnt(0)
	s_mul_i32 s19, s19, s6
	v_mad_i64_i32 v[1:2], null, s21, v0, 0
	s_mul_hi_u32 s24, s18, s6
	s_mul_i32 s18, s18, s6
	s_add_i32 s19, s24, s19
	s_lshl_b64 s[18:19], s[18:19], 1
	s_add_u32 s18, s2, s18
	v_lshlrev_b64 v[1:2], 1, v[1:2]
	s_addc_u32 s19, s3, s19
	s_lshl_b64 s[2:3], s[16:17], 1
	s_add_u32 s2, s18, s2
	s_addc_u32 s3, s19, s3
	v_add_co_u32 v1, vcc_lo, s2, v1
	v_add_co_ci_u32_e64 v2, null, s3, v2, vcc_lo
	global_load_ushort v1, v[1:2], off
	s_waitcnt vmcnt(0)
	v_lshlrev_b32_e32 v1, 16, v1
	v_mul_f32_e32 v1, s10, v1
	v_and_b32_e32 v2, 0x7f800000, v1
	v_cmp_ne_u32_e32 vcc_lo, 0x7f800000, v2
                                        ; implicit-def: $vgpr2
	s_and_saveexec_b32 s2, vcc_lo
	s_xor_b32 s2, exec_lo, s2
; %bb.19:
	v_bfe_u32 v2, v1, 16, 1
	v_add3_u32 v2, v1, v2, 0x7fff
                                        ; implicit-def: $vgpr1
; %bb.20:
	s_andn2_saveexec_b32 s2, s2
; %bb.21:
	v_mov_b32_e32 v2, 0
	v_or_b32_e32 v3, 0x10000, v1
	v_cmp_eq_u32_sdwa vcc_lo, v1, v2 src0_sel:WORD_0 src1_sel:DWORD
	v_cndmask_b32_e32 v2, v3, v1, vcc_lo
; %bb.22:
	s_or_b32 exec_lo, exec_lo, s2
	v_and_b32_e32 v1, 0xffff0000, v2
	v_lshlrev_b32_e32 v2, 2, v0
	ds_write_b32 v2, v1
.LBB643_23:
	s_or_b32 exec_lo, exec_lo, s11
	s_cmp_lt_i32 s9, 1
	s_waitcnt lgkmcnt(0)
	s_waitcnt_vscnt null, 0x0
	s_barrier
	buffer_gl0_inv
	s_cbranch_scc1 .LBB643_58
; %bb.24:
	s_clause 0x1
	s_load_dword s24, s[4:5], 0x28
	s_load_dwordx4 s[16:19], s[4:5], 0x18
	s_lshl_b64 s[2:3], s[22:23], 2
	s_mul_i32 s1, s1, s6
	s_mul_hi_u32 s21, s0, s6
	s_mul_i32 s0, s0, s6
	s_add_u32 s6, s12, s2
	s_addc_u32 s10, s13, s3
	s_lshl_b64 s[4:5], s[14:15], 2
	v_cmp_neq_f32_e64 s2, s7, 0
	s_add_u32 s3, s6, s4
	s_addc_u32 s4, s10, s5
	s_ashr_i32 s5, s20, 31
	v_mov_b32_e32 v9, 0
	s_waitcnt lgkmcnt(0)
	s_ashr_i32 s25, s24, 31
	s_cmp_gt_i32 s8, 0
	v_mad_i64_i32 v[1:2], null, s24, v0, 0
	s_cselect_b32 s6, -1, 0
	s_and_b32 s10, s8, 3
	s_cmp_gt_u32 s8, 3
	s_cselect_b32 s11, -1, 0
	s_and_b32 s8, s8, 0x7ffffffc
	s_cmp_lg_u32 s10, 0
	v_lshlrev_b64 v[1:2], 1, v[1:2]
	s_cselect_b32 s12, -1, 0
	s_add_i32 s1, s21, s1
	s_lshl_b64 s[14:15], s[18:19], 1
	s_lshl_b64 s[0:1], s[0:1], 1
	s_add_u32 s13, s16, s14
	s_addc_u32 s14, s17, s15
	s_add_u32 s0, s13, s0
	s_addc_u32 s1, s14, s1
	v_add_co_u32 v7, vcc_lo, s0, v1
	v_add_co_ci_u32_e64 v8, null, s1, v2, vcc_lo
	s_mov_b32 s13, 0
	v_add_co_u32 v1, vcc_lo, v7, 4
	v_add_co_ci_u32_e64 v2, null, 0, v8, vcc_lo
	s_lshl_b64 s[0:1], s[24:25], 9
	s_branch .LBB643_27
.LBB643_25:                             ;   in Loop: Header=BB643_27 Depth=1
	s_inst_prefetch 0x2
	v_add_co_u32 v3, vcc_lo, s3, v3
	v_add_co_ci_u32_e64 v4, null, s4, v4, vcc_lo
	global_store_dword v[3:4], v10, off
.LBB643_26:                             ;   in Loop: Header=BB643_27 Depth=1
	s_or_b32 exec_lo, exec_lo, s14
	v_add_co_u32 v1, vcc_lo, v1, s0
	v_add_co_ci_u32_e64 v2, null, s1, v2, vcc_lo
	v_add_co_u32 v7, vcc_lo, v7, s0
	v_add_co_ci_u32_e64 v8, null, s1, v8, vcc_lo
	s_addk_i32 s13, 0x100
	s_cmp_ge_i32 s13, s9
	s_cbranch_scc1 .LBB643_58
.LBB643_27:                             ; =>This Loop Header: Depth=1
                                        ;     Child Loop BB643_34 Depth 2
                                        ;     Child Loop BB643_54 Depth 2
	v_add_nc_u32_e32 v3, s13, v0
	s_mov_b32 s14, exec_lo
	v_cmpx_gt_i32_e64 s9, v3
	s_cbranch_execz .LBB643_26
; %bb.28:                               ;   in Loop: Header=BB643_27 Depth=1
	v_mad_u64_u32 v[4:5], null, v3, s20, 0
	s_andn2_b32 vcc_lo, exec_lo, s2
	v_mad_u64_u32 v[5:6], null, v3, s5, v[5:6]
	v_lshlrev_b64 v[3:4], 2, v[4:5]
	s_cbranch_vccnz .LBB643_30
; %bb.29:                               ;   in Loop: Header=BB643_27 Depth=1
	v_add_co_u32 v5, vcc_lo, s3, v3
	v_add_co_ci_u32_e64 v6, null, s4, v4, vcc_lo
	global_load_dword v5, v[5:6], off
	s_waitcnt vmcnt(0)
	v_mul_f32_e32 v10, s7, v5
	s_andn2_b32 vcc_lo, exec_lo, s6
	s_cbranch_vccz .LBB643_31
	s_branch .LBB643_25
.LBB643_30:                             ;   in Loop: Header=BB643_27 Depth=1
	v_mov_b32_e32 v10, 0
	s_andn2_b32 vcc_lo, exec_lo, s6
	s_cbranch_vccnz .LBB643_25
.LBB643_31:                             ;   in Loop: Header=BB643_27 Depth=1
	s_andn2_b32 vcc_lo, exec_lo, s11
	s_mov_b32 s15, 0
	s_cbranch_vccnz .LBB643_51
; %bb.32:                               ;   in Loop: Header=BB643_27 Depth=1
	v_mov_b32_e32 v6, v2
	v_mov_b32_e32 v5, v1
	s_mov_b32 s16, 0
	s_branch .LBB643_34
.LBB643_33:                             ;   in Loop: Header=BB643_34 Depth=2
	s_or_b32 exec_lo, exec_lo, s17
	v_and_b32_e32 v11, 0xffff0000, v11
	v_and_b32_e32 v12, 0xffff0000, v12
	v_add_co_u32 v5, vcc_lo, v5, 8
	v_add_co_ci_u32_e64 v6, null, 0, v6, vcc_lo
	v_add_f32_e32 v10, v10, v11
	v_and_b32_e32 v11, 0xffff0000, v13
	s_add_i32 s16, s16, 4
	s_add_i32 s15, s15, 16
	s_cmp_eq_u32 s8, s16
	v_add_f32_e32 v10, v10, v12
	v_and_b32_e32 v12, 0xffff0000, v14
	v_add_f32_e32 v10, v10, v11
	v_add_f32_e32 v10, v10, v12
	s_cbranch_scc1 .LBB643_50
.LBB643_34:                             ;   Parent Loop BB643_27 Depth=1
                                        ; =>  This Inner Loop Header: Depth=2
	global_load_ushort v11, v[5:6], off offset:-4
	v_mov_b32_e32 v12, s15
	ds_read_b32 v12, v12
	s_waitcnt vmcnt(0)
	v_lshlrev_b32_e32 v11, 16, v11
	s_waitcnt lgkmcnt(0)
	v_mul_f32_e32 v12, v12, v11
	v_and_b32_e32 v11, 0x7f800000, v12
	v_cmp_ne_u32_e32 vcc_lo, 0x7f800000, v11
                                        ; implicit-def: $vgpr11
	s_and_saveexec_b32 s17, vcc_lo
	s_xor_b32 s17, exec_lo, s17
; %bb.35:                               ;   in Loop: Header=BB643_34 Depth=2
	v_bfe_u32 v11, v12, 16, 1
	v_add3_u32 v11, v12, v11, 0x7fff
                                        ; implicit-def: $vgpr12
; %bb.36:                               ;   in Loop: Header=BB643_34 Depth=2
	s_andn2_saveexec_b32 s17, s17
; %bb.37:                               ;   in Loop: Header=BB643_34 Depth=2
	v_or_b32_e32 v11, 0x10000, v12
	v_cmp_eq_u32_sdwa vcc_lo, v12, v9 src0_sel:WORD_0 src1_sel:DWORD
	v_cndmask_b32_e32 v11, v11, v12, vcc_lo
; %bb.38:                               ;   in Loop: Header=BB643_34 Depth=2
	s_or_b32 exec_lo, exec_lo, s17
	global_load_ushort v12, v[5:6], off offset:-2
	v_mov_b32_e32 v13, s15
	ds_read_b32 v13, v13 offset:4
	s_waitcnt vmcnt(0)
	v_lshlrev_b32_e32 v12, 16, v12
	s_waitcnt lgkmcnt(0)
	v_mul_f32_e32 v13, v13, v12
	v_and_b32_e32 v12, 0x7f800000, v13
	v_cmp_ne_u32_e32 vcc_lo, 0x7f800000, v12
                                        ; implicit-def: $vgpr12
	s_and_saveexec_b32 s17, vcc_lo
	s_xor_b32 s17, exec_lo, s17
; %bb.39:                               ;   in Loop: Header=BB643_34 Depth=2
	v_bfe_u32 v12, v13, 16, 1
	v_add3_u32 v12, v13, v12, 0x7fff
                                        ; implicit-def: $vgpr13
; %bb.40:                               ;   in Loop: Header=BB643_34 Depth=2
	s_andn2_saveexec_b32 s17, s17
; %bb.41:                               ;   in Loop: Header=BB643_34 Depth=2
	v_or_b32_e32 v12, 0x10000, v13
	v_cmp_eq_u32_sdwa vcc_lo, v13, v9 src0_sel:WORD_0 src1_sel:DWORD
	v_cndmask_b32_e32 v12, v12, v13, vcc_lo
; %bb.42:                               ;   in Loop: Header=BB643_34 Depth=2
	s_or_b32 exec_lo, exec_lo, s17
	global_load_ushort v13, v[5:6], off
	v_mov_b32_e32 v14, s15
	ds_read_b32 v14, v14 offset:8
	s_waitcnt vmcnt(0)
	v_lshlrev_b32_e32 v13, 16, v13
	s_waitcnt lgkmcnt(0)
	v_mul_f32_e32 v14, v14, v13
	v_and_b32_e32 v13, 0x7f800000, v14
	v_cmp_ne_u32_e32 vcc_lo, 0x7f800000, v13
                                        ; implicit-def: $vgpr13
	s_and_saveexec_b32 s17, vcc_lo
	s_xor_b32 s17, exec_lo, s17
; %bb.43:                               ;   in Loop: Header=BB643_34 Depth=2
	v_bfe_u32 v13, v14, 16, 1
	v_add3_u32 v13, v14, v13, 0x7fff
                                        ; implicit-def: $vgpr14
; %bb.44:                               ;   in Loop: Header=BB643_34 Depth=2
	s_andn2_saveexec_b32 s17, s17
; %bb.45:                               ;   in Loop: Header=BB643_34 Depth=2
	v_or_b32_e32 v13, 0x10000, v14
	v_cmp_eq_u32_sdwa vcc_lo, v14, v9 src0_sel:WORD_0 src1_sel:DWORD
	v_cndmask_b32_e32 v13, v13, v14, vcc_lo
; %bb.46:                               ;   in Loop: Header=BB643_34 Depth=2
	s_or_b32 exec_lo, exec_lo, s17
	global_load_ushort v14, v[5:6], off offset:2
	v_mov_b32_e32 v15, s15
	ds_read_b32 v15, v15 offset:12
	s_waitcnt vmcnt(0)
	v_lshlrev_b32_e32 v14, 16, v14
	s_waitcnt lgkmcnt(0)
	v_mul_f32_e32 v15, v15, v14
	v_and_b32_e32 v14, 0x7f800000, v15
	v_cmp_ne_u32_e32 vcc_lo, 0x7f800000, v14
                                        ; implicit-def: $vgpr14
	s_and_saveexec_b32 s17, vcc_lo
	s_xor_b32 s17, exec_lo, s17
; %bb.47:                               ;   in Loop: Header=BB643_34 Depth=2
	v_bfe_u32 v14, v15, 16, 1
	v_add3_u32 v14, v15, v14, 0x7fff
                                        ; implicit-def: $vgpr15
; %bb.48:                               ;   in Loop: Header=BB643_34 Depth=2
	s_andn2_saveexec_b32 s17, s17
	s_cbranch_execz .LBB643_33
; %bb.49:                               ;   in Loop: Header=BB643_34 Depth=2
	v_or_b32_e32 v14, 0x10000, v15
	v_cmp_eq_u32_sdwa vcc_lo, v15, v9 src0_sel:WORD_0 src1_sel:DWORD
	v_cndmask_b32_e32 v14, v14, v15, vcc_lo
	s_branch .LBB643_33
.LBB643_50:                             ;   in Loop: Header=BB643_27 Depth=1
	s_mov_b32 s15, s8
.LBB643_51:                             ;   in Loop: Header=BB643_27 Depth=1
	s_andn2_b32 vcc_lo, exec_lo, s12
	s_cbranch_vccnz .LBB643_25
; %bb.52:                               ;   in Loop: Header=BB643_27 Depth=1
	s_lshl_b32 s16, s15, 1
	s_lshl_b32 s15, s15, 2
	v_add_co_u32 v5, vcc_lo, v7, s16
	v_add_co_ci_u32_e64 v6, null, 0, v8, vcc_lo
	s_mov_b32 s16, s10
	s_inst_prefetch 0x1
	s_branch .LBB643_54
	.p2align	6
.LBB643_53:                             ;   in Loop: Header=BB643_54 Depth=2
	s_or_b32 exec_lo, exec_lo, s17
	v_and_b32_e32 v11, 0xffff0000, v12
	v_add_co_u32 v5, vcc_lo, v5, 2
	v_add_co_ci_u32_e64 v6, null, 0, v6, vcc_lo
	v_add_f32_e32 v10, v10, v11
	s_add_i32 s16, s16, -1
	s_add_i32 s15, s15, 4
	s_cmp_lg_u32 s16, 0
	s_cbranch_scc0 .LBB643_25
.LBB643_54:                             ;   Parent Loop BB643_27 Depth=1
                                        ; =>  This Inner Loop Header: Depth=2
	global_load_ushort v11, v[5:6], off
	v_mov_b32_e32 v12, s15
	ds_read_b32 v12, v12
	s_waitcnt vmcnt(0)
	v_lshlrev_b32_e32 v11, 16, v11
	s_waitcnt lgkmcnt(0)
	v_mul_f32_e32 v11, v12, v11
	v_and_b32_e32 v12, 0x7f800000, v11
	v_cmp_ne_u32_e32 vcc_lo, 0x7f800000, v12
                                        ; implicit-def: $vgpr12
	s_and_saveexec_b32 s17, vcc_lo
	s_xor_b32 s17, exec_lo, s17
; %bb.55:                               ;   in Loop: Header=BB643_54 Depth=2
	v_bfe_u32 v12, v11, 16, 1
	v_add3_u32 v12, v11, v12, 0x7fff
                                        ; implicit-def: $vgpr11
; %bb.56:                               ;   in Loop: Header=BB643_54 Depth=2
	s_andn2_saveexec_b32 s17, s17
	s_cbranch_execz .LBB643_53
; %bb.57:                               ;   in Loop: Header=BB643_54 Depth=2
	v_or_b32_e32 v12, 0x10000, v11
	v_cmp_eq_u32_sdwa vcc_lo, v11, v9 src0_sel:WORD_0 src1_sel:DWORD
	v_cndmask_b32_e32 v12, v12, v11, vcc_lo
	s_branch .LBB643_53
.LBB643_58:
	s_endpgm
	.section	.rodata,"a",@progbits
	.p2align	6, 0x0
	.amdhsa_kernel _ZL22rocblas_gemvtsm_kernelILb0ELi256E16rocblas_bfloat16ffEviiT2_lPKT1_lilS4_lilS1_lPT3_lil
		.amdhsa_group_segment_fixed_size 256
		.amdhsa_private_segment_fixed_size 0
		.amdhsa_kernarg_size 136
		.amdhsa_user_sgpr_count 6
		.amdhsa_user_sgpr_private_segment_buffer 1
		.amdhsa_user_sgpr_dispatch_ptr 0
		.amdhsa_user_sgpr_queue_ptr 0
		.amdhsa_user_sgpr_kernarg_segment_ptr 1
		.amdhsa_user_sgpr_dispatch_id 0
		.amdhsa_user_sgpr_flat_scratch_init 0
		.amdhsa_user_sgpr_private_segment_size 0
		.amdhsa_wavefront_size32 1
		.amdhsa_uses_dynamic_stack 0
		.amdhsa_system_sgpr_private_segment_wavefront_offset 0
		.amdhsa_system_sgpr_workgroup_id_x 1
		.amdhsa_system_sgpr_workgroup_id_y 0
		.amdhsa_system_sgpr_workgroup_id_z 0
		.amdhsa_system_sgpr_workgroup_info 0
		.amdhsa_system_vgpr_workitem_id 0
		.amdhsa_next_free_vgpr 16
		.amdhsa_next_free_sgpr 26
		.amdhsa_reserve_vcc 1
		.amdhsa_reserve_flat_scratch 0
		.amdhsa_float_round_mode_32 0
		.amdhsa_float_round_mode_16_64 0
		.amdhsa_float_denorm_mode_32 3
		.amdhsa_float_denorm_mode_16_64 3
		.amdhsa_dx10_clamp 1
		.amdhsa_ieee_mode 1
		.amdhsa_fp16_overflow 0
		.amdhsa_workgroup_processor_mode 1
		.amdhsa_memory_ordered 1
		.amdhsa_forward_progress 1
		.amdhsa_shared_vgpr_count 0
		.amdhsa_exception_fp_ieee_invalid_op 0
		.amdhsa_exception_fp_denorm_src 0
		.amdhsa_exception_fp_ieee_div_zero 0
		.amdhsa_exception_fp_ieee_overflow 0
		.amdhsa_exception_fp_ieee_underflow 0
		.amdhsa_exception_fp_ieee_inexact 0
		.amdhsa_exception_int_div_zero 0
	.end_amdhsa_kernel
	.section	.text._ZL22rocblas_gemvtsm_kernelILb0ELi256E16rocblas_bfloat16ffEviiT2_lPKT1_lilS4_lilS1_lPT3_lil,"axG",@progbits,_ZL22rocblas_gemvtsm_kernelILb0ELi256E16rocblas_bfloat16ffEviiT2_lPKT1_lilS4_lilS1_lPT3_lil,comdat
.Lfunc_end643:
	.size	_ZL22rocblas_gemvtsm_kernelILb0ELi256E16rocblas_bfloat16ffEviiT2_lPKT1_lilS4_lilS1_lPT3_lil, .Lfunc_end643-_ZL22rocblas_gemvtsm_kernelILb0ELi256E16rocblas_bfloat16ffEviiT2_lPKT1_lilS4_lilS1_lPT3_lil
                                        ; -- End function
	.set _ZL22rocblas_gemvtsm_kernelILb0ELi256E16rocblas_bfloat16ffEviiT2_lPKT1_lilS4_lilS1_lPT3_lil.num_vgpr, 16
	.set _ZL22rocblas_gemvtsm_kernelILb0ELi256E16rocblas_bfloat16ffEviiT2_lPKT1_lilS4_lilS1_lPT3_lil.num_agpr, 0
	.set _ZL22rocblas_gemvtsm_kernelILb0ELi256E16rocblas_bfloat16ffEviiT2_lPKT1_lilS4_lilS1_lPT3_lil.numbered_sgpr, 26
	.set _ZL22rocblas_gemvtsm_kernelILb0ELi256E16rocblas_bfloat16ffEviiT2_lPKT1_lilS4_lilS1_lPT3_lil.num_named_barrier, 0
	.set _ZL22rocblas_gemvtsm_kernelILb0ELi256E16rocblas_bfloat16ffEviiT2_lPKT1_lilS4_lilS1_lPT3_lil.private_seg_size, 0
	.set _ZL22rocblas_gemvtsm_kernelILb0ELi256E16rocblas_bfloat16ffEviiT2_lPKT1_lilS4_lilS1_lPT3_lil.uses_vcc, 1
	.set _ZL22rocblas_gemvtsm_kernelILb0ELi256E16rocblas_bfloat16ffEviiT2_lPKT1_lilS4_lilS1_lPT3_lil.uses_flat_scratch, 0
	.set _ZL22rocblas_gemvtsm_kernelILb0ELi256E16rocblas_bfloat16ffEviiT2_lPKT1_lilS4_lilS1_lPT3_lil.has_dyn_sized_stack, 0
	.set _ZL22rocblas_gemvtsm_kernelILb0ELi256E16rocblas_bfloat16ffEviiT2_lPKT1_lilS4_lilS1_lPT3_lil.has_recursion, 0
	.set _ZL22rocblas_gemvtsm_kernelILb0ELi256E16rocblas_bfloat16ffEviiT2_lPKT1_lilS4_lilS1_lPT3_lil.has_indirect_call, 0
	.section	.AMDGPU.csdata,"",@progbits
; Kernel info:
; codeLenInByte = 2020
; TotalNumSgprs: 28
; NumVgprs: 16
; ScratchSize: 0
; MemoryBound: 0
; FloatMode: 240
; IeeeMode: 1
; LDSByteSize: 256 bytes/workgroup (compile time only)
; SGPRBlocks: 0
; VGPRBlocks: 1
; NumSGPRsForWavesPerEU: 28
; NumVGPRsForWavesPerEU: 16
; Occupancy: 16
; WaveLimiterHint : 1
; COMPUTE_PGM_RSRC2:SCRATCH_EN: 0
; COMPUTE_PGM_RSRC2:USER_SGPR: 6
; COMPUTE_PGM_RSRC2:TRAP_HANDLER: 0
; COMPUTE_PGM_RSRC2:TGID_X_EN: 1
; COMPUTE_PGM_RSRC2:TGID_Y_EN: 0
; COMPUTE_PGM_RSRC2:TGID_Z_EN: 0
; COMPUTE_PGM_RSRC2:TIDIG_COMP_CNT: 0
	.section	.text._ZL32rocblas_gemvt_warp_reduce_kernelILb0ELi256Ei16rocblas_bfloat16PKffEviiT3_lPKT2_lT1_lS6_lS7_lS3_lPT4_lS7_li,"axG",@progbits,_ZL32rocblas_gemvt_warp_reduce_kernelILb0ELi256Ei16rocblas_bfloat16PKffEviiT3_lPKT2_lT1_lS6_lS7_lS3_lPT4_lS7_li,comdat
	.globl	_ZL32rocblas_gemvt_warp_reduce_kernelILb0ELi256Ei16rocblas_bfloat16PKffEviiT3_lPKT2_lT1_lS6_lS7_lS3_lPT4_lS7_li ; -- Begin function _ZL32rocblas_gemvt_warp_reduce_kernelILb0ELi256Ei16rocblas_bfloat16PKffEviiT3_lPKT2_lT1_lS6_lS7_lS3_lPT4_lS7_li
	.p2align	8
	.type	_ZL32rocblas_gemvt_warp_reduce_kernelILb0ELi256Ei16rocblas_bfloat16PKffEviiT3_lPKT2_lT1_lS6_lS7_lS3_lPT4_lS7_li,@function
_ZL32rocblas_gemvt_warp_reduce_kernelILb0ELi256Ei16rocblas_bfloat16PKffEviiT3_lPKT2_lT1_lS6_lS7_lS3_lPT4_lS7_li: ; @_ZL32rocblas_gemvt_warp_reduce_kernelILb0ELi256Ei16rocblas_bfloat16PKffEviiT3_lPKT2_lT1_lS6_lS7_lS3_lPT4_lS7_li
; %bb.0:
	s_clause 0x1
	s_load_dwordx8 s[8:15], s[4:5], 0x8
	s_load_dwordx8 s[16:23], s[4:5], 0x50
	s_waitcnt lgkmcnt(0)
	s_mul_i32 s1, s11, s7
	s_mul_hi_u32 s2, s10, s7
	s_mul_i32 s0, s10, s7
	s_add_i32 s1, s2, s1
	s_mul_i32 s2, s21, s7
	s_lshl_b64 s[0:1], s[0:1], 2
	s_mul_hi_u32 s3, s20, s7
	s_add_u32 s0, s8, s0
	s_addc_u32 s1, s9, s1
	s_add_i32 s3, s3, s2
	s_mul_i32 s2, s20, s7
	s_mov_b32 s10, 0
	s_lshl_b64 s[2:3], s[2:3], 2
	s_add_u32 s2, s18, s2
	s_addc_u32 s3, s19, s3
	s_load_dword s11, s[0:1], 0x0
	s_load_dword s9, s[2:3], 0x0
	s_waitcnt lgkmcnt(0)
	v_cmp_eq_f32_e64 s0, s11, 0
	v_cmp_eq_f32_e64 s1, s9, 1.0
	s_and_b32 s0, s0, s1
	s_and_b32 vcc_lo, exec_lo, s0
	s_cbranch_vccnz .LBB644_38
; %bb.1:
	s_clause 0x2
	s_load_dwordx2 s[0:1], s[4:5], 0x80
	s_load_dwordx2 s[2:3], s[4:5], 0x70
	s_load_dword s18, s[4:5], 0x78
	v_cmp_neq_f32_e64 s19, s11, 0
	s_waitcnt lgkmcnt(0)
	s_mul_i32 s1, s1, s7
	s_mul_hi_u32 s8, s0, s7
	s_mul_i32 s0, s0, s7
	s_add_i32 s1, s8, s1
	s_lshl_b64 s[0:1], s[0:1], 2
	s_add_u32 s0, s22, s0
	s_addc_u32 s8, s23, s1
	s_lshl_b64 s[2:3], s[2:3], 2
	s_add_u32 s1, s0, s2
	v_cmp_eq_u32_e64 s0, 0, v0
	s_addc_u32 s8, s8, s3
	s_and_b32 vcc_lo, exec_lo, s19
	s_cbranch_vccnz .LBB644_5
; %bb.2:
	s_mov_b32 s19, 0
                                        ; implicit-def: $vgpr1
                                        ; implicit-def: $sgpr2_sgpr3
	s_and_saveexec_b32 s20, s0
	s_cbranch_execz .LBB644_6
; %bb.3:
	v_cmp_eq_f32_e64 s0, s9, 0
	s_mul_i32 s2, s18, s6
	s_ashr_i32 s3, s2, 31
	s_and_b32 vcc_lo, exec_lo, s0
	s_cbranch_vccnz .LBB644_7
; %bb.4:
	s_lshl_b64 s[22:23], s[2:3], 2
	s_add_u32 s22, s1, s22
	s_addc_u32 s23, s8, s23
	s_load_dword s0, s[22:23], 0x0
	s_waitcnt lgkmcnt(0)
	v_mul_f32_e64 v1, s9, s0
	s_branch .LBB644_8
.LBB644_5:
                                        ; implicit-def: $vgpr1
                                        ; implicit-def: $sgpr2_sgpr3
	s_cbranch_execnz .LBB644_9
	s_branch .LBB644_36
.LBB644_6:
	s_or_b32 exec_lo, exec_lo, s20
	s_and_b32 vcc_lo, exec_lo, s19
	s_cbranch_vccnz .LBB644_9
	s_branch .LBB644_36
.LBB644_7:
	v_mov_b32_e32 v1, 0
.LBB644_8:
	s_mov_b32 s10, exec_lo
	s_or_b32 exec_lo, exec_lo, s20
	s_and_b32 vcc_lo, exec_lo, s19
	s_cbranch_vccz .LBB644_36
.LBB644_9:
	s_clause 0x3
	s_load_dwordx4 s[20:23], s[4:5], 0x30
	s_load_dwordx2 s[24:25], s[4:5], 0x40
	s_load_dword s3, s[4:5], 0x0
	s_load_dword s0, s[4:5], 0x28
	s_mul_i32 s2, s17, s7
	s_mul_hi_u32 s17, s16, s7
	s_mul_i32 s16, s16, s7
	s_add_i32 s17, s17, s2
	s_load_dword s4, s[4:5], 0x48
	s_lshl_b64 s[16:17], s[16:17], 1
	v_mov_b32_e32 v7, 0
	s_waitcnt lgkmcnt(0)
	s_add_u32 s2, s22, s16
	s_addc_u32 s22, s23, s17
	v_cmp_gt_i32_e32 vcc_lo, s3, v0
	s_lshl_b64 s[16:17], s[24:25], 1
	s_mul_i32 s19, s21, s7
	s_mul_hi_u32 s21, s20, s7
	s_add_u32 s5, s2, s16
	v_cndmask_b32_e32 v1, 0, v0, vcc_lo
	s_mul_i32 s20, s20, s7
	s_addc_u32 s7, s22, s17
	s_add_i32 s21, s21, s19
	s_lshl_b64 s[16:17], s[20:21], 1
	s_mul_i32 s20, s0, s6
	s_add_u32 s0, s12, s16
	v_lshlrev_b32_e32 v1, 1, v1
	s_addc_u32 s2, s13, s17
	s_lshl_b64 s[12:13], s[14:15], 1
	s_add_u32 s0, s0, s12
	s_addc_u32 s2, s2, s13
	v_add_co_u32 v1, s0, s0, v1
	s_ashr_i32 s12, s3, 31
	s_ashr_i32 s21, s20, 31
	v_add_co_ci_u32_e64 v2, null, s2, 0, s0
	s_lshr_b32 s0, s12, 24
	s_lshl_b64 s[12:13], s[20:21], 1
	s_add_i32 s0, s3, s0
	v_add_co_u32 v1, vcc_lo, v1, s12
	v_add_co_ci_u32_e64 v2, null, s13, v2, vcc_lo
	s_and_b32 s2, s0, 0xffffff00
	s_mov_b32 s13, 0
	s_mov_b32 s12, exec_lo
	v_cmpx_gt_i32_e64 s2, v0
	s_cbranch_execz .LBB644_17
; %bb.10:
	v_mul_lo_u32 v3, v0, s4
	v_mov_b32_e32 v6, v2
	v_mov_b32_e32 v8, 0
	;; [unrolled: 1-line block ×5, first 2 shown]
	s_lshl_b32 s14, s4, 8
	s_branch .LBB644_12
.LBB644_11:                             ;   in Loop: Header=BB644_12 Depth=1
	s_or_b32 exec_lo, exec_lo, s0
	v_add_nc_u32_e32 v9, 0x100, v9
	v_and_b32_e32 v4, 0xffff0000, v10
	v_add_co_u32 v5, s0, 0x200, v5
	v_add_co_ci_u32_e64 v6, null, 0, v6, s0
	v_cmp_le_i32_e32 vcc_lo, s2, v9
	v_add_f32_e32 v7, v7, v4
	v_add_nc_u32_e32 v3, s14, v3
	s_or_b32 s13, vcc_lo, s13
	s_andn2_b32 exec_lo, exec_lo, s13
	s_cbranch_execz .LBB644_16
.LBB644_12:                             ; =>This Inner Loop Header: Depth=1
	v_ashrrev_i32_e32 v4, 31, v3
	v_lshlrev_b64 v[10:11], 1, v[3:4]
	v_add_co_u32 v10, vcc_lo, s5, v10
	v_add_co_ci_u32_e64 v11, null, s7, v11, vcc_lo
	global_load_ushort v4, v[5:6], off
	global_load_ushort v10, v[10:11], off
	s_waitcnt vmcnt(1)
	v_lshlrev_b32_e32 v4, 16, v4
	s_waitcnt vmcnt(0)
	v_lshlrev_b32_e32 v10, 16, v10
	v_mul_f32_e32 v4, v4, v10
	v_and_b32_e32 v10, 0x7f800000, v4
	v_cmp_ne_u32_e32 vcc_lo, 0x7f800000, v10
                                        ; implicit-def: $vgpr10
	s_and_saveexec_b32 s0, vcc_lo
	s_xor_b32 s0, exec_lo, s0
; %bb.13:                               ;   in Loop: Header=BB644_12 Depth=1
	v_bfe_u32 v10, v4, 16, 1
	v_add3_u32 v10, v4, v10, 0x7fff
                                        ; implicit-def: $vgpr4
; %bb.14:                               ;   in Loop: Header=BB644_12 Depth=1
	s_andn2_saveexec_b32 s0, s0
	s_cbranch_execz .LBB644_11
; %bb.15:                               ;   in Loop: Header=BB644_12 Depth=1
	v_or_b32_e32 v10, 0x10000, v4
	v_cmp_eq_u32_sdwa vcc_lo, v4, v8 src0_sel:WORD_0 src1_sel:DWORD
	v_cndmask_b32_e32 v10, v10, v4, vcc_lo
	s_branch .LBB644_11
.LBB644_16:
	s_or_b32 exec_lo, exec_lo, s13
.LBB644_17:
	s_or_b32 exec_lo, exec_lo, s12
	v_add_nc_u32_e32 v3, s2, v0
	s_mov_b32 s0, exec_lo
	v_cmpx_gt_i32_e64 s3, v3
	s_cbranch_execz .LBB644_23
; %bb.18:
	v_mul_lo_u32 v3, s4, v3
	s_ashr_i32 s3, s2, 31
	s_lshl_b64 s[2:3], s[2:3], 1
	v_ashrrev_i32_e32 v4, 31, v3
	v_lshlrev_b64 v[3:4], 1, v[3:4]
	v_add_co_u32 v3, vcc_lo, s5, v3
	v_add_co_ci_u32_e64 v4, null, s7, v4, vcc_lo
	v_add_co_u32 v1, vcc_lo, v1, s2
	v_add_co_ci_u32_e64 v2, null, s3, v2, vcc_lo
	global_load_ushort v3, v[3:4], off
	global_load_ushort v1, v[1:2], off
	s_waitcnt vmcnt(1)
	v_lshlrev_b32_e32 v2, 16, v3
	s_waitcnt vmcnt(0)
	v_lshlrev_b32_e32 v1, 16, v1
	v_mul_f32_e32 v1, v1, v2
	v_and_b32_e32 v2, 0x7f800000, v1
	v_cmp_ne_u32_e32 vcc_lo, 0x7f800000, v2
                                        ; implicit-def: $vgpr2
	s_and_saveexec_b32 s2, vcc_lo
	s_xor_b32 s2, exec_lo, s2
; %bb.19:
	v_bfe_u32 v2, v1, 16, 1
	v_add3_u32 v2, v1, v2, 0x7fff
                                        ; implicit-def: $vgpr1
; %bb.20:
	s_andn2_saveexec_b32 s2, s2
; %bb.21:
	v_mov_b32_e32 v2, 0
	v_or_b32_e32 v3, 0x10000, v1
	v_cmp_eq_u32_sdwa vcc_lo, v1, v2 src0_sel:WORD_0 src1_sel:DWORD
	v_cndmask_b32_e32 v2, v3, v1, vcc_lo
; %bb.22:
	s_or_b32 exec_lo, exec_lo, s2
	v_and_b32_e32 v1, 0xffff0000, v2
	v_add_f32_e32 v7, v7, v1
.LBB644_23:
	s_or_b32 exec_lo, exec_lo, s0
	v_and_b32_e32 v5, 31, v0
	v_cmp_gt_u32_e32 vcc_lo, 32, v0
	v_lshlrev_b32_e32 v1, 2, v5
	s_and_saveexec_b32 s0, vcc_lo
; %bb.24:
	v_mov_b32_e32 v2, 0
	ds_write_b32 v1, v2
; %bb.25:
	s_or_b32 exec_lo, exec_lo, s0
	v_mbcnt_lo_u32_b32 v4, -1, 0
	s_mov_b32 s2, exec_lo
	s_waitcnt lgkmcnt(0)
	s_barrier
	buffer_gl0_inv
	v_lshl_or_b32 v2, v4, 2, 64
	v_cmp_gt_u32_e64 s0, 24, v4
	ds_bpermute_b32 v2, v2, v7
	v_cndmask_b32_e64 v3, 0, 8, s0
	v_cmp_gt_u32_e64 s0, 28, v4
	v_add_lshl_u32 v3, v3, v4, 2
	s_waitcnt lgkmcnt(0)
	v_add_f32_e32 v6, v7, v2
	v_cndmask_b32_e64 v2, 0, 4, s0
	v_cmp_gt_u32_e64 s0, 30, v4
	ds_bpermute_b32 v3, v3, v6
	v_add_lshl_u32 v2, v2, v4, 2
	s_waitcnt lgkmcnt(0)
	v_add_f32_e32 v6, v6, v3
	v_cndmask_b32_e64 v3, 0, 2, s0
	v_cmp_ne_u32_e64 s0, 31, v4
	ds_bpermute_b32 v7, v2, v6
	v_add_lshl_u32 v3, v3, v4, 2
	v_add_co_ci_u32_e64 v4, null, 0, v4, s0
	v_lshlrev_b32_e32 v4, 2, v4
	s_waitcnt lgkmcnt(0)
	v_add_f32_e32 v6, v6, v7
	ds_bpermute_b32 v7, v3, v6
	s_waitcnt lgkmcnt(0)
	v_add_f32_e32 v6, v6, v7
	ds_bpermute_b32 v7, v4, v6
	v_cmpx_eq_u32_e32 0, v5
	s_cbranch_execz .LBB644_27
; %bb.26:
	v_lshrrev_b32_e32 v5, 3, v0
	s_waitcnt lgkmcnt(0)
	v_add_f32_e32 v6, v6, v7
	v_and_b32_e32 v5, 28, v5
	ds_write_b32 v5, v6
.LBB644_27:
	s_or_b32 exec_lo, exec_lo, s2
	v_mov_b32_e32 v5, 0
	s_mov_b32 s2, exec_lo
	s_waitcnt lgkmcnt(0)
	s_barrier
	buffer_gl0_inv
	v_cmpx_gt_u32_e32 8, v0
; %bb.28:
	ds_read_b32 v5, v1
; %bb.29:
	s_or_b32 exec_lo, exec_lo, s2
	s_and_saveexec_b32 s0, vcc_lo
	s_cbranch_execz .LBB644_31
; %bb.30:
	s_waitcnt lgkmcnt(0)
	ds_bpermute_b32 v1, v2, v5
	s_waitcnt lgkmcnt(0)
	v_add_f32_e32 v1, v5, v1
	ds_bpermute_b32 v2, v3, v1
	s_waitcnt lgkmcnt(0)
	v_add_f32_e32 v1, v1, v2
	;; [unrolled: 3-line block ×3, first 2 shown]
.LBB644_31:
	s_or_b32 exec_lo, exec_lo, s0
	s_mov_b32 s0, exec_lo
                                        ; implicit-def: $vgpr1
                                        ; implicit-def: $sgpr2_sgpr3
	v_cmpx_eq_u32_e32 0, v0
	s_cbranch_execz .LBB644_35
; %bb.32:
	v_cmp_eq_f32_e64 s3, s9, 0
	s_waitcnt lgkmcnt(0)
	v_mul_f32_e32 v1, s11, v5
	s_mul_i32 s2, s18, s6
	s_and_b32 vcc_lo, exec_lo, s3
	s_ashr_i32 s3, s2, 31
	s_cbranch_vccnz .LBB644_34
; %bb.33:
	s_lshl_b64 s[4:5], s[2:3], 2
	s_add_u32 s4, s1, s4
	s_addc_u32 s5, s8, s5
	s_load_dword s4, s[4:5], 0x0
	s_waitcnt lgkmcnt(0)
	v_fmac_f32_e64 v1, s9, s4
.LBB644_34:
	s_or_b32 s10, s10, exec_lo
.LBB644_35:
	s_or_b32 exec_lo, exec_lo, s0
.LBB644_36:
	s_and_saveexec_b32 s0, s10
	s_cbranch_execz .LBB644_38
; %bb.37:
	s_lshl_b64 s[2:3], s[2:3], 2
	v_mov_b32_e32 v0, 0
	s_add_u32 s0, s1, s2
	s_addc_u32 s1, s8, s3
	global_store_dword v0, v1, s[0:1]
.LBB644_38:
	s_endpgm
	.section	.rodata,"a",@progbits
	.p2align	6, 0x0
	.amdhsa_kernel _ZL32rocblas_gemvt_warp_reduce_kernelILb0ELi256Ei16rocblas_bfloat16PKffEviiT3_lPKT2_lT1_lS6_lS7_lS3_lPT4_lS7_li
		.amdhsa_group_segment_fixed_size 128
		.amdhsa_private_segment_fixed_size 0
		.amdhsa_kernarg_size 140
		.amdhsa_user_sgpr_count 6
		.amdhsa_user_sgpr_private_segment_buffer 1
		.amdhsa_user_sgpr_dispatch_ptr 0
		.amdhsa_user_sgpr_queue_ptr 0
		.amdhsa_user_sgpr_kernarg_segment_ptr 1
		.amdhsa_user_sgpr_dispatch_id 0
		.amdhsa_user_sgpr_flat_scratch_init 0
		.amdhsa_user_sgpr_private_segment_size 0
		.amdhsa_wavefront_size32 1
		.amdhsa_uses_dynamic_stack 0
		.amdhsa_system_sgpr_private_segment_wavefront_offset 0
		.amdhsa_system_sgpr_workgroup_id_x 1
		.amdhsa_system_sgpr_workgroup_id_y 0
		.amdhsa_system_sgpr_workgroup_id_z 1
		.amdhsa_system_sgpr_workgroup_info 0
		.amdhsa_system_vgpr_workitem_id 0
		.amdhsa_next_free_vgpr 12
		.amdhsa_next_free_sgpr 26
		.amdhsa_reserve_vcc 1
		.amdhsa_reserve_flat_scratch 0
		.amdhsa_float_round_mode_32 0
		.amdhsa_float_round_mode_16_64 0
		.amdhsa_float_denorm_mode_32 3
		.amdhsa_float_denorm_mode_16_64 3
		.amdhsa_dx10_clamp 1
		.amdhsa_ieee_mode 1
		.amdhsa_fp16_overflow 0
		.amdhsa_workgroup_processor_mode 1
		.amdhsa_memory_ordered 1
		.amdhsa_forward_progress 1
		.amdhsa_shared_vgpr_count 0
		.amdhsa_exception_fp_ieee_invalid_op 0
		.amdhsa_exception_fp_denorm_src 0
		.amdhsa_exception_fp_ieee_div_zero 0
		.amdhsa_exception_fp_ieee_overflow 0
		.amdhsa_exception_fp_ieee_underflow 0
		.amdhsa_exception_fp_ieee_inexact 0
		.amdhsa_exception_int_div_zero 0
	.end_amdhsa_kernel
	.section	.text._ZL32rocblas_gemvt_warp_reduce_kernelILb0ELi256Ei16rocblas_bfloat16PKffEviiT3_lPKT2_lT1_lS6_lS7_lS3_lPT4_lS7_li,"axG",@progbits,_ZL32rocblas_gemvt_warp_reduce_kernelILb0ELi256Ei16rocblas_bfloat16PKffEviiT3_lPKT2_lT1_lS6_lS7_lS3_lPT4_lS7_li,comdat
.Lfunc_end644:
	.size	_ZL32rocblas_gemvt_warp_reduce_kernelILb0ELi256Ei16rocblas_bfloat16PKffEviiT3_lPKT2_lT1_lS6_lS7_lS3_lPT4_lS7_li, .Lfunc_end644-_ZL32rocblas_gemvt_warp_reduce_kernelILb0ELi256Ei16rocblas_bfloat16PKffEviiT3_lPKT2_lT1_lS6_lS7_lS3_lPT4_lS7_li
                                        ; -- End function
	.set _ZL32rocblas_gemvt_warp_reduce_kernelILb0ELi256Ei16rocblas_bfloat16PKffEviiT3_lPKT2_lT1_lS6_lS7_lS3_lPT4_lS7_li.num_vgpr, 12
	.set _ZL32rocblas_gemvt_warp_reduce_kernelILb0ELi256Ei16rocblas_bfloat16PKffEviiT3_lPKT2_lT1_lS6_lS7_lS3_lPT4_lS7_li.num_agpr, 0
	.set _ZL32rocblas_gemvt_warp_reduce_kernelILb0ELi256Ei16rocblas_bfloat16PKffEviiT3_lPKT2_lT1_lS6_lS7_lS3_lPT4_lS7_li.numbered_sgpr, 26
	.set _ZL32rocblas_gemvt_warp_reduce_kernelILb0ELi256Ei16rocblas_bfloat16PKffEviiT3_lPKT2_lT1_lS6_lS7_lS3_lPT4_lS7_li.num_named_barrier, 0
	.set _ZL32rocblas_gemvt_warp_reduce_kernelILb0ELi256Ei16rocblas_bfloat16PKffEviiT3_lPKT2_lT1_lS6_lS7_lS3_lPT4_lS7_li.private_seg_size, 0
	.set _ZL32rocblas_gemvt_warp_reduce_kernelILb0ELi256Ei16rocblas_bfloat16PKffEviiT3_lPKT2_lT1_lS6_lS7_lS3_lPT4_lS7_li.uses_vcc, 1
	.set _ZL32rocblas_gemvt_warp_reduce_kernelILb0ELi256Ei16rocblas_bfloat16PKffEviiT3_lPKT2_lT1_lS6_lS7_lS3_lPT4_lS7_li.uses_flat_scratch, 0
	.set _ZL32rocblas_gemvt_warp_reduce_kernelILb0ELi256Ei16rocblas_bfloat16PKffEviiT3_lPKT2_lT1_lS6_lS7_lS3_lPT4_lS7_li.has_dyn_sized_stack, 0
	.set _ZL32rocblas_gemvt_warp_reduce_kernelILb0ELi256Ei16rocblas_bfloat16PKffEviiT3_lPKT2_lT1_lS6_lS7_lS3_lPT4_lS7_li.has_recursion, 0
	.set _ZL32rocblas_gemvt_warp_reduce_kernelILb0ELi256Ei16rocblas_bfloat16PKffEviiT3_lPKT2_lT1_lS6_lS7_lS3_lPT4_lS7_li.has_indirect_call, 0
	.section	.AMDGPU.csdata,"",@progbits
; Kernel info:
; codeLenInByte = 1520
; TotalNumSgprs: 28
; NumVgprs: 12
; ScratchSize: 0
; MemoryBound: 0
; FloatMode: 240
; IeeeMode: 1
; LDSByteSize: 128 bytes/workgroup (compile time only)
; SGPRBlocks: 0
; VGPRBlocks: 1
; NumSGPRsForWavesPerEU: 28
; NumVGPRsForWavesPerEU: 12
; Occupancy: 16
; WaveLimiterHint : 1
; COMPUTE_PGM_RSRC2:SCRATCH_EN: 0
; COMPUTE_PGM_RSRC2:USER_SGPR: 6
; COMPUTE_PGM_RSRC2:TRAP_HANDLER: 0
; COMPUTE_PGM_RSRC2:TGID_X_EN: 1
; COMPUTE_PGM_RSRC2:TGID_Y_EN: 0
; COMPUTE_PGM_RSRC2:TGID_Z_EN: 1
; COMPUTE_PGM_RSRC2:TIDIG_COMP_CNT: 0
	.section	.text._ZL32rocblas_gemvt_warp_reduce_kernelILb0ELi256El16rocblas_bfloat16PKffEviiT3_lPKT2_lT1_lS6_lS7_lS3_lPT4_lS7_li,"axG",@progbits,_ZL32rocblas_gemvt_warp_reduce_kernelILb0ELi256El16rocblas_bfloat16PKffEviiT3_lPKT2_lT1_lS6_lS7_lS3_lPT4_lS7_li,comdat
	.globl	_ZL32rocblas_gemvt_warp_reduce_kernelILb0ELi256El16rocblas_bfloat16PKffEviiT3_lPKT2_lT1_lS6_lS7_lS3_lPT4_lS7_li ; -- Begin function _ZL32rocblas_gemvt_warp_reduce_kernelILb0ELi256El16rocblas_bfloat16PKffEviiT3_lPKT2_lT1_lS6_lS7_lS3_lPT4_lS7_li
	.p2align	8
	.type	_ZL32rocblas_gemvt_warp_reduce_kernelILb0ELi256El16rocblas_bfloat16PKffEviiT3_lPKT2_lT1_lS6_lS7_lS3_lPT4_lS7_li,@function
_ZL32rocblas_gemvt_warp_reduce_kernelILb0ELi256El16rocblas_bfloat16PKffEviiT3_lPKT2_lT1_lS6_lS7_lS3_lPT4_lS7_li: ; @_ZL32rocblas_gemvt_warp_reduce_kernelILb0ELi256El16rocblas_bfloat16PKffEviiT3_lPKT2_lT1_lS6_lS7_lS3_lPT4_lS7_li
; %bb.0:
	s_clause 0x1
	s_load_dwordx16 s[36:51], s[4:5], 0x8
	s_load_dwordx16 s[8:23], s[4:5], 0x48
	s_waitcnt lgkmcnt(0)
	s_mul_i32 s1, s39, s7
	s_mul_hi_u32 s2, s38, s7
	s_mul_i32 s0, s38, s7
	s_add_i32 s1, s2, s1
	s_mul_i32 s2, s15, s7
	s_lshl_b64 s[0:1], s[0:1], 2
	s_mul_hi_u32 s3, s14, s7
	s_add_u32 s0, s36, s0
	s_addc_u32 s1, s37, s1
	s_add_i32 s3, s3, s2
	s_mul_i32 s2, s14, s7
	s_mov_b32 s14, 0
	s_lshl_b64 s[2:3], s[2:3], 2
	s_add_u32 s2, s12, s2
	s_addc_u32 s3, s13, s3
	s_load_dword s15, s[0:1], 0x0
	s_load_dword s13, s[2:3], 0x0
	s_waitcnt lgkmcnt(0)
	v_cmp_eq_f32_e64 s0, s15, 0
	v_cmp_eq_f32_e64 s1, s13, 1.0
	s_and_b32 s0, s0, s1
	s_and_b32 vcc_lo, exec_lo, s0
	s_cbranch_vccnz .LBB645_38
; %bb.1:
	s_mul_i32 s1, s23, s7
	s_mul_hi_u32 s2, s22, s7
	s_mul_i32 s0, s22, s7
	s_add_i32 s1, s2, s1
	v_cmp_neq_f32_e64 s22, s15, 0
	s_lshl_b64 s[0:1], s[0:1], 2
	s_add_u32 s0, s16, s0
	s_addc_u32 s12, s17, s1
	s_lshl_b64 s[2:3], s[18:19], 2
	s_add_u32 s1, s0, s2
	v_cmp_eq_u32_e64 s0, 0, v0
	s_addc_u32 s12, s12, s3
	s_and_b32 vcc_lo, exec_lo, s22
	s_cbranch_vccnz .LBB645_5
; %bb.2:
	s_mov_b32 s16, 0
                                        ; implicit-def: $vgpr1
                                        ; implicit-def: $sgpr2_sgpr3
	s_and_saveexec_b32 s17, s0
	s_cbranch_execz .LBB645_6
; %bb.3:
	s_ashr_i32 s2, s6, 31
	v_cmp_eq_f32_e64 s0, s13, 0
	s_mul_hi_u32 s3, s20, s6
	s_mul_i32 s2, s20, s2
	s_mul_i32 s14, s21, s6
	s_add_i32 s2, s3, s2
	s_and_b32 vcc_lo, exec_lo, s0
	s_add_i32 s3, s2, s14
	s_mul_i32 s2, s20, s6
	s_cbranch_vccnz .LBB645_7
; %bb.4:
	s_lshl_b64 s[18:19], s[2:3], 2
	s_add_u32 s18, s1, s18
	s_addc_u32 s19, s12, s19
	s_load_dword s0, s[18:19], 0x0
	s_waitcnt lgkmcnt(0)
	v_mul_f32_e64 v1, s13, s0
	s_branch .LBB645_8
.LBB645_5:
                                        ; implicit-def: $vgpr1
                                        ; implicit-def: $sgpr2_sgpr3
	s_cbranch_execnz .LBB645_9
	s_branch .LBB645_36
.LBB645_6:
	s_or_b32 exec_lo, exec_lo, s17
	s_and_b32 vcc_lo, exec_lo, s16
	s_cbranch_vccnz .LBB645_9
	s_branch .LBB645_36
.LBB645_7:
	v_mov_b32_e32 v1, 0
.LBB645_8:
	s_mov_b32 s14, exec_lo
	s_or_b32 exec_lo, exec_lo, s17
	s_and_b32 vcc_lo, exec_lo, s16
	s_cbranch_vccz .LBB645_36
.LBB645_9:
	s_load_dword s5, s[4:5], 0x0
	s_mul_i32 s0, s11, s7
	s_mul_i32 s3, s47, s7
	s_mul_hi_u32 s11, s46, s7
	s_mul_i32 s2, s46, s7
	s_add_i32 s3, s11, s3
	s_mul_hi_u32 s4, s10, s7
	s_lshl_b64 s[16:17], s[2:3], 1
	s_add_i32 s3, s4, s0
	s_add_u32 s0, s40, s16
	s_addc_u32 s2, s41, s17
	s_lshl_b64 s[16:17], s[42:43], 1
	s_mul_hi_u32 s4, s44, s6
	s_add_u32 s0, s0, s16
	s_addc_u32 s2, s2, s17
	s_ashr_i32 s16, s6, 31
	s_mul_i32 s11, s45, s6
	s_mul_i32 s17, s44, s16
	;; [unrolled: 1-line block ×3, first 2 shown]
	s_add_i32 s4, s4, s17
	s_waitcnt lgkmcnt(0)
	v_cmp_gt_i32_e32 vcc_lo, s5, v0
	s_add_i32 s19, s4, s11
	s_ashr_i32 s4, s5, 31
	s_lshl_b64 s[18:19], s[18:19], 1
	s_lshr_b32 s4, s4, 24
	v_cndmask_b32_e32 v1, 0, v0, vcc_lo
	v_mov_b32_e32 v7, 0
	s_add_i32 s4, s5, s4
	s_mov_b32 s17, 0
	s_and_b32 s4, s4, 0xffffff00
	v_lshlrev_b32_e32 v1, 1, v1
	v_add_co_u32 v1, s0, s0, v1
	v_add_co_ci_u32_e64 v2, null, s2, 0, s0
	s_mul_i32 s2, s10, s7
	v_add_co_u32 v1, vcc_lo, v1, s18
	v_add_co_ci_u32_e64 v2, null, s19, v2, vcc_lo
	s_mov_b32 s7, exec_lo
	v_cmpx_gt_i32_e64 s4, v0
	s_cbranch_execz .LBB645_17
; %bb.10:
	v_mad_u64_u32 v[5:6], null, s8, v0, 0
	s_lshl_b64 s[18:19], s[50:51], 1
	s_lshl_b64 s[10:11], s[2:3], 1
	s_add_u32 s0, s48, s18
	s_addc_u32 s18, s49, s19
	s_add_u32 s0, s0, s10
	s_addc_u32 s10, s18, s11
	v_mov_b32_e32 v3, v6
	v_mov_b32_e32 v8, 0
	;; [unrolled: 1-line block ×4, first 2 shown]
	v_mad_u64_u32 v[3:4], null, s9, v0, v[3:4]
	v_mov_b32_e32 v6, v3
	v_mov_b32_e32 v4, v2
	;; [unrolled: 1-line block ×3, first 2 shown]
	v_lshlrev_b64 v[5:6], 1, v[5:6]
	v_add_co_u32 v5, vcc_lo, s0, v5
	v_add_co_ci_u32_e64 v6, null, s10, v6, vcc_lo
	s_lshl_b64 s[10:11], s[8:9], 9
	s_inst_prefetch 0x1
	s_branch .LBB645_12
	.p2align	6
.LBB645_11:                             ;   in Loop: Header=BB645_12 Depth=1
	s_or_b32 exec_lo, exec_lo, s0
	v_add_nc_u32_e32 v9, 0x100, v9
	v_and_b32_e32 v10, 0xffff0000, v11
	v_add_co_u32 v3, vcc_lo, 0x200, v3
	v_add_co_ci_u32_e64 v4, null, 0, v4, vcc_lo
	v_cmp_le_i32_e32 vcc_lo, s4, v9
	v_add_co_u32 v5, s0, v5, s10
	v_add_f32_e32 v7, v7, v10
	v_add_co_ci_u32_e64 v6, null, s11, v6, s0
	s_or_b32 s17, vcc_lo, s17
	s_andn2_b32 exec_lo, exec_lo, s17
	s_cbranch_execz .LBB645_16
.LBB645_12:                             ; =>This Inner Loop Header: Depth=1
	global_load_ushort v10, v[5:6], off
	global_load_ushort v11, v[3:4], off
	s_waitcnt vmcnt(1)
	v_lshlrev_b32_e32 v10, 16, v10
	s_waitcnt vmcnt(0)
	v_lshlrev_b32_e32 v11, 16, v11
	v_mul_f32_e32 v10, v11, v10
	v_and_b32_e32 v11, 0x7f800000, v10
	v_cmp_ne_u32_e32 vcc_lo, 0x7f800000, v11
                                        ; implicit-def: $vgpr11
	s_and_saveexec_b32 s0, vcc_lo
	s_xor_b32 s0, exec_lo, s0
; %bb.13:                               ;   in Loop: Header=BB645_12 Depth=1
	v_bfe_u32 v11, v10, 16, 1
	v_add3_u32 v11, v10, v11, 0x7fff
                                        ; implicit-def: $vgpr10
; %bb.14:                               ;   in Loop: Header=BB645_12 Depth=1
	s_andn2_saveexec_b32 s0, s0
	s_cbranch_execz .LBB645_11
; %bb.15:                               ;   in Loop: Header=BB645_12 Depth=1
	v_or_b32_e32 v11, 0x10000, v10
	v_cmp_eq_u32_sdwa vcc_lo, v10, v8 src0_sel:WORD_0 src1_sel:DWORD
	v_cndmask_b32_e32 v11, v11, v10, vcc_lo
	s_branch .LBB645_11
.LBB645_16:
	s_inst_prefetch 0x2
	s_or_b32 exec_lo, exec_lo, s17
.LBB645_17:
	s_or_b32 exec_lo, exec_lo, s7
	v_add_nc_u32_e32 v3, s4, v0
	s_mov_b32 s0, exec_lo
	v_cmpx_gt_i32_e64 s5, v3
	s_cbranch_execz .LBB645_23
; %bb.18:
	v_ashrrev_i32_e32 v5, 31, v3
	v_mul_lo_u32 v6, s9, v3
	v_mad_u64_u32 v[3:4], null, s8, v3, 0
	s_lshl_b64 s[2:3], s[2:3], 1
	v_mul_lo_u32 v5, s8, v5
	s_add_u32 s5, s48, s2
	s_addc_u32 s7, s49, s3
	s_lshl_b64 s[2:3], s[50:51], 1
	s_add_u32 s8, s5, s2
	s_addc_u32 s7, s7, s3
	s_ashr_i32 s5, s4, 31
	v_add3_u32 v4, v4, v5, v6
	s_lshl_b64 s[2:3], s[4:5], 1
	v_lshlrev_b64 v[3:4], 1, v[3:4]
	v_add_co_u32 v3, vcc_lo, s8, v3
	v_add_co_ci_u32_e64 v4, null, s7, v4, vcc_lo
	v_add_co_u32 v1, vcc_lo, v1, s2
	v_add_co_ci_u32_e64 v2, null, s3, v2, vcc_lo
	global_load_ushort v3, v[3:4], off
	global_load_ushort v1, v[1:2], off
	s_waitcnt vmcnt(1)
	v_lshlrev_b32_e32 v2, 16, v3
	s_waitcnt vmcnt(0)
	v_lshlrev_b32_e32 v1, 16, v1
	v_mul_f32_e32 v1, v1, v2
	v_and_b32_e32 v2, 0x7f800000, v1
	v_cmp_ne_u32_e32 vcc_lo, 0x7f800000, v2
                                        ; implicit-def: $vgpr2
	s_and_saveexec_b32 s2, vcc_lo
	s_xor_b32 s2, exec_lo, s2
; %bb.19:
	v_bfe_u32 v2, v1, 16, 1
	v_add3_u32 v2, v1, v2, 0x7fff
                                        ; implicit-def: $vgpr1
; %bb.20:
	s_andn2_saveexec_b32 s2, s2
; %bb.21:
	v_mov_b32_e32 v2, 0
	v_or_b32_e32 v3, 0x10000, v1
	v_cmp_eq_u32_sdwa vcc_lo, v1, v2 src0_sel:WORD_0 src1_sel:DWORD
	v_cndmask_b32_e32 v2, v3, v1, vcc_lo
; %bb.22:
	s_or_b32 exec_lo, exec_lo, s2
	v_and_b32_e32 v1, 0xffff0000, v2
	v_add_f32_e32 v7, v7, v1
.LBB645_23:
	s_or_b32 exec_lo, exec_lo, s0
	v_and_b32_e32 v5, 31, v0
	v_cmp_gt_u32_e32 vcc_lo, 32, v0
	v_lshlrev_b32_e32 v1, 2, v5
	s_and_saveexec_b32 s0, vcc_lo
; %bb.24:
	v_mov_b32_e32 v2, 0
	ds_write_b32 v1, v2
; %bb.25:
	s_or_b32 exec_lo, exec_lo, s0
	v_mbcnt_lo_u32_b32 v4, -1, 0
	s_mov_b32 s2, exec_lo
	s_waitcnt lgkmcnt(0)
	s_barrier
	buffer_gl0_inv
	v_lshl_or_b32 v2, v4, 2, 64
	v_cmp_gt_u32_e64 s0, 24, v4
	ds_bpermute_b32 v2, v2, v7
	v_cndmask_b32_e64 v3, 0, 8, s0
	v_cmp_gt_u32_e64 s0, 28, v4
	v_add_lshl_u32 v3, v3, v4, 2
	s_waitcnt lgkmcnt(0)
	v_add_f32_e32 v6, v7, v2
	v_cndmask_b32_e64 v2, 0, 4, s0
	v_cmp_gt_u32_e64 s0, 30, v4
	ds_bpermute_b32 v3, v3, v6
	v_add_lshl_u32 v2, v2, v4, 2
	s_waitcnt lgkmcnt(0)
	v_add_f32_e32 v6, v6, v3
	v_cndmask_b32_e64 v3, 0, 2, s0
	v_cmp_ne_u32_e64 s0, 31, v4
	ds_bpermute_b32 v7, v2, v6
	v_add_lshl_u32 v3, v3, v4, 2
	v_add_co_ci_u32_e64 v4, null, 0, v4, s0
	v_lshlrev_b32_e32 v4, 2, v4
	s_waitcnt lgkmcnt(0)
	v_add_f32_e32 v6, v6, v7
	ds_bpermute_b32 v7, v3, v6
	s_waitcnt lgkmcnt(0)
	v_add_f32_e32 v6, v6, v7
	ds_bpermute_b32 v7, v4, v6
	v_cmpx_eq_u32_e32 0, v5
	s_cbranch_execz .LBB645_27
; %bb.26:
	v_lshrrev_b32_e32 v5, 3, v0
	s_waitcnt lgkmcnt(0)
	v_add_f32_e32 v6, v6, v7
	v_and_b32_e32 v5, 28, v5
	ds_write_b32 v5, v6
.LBB645_27:
	s_or_b32 exec_lo, exec_lo, s2
	v_mov_b32_e32 v5, 0
	s_mov_b32 s2, exec_lo
	s_waitcnt lgkmcnt(0)
	s_barrier
	buffer_gl0_inv
	v_cmpx_gt_u32_e32 8, v0
; %bb.28:
	ds_read_b32 v5, v1
; %bb.29:
	s_or_b32 exec_lo, exec_lo, s2
	s_and_saveexec_b32 s0, vcc_lo
	s_cbranch_execz .LBB645_31
; %bb.30:
	s_waitcnt lgkmcnt(0)
	ds_bpermute_b32 v1, v2, v5
	s_waitcnt lgkmcnt(0)
	v_add_f32_e32 v1, v5, v1
	ds_bpermute_b32 v2, v3, v1
	s_waitcnt lgkmcnt(0)
	v_add_f32_e32 v1, v1, v2
	;; [unrolled: 3-line block ×3, first 2 shown]
.LBB645_31:
	s_or_b32 exec_lo, exec_lo, s0
	s_mov_b32 s0, exec_lo
                                        ; implicit-def: $vgpr1
                                        ; implicit-def: $sgpr2_sgpr3
	v_cmpx_eq_u32_e32 0, v0
	s_cbranch_execz .LBB645_35
; %bb.32:
	v_cmp_eq_f32_e64 s4, s13, 0
	s_mul_i32 s2, s20, s16
	s_mul_hi_u32 s3, s20, s6
	s_waitcnt lgkmcnt(0)
	v_mul_f32_e32 v1, s15, v5
	s_add_i32 s2, s3, s2
	s_mul_i32 s3, s21, s6
	s_and_b32 vcc_lo, exec_lo, s4
	s_add_i32 s3, s2, s3
	s_mul_i32 s2, s20, s6
	s_cbranch_vccnz .LBB645_34
; %bb.33:
	s_lshl_b64 s[4:5], s[2:3], 2
	s_add_u32 s4, s1, s4
	s_addc_u32 s5, s12, s5
	s_load_dword s4, s[4:5], 0x0
	s_waitcnt lgkmcnt(0)
	v_fmac_f32_e64 v1, s13, s4
.LBB645_34:
	s_or_b32 s14, s14, exec_lo
.LBB645_35:
	s_or_b32 exec_lo, exec_lo, s0
.LBB645_36:
	s_and_saveexec_b32 s0, s14
	s_cbranch_execz .LBB645_38
; %bb.37:
	s_lshl_b64 s[2:3], s[2:3], 2
	v_mov_b32_e32 v0, 0
	s_add_u32 s0, s1, s2
	s_addc_u32 s1, s12, s3
	global_store_dword v0, v1, s[0:1]
.LBB645_38:
	s_endpgm
	.section	.rodata,"a",@progbits
	.p2align	6, 0x0
	.amdhsa_kernel _ZL32rocblas_gemvt_warp_reduce_kernelILb0ELi256El16rocblas_bfloat16PKffEviiT3_lPKT2_lT1_lS6_lS7_lS3_lPT4_lS7_li
		.amdhsa_group_segment_fixed_size 128
		.amdhsa_private_segment_fixed_size 0
		.amdhsa_kernarg_size 140
		.amdhsa_user_sgpr_count 6
		.amdhsa_user_sgpr_private_segment_buffer 1
		.amdhsa_user_sgpr_dispatch_ptr 0
		.amdhsa_user_sgpr_queue_ptr 0
		.amdhsa_user_sgpr_kernarg_segment_ptr 1
		.amdhsa_user_sgpr_dispatch_id 0
		.amdhsa_user_sgpr_flat_scratch_init 0
		.amdhsa_user_sgpr_private_segment_size 0
		.amdhsa_wavefront_size32 1
		.amdhsa_uses_dynamic_stack 0
		.amdhsa_system_sgpr_private_segment_wavefront_offset 0
		.amdhsa_system_sgpr_workgroup_id_x 1
		.amdhsa_system_sgpr_workgroup_id_y 0
		.amdhsa_system_sgpr_workgroup_id_z 1
		.amdhsa_system_sgpr_workgroup_info 0
		.amdhsa_system_vgpr_workitem_id 0
		.amdhsa_next_free_vgpr 12
		.amdhsa_next_free_sgpr 52
		.amdhsa_reserve_vcc 1
		.amdhsa_reserve_flat_scratch 0
		.amdhsa_float_round_mode_32 0
		.amdhsa_float_round_mode_16_64 0
		.amdhsa_float_denorm_mode_32 3
		.amdhsa_float_denorm_mode_16_64 3
		.amdhsa_dx10_clamp 1
		.amdhsa_ieee_mode 1
		.amdhsa_fp16_overflow 0
		.amdhsa_workgroup_processor_mode 1
		.amdhsa_memory_ordered 1
		.amdhsa_forward_progress 1
		.amdhsa_shared_vgpr_count 0
		.amdhsa_exception_fp_ieee_invalid_op 0
		.amdhsa_exception_fp_denorm_src 0
		.amdhsa_exception_fp_ieee_div_zero 0
		.amdhsa_exception_fp_ieee_overflow 0
		.amdhsa_exception_fp_ieee_underflow 0
		.amdhsa_exception_fp_ieee_inexact 0
		.amdhsa_exception_int_div_zero 0
	.end_amdhsa_kernel
	.section	.text._ZL32rocblas_gemvt_warp_reduce_kernelILb0ELi256El16rocblas_bfloat16PKffEviiT3_lPKT2_lT1_lS6_lS7_lS3_lPT4_lS7_li,"axG",@progbits,_ZL32rocblas_gemvt_warp_reduce_kernelILb0ELi256El16rocblas_bfloat16PKffEviiT3_lPKT2_lT1_lS6_lS7_lS3_lPT4_lS7_li,comdat
.Lfunc_end645:
	.size	_ZL32rocblas_gemvt_warp_reduce_kernelILb0ELi256El16rocblas_bfloat16PKffEviiT3_lPKT2_lT1_lS6_lS7_lS3_lPT4_lS7_li, .Lfunc_end645-_ZL32rocblas_gemvt_warp_reduce_kernelILb0ELi256El16rocblas_bfloat16PKffEviiT3_lPKT2_lT1_lS6_lS7_lS3_lPT4_lS7_li
                                        ; -- End function
	.set _ZL32rocblas_gemvt_warp_reduce_kernelILb0ELi256El16rocblas_bfloat16PKffEviiT3_lPKT2_lT1_lS6_lS7_lS3_lPT4_lS7_li.num_vgpr, 12
	.set _ZL32rocblas_gemvt_warp_reduce_kernelILb0ELi256El16rocblas_bfloat16PKffEviiT3_lPKT2_lT1_lS6_lS7_lS3_lPT4_lS7_li.num_agpr, 0
	.set _ZL32rocblas_gemvt_warp_reduce_kernelILb0ELi256El16rocblas_bfloat16PKffEviiT3_lPKT2_lT1_lS6_lS7_lS3_lPT4_lS7_li.numbered_sgpr, 52
	.set _ZL32rocblas_gemvt_warp_reduce_kernelILb0ELi256El16rocblas_bfloat16PKffEviiT3_lPKT2_lT1_lS6_lS7_lS3_lPT4_lS7_li.num_named_barrier, 0
	.set _ZL32rocblas_gemvt_warp_reduce_kernelILb0ELi256El16rocblas_bfloat16PKffEviiT3_lPKT2_lT1_lS6_lS7_lS3_lPT4_lS7_li.private_seg_size, 0
	.set _ZL32rocblas_gemvt_warp_reduce_kernelILb0ELi256El16rocblas_bfloat16PKffEviiT3_lPKT2_lT1_lS6_lS7_lS3_lPT4_lS7_li.uses_vcc, 1
	.set _ZL32rocblas_gemvt_warp_reduce_kernelILb0ELi256El16rocblas_bfloat16PKffEviiT3_lPKT2_lT1_lS6_lS7_lS3_lPT4_lS7_li.uses_flat_scratch, 0
	.set _ZL32rocblas_gemvt_warp_reduce_kernelILb0ELi256El16rocblas_bfloat16PKffEviiT3_lPKT2_lT1_lS6_lS7_lS3_lPT4_lS7_li.has_dyn_sized_stack, 0
	.set _ZL32rocblas_gemvt_warp_reduce_kernelILb0ELi256El16rocblas_bfloat16PKffEviiT3_lPKT2_lT1_lS6_lS7_lS3_lPT4_lS7_li.has_recursion, 0
	.set _ZL32rocblas_gemvt_warp_reduce_kernelILb0ELi256El16rocblas_bfloat16PKffEviiT3_lPKT2_lT1_lS6_lS7_lS3_lPT4_lS7_li.has_indirect_call, 0
	.section	.AMDGPU.csdata,"",@progbits
; Kernel info:
; codeLenInByte = 1604
; TotalNumSgprs: 54
; NumVgprs: 12
; ScratchSize: 0
; MemoryBound: 0
; FloatMode: 240
; IeeeMode: 1
; LDSByteSize: 128 bytes/workgroup (compile time only)
; SGPRBlocks: 0
; VGPRBlocks: 1
; NumSGPRsForWavesPerEU: 54
; NumVGPRsForWavesPerEU: 12
; Occupancy: 16
; WaveLimiterHint : 0
; COMPUTE_PGM_RSRC2:SCRATCH_EN: 0
; COMPUTE_PGM_RSRC2:USER_SGPR: 6
; COMPUTE_PGM_RSRC2:TRAP_HANDLER: 0
; COMPUTE_PGM_RSRC2:TGID_X_EN: 1
; COMPUTE_PGM_RSRC2:TGID_Y_EN: 0
; COMPUTE_PGM_RSRC2:TGID_Z_EN: 1
; COMPUTE_PGM_RSRC2:TIDIG_COMP_CNT: 0
	.section	.text._ZL32rocblas_gemvt_warp_reduce_kernelILb0ELi256Ei16rocblas_bfloat16ffEviiT3_lPKT2_lT1_lS4_lS5_lS1_lPT4_lS5_li,"axG",@progbits,_ZL32rocblas_gemvt_warp_reduce_kernelILb0ELi256Ei16rocblas_bfloat16ffEviiT3_lPKT2_lT1_lS4_lS5_lS1_lPT4_lS5_li,comdat
	.globl	_ZL32rocblas_gemvt_warp_reduce_kernelILb0ELi256Ei16rocblas_bfloat16ffEviiT3_lPKT2_lT1_lS4_lS5_lS1_lPT4_lS5_li ; -- Begin function _ZL32rocblas_gemvt_warp_reduce_kernelILb0ELi256Ei16rocblas_bfloat16ffEviiT3_lPKT2_lT1_lS4_lS5_lS1_lPT4_lS5_li
	.p2align	8
	.type	_ZL32rocblas_gemvt_warp_reduce_kernelILb0ELi256Ei16rocblas_bfloat16ffEviiT3_lPKT2_lT1_lS4_lS5_lS1_lPT4_lS5_li,@function
_ZL32rocblas_gemvt_warp_reduce_kernelILb0ELi256Ei16rocblas_bfloat16ffEviiT3_lPKT2_lT1_lS4_lS5_lS1_lPT4_lS5_li: ; @_ZL32rocblas_gemvt_warp_reduce_kernelILb0ELi256Ei16rocblas_bfloat16ffEviiT3_lPKT2_lT1_lS4_lS5_lS1_lPT4_lS5_li
; %bb.0:
	s_clause 0x1
	s_load_dword s12, s[4:5], 0x8
	s_load_dword s10, s[4:5], 0x58
	s_mov_b32 s11, 0
	s_waitcnt lgkmcnt(0)
	v_cmp_eq_f32_e64 s0, s12, 0
	v_cmp_eq_f32_e64 s1, s10, 1.0
	s_and_b32 s0, s0, s1
	s_and_b32 vcc_lo, exec_lo, s0
	s_cbranch_vccnz .LBB646_38
; %bb.1:
	s_clause 0x2
	s_load_dwordx2 s[8:9], s[4:5], 0x80
	s_load_dwordx4 s[0:3], s[4:5], 0x68
	s_load_dword s13, s[4:5], 0x78
	s_waitcnt lgkmcnt(0)
	s_mul_i32 s9, s9, s7
	s_mul_hi_u32 s14, s8, s7
	s_mul_i32 s8, s8, s7
	s_add_i32 s9, s14, s9
	v_cmp_neq_f32_e64 s14, s12, 0
	s_lshl_b64 s[8:9], s[8:9], 2
	s_add_u32 s8, s0, s8
	s_addc_u32 s9, s1, s9
	s_lshl_b64 s[0:1], s[2:3], 2
	s_add_u32 s8, s8, s0
	v_cmp_eq_u32_e64 s0, 0, v0
	s_addc_u32 s9, s9, s1
	s_and_b32 vcc_lo, exec_lo, s14
	s_cbranch_vccnz .LBB646_5
; %bb.2:
	s_mov_b32 s1, 0
                                        ; implicit-def: $vgpr1
                                        ; implicit-def: $sgpr2_sgpr3
	s_and_saveexec_b32 s14, s0
	s_cbranch_execz .LBB646_6
; %bb.3:
	v_cmp_eq_f32_e64 s0, s10, 0
	s_mul_i32 s2, s13, s6
	s_ashr_i32 s3, s2, 31
	s_and_b32 vcc_lo, exec_lo, s0
	s_cbranch_vccnz .LBB646_7
; %bb.4:
	s_lshl_b64 s[16:17], s[2:3], 2
	s_add_u32 s16, s8, s16
	s_addc_u32 s17, s9, s17
	s_load_dword s0, s[16:17], 0x0
	s_waitcnt lgkmcnt(0)
	v_mul_f32_e64 v1, s10, s0
	s_branch .LBB646_8
.LBB646_5:
                                        ; implicit-def: $vgpr1
                                        ; implicit-def: $sgpr2_sgpr3
	s_cbranch_execnz .LBB646_9
	s_branch .LBB646_36
.LBB646_6:
	s_or_b32 exec_lo, exec_lo, s14
	s_and_b32 vcc_lo, exec_lo, s1
	s_cbranch_vccnz .LBB646_9
	s_branch .LBB646_36
.LBB646_7:
	v_mov_b32_e32 v1, 0
.LBB646_8:
	s_mov_b32 s11, exec_lo
	s_or_b32 exec_lo, exec_lo, s14
	s_and_b32 vcc_lo, exec_lo, s1
	s_cbranch_vccz .LBB646_36
.LBB646_9:
	s_clause 0x6
	s_load_dwordx2 s[20:21], s[4:5], 0x50
	s_load_dwordx4 s[16:19], s[4:5], 0x30
	s_load_dwordx2 s[22:23], s[4:5], 0x40
	s_load_dword s14, s[4:5], 0x0
	s_load_dwordx4 s[0:3], s[4:5], 0x18
	s_load_dword s15, s[4:5], 0x28
	s_load_dword s4, s[4:5], 0x48
	v_mov_b32_e32 v7, 0
	s_waitcnt lgkmcnt(0)
	s_mul_i32 s5, s21, s7
	s_mul_hi_u32 s21, s20, s7
	s_mul_i32 s20, s20, s7
	s_add_i32 s21, s21, s5
	v_cmp_gt_i32_e32 vcc_lo, s14, v0
	s_lshl_b64 s[20:21], s[20:21], 1
	s_mul_i32 s17, s17, s7
	s_add_u32 s5, s18, s20
	s_addc_u32 s20, s19, s21
	s_lshl_b64 s[18:19], s[22:23], 1
	s_mul_hi_u32 s24, s16, s7
	s_add_u32 s5, s5, s18
	v_cndmask_b32_e32 v1, 0, v0, vcc_lo
	s_mul_i32 s16, s16, s7
	s_addc_u32 s7, s20, s19
	s_add_i32 s17, s24, s17
	s_mul_i32 s18, s15, s6
	s_lshl_b64 s[16:17], s[16:17], 1
	v_lshlrev_b32_e32 v1, 1, v1
	s_add_u32 s15, s0, s16
	s_addc_u32 s16, s1, s17
	s_lshl_b64 s[0:1], s[2:3], 1
	s_mov_b32 s3, 0
	s_add_u32 s0, s15, s0
	s_addc_u32 s1, s16, s1
	v_add_co_u32 v1, s0, s0, v1
	s_ashr_i32 s19, s18, 31
	v_add_co_ci_u32_e64 v2, null, s1, 0, s0
	s_lshl_b64 s[0:1], s[18:19], 1
	s_ashr_i32 s2, s14, 31
	v_add_co_u32 v1, vcc_lo, v1, s0
	s_lshr_b32 s2, s2, 24
	v_add_co_ci_u32_e64 v2, null, s1, v2, vcc_lo
	s_add_i32 s2, s14, s2
	s_mov_b32 s1, exec_lo
	s_and_b32 s2, s2, 0xffffff00
	v_cmpx_gt_i32_e64 s2, v0
	s_cbranch_execz .LBB646_17
; %bb.10:
	v_mul_lo_u32 v3, v0, s4
	v_mov_b32_e32 v6, v2
	v_mov_b32_e32 v8, 0
	;; [unrolled: 1-line block ×5, first 2 shown]
	s_lshl_b32 s15, s4, 8
	s_branch .LBB646_12
.LBB646_11:                             ;   in Loop: Header=BB646_12 Depth=1
	s_or_b32 exec_lo, exec_lo, s0
	v_add_nc_u32_e32 v9, 0x100, v9
	v_and_b32_e32 v4, 0xffff0000, v10
	v_add_co_u32 v5, s0, 0x200, v5
	v_add_co_ci_u32_e64 v6, null, 0, v6, s0
	v_cmp_le_i32_e32 vcc_lo, s2, v9
	v_add_f32_e32 v7, v7, v4
	v_add_nc_u32_e32 v3, s15, v3
	s_or_b32 s3, vcc_lo, s3
	s_andn2_b32 exec_lo, exec_lo, s3
	s_cbranch_execz .LBB646_16
.LBB646_12:                             ; =>This Inner Loop Header: Depth=1
	v_ashrrev_i32_e32 v4, 31, v3
	v_lshlrev_b64 v[10:11], 1, v[3:4]
	v_add_co_u32 v10, vcc_lo, s5, v10
	v_add_co_ci_u32_e64 v11, null, s7, v11, vcc_lo
	global_load_ushort v4, v[5:6], off
	global_load_ushort v10, v[10:11], off
	s_waitcnt vmcnt(1)
	v_lshlrev_b32_e32 v4, 16, v4
	s_waitcnt vmcnt(0)
	v_lshlrev_b32_e32 v10, 16, v10
	v_mul_f32_e32 v4, v4, v10
	v_and_b32_e32 v10, 0x7f800000, v4
	v_cmp_ne_u32_e32 vcc_lo, 0x7f800000, v10
                                        ; implicit-def: $vgpr10
	s_and_saveexec_b32 s0, vcc_lo
	s_xor_b32 s0, exec_lo, s0
; %bb.13:                               ;   in Loop: Header=BB646_12 Depth=1
	v_bfe_u32 v10, v4, 16, 1
	v_add3_u32 v10, v4, v10, 0x7fff
                                        ; implicit-def: $vgpr4
; %bb.14:                               ;   in Loop: Header=BB646_12 Depth=1
	s_andn2_saveexec_b32 s0, s0
	s_cbranch_execz .LBB646_11
; %bb.15:                               ;   in Loop: Header=BB646_12 Depth=1
	v_or_b32_e32 v10, 0x10000, v4
	v_cmp_eq_u32_sdwa vcc_lo, v4, v8 src0_sel:WORD_0 src1_sel:DWORD
	v_cndmask_b32_e32 v10, v10, v4, vcc_lo
	s_branch .LBB646_11
.LBB646_16:
	s_or_b32 exec_lo, exec_lo, s3
.LBB646_17:
	s_or_b32 exec_lo, exec_lo, s1
	v_add_nc_u32_e32 v3, s2, v0
	s_mov_b32 s0, exec_lo
	v_cmpx_gt_i32_e64 s14, v3
	s_cbranch_execz .LBB646_23
; %bb.18:
	v_mul_lo_u32 v3, s4, v3
	s_ashr_i32 s3, s2, 31
	s_lshl_b64 s[2:3], s[2:3], 1
	v_ashrrev_i32_e32 v4, 31, v3
	v_lshlrev_b64 v[3:4], 1, v[3:4]
	v_add_co_u32 v3, vcc_lo, s5, v3
	v_add_co_ci_u32_e64 v4, null, s7, v4, vcc_lo
	v_add_co_u32 v1, vcc_lo, v1, s2
	v_add_co_ci_u32_e64 v2, null, s3, v2, vcc_lo
	global_load_ushort v3, v[3:4], off
	global_load_ushort v1, v[1:2], off
	s_waitcnt vmcnt(1)
	v_lshlrev_b32_e32 v2, 16, v3
	s_waitcnt vmcnt(0)
	v_lshlrev_b32_e32 v1, 16, v1
	v_mul_f32_e32 v1, v1, v2
	v_and_b32_e32 v2, 0x7f800000, v1
	v_cmp_ne_u32_e32 vcc_lo, 0x7f800000, v2
                                        ; implicit-def: $vgpr2
	s_and_saveexec_b32 s1, vcc_lo
	s_xor_b32 s1, exec_lo, s1
; %bb.19:
	v_bfe_u32 v2, v1, 16, 1
	v_add3_u32 v2, v1, v2, 0x7fff
                                        ; implicit-def: $vgpr1
; %bb.20:
	s_andn2_saveexec_b32 s1, s1
; %bb.21:
	v_mov_b32_e32 v2, 0
	v_or_b32_e32 v3, 0x10000, v1
	v_cmp_eq_u32_sdwa vcc_lo, v1, v2 src0_sel:WORD_0 src1_sel:DWORD
	v_cndmask_b32_e32 v2, v3, v1, vcc_lo
; %bb.22:
	s_or_b32 exec_lo, exec_lo, s1
	v_and_b32_e32 v1, 0xffff0000, v2
	v_add_f32_e32 v7, v7, v1
.LBB646_23:
	s_or_b32 exec_lo, exec_lo, s0
	v_and_b32_e32 v5, 31, v0
	v_cmp_gt_u32_e32 vcc_lo, 32, v0
	v_lshlrev_b32_e32 v1, 2, v5
	s_and_saveexec_b32 s0, vcc_lo
; %bb.24:
	v_mov_b32_e32 v2, 0
	ds_write_b32 v1, v2
; %bb.25:
	s_or_b32 exec_lo, exec_lo, s0
	v_mbcnt_lo_u32_b32 v4, -1, 0
	s_mov_b32 s1, exec_lo
	s_waitcnt lgkmcnt(0)
	s_barrier
	buffer_gl0_inv
	v_lshl_or_b32 v2, v4, 2, 64
	v_cmp_gt_u32_e64 s0, 24, v4
	ds_bpermute_b32 v2, v2, v7
	v_cndmask_b32_e64 v3, 0, 8, s0
	v_cmp_gt_u32_e64 s0, 28, v4
	v_add_lshl_u32 v3, v3, v4, 2
	s_waitcnt lgkmcnt(0)
	v_add_f32_e32 v6, v7, v2
	v_cndmask_b32_e64 v2, 0, 4, s0
	v_cmp_gt_u32_e64 s0, 30, v4
	ds_bpermute_b32 v3, v3, v6
	v_add_lshl_u32 v2, v2, v4, 2
	s_waitcnt lgkmcnt(0)
	v_add_f32_e32 v6, v6, v3
	v_cndmask_b32_e64 v3, 0, 2, s0
	v_cmp_ne_u32_e64 s0, 31, v4
	ds_bpermute_b32 v7, v2, v6
	v_add_lshl_u32 v3, v3, v4, 2
	v_add_co_ci_u32_e64 v4, null, 0, v4, s0
	v_lshlrev_b32_e32 v4, 2, v4
	s_waitcnt lgkmcnt(0)
	v_add_f32_e32 v6, v6, v7
	ds_bpermute_b32 v7, v3, v6
	s_waitcnt lgkmcnt(0)
	v_add_f32_e32 v6, v6, v7
	ds_bpermute_b32 v7, v4, v6
	v_cmpx_eq_u32_e32 0, v5
	s_cbranch_execz .LBB646_27
; %bb.26:
	v_lshrrev_b32_e32 v5, 3, v0
	s_waitcnt lgkmcnt(0)
	v_add_f32_e32 v6, v6, v7
	v_and_b32_e32 v5, 28, v5
	ds_write_b32 v5, v6
.LBB646_27:
	s_or_b32 exec_lo, exec_lo, s1
	v_mov_b32_e32 v5, 0
	s_mov_b32 s1, exec_lo
	s_waitcnt lgkmcnt(0)
	s_barrier
	buffer_gl0_inv
	v_cmpx_gt_u32_e32 8, v0
; %bb.28:
	ds_read_b32 v5, v1
; %bb.29:
	s_or_b32 exec_lo, exec_lo, s1
	s_and_saveexec_b32 s0, vcc_lo
	s_cbranch_execz .LBB646_31
; %bb.30:
	s_waitcnt lgkmcnt(0)
	ds_bpermute_b32 v1, v2, v5
	s_waitcnt lgkmcnt(0)
	v_add_f32_e32 v1, v5, v1
	ds_bpermute_b32 v2, v3, v1
	s_waitcnt lgkmcnt(0)
	v_add_f32_e32 v1, v1, v2
	;; [unrolled: 3-line block ×3, first 2 shown]
.LBB646_31:
	s_or_b32 exec_lo, exec_lo, s0
	s_mov_b32 s0, exec_lo
                                        ; implicit-def: $vgpr1
                                        ; implicit-def: $sgpr2_sgpr3
	v_cmpx_eq_u32_e32 0, v0
	s_cbranch_execz .LBB646_35
; %bb.32:
	v_cmp_eq_f32_e64 s1, s10, 0
	s_waitcnt lgkmcnt(0)
	v_mul_f32_e32 v1, s12, v5
	s_mul_i32 s2, s13, s6
	s_ashr_i32 s3, s2, 31
	s_and_b32 vcc_lo, exec_lo, s1
	s_cbranch_vccnz .LBB646_34
; %bb.33:
	s_lshl_b64 s[4:5], s[2:3], 2
	s_add_u32 s4, s8, s4
	s_addc_u32 s5, s9, s5
	s_load_dword s1, s[4:5], 0x0
	s_waitcnt lgkmcnt(0)
	v_fmac_f32_e64 v1, s10, s1
.LBB646_34:
	s_or_b32 s11, s11, exec_lo
.LBB646_35:
	s_or_b32 exec_lo, exec_lo, s0
.LBB646_36:
	s_and_saveexec_b32 s0, s11
	s_cbranch_execz .LBB646_38
; %bb.37:
	s_lshl_b64 s[0:1], s[2:3], 2
	v_mov_b32_e32 v0, 0
	s_add_u32 s0, s8, s0
	s_addc_u32 s1, s9, s1
	global_store_dword v0, v1, s[0:1]
.LBB646_38:
	s_endpgm
	.section	.rodata,"a",@progbits
	.p2align	6, 0x0
	.amdhsa_kernel _ZL32rocblas_gemvt_warp_reduce_kernelILb0ELi256Ei16rocblas_bfloat16ffEviiT3_lPKT2_lT1_lS4_lS5_lS1_lPT4_lS5_li
		.amdhsa_group_segment_fixed_size 128
		.amdhsa_private_segment_fixed_size 0
		.amdhsa_kernarg_size 140
		.amdhsa_user_sgpr_count 6
		.amdhsa_user_sgpr_private_segment_buffer 1
		.amdhsa_user_sgpr_dispatch_ptr 0
		.amdhsa_user_sgpr_queue_ptr 0
		.amdhsa_user_sgpr_kernarg_segment_ptr 1
		.amdhsa_user_sgpr_dispatch_id 0
		.amdhsa_user_sgpr_flat_scratch_init 0
		.amdhsa_user_sgpr_private_segment_size 0
		.amdhsa_wavefront_size32 1
		.amdhsa_uses_dynamic_stack 0
		.amdhsa_system_sgpr_private_segment_wavefront_offset 0
		.amdhsa_system_sgpr_workgroup_id_x 1
		.amdhsa_system_sgpr_workgroup_id_y 0
		.amdhsa_system_sgpr_workgroup_id_z 1
		.amdhsa_system_sgpr_workgroup_info 0
		.amdhsa_system_vgpr_workitem_id 0
		.amdhsa_next_free_vgpr 12
		.amdhsa_next_free_sgpr 25
		.amdhsa_reserve_vcc 1
		.amdhsa_reserve_flat_scratch 0
		.amdhsa_float_round_mode_32 0
		.amdhsa_float_round_mode_16_64 0
		.amdhsa_float_denorm_mode_32 3
		.amdhsa_float_denorm_mode_16_64 3
		.amdhsa_dx10_clamp 1
		.amdhsa_ieee_mode 1
		.amdhsa_fp16_overflow 0
		.amdhsa_workgroup_processor_mode 1
		.amdhsa_memory_ordered 1
		.amdhsa_forward_progress 1
		.amdhsa_shared_vgpr_count 0
		.amdhsa_exception_fp_ieee_invalid_op 0
		.amdhsa_exception_fp_denorm_src 0
		.amdhsa_exception_fp_ieee_div_zero 0
		.amdhsa_exception_fp_ieee_overflow 0
		.amdhsa_exception_fp_ieee_underflow 0
		.amdhsa_exception_fp_ieee_inexact 0
		.amdhsa_exception_int_div_zero 0
	.end_amdhsa_kernel
	.section	.text._ZL32rocblas_gemvt_warp_reduce_kernelILb0ELi256Ei16rocblas_bfloat16ffEviiT3_lPKT2_lT1_lS4_lS5_lS1_lPT4_lS5_li,"axG",@progbits,_ZL32rocblas_gemvt_warp_reduce_kernelILb0ELi256Ei16rocblas_bfloat16ffEviiT3_lPKT2_lT1_lS4_lS5_lS1_lPT4_lS5_li,comdat
.Lfunc_end646:
	.size	_ZL32rocblas_gemvt_warp_reduce_kernelILb0ELi256Ei16rocblas_bfloat16ffEviiT3_lPKT2_lT1_lS4_lS5_lS1_lPT4_lS5_li, .Lfunc_end646-_ZL32rocblas_gemvt_warp_reduce_kernelILb0ELi256Ei16rocblas_bfloat16ffEviiT3_lPKT2_lT1_lS4_lS5_lS1_lPT4_lS5_li
                                        ; -- End function
	.set _ZL32rocblas_gemvt_warp_reduce_kernelILb0ELi256Ei16rocblas_bfloat16ffEviiT3_lPKT2_lT1_lS4_lS5_lS1_lPT4_lS5_li.num_vgpr, 12
	.set _ZL32rocblas_gemvt_warp_reduce_kernelILb0ELi256Ei16rocblas_bfloat16ffEviiT3_lPKT2_lT1_lS4_lS5_lS1_lPT4_lS5_li.num_agpr, 0
	.set _ZL32rocblas_gemvt_warp_reduce_kernelILb0ELi256Ei16rocblas_bfloat16ffEviiT3_lPKT2_lT1_lS4_lS5_lS1_lPT4_lS5_li.numbered_sgpr, 25
	.set _ZL32rocblas_gemvt_warp_reduce_kernelILb0ELi256Ei16rocblas_bfloat16ffEviiT3_lPKT2_lT1_lS4_lS5_lS1_lPT4_lS5_li.num_named_barrier, 0
	.set _ZL32rocblas_gemvt_warp_reduce_kernelILb0ELi256Ei16rocblas_bfloat16ffEviiT3_lPKT2_lT1_lS4_lS5_lS1_lPT4_lS5_li.private_seg_size, 0
	.set _ZL32rocblas_gemvt_warp_reduce_kernelILb0ELi256Ei16rocblas_bfloat16ffEviiT3_lPKT2_lT1_lS4_lS5_lS1_lPT4_lS5_li.uses_vcc, 1
	.set _ZL32rocblas_gemvt_warp_reduce_kernelILb0ELi256Ei16rocblas_bfloat16ffEviiT3_lPKT2_lT1_lS4_lS5_lS1_lPT4_lS5_li.uses_flat_scratch, 0
	.set _ZL32rocblas_gemvt_warp_reduce_kernelILb0ELi256Ei16rocblas_bfloat16ffEviiT3_lPKT2_lT1_lS4_lS5_lS1_lPT4_lS5_li.has_dyn_sized_stack, 0
	.set _ZL32rocblas_gemvt_warp_reduce_kernelILb0ELi256Ei16rocblas_bfloat16ffEviiT3_lPKT2_lT1_lS4_lS5_lS1_lPT4_lS5_li.has_recursion, 0
	.set _ZL32rocblas_gemvt_warp_reduce_kernelILb0ELi256Ei16rocblas_bfloat16ffEviiT3_lPKT2_lT1_lS4_lS5_lS1_lPT4_lS5_li.has_indirect_call, 0
	.section	.AMDGPU.csdata,"",@progbits
; Kernel info:
; codeLenInByte = 1460
; TotalNumSgprs: 27
; NumVgprs: 12
; ScratchSize: 0
; MemoryBound: 0
; FloatMode: 240
; IeeeMode: 1
; LDSByteSize: 128 bytes/workgroup (compile time only)
; SGPRBlocks: 0
; VGPRBlocks: 1
; NumSGPRsForWavesPerEU: 27
; NumVGPRsForWavesPerEU: 12
; Occupancy: 16
; WaveLimiterHint : 1
; COMPUTE_PGM_RSRC2:SCRATCH_EN: 0
; COMPUTE_PGM_RSRC2:USER_SGPR: 6
; COMPUTE_PGM_RSRC2:TRAP_HANDLER: 0
; COMPUTE_PGM_RSRC2:TGID_X_EN: 1
; COMPUTE_PGM_RSRC2:TGID_Y_EN: 0
; COMPUTE_PGM_RSRC2:TGID_Z_EN: 1
; COMPUTE_PGM_RSRC2:TIDIG_COMP_CNT: 0
	.section	.text._ZL32rocblas_gemvt_warp_reduce_kernelILb0ELi256El16rocblas_bfloat16ffEviiT3_lPKT2_lT1_lS4_lS5_lS1_lPT4_lS5_li,"axG",@progbits,_ZL32rocblas_gemvt_warp_reduce_kernelILb0ELi256El16rocblas_bfloat16ffEviiT3_lPKT2_lT1_lS4_lS5_lS1_lPT4_lS5_li,comdat
	.globl	_ZL32rocblas_gemvt_warp_reduce_kernelILb0ELi256El16rocblas_bfloat16ffEviiT3_lPKT2_lT1_lS4_lS5_lS1_lPT4_lS5_li ; -- Begin function _ZL32rocblas_gemvt_warp_reduce_kernelILb0ELi256El16rocblas_bfloat16ffEviiT3_lPKT2_lT1_lS4_lS5_lS1_lPT4_lS5_li
	.p2align	8
	.type	_ZL32rocblas_gemvt_warp_reduce_kernelILb0ELi256El16rocblas_bfloat16ffEviiT3_lPKT2_lT1_lS4_lS5_lS1_lPT4_lS5_li,@function
_ZL32rocblas_gemvt_warp_reduce_kernelILb0ELi256El16rocblas_bfloat16ffEviiT3_lPKT2_lT1_lS4_lS5_lS1_lPT4_lS5_li: ; @_ZL32rocblas_gemvt_warp_reduce_kernelILb0ELi256El16rocblas_bfloat16ffEviiT3_lPKT2_lT1_lS4_lS5_lS1_lPT4_lS5_li
; %bb.0:
	s_clause 0x1
	s_load_dword s30, s[4:5], 0x8
	s_load_dword s28, s[4:5], 0x58
	s_mov_b32 s29, 0
	s_waitcnt lgkmcnt(0)
	v_cmp_eq_f32_e64 s0, s30, 0
	v_cmp_eq_f32_e64 s1, s28, 1.0
	s_and_b32 s0, s0, s1
	s_and_b32 vcc_lo, exec_lo, s0
	s_cbranch_vccnz .LBB647_38
; %bb.1:
	s_load_dwordx8 s[20:27], s[4:5], 0x68
	v_cmp_neq_f32_e64 s8, s30, 0
	s_waitcnt lgkmcnt(0)
	s_mul_i32 s1, s27, s7
	s_mul_hi_u32 s2, s26, s7
	s_mul_i32 s0, s26, s7
	s_add_i32 s1, s2, s1
	s_lshl_b64 s[0:1], s[0:1], 2
	s_add_u32 s0, s20, s0
	s_addc_u32 s9, s21, s1
	s_lshl_b64 s[2:3], s[22:23], 2
	s_add_u32 s1, s0, s2
	v_cmp_eq_u32_e64 s0, 0, v0
	s_addc_u32 s26, s9, s3
	s_and_b32 vcc_lo, exec_lo, s8
	s_cbranch_vccnz .LBB647_5
; %bb.2:
	s_mov_b32 s8, 0
                                        ; implicit-def: $vgpr1
                                        ; implicit-def: $sgpr2_sgpr3
	s_and_saveexec_b32 s9, s0
	s_cbranch_execz .LBB647_6
; %bb.3:
	s_ashr_i32 s2, s6, 31
	v_cmp_eq_f32_e64 s0, s28, 0
	s_mul_hi_u32 s3, s24, s6
	s_mul_i32 s2, s24, s2
	s_mul_i32 s10, s25, s6
	s_add_i32 s2, s3, s2
	s_and_b32 vcc_lo, exec_lo, s0
	s_add_i32 s3, s2, s10
	s_mul_i32 s2, s24, s6
	s_cbranch_vccnz .LBB647_7
; %bb.4:
	s_lshl_b64 s[10:11], s[2:3], 2
	s_add_u32 s10, s1, s10
	s_addc_u32 s11, s26, s11
	s_load_dword s0, s[10:11], 0x0
	s_waitcnt lgkmcnt(0)
	v_mul_f32_e64 v1, s28, s0
	s_branch .LBB647_8
.LBB647_5:
                                        ; implicit-def: $vgpr1
                                        ; implicit-def: $sgpr2_sgpr3
	s_cbranch_execnz .LBB647_9
	s_branch .LBB647_36
.LBB647_6:
	s_or_b32 exec_lo, exec_lo, s9
	s_and_b32 vcc_lo, exec_lo, s8
	s_cbranch_vccnz .LBB647_9
	s_branch .LBB647_36
.LBB647_7:
	v_mov_b32_e32 v1, 0
.LBB647_8:
	s_mov_b32 s29, exec_lo
	s_or_b32 exec_lo, exec_lo, s9
	s_and_b32 vcc_lo, exec_lo, s8
	s_cbranch_vccz .LBB647_36
.LBB647_9:
	s_clause 0x1
	s_load_dwordx16 s[8:23], s[4:5], 0x18
	s_load_dword s5, s[4:5], 0x0
	v_mov_b32_e32 v7, 0
	s_waitcnt lgkmcnt(0)
	s_mul_i32 s3, s15, s7
	v_cmp_gt_i32_e32 vcc_lo, s5, v0
	s_mul_hi_u32 s15, s14, s7
	s_mul_i32 s2, s14, s7
	s_add_i32 s3, s15, s3
	s_mul_i32 s0, s23, s7
	v_cndmask_b32_e32 v1, 0, v0, vcc_lo
	s_mul_hi_u32 s4, s22, s7
	s_lshl_b64 s[34:35], s[2:3], 1
	s_add_i32 s3, s4, s0
	s_add_u32 s0, s8, s34
	v_lshlrev_b32_e32 v1, 1, v1
	s_addc_u32 s2, s9, s35
	s_lshl_b64 s[8:9], s[10:11], 1
	s_mul_hi_u32 s23, s12, s6
	s_add_u32 s0, s0, s8
	s_addc_u32 s2, s2, s9
	s_ashr_i32 s10, s6, 31
	v_add_co_u32 v1, s0, s0, v1
	v_add_co_ci_u32_e64 v2, null, s2, 0, s0
	s_mul_i32 s0, s12, s10
	s_mul_i32 s13, s13, s6
	s_add_i32 s0, s23, s0
	s_mul_i32 s14, s12, s6
	s_add_i32 s15, s0, s13
	s_ashr_i32 s4, s5, 31
	s_lshl_b64 s[8:9], s[14:15], 1
	s_lshr_b32 s2, s4, 24
	v_add_co_u32 v1, vcc_lo, v1, s8
	v_add_co_ci_u32_e64 v2, null, s9, v2, vcc_lo
	s_add_i32 s2, s5, s2
	s_mov_b32 s11, 0
	s_and_b32 s4, s2, 0xffffff00
	s_mul_i32 s2, s22, s7
	s_mov_b32 s7, exec_lo
	v_cmpx_gt_i32_e64 s4, v0
	s_cbranch_execz .LBB647_17
; %bb.10:
	v_mad_u64_u32 v[5:6], null, s20, v0, 0
	s_lshl_b64 s[12:13], s[18:19], 1
	s_lshl_b64 s[8:9], s[2:3], 1
	s_add_u32 s0, s16, s12
	s_addc_u32 s12, s17, s13
	s_add_u32 s0, s0, s8
	s_addc_u32 s8, s12, s9
	v_mov_b32_e32 v3, v6
	v_mov_b32_e32 v8, 0
	;; [unrolled: 1-line block ×4, first 2 shown]
	v_mad_u64_u32 v[3:4], null, s21, v0, v[3:4]
	v_mov_b32_e32 v6, v3
	v_mov_b32_e32 v4, v2
	;; [unrolled: 1-line block ×3, first 2 shown]
	v_lshlrev_b64 v[5:6], 1, v[5:6]
	v_add_co_u32 v5, vcc_lo, s0, v5
	v_add_co_ci_u32_e64 v6, null, s8, v6, vcc_lo
	s_lshl_b64 s[8:9], s[20:21], 9
	s_inst_prefetch 0x1
	s_branch .LBB647_12
	.p2align	6
.LBB647_11:                             ;   in Loop: Header=BB647_12 Depth=1
	s_or_b32 exec_lo, exec_lo, s0
	v_add_nc_u32_e32 v9, 0x100, v9
	v_and_b32_e32 v10, 0xffff0000, v11
	v_add_co_u32 v3, vcc_lo, 0x200, v3
	v_add_co_ci_u32_e64 v4, null, 0, v4, vcc_lo
	v_cmp_le_i32_e32 vcc_lo, s4, v9
	v_add_co_u32 v5, s0, v5, s8
	v_add_f32_e32 v7, v7, v10
	v_add_co_ci_u32_e64 v6, null, s9, v6, s0
	s_or_b32 s11, vcc_lo, s11
	s_andn2_b32 exec_lo, exec_lo, s11
	s_cbranch_execz .LBB647_16
.LBB647_12:                             ; =>This Inner Loop Header: Depth=1
	global_load_ushort v10, v[5:6], off
	global_load_ushort v11, v[3:4], off
	s_waitcnt vmcnt(1)
	v_lshlrev_b32_e32 v10, 16, v10
	s_waitcnt vmcnt(0)
	v_lshlrev_b32_e32 v11, 16, v11
	v_mul_f32_e32 v10, v11, v10
	v_and_b32_e32 v11, 0x7f800000, v10
	v_cmp_ne_u32_e32 vcc_lo, 0x7f800000, v11
                                        ; implicit-def: $vgpr11
	s_and_saveexec_b32 s0, vcc_lo
	s_xor_b32 s0, exec_lo, s0
; %bb.13:                               ;   in Loop: Header=BB647_12 Depth=1
	v_bfe_u32 v11, v10, 16, 1
	v_add3_u32 v11, v10, v11, 0x7fff
                                        ; implicit-def: $vgpr10
; %bb.14:                               ;   in Loop: Header=BB647_12 Depth=1
	s_andn2_saveexec_b32 s0, s0
	s_cbranch_execz .LBB647_11
; %bb.15:                               ;   in Loop: Header=BB647_12 Depth=1
	v_or_b32_e32 v11, 0x10000, v10
	v_cmp_eq_u32_sdwa vcc_lo, v10, v8 src0_sel:WORD_0 src1_sel:DWORD
	v_cndmask_b32_e32 v11, v11, v10, vcc_lo
	s_branch .LBB647_11
.LBB647_16:
	s_inst_prefetch 0x2
	s_or_b32 exec_lo, exec_lo, s11
.LBB647_17:
	s_or_b32 exec_lo, exec_lo, s7
	v_add_nc_u32_e32 v3, s4, v0
	s_mov_b32 s0, exec_lo
	v_cmpx_gt_i32_e64 s5, v3
	s_cbranch_execz .LBB647_23
; %bb.18:
	v_ashrrev_i32_e32 v5, 31, v3
	v_mul_lo_u32 v6, s21, v3
	v_mad_u64_u32 v[3:4], null, s20, v3, 0
	s_lshl_b64 s[2:3], s[2:3], 1
	v_mul_lo_u32 v5, s20, v5
	s_add_u32 s5, s16, s2
	s_addc_u32 s7, s17, s3
	s_lshl_b64 s[2:3], s[18:19], 1
	s_add_u32 s8, s5, s2
	s_addc_u32 s7, s7, s3
	s_ashr_i32 s5, s4, 31
	v_add3_u32 v4, v4, v5, v6
	s_lshl_b64 s[2:3], s[4:5], 1
	v_lshlrev_b64 v[3:4], 1, v[3:4]
	v_add_co_u32 v3, vcc_lo, s8, v3
	v_add_co_ci_u32_e64 v4, null, s7, v4, vcc_lo
	v_add_co_u32 v1, vcc_lo, v1, s2
	v_add_co_ci_u32_e64 v2, null, s3, v2, vcc_lo
	global_load_ushort v3, v[3:4], off
	global_load_ushort v1, v[1:2], off
	s_waitcnt vmcnt(1)
	v_lshlrev_b32_e32 v2, 16, v3
	s_waitcnt vmcnt(0)
	v_lshlrev_b32_e32 v1, 16, v1
	v_mul_f32_e32 v1, v1, v2
	v_and_b32_e32 v2, 0x7f800000, v1
	v_cmp_ne_u32_e32 vcc_lo, 0x7f800000, v2
                                        ; implicit-def: $vgpr2
	s_and_saveexec_b32 s2, vcc_lo
	s_xor_b32 s2, exec_lo, s2
; %bb.19:
	v_bfe_u32 v2, v1, 16, 1
	v_add3_u32 v2, v1, v2, 0x7fff
                                        ; implicit-def: $vgpr1
; %bb.20:
	s_andn2_saveexec_b32 s2, s2
; %bb.21:
	v_mov_b32_e32 v2, 0
	v_or_b32_e32 v3, 0x10000, v1
	v_cmp_eq_u32_sdwa vcc_lo, v1, v2 src0_sel:WORD_0 src1_sel:DWORD
	v_cndmask_b32_e32 v2, v3, v1, vcc_lo
; %bb.22:
	s_or_b32 exec_lo, exec_lo, s2
	v_and_b32_e32 v1, 0xffff0000, v2
	v_add_f32_e32 v7, v7, v1
.LBB647_23:
	s_or_b32 exec_lo, exec_lo, s0
	v_and_b32_e32 v5, 31, v0
	v_cmp_gt_u32_e32 vcc_lo, 32, v0
	v_lshlrev_b32_e32 v1, 2, v5
	s_and_saveexec_b32 s0, vcc_lo
; %bb.24:
	v_mov_b32_e32 v2, 0
	ds_write_b32 v1, v2
; %bb.25:
	s_or_b32 exec_lo, exec_lo, s0
	v_mbcnt_lo_u32_b32 v4, -1, 0
	s_mov_b32 s2, exec_lo
	s_waitcnt lgkmcnt(0)
	s_barrier
	buffer_gl0_inv
	v_lshl_or_b32 v2, v4, 2, 64
	v_cmp_gt_u32_e64 s0, 24, v4
	ds_bpermute_b32 v2, v2, v7
	v_cndmask_b32_e64 v3, 0, 8, s0
	v_cmp_gt_u32_e64 s0, 28, v4
	v_add_lshl_u32 v3, v3, v4, 2
	s_waitcnt lgkmcnt(0)
	v_add_f32_e32 v6, v7, v2
	v_cndmask_b32_e64 v2, 0, 4, s0
	v_cmp_gt_u32_e64 s0, 30, v4
	ds_bpermute_b32 v3, v3, v6
	v_add_lshl_u32 v2, v2, v4, 2
	s_waitcnt lgkmcnt(0)
	v_add_f32_e32 v6, v6, v3
	v_cndmask_b32_e64 v3, 0, 2, s0
	v_cmp_ne_u32_e64 s0, 31, v4
	ds_bpermute_b32 v7, v2, v6
	v_add_lshl_u32 v3, v3, v4, 2
	v_add_co_ci_u32_e64 v4, null, 0, v4, s0
	v_lshlrev_b32_e32 v4, 2, v4
	s_waitcnt lgkmcnt(0)
	v_add_f32_e32 v6, v6, v7
	ds_bpermute_b32 v7, v3, v6
	s_waitcnt lgkmcnt(0)
	v_add_f32_e32 v6, v6, v7
	ds_bpermute_b32 v7, v4, v6
	v_cmpx_eq_u32_e32 0, v5
	s_cbranch_execz .LBB647_27
; %bb.26:
	v_lshrrev_b32_e32 v5, 3, v0
	s_waitcnt lgkmcnt(0)
	v_add_f32_e32 v6, v6, v7
	v_and_b32_e32 v5, 28, v5
	ds_write_b32 v5, v6
.LBB647_27:
	s_or_b32 exec_lo, exec_lo, s2
	v_mov_b32_e32 v5, 0
	s_mov_b32 s2, exec_lo
	s_waitcnt lgkmcnt(0)
	s_barrier
	buffer_gl0_inv
	v_cmpx_gt_u32_e32 8, v0
; %bb.28:
	ds_read_b32 v5, v1
; %bb.29:
	s_or_b32 exec_lo, exec_lo, s2
	s_and_saveexec_b32 s0, vcc_lo
	s_cbranch_execz .LBB647_31
; %bb.30:
	s_waitcnt lgkmcnt(0)
	ds_bpermute_b32 v1, v2, v5
	s_waitcnt lgkmcnt(0)
	v_add_f32_e32 v1, v5, v1
	ds_bpermute_b32 v2, v3, v1
	s_waitcnt lgkmcnt(0)
	v_add_f32_e32 v1, v1, v2
	;; [unrolled: 3-line block ×3, first 2 shown]
.LBB647_31:
	s_or_b32 exec_lo, exec_lo, s0
	s_mov_b32 s0, exec_lo
                                        ; implicit-def: $vgpr1
                                        ; implicit-def: $sgpr2_sgpr3
	v_cmpx_eq_u32_e32 0, v0
	s_cbranch_execz .LBB647_35
; %bb.32:
	v_cmp_eq_f32_e64 s4, s28, 0
	s_mul_i32 s2, s24, s10
	s_mul_hi_u32 s3, s24, s6
	s_waitcnt lgkmcnt(0)
	v_mul_f32_e32 v1, s30, v5
	s_add_i32 s2, s3, s2
	s_mul_i32 s3, s25, s6
	s_and_b32 vcc_lo, exec_lo, s4
	s_add_i32 s3, s2, s3
	s_mul_i32 s2, s24, s6
	s_cbranch_vccnz .LBB647_34
; %bb.33:
	s_lshl_b64 s[4:5], s[2:3], 2
	s_add_u32 s4, s1, s4
	s_addc_u32 s5, s26, s5
	s_load_dword s4, s[4:5], 0x0
	s_waitcnt lgkmcnt(0)
	v_fmac_f32_e64 v1, s28, s4
.LBB647_34:
	s_or_b32 s29, s29, exec_lo
.LBB647_35:
	s_or_b32 exec_lo, exec_lo, s0
.LBB647_36:
	s_and_saveexec_b32 s0, s29
	s_cbranch_execz .LBB647_38
; %bb.37:
	s_lshl_b64 s[2:3], s[2:3], 2
	v_mov_b32_e32 v0, 0
	s_add_u32 s0, s1, s2
	s_addc_u32 s1, s26, s3
	global_store_dword v0, v1, s[0:1]
.LBB647_38:
	s_endpgm
	.section	.rodata,"a",@progbits
	.p2align	6, 0x0
	.amdhsa_kernel _ZL32rocblas_gemvt_warp_reduce_kernelILb0ELi256El16rocblas_bfloat16ffEviiT3_lPKT2_lT1_lS4_lS5_lS1_lPT4_lS5_li
		.amdhsa_group_segment_fixed_size 128
		.amdhsa_private_segment_fixed_size 0
		.amdhsa_kernarg_size 140
		.amdhsa_user_sgpr_count 6
		.amdhsa_user_sgpr_private_segment_buffer 1
		.amdhsa_user_sgpr_dispatch_ptr 0
		.amdhsa_user_sgpr_queue_ptr 0
		.amdhsa_user_sgpr_kernarg_segment_ptr 1
		.amdhsa_user_sgpr_dispatch_id 0
		.amdhsa_user_sgpr_flat_scratch_init 0
		.amdhsa_user_sgpr_private_segment_size 0
		.amdhsa_wavefront_size32 1
		.amdhsa_uses_dynamic_stack 0
		.amdhsa_system_sgpr_private_segment_wavefront_offset 0
		.amdhsa_system_sgpr_workgroup_id_x 1
		.amdhsa_system_sgpr_workgroup_id_y 0
		.amdhsa_system_sgpr_workgroup_id_z 1
		.amdhsa_system_sgpr_workgroup_info 0
		.amdhsa_system_vgpr_workitem_id 0
		.amdhsa_next_free_vgpr 12
		.amdhsa_next_free_sgpr 36
		.amdhsa_reserve_vcc 1
		.amdhsa_reserve_flat_scratch 0
		.amdhsa_float_round_mode_32 0
		.amdhsa_float_round_mode_16_64 0
		.amdhsa_float_denorm_mode_32 3
		.amdhsa_float_denorm_mode_16_64 3
		.amdhsa_dx10_clamp 1
		.amdhsa_ieee_mode 1
		.amdhsa_fp16_overflow 0
		.amdhsa_workgroup_processor_mode 1
		.amdhsa_memory_ordered 1
		.amdhsa_forward_progress 1
		.amdhsa_shared_vgpr_count 0
		.amdhsa_exception_fp_ieee_invalid_op 0
		.amdhsa_exception_fp_denorm_src 0
		.amdhsa_exception_fp_ieee_div_zero 0
		.amdhsa_exception_fp_ieee_overflow 0
		.amdhsa_exception_fp_ieee_underflow 0
		.amdhsa_exception_fp_ieee_inexact 0
		.amdhsa_exception_int_div_zero 0
	.end_amdhsa_kernel
	.section	.text._ZL32rocblas_gemvt_warp_reduce_kernelILb0ELi256El16rocblas_bfloat16ffEviiT3_lPKT2_lT1_lS4_lS5_lS1_lPT4_lS5_li,"axG",@progbits,_ZL32rocblas_gemvt_warp_reduce_kernelILb0ELi256El16rocblas_bfloat16ffEviiT3_lPKT2_lT1_lS4_lS5_lS1_lPT4_lS5_li,comdat
.Lfunc_end647:
	.size	_ZL32rocblas_gemvt_warp_reduce_kernelILb0ELi256El16rocblas_bfloat16ffEviiT3_lPKT2_lT1_lS4_lS5_lS1_lPT4_lS5_li, .Lfunc_end647-_ZL32rocblas_gemvt_warp_reduce_kernelILb0ELi256El16rocblas_bfloat16ffEviiT3_lPKT2_lT1_lS4_lS5_lS1_lPT4_lS5_li
                                        ; -- End function
	.set _ZL32rocblas_gemvt_warp_reduce_kernelILb0ELi256El16rocblas_bfloat16ffEviiT3_lPKT2_lT1_lS4_lS5_lS1_lPT4_lS5_li.num_vgpr, 12
	.set _ZL32rocblas_gemvt_warp_reduce_kernelILb0ELi256El16rocblas_bfloat16ffEviiT3_lPKT2_lT1_lS4_lS5_lS1_lPT4_lS5_li.num_agpr, 0
	.set _ZL32rocblas_gemvt_warp_reduce_kernelILb0ELi256El16rocblas_bfloat16ffEviiT3_lPKT2_lT1_lS4_lS5_lS1_lPT4_lS5_li.numbered_sgpr, 36
	.set _ZL32rocblas_gemvt_warp_reduce_kernelILb0ELi256El16rocblas_bfloat16ffEviiT3_lPKT2_lT1_lS4_lS5_lS1_lPT4_lS5_li.num_named_barrier, 0
	.set _ZL32rocblas_gemvt_warp_reduce_kernelILb0ELi256El16rocblas_bfloat16ffEviiT3_lPKT2_lT1_lS4_lS5_lS1_lPT4_lS5_li.private_seg_size, 0
	.set _ZL32rocblas_gemvt_warp_reduce_kernelILb0ELi256El16rocblas_bfloat16ffEviiT3_lPKT2_lT1_lS4_lS5_lS1_lPT4_lS5_li.uses_vcc, 1
	.set _ZL32rocblas_gemvt_warp_reduce_kernelILb0ELi256El16rocblas_bfloat16ffEviiT3_lPKT2_lT1_lS4_lS5_lS1_lPT4_lS5_li.uses_flat_scratch, 0
	.set _ZL32rocblas_gemvt_warp_reduce_kernelILb0ELi256El16rocblas_bfloat16ffEviiT3_lPKT2_lT1_lS4_lS5_lS1_lPT4_lS5_li.has_dyn_sized_stack, 0
	.set _ZL32rocblas_gemvt_warp_reduce_kernelILb0ELi256El16rocblas_bfloat16ffEviiT3_lPKT2_lT1_lS4_lS5_lS1_lPT4_lS5_li.has_recursion, 0
	.set _ZL32rocblas_gemvt_warp_reduce_kernelILb0ELi256El16rocblas_bfloat16ffEviiT3_lPKT2_lT1_lS4_lS5_lS1_lPT4_lS5_li.has_indirect_call, 0
	.section	.AMDGPU.csdata,"",@progbits
; Kernel info:
; codeLenInByte = 1540
; TotalNumSgprs: 38
; NumVgprs: 12
; ScratchSize: 0
; MemoryBound: 0
; FloatMode: 240
; IeeeMode: 1
; LDSByteSize: 128 bytes/workgroup (compile time only)
; SGPRBlocks: 0
; VGPRBlocks: 1
; NumSGPRsForWavesPerEU: 38
; NumVGPRsForWavesPerEU: 12
; Occupancy: 16
; WaveLimiterHint : 1
; COMPUTE_PGM_RSRC2:SCRATCH_EN: 0
; COMPUTE_PGM_RSRC2:USER_SGPR: 6
; COMPUTE_PGM_RSRC2:TRAP_HANDLER: 0
; COMPUTE_PGM_RSRC2:TGID_X_EN: 1
; COMPUTE_PGM_RSRC2:TGID_Y_EN: 0
; COMPUTE_PGM_RSRC2:TGID_Z_EN: 1
; COMPUTE_PGM_RSRC2:TIDIG_COMP_CNT: 0
	.section	.text._ZL20rocblas_gemvt_kernelILb0ELi256E16rocblas_bfloat16PKffEviiT2_lPKT1_lilS6_lilS3_lPT3_lili,"axG",@progbits,_ZL20rocblas_gemvt_kernelILb0ELi256E16rocblas_bfloat16PKffEviiT2_lPKT1_lilS6_lilS3_lPT3_lili,comdat
	.globl	_ZL20rocblas_gemvt_kernelILb0ELi256E16rocblas_bfloat16PKffEviiT2_lPKT1_lilS6_lilS3_lPT3_lili ; -- Begin function _ZL20rocblas_gemvt_kernelILb0ELi256E16rocblas_bfloat16PKffEviiT2_lPKT1_lilS6_lilS3_lPT3_lili
	.p2align	8
	.type	_ZL20rocblas_gemvt_kernelILb0ELi256E16rocblas_bfloat16PKffEviiT2_lPKT1_lilS6_lilS3_lPT3_lili,@function
_ZL20rocblas_gemvt_kernelILb0ELi256E16rocblas_bfloat16PKffEviiT2_lPKT1_lilS6_lilS3_lPT3_lili: ; @_ZL20rocblas_gemvt_kernelILb0ELi256E16rocblas_bfloat16PKffEviiT2_lPKT1_lilS6_lilS3_lPT3_lili
; %bb.0:
	s_clause 0x1
	s_load_dwordx8 s[8:15], s[4:5], 0x8
	s_load_dwordx8 s[16:23], s[4:5], 0x50
	s_waitcnt lgkmcnt(0)
	s_mul_i32 s1, s11, s7
	s_mul_hi_u32 s2, s10, s7
	s_mul_i32 s0, s10, s7
	s_add_i32 s1, s2, s1
	s_mul_i32 s2, s21, s7
	s_lshl_b64 s[0:1], s[0:1], 2
	s_mul_hi_u32 s3, s20, s7
	s_add_u32 s0, s8, s0
	s_addc_u32 s1, s9, s1
	s_add_i32 s3, s3, s2
	s_mul_i32 s2, s20, s7
	s_mov_b32 s21, 0
	s_lshl_b64 s[2:3], s[2:3], 2
	s_add_u32 s2, s18, s2
	s_addc_u32 s3, s19, s3
	s_load_dword s24, s[0:1], 0x0
	s_load_dword s20, s[2:3], 0x0
	s_waitcnt lgkmcnt(0)
	v_cmp_eq_f32_e64 s0, s24, 0
	v_cmp_eq_f32_e64 s1, s20, 1.0
	s_and_b32 s0, s0, s1
	s_and_b32 vcc_lo, exec_lo, s0
	s_cbranch_vccnz .LBB648_45
; %bb.1:
	s_clause 0x2
	s_load_dwordx2 s[0:1], s[4:5], 0x80
	s_load_dwordx2 s[2:3], s[4:5], 0x70
	s_load_dword s25, s[4:5], 0x78
	s_waitcnt lgkmcnt(0)
	s_mul_i32 s1, s1, s7
	s_mul_hi_u32 s8, s0, s7
	s_mul_i32 s0, s0, s7
	s_add_i32 s1, s8, s1
	v_cmp_neq_f32_e64 s8, s24, 0
	s_lshl_b64 s[0:1], s[0:1], 2
	s_add_u32 s9, s22, s0
	s_addc_u32 s10, s23, s1
	s_lshl_b64 s[0:1], s[2:3], 2
	s_add_u32 s18, s9, s0
	v_cmp_eq_u32_e64 s0, 0, v0
	s_addc_u32 s19, s10, s1
	s_and_b32 vcc_lo, exec_lo, s8
	s_cbranch_vccnz .LBB648_5
; %bb.2:
	s_mov_b32 s1, 0
                                        ; implicit-def: $vgpr1
                                        ; implicit-def: $sgpr2_sgpr3
	s_and_saveexec_b32 s8, s0
	s_cbranch_execz .LBB648_6
; %bb.3:
	v_cmp_eq_f32_e64 s0, s20, 0
	s_mul_hi_i32 s3, s25, s6
	s_mul_i32 s2, s25, s6
	s_and_b32 vcc_lo, exec_lo, s0
	s_cbranch_vccnz .LBB648_7
; %bb.4:
	s_lshl_b64 s[10:11], s[2:3], 2
	s_add_u32 s10, s18, s10
	s_addc_u32 s11, s19, s11
	s_load_dword s0, s[10:11], 0x0
	s_waitcnt lgkmcnt(0)
	v_mul_f32_e64 v1, s20, s0
	s_branch .LBB648_8
.LBB648_5:
                                        ; implicit-def: $vgpr1
                                        ; implicit-def: $sgpr2_sgpr3
	s_cbranch_execnz .LBB648_9
	s_branch .LBB648_43
.LBB648_6:
	s_or_b32 exec_lo, exec_lo, s8
	s_and_b32 vcc_lo, exec_lo, s1
	s_cbranch_vccnz .LBB648_9
	s_branch .LBB648_43
.LBB648_7:
	v_mov_b32_e32 v1, 0
.LBB648_8:
	s_mov_b32 s21, exec_lo
	s_or_b32 exec_lo, exec_lo, s8
	s_and_b32 vcc_lo, exec_lo, s1
	s_cbranch_vccz .LBB648_43
.LBB648_9:
	s_clause 0x4
	s_load_dwordx4 s[0:3], s[4:5], 0x30
	s_load_dword s22, s[4:5], 0x0
	s_load_dword s23, s[4:5], 0x28
	s_load_dwordx2 s[8:9], s[4:5], 0x40
	s_load_dword s4, s[4:5], 0x48
	s_mul_i32 s11, s17, s7
	s_mul_hi_u32 s17, s16, s7
	s_mul_i32 s10, s16, s7
	s_add_i32 s11, s17, s11
	v_mov_b32_e32 v7, 0
	s_waitcnt lgkmcnt(0)
	s_mul_i32 s1, s1, s7
	v_cmp_gt_i32_e32 vcc_lo, s22, v0
	s_mul_hi_u32 s5, s0, s7
	s_mul_i32 s0, s0, s7
	s_add_i32 s1, s5, s1
	s_mul_hi_i32 s17, s23, s6
	v_cndmask_b32_e32 v1, 0, v0, vcc_lo
	s_lshl_b64 s[0:1], s[0:1], 1
	s_mul_i32 s16, s23, s6
	s_add_u32 s5, s12, s0
	s_addc_u32 s7, s13, s1
	v_lshlrev_b32_e32 v1, 1, v1
	s_lshl_b64 s[0:1], s[14:15], 1
	s_add_u32 s5, s5, s0
	s_addc_u32 s7, s7, s1
	v_add_co_u32 v1, s5, s5, v1
	v_add_co_ci_u32_e64 v2, null, s7, 0, s5
	s_ashr_i32 s12, s22, 31
	s_lshl_b64 s[0:1], s[16:17], 1
	s_lshr_b32 s12, s12, 24
	v_add_co_u32 v1, vcc_lo, v1, s0
	s_add_i32 s5, s22, s12
	v_add_co_ci_u32_e64 v2, null, s1, v2, vcc_lo
	s_and_b32 s0, s5, 0xffffff00
	s_cmpk_lt_i32 s22, 0x100
	s_mov_b32 s1, 0
	s_cbranch_scc1 .LBB648_16
; %bb.10:
	v_mad_i64_i32 v[3:4], null, s4, v0, 0
	s_lshl_b64 s[14:15], s[8:9], 1
	s_ashr_i32 s5, s4, 31
	s_lshl_b64 s[12:13], s[10:11], 1
	s_add_u32 s7, s2, s14
	s_addc_u32 s14, s3, s15
	s_add_u32 s7, s7, s12
	v_lshlrev_b64 v[3:4], 1, v[3:4]
	s_addc_u32 s12, s14, s13
	v_mov_b32_e32 v6, v2
	v_mov_b32_e32 v8, 0
	;; [unrolled: 1-line block ×4, first 2 shown]
	v_add_co_u32 v3, vcc_lo, s7, v3
	v_add_co_ci_u32_e64 v4, null, s12, v4, vcc_lo
	s_lshl_b64 s[12:13], s[4:5], 9
	s_inst_prefetch 0x1
	s_branch .LBB648_12
	.p2align	6
.LBB648_11:                             ;   in Loop: Header=BB648_12 Depth=1
	s_or_b32 exec_lo, exec_lo, s5
	v_and_b32_e32 v9, 0xffff0000, v10
	v_add_co_u32 v3, vcc_lo, v3, s12
	v_add_co_ci_u32_e64 v4, null, s13, v4, vcc_lo
	v_add_co_u32 v5, vcc_lo, 0x200, v5
	v_add_f32_e32 v7, v7, v9
	v_add_co_ci_u32_e64 v6, null, 0, v6, vcc_lo
	s_addk_i32 s1, 0x100
	s_cmp_ge_i32 s1, s0
	s_cbranch_scc1 .LBB648_16
.LBB648_12:                             ; =>This Inner Loop Header: Depth=1
	global_load_ushort v9, v[3:4], off
	global_load_ushort v10, v[5:6], off
	s_waitcnt vmcnt(1)
	v_lshlrev_b32_e32 v9, 16, v9
	s_waitcnt vmcnt(0)
	v_lshlrev_b32_e32 v10, 16, v10
	v_mul_f32_e32 v9, v10, v9
	v_and_b32_e32 v10, 0x7f800000, v9
	v_cmp_ne_u32_e32 vcc_lo, 0x7f800000, v10
                                        ; implicit-def: $vgpr10
	s_and_saveexec_b32 s5, vcc_lo
	s_xor_b32 s5, exec_lo, s5
; %bb.13:                               ;   in Loop: Header=BB648_12 Depth=1
	v_bfe_u32 v10, v9, 16, 1
	v_add3_u32 v10, v9, v10, 0x7fff
                                        ; implicit-def: $vgpr9
; %bb.14:                               ;   in Loop: Header=BB648_12 Depth=1
	s_andn2_saveexec_b32 s5, s5
	s_cbranch_execz .LBB648_11
; %bb.15:                               ;   in Loop: Header=BB648_12 Depth=1
	v_or_b32_e32 v10, 0x10000, v9
	v_cmp_eq_u32_sdwa vcc_lo, v9, v8 src0_sel:WORD_0 src1_sel:DWORD
	v_cndmask_b32_e32 v10, v10, v9, vcc_lo
	s_branch .LBB648_11
.LBB648_16:
	s_inst_prefetch 0x2
	v_add_nc_u32_e32 v3, s0, v0
	s_mov_b32 s5, exec_lo
	v_cmpx_gt_i32_e64 s22, v3
	s_cbranch_execz .LBB648_22
; %bb.17:
	v_mad_i64_i32 v[3:4], null, s4, v3, 0
	s_lshl_b64 s[10:11], s[10:11], 1
	s_add_u32 s1, s2, s10
	s_addc_u32 s4, s3, s11
	s_lshl_b64 s[2:3], s[8:9], 1
	s_add_u32 s2, s1, s2
	v_lshlrev_b64 v[3:4], 1, v[3:4]
	s_addc_u32 s3, s4, s3
	s_ashr_i32 s1, s0, 31
	s_lshl_b64 s[0:1], s[0:1], 1
	v_add_co_u32 v3, vcc_lo, s2, v3
	v_add_co_ci_u32_e64 v4, null, s3, v4, vcc_lo
	v_add_co_u32 v1, vcc_lo, v1, s0
	v_add_co_ci_u32_e64 v2, null, s1, v2, vcc_lo
	global_load_ushort v3, v[3:4], off
	global_load_ushort v1, v[1:2], off
	s_waitcnt vmcnt(1)
	v_lshlrev_b32_e32 v2, 16, v3
	s_waitcnt vmcnt(0)
	v_lshlrev_b32_e32 v1, 16, v1
	v_mul_f32_e32 v1, v1, v2
	v_and_b32_e32 v2, 0x7f800000, v1
	v_cmp_ne_u32_e32 vcc_lo, 0x7f800000, v2
                                        ; implicit-def: $vgpr2
	s_and_saveexec_b32 s0, vcc_lo
	s_xor_b32 s0, exec_lo, s0
; %bb.18:
	v_bfe_u32 v2, v1, 16, 1
	v_add3_u32 v2, v1, v2, 0x7fff
                                        ; implicit-def: $vgpr1
; %bb.19:
	s_andn2_saveexec_b32 s0, s0
; %bb.20:
	v_mov_b32_e32 v2, 0
	v_or_b32_e32 v3, 0x10000, v1
	v_cmp_eq_u32_sdwa vcc_lo, v1, v2 src0_sel:WORD_0 src1_sel:DWORD
	v_cndmask_b32_e32 v2, v3, v1, vcc_lo
; %bb.21:
	s_or_b32 exec_lo, exec_lo, s0
	v_and_b32_e32 v1, 0xffff0000, v2
	v_add_f32_e32 v7, v7, v1
.LBB648_22:
	s_or_b32 exec_lo, exec_lo, s5
	v_lshlrev_b32_e32 v1, 2, v0
	s_mov_b32 s0, exec_lo
	ds_write_b32 v1, v7
	s_waitcnt lgkmcnt(0)
	s_barrier
	buffer_gl0_inv
	v_cmpx_gt_u32_e32 0x80, v0
	s_cbranch_execz .LBB648_24
; %bb.23:
	ds_read2st64_b32 v[2:3], v1 offset1:2
	s_waitcnt lgkmcnt(0)
	v_add_f32_e32 v2, v3, v2
	ds_write_b32 v1, v2
.LBB648_24:
	s_or_b32 exec_lo, exec_lo, s0
	s_mov_b32 s0, exec_lo
	s_waitcnt lgkmcnt(0)
	s_barrier
	buffer_gl0_inv
	v_cmpx_gt_u32_e32 64, v0
	s_cbranch_execz .LBB648_26
; %bb.25:
	ds_read2st64_b32 v[2:3], v1 offset1:1
	s_waitcnt lgkmcnt(0)
	v_add_f32_e32 v2, v3, v2
	ds_write_b32 v1, v2
.LBB648_26:
	s_or_b32 exec_lo, exec_lo, s0
	s_mov_b32 s0, exec_lo
	s_waitcnt lgkmcnt(0)
	s_barrier
	buffer_gl0_inv
	v_cmpx_gt_u32_e32 32, v0
	s_cbranch_execz .LBB648_28
; %bb.27:
	ds_read2_b32 v[2:3], v1 offset1:32
	s_waitcnt lgkmcnt(0)
	v_add_f32_e32 v2, v3, v2
	ds_write_b32 v1, v2
.LBB648_28:
	s_or_b32 exec_lo, exec_lo, s0
	s_mov_b32 s0, exec_lo
	s_waitcnt lgkmcnt(0)
	s_barrier
	buffer_gl0_inv
	v_cmpx_gt_u32_e32 16, v0
	s_cbranch_execz .LBB648_30
; %bb.29:
	ds_read2_b32 v[2:3], v1 offset1:16
	s_waitcnt lgkmcnt(0)
	v_add_f32_e32 v2, v3, v2
	ds_write_b32 v1, v2
.LBB648_30:
	s_or_b32 exec_lo, exec_lo, s0
	s_mov_b32 s0, exec_lo
	s_waitcnt lgkmcnt(0)
	s_barrier
	buffer_gl0_inv
	v_cmpx_gt_u32_e32 8, v0
	s_cbranch_execz .LBB648_32
; %bb.31:
	ds_read2_b32 v[2:3], v1 offset1:8
	s_waitcnt lgkmcnt(0)
	v_add_f32_e32 v2, v3, v2
	ds_write_b32 v1, v2
.LBB648_32:
	s_or_b32 exec_lo, exec_lo, s0
	s_mov_b32 s0, exec_lo
	s_waitcnt lgkmcnt(0)
	s_barrier
	buffer_gl0_inv
	v_cmpx_gt_u32_e32 4, v0
	s_cbranch_execz .LBB648_34
; %bb.33:
	ds_read2_b32 v[2:3], v1 offset1:4
	s_waitcnt lgkmcnt(0)
	v_add_f32_e32 v2, v3, v2
	ds_write_b32 v1, v2
.LBB648_34:
	s_or_b32 exec_lo, exec_lo, s0
	s_mov_b32 s0, exec_lo
	s_waitcnt lgkmcnt(0)
	s_barrier
	buffer_gl0_inv
	v_cmpx_gt_u32_e32 2, v0
	s_cbranch_execz .LBB648_36
; %bb.35:
	ds_read2_b32 v[2:3], v1 offset1:2
	s_waitcnt lgkmcnt(0)
	v_add_f32_e32 v2, v3, v2
	ds_write_b32 v1, v2
.LBB648_36:
	s_or_b32 exec_lo, exec_lo, s0
	v_cmp_eq_u32_e32 vcc_lo, 0, v0
	s_waitcnt lgkmcnt(0)
	s_barrier
	buffer_gl0_inv
	s_and_saveexec_b32 s0, vcc_lo
	s_cbranch_execz .LBB648_38
; %bb.37:
	v_mov_b32_e32 v2, 0
	ds_read_b64 v[0:1], v2
	s_waitcnt lgkmcnt(0)
	v_add_f32_e32 v0, v1, v0
	ds_write_b32 v2, v0
.LBB648_38:
	s_or_b32 exec_lo, exec_lo, s0
	s_waitcnt lgkmcnt(0)
	s_barrier
	buffer_gl0_inv
                                        ; implicit-def: $vgpr1
                                        ; implicit-def: $sgpr2_sgpr3
	s_and_saveexec_b32 s0, vcc_lo
	s_cbranch_execz .LBB648_42
; %bb.39:
	v_mov_b32_e32 v0, 0
	v_cmp_eq_f32_e64 s1, s20, 0
	s_mul_hi_i32 s3, s25, s6
	s_mul_i32 s2, s25, s6
	ds_read_b32 v0, v0
	s_and_b32 vcc_lo, exec_lo, s1
	s_waitcnt lgkmcnt(0)
	v_mul_f32_e32 v1, s24, v0
	s_cbranch_vccnz .LBB648_41
; %bb.40:
	s_lshl_b64 s[4:5], s[2:3], 2
	s_add_u32 s4, s18, s4
	s_addc_u32 s5, s19, s5
	s_load_dword s1, s[4:5], 0x0
	s_waitcnt lgkmcnt(0)
	v_fmac_f32_e64 v1, s20, s1
.LBB648_41:
	s_or_b32 s21, s21, exec_lo
.LBB648_42:
	s_or_b32 exec_lo, exec_lo, s0
.LBB648_43:
	s_and_saveexec_b32 s0, s21
	s_cbranch_execz .LBB648_45
; %bb.44:
	s_lshl_b64 s[0:1], s[2:3], 2
	v_mov_b32_e32 v0, 0
	s_add_u32 s0, s18, s0
	s_addc_u32 s1, s19, s1
	global_store_dword v0, v1, s[0:1]
.LBB648_45:
	s_endpgm
	.section	.rodata,"a",@progbits
	.p2align	6, 0x0
	.amdhsa_kernel _ZL20rocblas_gemvt_kernelILb0ELi256E16rocblas_bfloat16PKffEviiT2_lPKT1_lilS6_lilS3_lPT3_lili
		.amdhsa_group_segment_fixed_size 1024
		.amdhsa_private_segment_fixed_size 0
		.amdhsa_kernarg_size 140
		.amdhsa_user_sgpr_count 6
		.amdhsa_user_sgpr_private_segment_buffer 1
		.amdhsa_user_sgpr_dispatch_ptr 0
		.amdhsa_user_sgpr_queue_ptr 0
		.amdhsa_user_sgpr_kernarg_segment_ptr 1
		.amdhsa_user_sgpr_dispatch_id 0
		.amdhsa_user_sgpr_flat_scratch_init 0
		.amdhsa_user_sgpr_private_segment_size 0
		.amdhsa_wavefront_size32 1
		.amdhsa_uses_dynamic_stack 0
		.amdhsa_system_sgpr_private_segment_wavefront_offset 0
		.amdhsa_system_sgpr_workgroup_id_x 1
		.amdhsa_system_sgpr_workgroup_id_y 0
		.amdhsa_system_sgpr_workgroup_id_z 1
		.amdhsa_system_sgpr_workgroup_info 0
		.amdhsa_system_vgpr_workitem_id 0
		.amdhsa_next_free_vgpr 11
		.amdhsa_next_free_sgpr 26
		.amdhsa_reserve_vcc 1
		.amdhsa_reserve_flat_scratch 0
		.amdhsa_float_round_mode_32 0
		.amdhsa_float_round_mode_16_64 0
		.amdhsa_float_denorm_mode_32 3
		.amdhsa_float_denorm_mode_16_64 3
		.amdhsa_dx10_clamp 1
		.amdhsa_ieee_mode 1
		.amdhsa_fp16_overflow 0
		.amdhsa_workgroup_processor_mode 1
		.amdhsa_memory_ordered 1
		.amdhsa_forward_progress 1
		.amdhsa_shared_vgpr_count 0
		.amdhsa_exception_fp_ieee_invalid_op 0
		.amdhsa_exception_fp_denorm_src 0
		.amdhsa_exception_fp_ieee_div_zero 0
		.amdhsa_exception_fp_ieee_overflow 0
		.amdhsa_exception_fp_ieee_underflow 0
		.amdhsa_exception_fp_ieee_inexact 0
		.amdhsa_exception_int_div_zero 0
	.end_amdhsa_kernel
	.section	.text._ZL20rocblas_gemvt_kernelILb0ELi256E16rocblas_bfloat16PKffEviiT2_lPKT1_lilS6_lilS3_lPT3_lili,"axG",@progbits,_ZL20rocblas_gemvt_kernelILb0ELi256E16rocblas_bfloat16PKffEviiT2_lPKT1_lilS6_lilS3_lPT3_lili,comdat
.Lfunc_end648:
	.size	_ZL20rocblas_gemvt_kernelILb0ELi256E16rocblas_bfloat16PKffEviiT2_lPKT1_lilS6_lilS3_lPT3_lili, .Lfunc_end648-_ZL20rocblas_gemvt_kernelILb0ELi256E16rocblas_bfloat16PKffEviiT2_lPKT1_lilS6_lilS3_lPT3_lili
                                        ; -- End function
	.set _ZL20rocblas_gemvt_kernelILb0ELi256E16rocblas_bfloat16PKffEviiT2_lPKT1_lilS6_lilS3_lPT3_lili.num_vgpr, 11
	.set _ZL20rocblas_gemvt_kernelILb0ELi256E16rocblas_bfloat16PKffEviiT2_lPKT1_lilS6_lilS3_lPT3_lili.num_agpr, 0
	.set _ZL20rocblas_gemvt_kernelILb0ELi256E16rocblas_bfloat16PKffEviiT2_lPKT1_lilS6_lilS3_lPT3_lili.numbered_sgpr, 26
	.set _ZL20rocblas_gemvt_kernelILb0ELi256E16rocblas_bfloat16PKffEviiT2_lPKT1_lilS6_lilS3_lPT3_lili.num_named_barrier, 0
	.set _ZL20rocblas_gemvt_kernelILb0ELi256E16rocblas_bfloat16PKffEviiT2_lPKT1_lilS6_lilS3_lPT3_lili.private_seg_size, 0
	.set _ZL20rocblas_gemvt_kernelILb0ELi256E16rocblas_bfloat16PKffEviiT2_lPKT1_lilS6_lilS3_lPT3_lili.uses_vcc, 1
	.set _ZL20rocblas_gemvt_kernelILb0ELi256E16rocblas_bfloat16PKffEviiT2_lPKT1_lilS6_lilS3_lPT3_lili.uses_flat_scratch, 0
	.set _ZL20rocblas_gemvt_kernelILb0ELi256E16rocblas_bfloat16PKffEviiT2_lPKT1_lilS6_lilS3_lPT3_lili.has_dyn_sized_stack, 0
	.set _ZL20rocblas_gemvt_kernelILb0ELi256E16rocblas_bfloat16PKffEviiT2_lPKT1_lilS6_lilS3_lPT3_lili.has_recursion, 0
	.set _ZL20rocblas_gemvt_kernelILb0ELi256E16rocblas_bfloat16PKffEviiT2_lPKT1_lilS6_lilS3_lPT3_lili.has_indirect_call, 0
	.section	.AMDGPU.csdata,"",@progbits
; Kernel info:
; codeLenInByte = 1660
; TotalNumSgprs: 28
; NumVgprs: 11
; ScratchSize: 0
; MemoryBound: 0
; FloatMode: 240
; IeeeMode: 1
; LDSByteSize: 1024 bytes/workgroup (compile time only)
; SGPRBlocks: 0
; VGPRBlocks: 1
; NumSGPRsForWavesPerEU: 28
; NumVGPRsForWavesPerEU: 11
; Occupancy: 16
; WaveLimiterHint : 1
; COMPUTE_PGM_RSRC2:SCRATCH_EN: 0
; COMPUTE_PGM_RSRC2:USER_SGPR: 6
; COMPUTE_PGM_RSRC2:TRAP_HANDLER: 0
; COMPUTE_PGM_RSRC2:TGID_X_EN: 1
; COMPUTE_PGM_RSRC2:TGID_Y_EN: 0
; COMPUTE_PGM_RSRC2:TGID_Z_EN: 1
; COMPUTE_PGM_RSRC2:TIDIG_COMP_CNT: 0
	.section	.text._ZL20rocblas_gemvt_kernelILb0ELi256E16rocblas_bfloat16ffEviiT2_lPKT1_lilS4_lilS1_lPT3_lili,"axG",@progbits,_ZL20rocblas_gemvt_kernelILb0ELi256E16rocblas_bfloat16ffEviiT2_lPKT1_lilS4_lilS1_lPT3_lili,comdat
	.globl	_ZL20rocblas_gemvt_kernelILb0ELi256E16rocblas_bfloat16ffEviiT2_lPKT1_lilS4_lilS1_lPT3_lili ; -- Begin function _ZL20rocblas_gemvt_kernelILb0ELi256E16rocblas_bfloat16ffEviiT2_lPKT1_lilS4_lilS1_lPT3_lili
	.p2align	8
	.type	_ZL20rocblas_gemvt_kernelILb0ELi256E16rocblas_bfloat16ffEviiT2_lPKT1_lilS4_lilS1_lPT3_lili,@function
_ZL20rocblas_gemvt_kernelILb0ELi256E16rocblas_bfloat16ffEviiT2_lPKT1_lilS4_lilS1_lPT3_lili: ; @_ZL20rocblas_gemvt_kernelILb0ELi256E16rocblas_bfloat16ffEviiT2_lPKT1_lilS4_lilS1_lPT3_lili
; %bb.0:
	s_clause 0x1
	s_load_dword s18, s[4:5], 0x8
	s_load_dword s16, s[4:5], 0x58
	s_mov_b32 s17, 0
	s_waitcnt lgkmcnt(0)
	v_cmp_eq_f32_e64 s0, s18, 0
	v_cmp_eq_f32_e64 s1, s16, 1.0
	s_and_b32 s0, s0, s1
	s_and_b32 vcc_lo, exec_lo, s0
	s_cbranch_vccnz .LBB649_45
; %bb.1:
	s_clause 0x2
	s_load_dwordx2 s[8:9], s[4:5], 0x80
	s_load_dwordx4 s[0:3], s[4:5], 0x68
	s_load_dword s19, s[4:5], 0x78
	s_waitcnt lgkmcnt(0)
	s_mul_i32 s9, s9, s7
	s_mul_hi_u32 s10, s8, s7
	s_mul_i32 s8, s8, s7
	s_add_i32 s9, s10, s9
	v_cmp_neq_f32_e64 s10, s18, 0
	s_lshl_b64 s[8:9], s[8:9], 2
	s_add_u32 s8, s0, s8
	s_addc_u32 s9, s1, s9
	s_lshl_b64 s[0:1], s[2:3], 2
	s_add_u32 s14, s8, s0
	v_cmp_eq_u32_e64 s0, 0, v0
	s_addc_u32 s15, s9, s1
	s_and_b32 vcc_lo, exec_lo, s10
	s_cbranch_vccnz .LBB649_5
; %bb.2:
	s_mov_b32 s1, 0
                                        ; implicit-def: $vgpr1
                                        ; implicit-def: $sgpr2_sgpr3
	s_and_saveexec_b32 s8, s0
	s_cbranch_execz .LBB649_6
; %bb.3:
	v_cmp_eq_f32_e64 s0, s16, 0
	s_mul_hi_i32 s3, s19, s6
	s_mul_i32 s2, s19, s6
	s_and_b32 vcc_lo, exec_lo, s0
	s_cbranch_vccnz .LBB649_7
; %bb.4:
	s_lshl_b64 s[10:11], s[2:3], 2
	s_add_u32 s10, s14, s10
	s_addc_u32 s11, s15, s11
	s_load_dword s0, s[10:11], 0x0
	s_waitcnt lgkmcnt(0)
	v_mul_f32_e64 v1, s16, s0
	s_branch .LBB649_8
.LBB649_5:
                                        ; implicit-def: $vgpr1
                                        ; implicit-def: $sgpr2_sgpr3
	s_cbranch_execnz .LBB649_9
	s_branch .LBB649_43
.LBB649_6:
	s_or_b32 exec_lo, exec_lo, s8
	s_and_b32 vcc_lo, exec_lo, s1
	s_cbranch_vccnz .LBB649_9
	s_branch .LBB649_43
.LBB649_7:
	v_mov_b32_e32 v1, 0
.LBB649_8:
	s_mov_b32 s17, exec_lo
	s_or_b32 exec_lo, exec_lo, s8
	s_and_b32 vcc_lo, exec_lo, s1
	s_cbranch_vccz .LBB649_43
.LBB649_9:
	s_clause 0x6
	s_load_dwordx2 s[10:11], s[4:5], 0x50
	s_load_dwordx4 s[0:3], s[4:5], 0x30
	s_load_dword s20, s[4:5], 0x0
	s_load_dword s12, s[4:5], 0x28
	s_load_dwordx4 s[24:27], s[4:5], 0x18
	s_load_dwordx2 s[8:9], s[4:5], 0x40
	s_load_dword s4, s[4:5], 0x48
	v_mov_b32_e32 v7, 0
	s_waitcnt lgkmcnt(0)
	s_mul_i32 s5, s11, s7
	s_mul_i32 s1, s1, s7
	v_cmp_gt_i32_e32 vcc_lo, s20, v0
	s_mul_hi_u32 s21, s0, s7
	s_mul_i32 s0, s0, s7
	s_add_i32 s1, s21, s1
	s_mul_hi_u32 s11, s10, s7
	v_cndmask_b32_e32 v1, 0, v0, vcc_lo
	s_lshl_b64 s[0:1], s[0:1], 1
	s_add_i32 s11, s11, s5
	s_add_u32 s5, s24, s0
	s_mul_i32 s10, s10, s7
	v_lshlrev_b32_e32 v1, 1, v1
	s_addc_u32 s7, s25, s1
	s_lshl_b64 s[0:1], s[26:27], 1
	s_mul_hi_i32 s13, s12, s6
	s_add_u32 s5, s5, s0
	s_addc_u32 s7, s7, s1
	v_add_co_u32 v1, s5, s5, v1
	s_mul_i32 s12, s12, s6
	v_add_co_ci_u32_e64 v2, null, s7, 0, s5
	s_ashr_i32 s21, s20, 31
	s_lshl_b64 s[0:1], s[12:13], 1
	s_lshr_b32 s12, s21, 24
	v_add_co_u32 v1, vcc_lo, v1, s0
	s_add_i32 s5, s20, s12
	v_add_co_ci_u32_e64 v2, null, s1, v2, vcc_lo
	s_and_b32 s0, s5, 0xffffff00
	s_cmpk_lt_i32 s20, 0x100
	s_mov_b32 s1, 0
	s_cbranch_scc1 .LBB649_16
; %bb.10:
	v_mad_i64_i32 v[3:4], null, s4, v0, 0
	s_lshl_b64 s[22:23], s[8:9], 1
	s_ashr_i32 s5, s4, 31
	s_lshl_b64 s[12:13], s[10:11], 1
	s_add_u32 s7, s2, s22
	s_addc_u32 s21, s3, s23
	s_add_u32 s7, s7, s12
	v_lshlrev_b64 v[3:4], 1, v[3:4]
	s_addc_u32 s12, s21, s13
	v_mov_b32_e32 v6, v2
	v_mov_b32_e32 v8, 0
	;; [unrolled: 1-line block ×4, first 2 shown]
	v_add_co_u32 v3, vcc_lo, s7, v3
	v_add_co_ci_u32_e64 v4, null, s12, v4, vcc_lo
	s_lshl_b64 s[12:13], s[4:5], 9
	s_inst_prefetch 0x1
	s_branch .LBB649_12
	.p2align	6
.LBB649_11:                             ;   in Loop: Header=BB649_12 Depth=1
	s_or_b32 exec_lo, exec_lo, s5
	v_and_b32_e32 v9, 0xffff0000, v10
	v_add_co_u32 v3, vcc_lo, v3, s12
	v_add_co_ci_u32_e64 v4, null, s13, v4, vcc_lo
	v_add_co_u32 v5, vcc_lo, 0x200, v5
	v_add_f32_e32 v7, v7, v9
	v_add_co_ci_u32_e64 v6, null, 0, v6, vcc_lo
	s_addk_i32 s1, 0x100
	s_cmp_ge_i32 s1, s0
	s_cbranch_scc1 .LBB649_16
.LBB649_12:                             ; =>This Inner Loop Header: Depth=1
	global_load_ushort v9, v[3:4], off
	global_load_ushort v10, v[5:6], off
	s_waitcnt vmcnt(1)
	v_lshlrev_b32_e32 v9, 16, v9
	s_waitcnt vmcnt(0)
	v_lshlrev_b32_e32 v10, 16, v10
	v_mul_f32_e32 v9, v10, v9
	v_and_b32_e32 v10, 0x7f800000, v9
	v_cmp_ne_u32_e32 vcc_lo, 0x7f800000, v10
                                        ; implicit-def: $vgpr10
	s_and_saveexec_b32 s5, vcc_lo
	s_xor_b32 s5, exec_lo, s5
; %bb.13:                               ;   in Loop: Header=BB649_12 Depth=1
	v_bfe_u32 v10, v9, 16, 1
	v_add3_u32 v10, v9, v10, 0x7fff
                                        ; implicit-def: $vgpr9
; %bb.14:                               ;   in Loop: Header=BB649_12 Depth=1
	s_andn2_saveexec_b32 s5, s5
	s_cbranch_execz .LBB649_11
; %bb.15:                               ;   in Loop: Header=BB649_12 Depth=1
	v_or_b32_e32 v10, 0x10000, v9
	v_cmp_eq_u32_sdwa vcc_lo, v9, v8 src0_sel:WORD_0 src1_sel:DWORD
	v_cndmask_b32_e32 v10, v10, v9, vcc_lo
	s_branch .LBB649_11
.LBB649_16:
	s_inst_prefetch 0x2
	v_add_nc_u32_e32 v3, s0, v0
	s_mov_b32 s5, exec_lo
	v_cmpx_gt_i32_e64 s20, v3
	s_cbranch_execz .LBB649_22
; %bb.17:
	v_mad_i64_i32 v[3:4], null, s4, v3, 0
	s_lshl_b64 s[10:11], s[10:11], 1
	s_add_u32 s1, s2, s10
	s_addc_u32 s4, s3, s11
	s_lshl_b64 s[2:3], s[8:9], 1
	s_add_u32 s2, s1, s2
	v_lshlrev_b64 v[3:4], 1, v[3:4]
	s_addc_u32 s3, s4, s3
	s_ashr_i32 s1, s0, 31
	s_lshl_b64 s[0:1], s[0:1], 1
	v_add_co_u32 v3, vcc_lo, s2, v3
	v_add_co_ci_u32_e64 v4, null, s3, v4, vcc_lo
	v_add_co_u32 v1, vcc_lo, v1, s0
	v_add_co_ci_u32_e64 v2, null, s1, v2, vcc_lo
	global_load_ushort v3, v[3:4], off
	global_load_ushort v1, v[1:2], off
	s_waitcnt vmcnt(1)
	v_lshlrev_b32_e32 v2, 16, v3
	s_waitcnt vmcnt(0)
	v_lshlrev_b32_e32 v1, 16, v1
	v_mul_f32_e32 v1, v1, v2
	v_and_b32_e32 v2, 0x7f800000, v1
	v_cmp_ne_u32_e32 vcc_lo, 0x7f800000, v2
                                        ; implicit-def: $vgpr2
	s_and_saveexec_b32 s0, vcc_lo
	s_xor_b32 s0, exec_lo, s0
; %bb.18:
	v_bfe_u32 v2, v1, 16, 1
	v_add3_u32 v2, v1, v2, 0x7fff
                                        ; implicit-def: $vgpr1
; %bb.19:
	s_andn2_saveexec_b32 s0, s0
; %bb.20:
	v_mov_b32_e32 v2, 0
	v_or_b32_e32 v3, 0x10000, v1
	v_cmp_eq_u32_sdwa vcc_lo, v1, v2 src0_sel:WORD_0 src1_sel:DWORD
	v_cndmask_b32_e32 v2, v3, v1, vcc_lo
; %bb.21:
	s_or_b32 exec_lo, exec_lo, s0
	v_and_b32_e32 v1, 0xffff0000, v2
	v_add_f32_e32 v7, v7, v1
.LBB649_22:
	s_or_b32 exec_lo, exec_lo, s5
	v_lshlrev_b32_e32 v1, 2, v0
	s_mov_b32 s0, exec_lo
	ds_write_b32 v1, v7
	s_waitcnt lgkmcnt(0)
	s_barrier
	buffer_gl0_inv
	v_cmpx_gt_u32_e32 0x80, v0
	s_cbranch_execz .LBB649_24
; %bb.23:
	ds_read2st64_b32 v[2:3], v1 offset1:2
	s_waitcnt lgkmcnt(0)
	v_add_f32_e32 v2, v3, v2
	ds_write_b32 v1, v2
.LBB649_24:
	s_or_b32 exec_lo, exec_lo, s0
	s_mov_b32 s0, exec_lo
	s_waitcnt lgkmcnt(0)
	s_barrier
	buffer_gl0_inv
	v_cmpx_gt_u32_e32 64, v0
	s_cbranch_execz .LBB649_26
; %bb.25:
	ds_read2st64_b32 v[2:3], v1 offset1:1
	s_waitcnt lgkmcnt(0)
	v_add_f32_e32 v2, v3, v2
	ds_write_b32 v1, v2
.LBB649_26:
	s_or_b32 exec_lo, exec_lo, s0
	s_mov_b32 s0, exec_lo
	s_waitcnt lgkmcnt(0)
	s_barrier
	buffer_gl0_inv
	v_cmpx_gt_u32_e32 32, v0
	s_cbranch_execz .LBB649_28
; %bb.27:
	ds_read2_b32 v[2:3], v1 offset1:32
	s_waitcnt lgkmcnt(0)
	v_add_f32_e32 v2, v3, v2
	ds_write_b32 v1, v2
.LBB649_28:
	s_or_b32 exec_lo, exec_lo, s0
	s_mov_b32 s0, exec_lo
	s_waitcnt lgkmcnt(0)
	s_barrier
	buffer_gl0_inv
	v_cmpx_gt_u32_e32 16, v0
	s_cbranch_execz .LBB649_30
; %bb.29:
	ds_read2_b32 v[2:3], v1 offset1:16
	s_waitcnt lgkmcnt(0)
	v_add_f32_e32 v2, v3, v2
	ds_write_b32 v1, v2
.LBB649_30:
	;; [unrolled: 13-line block ×5, first 2 shown]
	s_or_b32 exec_lo, exec_lo, s0
	v_cmp_eq_u32_e32 vcc_lo, 0, v0
	s_waitcnt lgkmcnt(0)
	s_barrier
	buffer_gl0_inv
	s_and_saveexec_b32 s0, vcc_lo
	s_cbranch_execz .LBB649_38
; %bb.37:
	v_mov_b32_e32 v2, 0
	ds_read_b64 v[0:1], v2
	s_waitcnt lgkmcnt(0)
	v_add_f32_e32 v0, v1, v0
	ds_write_b32 v2, v0
.LBB649_38:
	s_or_b32 exec_lo, exec_lo, s0
	s_waitcnt lgkmcnt(0)
	s_barrier
	buffer_gl0_inv
                                        ; implicit-def: $vgpr1
                                        ; implicit-def: $sgpr2_sgpr3
	s_and_saveexec_b32 s0, vcc_lo
	s_cbranch_execz .LBB649_42
; %bb.39:
	v_mov_b32_e32 v0, 0
	v_cmp_eq_f32_e64 s1, s16, 0
	s_mul_hi_i32 s3, s19, s6
	s_mul_i32 s2, s19, s6
	ds_read_b32 v0, v0
	s_and_b32 vcc_lo, exec_lo, s1
	s_waitcnt lgkmcnt(0)
	v_mul_f32_e32 v1, s18, v0
	s_cbranch_vccnz .LBB649_41
; %bb.40:
	s_lshl_b64 s[4:5], s[2:3], 2
	s_add_u32 s4, s14, s4
	s_addc_u32 s5, s15, s5
	s_load_dword s1, s[4:5], 0x0
	s_waitcnt lgkmcnt(0)
	v_fmac_f32_e64 v1, s16, s1
.LBB649_41:
	s_or_b32 s17, s17, exec_lo
.LBB649_42:
	s_or_b32 exec_lo, exec_lo, s0
.LBB649_43:
	s_and_saveexec_b32 s0, s17
	s_cbranch_execz .LBB649_45
; %bb.44:
	s_lshl_b64 s[0:1], s[2:3], 2
	v_mov_b32_e32 v0, 0
	s_add_u32 s0, s14, s0
	s_addc_u32 s1, s15, s1
	global_store_dword v0, v1, s[0:1]
.LBB649_45:
	s_endpgm
	.section	.rodata,"a",@progbits
	.p2align	6, 0x0
	.amdhsa_kernel _ZL20rocblas_gemvt_kernelILb0ELi256E16rocblas_bfloat16ffEviiT2_lPKT1_lilS4_lilS1_lPT3_lili
		.amdhsa_group_segment_fixed_size 1024
		.amdhsa_private_segment_fixed_size 0
		.amdhsa_kernarg_size 140
		.amdhsa_user_sgpr_count 6
		.amdhsa_user_sgpr_private_segment_buffer 1
		.amdhsa_user_sgpr_dispatch_ptr 0
		.amdhsa_user_sgpr_queue_ptr 0
		.amdhsa_user_sgpr_kernarg_segment_ptr 1
		.amdhsa_user_sgpr_dispatch_id 0
		.amdhsa_user_sgpr_flat_scratch_init 0
		.amdhsa_user_sgpr_private_segment_size 0
		.amdhsa_wavefront_size32 1
		.amdhsa_uses_dynamic_stack 0
		.amdhsa_system_sgpr_private_segment_wavefront_offset 0
		.amdhsa_system_sgpr_workgroup_id_x 1
		.amdhsa_system_sgpr_workgroup_id_y 0
		.amdhsa_system_sgpr_workgroup_id_z 1
		.amdhsa_system_sgpr_workgroup_info 0
		.amdhsa_system_vgpr_workitem_id 0
		.amdhsa_next_free_vgpr 11
		.amdhsa_next_free_sgpr 28
		.amdhsa_reserve_vcc 1
		.amdhsa_reserve_flat_scratch 0
		.amdhsa_float_round_mode_32 0
		.amdhsa_float_round_mode_16_64 0
		.amdhsa_float_denorm_mode_32 3
		.amdhsa_float_denorm_mode_16_64 3
		.amdhsa_dx10_clamp 1
		.amdhsa_ieee_mode 1
		.amdhsa_fp16_overflow 0
		.amdhsa_workgroup_processor_mode 1
		.amdhsa_memory_ordered 1
		.amdhsa_forward_progress 1
		.amdhsa_shared_vgpr_count 0
		.amdhsa_exception_fp_ieee_invalid_op 0
		.amdhsa_exception_fp_denorm_src 0
		.amdhsa_exception_fp_ieee_div_zero 0
		.amdhsa_exception_fp_ieee_overflow 0
		.amdhsa_exception_fp_ieee_underflow 0
		.amdhsa_exception_fp_ieee_inexact 0
		.amdhsa_exception_int_div_zero 0
	.end_amdhsa_kernel
	.section	.text._ZL20rocblas_gemvt_kernelILb0ELi256E16rocblas_bfloat16ffEviiT2_lPKT1_lilS4_lilS1_lPT3_lili,"axG",@progbits,_ZL20rocblas_gemvt_kernelILb0ELi256E16rocblas_bfloat16ffEviiT2_lPKT1_lilS4_lilS1_lPT3_lili,comdat
.Lfunc_end649:
	.size	_ZL20rocblas_gemvt_kernelILb0ELi256E16rocblas_bfloat16ffEviiT2_lPKT1_lilS4_lilS1_lPT3_lili, .Lfunc_end649-_ZL20rocblas_gemvt_kernelILb0ELi256E16rocblas_bfloat16ffEviiT2_lPKT1_lilS4_lilS1_lPT3_lili
                                        ; -- End function
	.set _ZL20rocblas_gemvt_kernelILb0ELi256E16rocblas_bfloat16ffEviiT2_lPKT1_lilS4_lilS1_lPT3_lili.num_vgpr, 11
	.set _ZL20rocblas_gemvt_kernelILb0ELi256E16rocblas_bfloat16ffEviiT2_lPKT1_lilS4_lilS1_lPT3_lili.num_agpr, 0
	.set _ZL20rocblas_gemvt_kernelILb0ELi256E16rocblas_bfloat16ffEviiT2_lPKT1_lilS4_lilS1_lPT3_lili.numbered_sgpr, 28
	.set _ZL20rocblas_gemvt_kernelILb0ELi256E16rocblas_bfloat16ffEviiT2_lPKT1_lilS4_lilS1_lPT3_lili.num_named_barrier, 0
	.set _ZL20rocblas_gemvt_kernelILb0ELi256E16rocblas_bfloat16ffEviiT2_lPKT1_lilS4_lilS1_lPT3_lili.private_seg_size, 0
	.set _ZL20rocblas_gemvt_kernelILb0ELi256E16rocblas_bfloat16ffEviiT2_lPKT1_lilS4_lilS1_lPT3_lili.uses_vcc, 1
	.set _ZL20rocblas_gemvt_kernelILb0ELi256E16rocblas_bfloat16ffEviiT2_lPKT1_lilS4_lilS1_lPT3_lili.uses_flat_scratch, 0
	.set _ZL20rocblas_gemvt_kernelILb0ELi256E16rocblas_bfloat16ffEviiT2_lPKT1_lilS4_lilS1_lPT3_lili.has_dyn_sized_stack, 0
	.set _ZL20rocblas_gemvt_kernelILb0ELi256E16rocblas_bfloat16ffEviiT2_lPKT1_lilS4_lilS1_lPT3_lili.has_recursion, 0
	.set _ZL20rocblas_gemvt_kernelILb0ELi256E16rocblas_bfloat16ffEviiT2_lPKT1_lilS4_lilS1_lPT3_lili.has_indirect_call, 0
	.section	.AMDGPU.csdata,"",@progbits
; Kernel info:
; codeLenInByte = 1596
; TotalNumSgprs: 30
; NumVgprs: 11
; ScratchSize: 0
; MemoryBound: 0
; FloatMode: 240
; IeeeMode: 1
; LDSByteSize: 1024 bytes/workgroup (compile time only)
; SGPRBlocks: 0
; VGPRBlocks: 1
; NumSGPRsForWavesPerEU: 30
; NumVGPRsForWavesPerEU: 11
; Occupancy: 16
; WaveLimiterHint : 1
; COMPUTE_PGM_RSRC2:SCRATCH_EN: 0
; COMPUTE_PGM_RSRC2:USER_SGPR: 6
; COMPUTE_PGM_RSRC2:TRAP_HANDLER: 0
; COMPUTE_PGM_RSRC2:TGID_X_EN: 1
; COMPUTE_PGM_RSRC2:TGID_Y_EN: 0
; COMPUTE_PGM_RSRC2:TGID_Z_EN: 1
; COMPUTE_PGM_RSRC2:TIDIG_COMP_CNT: 0
	.section	.text._ZL32rocblas_gemvt_warp_reduce_kernelILb0ELi1024Ei16rocblas_bfloat16PKffEviiT3_lPKT2_lT1_lS6_lS7_lS3_lPT4_lS7_li,"axG",@progbits,_ZL32rocblas_gemvt_warp_reduce_kernelILb0ELi1024Ei16rocblas_bfloat16PKffEviiT3_lPKT2_lT1_lS6_lS7_lS3_lPT4_lS7_li,comdat
	.globl	_ZL32rocblas_gemvt_warp_reduce_kernelILb0ELi1024Ei16rocblas_bfloat16PKffEviiT3_lPKT2_lT1_lS6_lS7_lS3_lPT4_lS7_li ; -- Begin function _ZL32rocblas_gemvt_warp_reduce_kernelILb0ELi1024Ei16rocblas_bfloat16PKffEviiT3_lPKT2_lT1_lS6_lS7_lS3_lPT4_lS7_li
	.p2align	8
	.type	_ZL32rocblas_gemvt_warp_reduce_kernelILb0ELi1024Ei16rocblas_bfloat16PKffEviiT3_lPKT2_lT1_lS6_lS7_lS3_lPT4_lS7_li,@function
_ZL32rocblas_gemvt_warp_reduce_kernelILb0ELi1024Ei16rocblas_bfloat16PKffEviiT3_lPKT2_lT1_lS6_lS7_lS3_lPT4_lS7_li: ; @_ZL32rocblas_gemvt_warp_reduce_kernelILb0ELi1024Ei16rocblas_bfloat16PKffEviiT3_lPKT2_lT1_lS6_lS7_lS3_lPT4_lS7_li
; %bb.0:
	s_clause 0x1
	s_load_dwordx8 s[8:15], s[4:5], 0x8
	s_load_dwordx8 s[16:23], s[4:5], 0x50
	s_waitcnt lgkmcnt(0)
	s_mul_i32 s1, s11, s7
	s_mul_hi_u32 s2, s10, s7
	s_mul_i32 s0, s10, s7
	s_add_i32 s1, s2, s1
	s_mul_i32 s2, s21, s7
	s_lshl_b64 s[0:1], s[0:1], 2
	s_mul_hi_u32 s3, s20, s7
	s_add_u32 s0, s8, s0
	s_addc_u32 s1, s9, s1
	s_add_i32 s3, s3, s2
	s_mul_i32 s2, s20, s7
	s_mov_b32 s10, 0
	s_lshl_b64 s[2:3], s[2:3], 2
	s_add_u32 s2, s18, s2
	s_addc_u32 s3, s19, s3
	s_load_dword s11, s[0:1], 0x0
	s_load_dword s9, s[2:3], 0x0
	s_waitcnt lgkmcnt(0)
	v_cmp_eq_f32_e64 s0, s11, 0
	v_cmp_eq_f32_e64 s1, s9, 1.0
	s_and_b32 s0, s0, s1
	s_and_b32 vcc_lo, exec_lo, s0
	s_cbranch_vccnz .LBB650_38
; %bb.1:
	s_clause 0x2
	s_load_dwordx2 s[0:1], s[4:5], 0x80
	s_load_dwordx2 s[2:3], s[4:5], 0x70
	s_load_dword s18, s[4:5], 0x78
	v_cmp_neq_f32_e64 s19, s11, 0
	s_waitcnt lgkmcnt(0)
	s_mul_i32 s1, s1, s7
	s_mul_hi_u32 s8, s0, s7
	s_mul_i32 s0, s0, s7
	s_add_i32 s1, s8, s1
	s_lshl_b64 s[0:1], s[0:1], 2
	s_add_u32 s0, s22, s0
	s_addc_u32 s8, s23, s1
	s_lshl_b64 s[2:3], s[2:3], 2
	s_add_u32 s1, s0, s2
	v_cmp_eq_u32_e64 s0, 0, v0
	s_addc_u32 s8, s8, s3
	s_and_b32 vcc_lo, exec_lo, s19
	s_cbranch_vccnz .LBB650_5
; %bb.2:
	s_mov_b32 s19, 0
                                        ; implicit-def: $vgpr1
                                        ; implicit-def: $sgpr2_sgpr3
	s_and_saveexec_b32 s20, s0
	s_cbranch_execz .LBB650_6
; %bb.3:
	v_cmp_eq_f32_e64 s0, s9, 0
	s_mul_i32 s2, s18, s6
	s_ashr_i32 s3, s2, 31
	s_and_b32 vcc_lo, exec_lo, s0
	s_cbranch_vccnz .LBB650_7
; %bb.4:
	s_lshl_b64 s[22:23], s[2:3], 2
	s_add_u32 s22, s1, s22
	s_addc_u32 s23, s8, s23
	s_load_dword s0, s[22:23], 0x0
	s_waitcnt lgkmcnt(0)
	v_mul_f32_e64 v1, s9, s0
	s_branch .LBB650_8
.LBB650_5:
                                        ; implicit-def: $vgpr1
                                        ; implicit-def: $sgpr2_sgpr3
	s_cbranch_execnz .LBB650_9
	s_branch .LBB650_36
.LBB650_6:
	s_or_b32 exec_lo, exec_lo, s20
	s_and_b32 vcc_lo, exec_lo, s19
	s_cbranch_vccnz .LBB650_9
	s_branch .LBB650_36
.LBB650_7:
	v_mov_b32_e32 v1, 0
.LBB650_8:
	s_mov_b32 s10, exec_lo
	s_or_b32 exec_lo, exec_lo, s20
	s_and_b32 vcc_lo, exec_lo, s19
	s_cbranch_vccz .LBB650_36
.LBB650_9:
	s_clause 0x3
	s_load_dwordx4 s[20:23], s[4:5], 0x30
	s_load_dwordx2 s[24:25], s[4:5], 0x40
	s_load_dword s3, s[4:5], 0x0
	s_load_dword s0, s[4:5], 0x28
	s_mul_i32 s2, s17, s7
	s_mul_hi_u32 s17, s16, s7
	s_mul_i32 s16, s16, s7
	s_add_i32 s17, s17, s2
	s_load_dword s4, s[4:5], 0x48
	s_lshl_b64 s[16:17], s[16:17], 1
	v_mov_b32_e32 v7, 0
	s_waitcnt lgkmcnt(0)
	s_add_u32 s2, s22, s16
	s_addc_u32 s22, s23, s17
	v_cmp_gt_i32_e32 vcc_lo, s3, v0
	s_lshl_b64 s[16:17], s[24:25], 1
	s_mul_i32 s19, s21, s7
	s_mul_hi_u32 s21, s20, s7
	s_add_u32 s5, s2, s16
	v_cndmask_b32_e32 v1, 0, v0, vcc_lo
	s_mul_i32 s20, s20, s7
	s_addc_u32 s7, s22, s17
	s_add_i32 s21, s21, s19
	s_lshl_b64 s[16:17], s[20:21], 1
	s_mul_i32 s20, s0, s6
	s_add_u32 s0, s12, s16
	v_lshlrev_b32_e32 v1, 1, v1
	s_addc_u32 s2, s13, s17
	s_lshl_b64 s[12:13], s[14:15], 1
	s_add_u32 s0, s0, s12
	s_addc_u32 s2, s2, s13
	v_add_co_u32 v1, s0, s0, v1
	s_ashr_i32 s12, s3, 31
	s_ashr_i32 s21, s20, 31
	v_add_co_ci_u32_e64 v2, null, s2, 0, s0
	s_lshr_b32 s0, s12, 22
	s_lshl_b64 s[12:13], s[20:21], 1
	s_add_i32 s0, s3, s0
	v_add_co_u32 v1, vcc_lo, v1, s12
	v_add_co_ci_u32_e64 v2, null, s13, v2, vcc_lo
	s_and_b32 s2, s0, 0xfffffc00
	s_mov_b32 s13, 0
	s_mov_b32 s12, exec_lo
	v_cmpx_gt_i32_e64 s2, v0
	s_cbranch_execz .LBB650_17
; %bb.10:
	v_mul_lo_u32 v3, v0, s4
	v_mov_b32_e32 v6, v2
	v_mov_b32_e32 v8, 0
	;; [unrolled: 1-line block ×5, first 2 shown]
	s_lshl_b32 s14, s4, 10
	s_branch .LBB650_12
.LBB650_11:                             ;   in Loop: Header=BB650_12 Depth=1
	s_or_b32 exec_lo, exec_lo, s0
	v_add_nc_u32_e32 v9, 0x400, v9
	v_and_b32_e32 v4, 0xffff0000, v10
	v_add_co_u32 v5, s0, 0x800, v5
	v_add_nc_u32_e32 v3, s14, v3
	v_cmp_le_i32_e32 vcc_lo, s2, v9
	v_add_f32_e32 v7, v7, v4
	v_add_co_ci_u32_e64 v6, null, 0, v6, s0
	s_or_b32 s13, vcc_lo, s13
	s_andn2_b32 exec_lo, exec_lo, s13
	s_cbranch_execz .LBB650_16
.LBB650_12:                             ; =>This Inner Loop Header: Depth=1
	v_ashrrev_i32_e32 v4, 31, v3
	v_lshlrev_b64 v[10:11], 1, v[3:4]
	v_add_co_u32 v10, vcc_lo, s5, v10
	v_add_co_ci_u32_e64 v11, null, s7, v11, vcc_lo
	global_load_ushort v4, v[5:6], off
	global_load_ushort v10, v[10:11], off
	s_waitcnt vmcnt(1)
	v_lshlrev_b32_e32 v4, 16, v4
	s_waitcnt vmcnt(0)
	v_lshlrev_b32_e32 v10, 16, v10
	v_mul_f32_e32 v4, v4, v10
	v_and_b32_e32 v10, 0x7f800000, v4
	v_cmp_ne_u32_e32 vcc_lo, 0x7f800000, v10
                                        ; implicit-def: $vgpr10
	s_and_saveexec_b32 s0, vcc_lo
	s_xor_b32 s0, exec_lo, s0
; %bb.13:                               ;   in Loop: Header=BB650_12 Depth=1
	v_bfe_u32 v10, v4, 16, 1
	v_add3_u32 v10, v4, v10, 0x7fff
                                        ; implicit-def: $vgpr4
; %bb.14:                               ;   in Loop: Header=BB650_12 Depth=1
	s_andn2_saveexec_b32 s0, s0
	s_cbranch_execz .LBB650_11
; %bb.15:                               ;   in Loop: Header=BB650_12 Depth=1
	v_or_b32_e32 v10, 0x10000, v4
	v_cmp_eq_u32_sdwa vcc_lo, v4, v8 src0_sel:WORD_0 src1_sel:DWORD
	v_cndmask_b32_e32 v10, v10, v4, vcc_lo
	s_branch .LBB650_11
.LBB650_16:
	s_or_b32 exec_lo, exec_lo, s13
.LBB650_17:
	s_or_b32 exec_lo, exec_lo, s12
	v_or_b32_e32 v3, s2, v0
	s_mov_b32 s0, exec_lo
	v_cmpx_gt_i32_e64 s3, v3
	s_cbranch_execz .LBB650_23
; %bb.18:
	v_mul_lo_u32 v3, s4, v3
	s_ashr_i32 s3, s2, 31
	s_lshl_b64 s[2:3], s[2:3], 1
	v_ashrrev_i32_e32 v4, 31, v3
	v_lshlrev_b64 v[3:4], 1, v[3:4]
	v_add_co_u32 v3, vcc_lo, s5, v3
	v_add_co_ci_u32_e64 v4, null, s7, v4, vcc_lo
	v_add_co_u32 v1, vcc_lo, v1, s2
	v_add_co_ci_u32_e64 v2, null, s3, v2, vcc_lo
	global_load_ushort v3, v[3:4], off
	global_load_ushort v1, v[1:2], off
	s_waitcnt vmcnt(1)
	v_lshlrev_b32_e32 v2, 16, v3
	s_waitcnt vmcnt(0)
	v_lshlrev_b32_e32 v1, 16, v1
	v_mul_f32_e32 v1, v1, v2
	v_and_b32_e32 v2, 0x7f800000, v1
	v_cmp_ne_u32_e32 vcc_lo, 0x7f800000, v2
                                        ; implicit-def: $vgpr2
	s_and_saveexec_b32 s2, vcc_lo
	s_xor_b32 s2, exec_lo, s2
; %bb.19:
	v_bfe_u32 v2, v1, 16, 1
	v_add3_u32 v2, v1, v2, 0x7fff
                                        ; implicit-def: $vgpr1
; %bb.20:
	s_andn2_saveexec_b32 s2, s2
; %bb.21:
	v_mov_b32_e32 v2, 0
	v_or_b32_e32 v3, 0x10000, v1
	v_cmp_eq_u32_sdwa vcc_lo, v1, v2 src0_sel:WORD_0 src1_sel:DWORD
	v_cndmask_b32_e32 v2, v3, v1, vcc_lo
; %bb.22:
	s_or_b32 exec_lo, exec_lo, s2
	v_and_b32_e32 v1, 0xffff0000, v2
	v_add_f32_e32 v7, v7, v1
.LBB650_23:
	s_or_b32 exec_lo, exec_lo, s0
	v_and_b32_e32 v8, 31, v0
	v_cmp_gt_u32_e32 vcc_lo, 32, v0
	v_lshlrev_b32_e32 v1, 2, v8
	s_and_saveexec_b32 s0, vcc_lo
; %bb.24:
	v_mov_b32_e32 v2, 0
	ds_write_b32 v1, v2
; %bb.25:
	s_or_b32 exec_lo, exec_lo, s0
	v_mbcnt_lo_u32_b32 v6, -1, 0
	s_mov_b32 s2, exec_lo
	s_waitcnt lgkmcnt(0)
	s_barrier
	buffer_gl0_inv
	v_lshl_or_b32 v2, v6, 2, 64
	v_cmp_gt_u32_e64 s0, 24, v6
	ds_bpermute_b32 v4, v2, v7
	v_cndmask_b32_e64 v3, 0, 8, s0
	v_cmp_gt_u32_e64 s0, 28, v6
	v_add_lshl_u32 v3, v3, v6, 2
	s_waitcnt lgkmcnt(0)
	v_add_f32_e32 v5, v7, v4
	v_cndmask_b32_e64 v4, 0, 4, s0
	v_cmp_gt_u32_e64 s0, 30, v6
	ds_bpermute_b32 v7, v3, v5
	v_add_lshl_u32 v4, v4, v6, 2
	s_waitcnt lgkmcnt(0)
	v_add_f32_e32 v7, v5, v7
	v_cndmask_b32_e64 v5, 0, 2, s0
	v_cmp_ne_u32_e64 s0, 31, v6
	ds_bpermute_b32 v9, v4, v7
	v_add_lshl_u32 v5, v5, v6, 2
	v_add_co_ci_u32_e64 v6, null, 0, v6, s0
	v_lshlrev_b32_e32 v6, 2, v6
	s_waitcnt lgkmcnt(0)
	v_add_f32_e32 v7, v7, v9
	ds_bpermute_b32 v9, v5, v7
	s_waitcnt lgkmcnt(0)
	v_add_f32_e32 v7, v7, v9
	ds_bpermute_b32 v9, v6, v7
	v_cmpx_eq_u32_e32 0, v8
	s_cbranch_execz .LBB650_27
; %bb.26:
	v_lshrrev_b32_e32 v8, 3, v0
	s_waitcnt lgkmcnt(0)
	v_add_f32_e32 v7, v7, v9
	v_and_b32_e32 v8, 0x7c, v8
	ds_write_b32 v8, v7
.LBB650_27:
	s_or_b32 exec_lo, exec_lo, s2
	v_mov_b32_e32 v7, 0
	s_waitcnt lgkmcnt(0)
	s_barrier
	buffer_gl0_inv
	s_and_saveexec_b32 s0, vcc_lo
; %bb.28:
	ds_read_b32 v7, v1
; %bb.29:
	s_or_b32 exec_lo, exec_lo, s0
	s_and_saveexec_b32 s0, vcc_lo
	s_cbranch_execz .LBB650_31
; %bb.30:
	s_waitcnt lgkmcnt(0)
	ds_bpermute_b32 v1, v2, v7
	s_waitcnt lgkmcnt(0)
	v_add_f32_e32 v1, v7, v1
	ds_bpermute_b32 v2, v3, v1
	s_waitcnt lgkmcnt(0)
	v_add_f32_e32 v1, v1, v2
	ds_bpermute_b32 v2, v4, v1
	s_waitcnt lgkmcnt(0)
	v_add_f32_e32 v1, v1, v2
	ds_bpermute_b32 v2, v5, v1
	s_waitcnt lgkmcnt(0)
	v_add_f32_e32 v1, v1, v2
	ds_bpermute_b32 v2, v6, v1
	s_waitcnt lgkmcnt(0)
	v_add_f32_e32 v7, v1, v2
.LBB650_31:
	s_or_b32 exec_lo, exec_lo, s0
	s_mov_b32 s0, exec_lo
                                        ; implicit-def: $vgpr1
                                        ; implicit-def: $sgpr2_sgpr3
	v_cmpx_eq_u32_e32 0, v0
	s_cbranch_execz .LBB650_35
; %bb.32:
	v_cmp_eq_f32_e64 s3, s9, 0
	s_waitcnt lgkmcnt(0)
	v_mul_f32_e32 v1, s11, v7
	s_mul_i32 s2, s18, s6
	s_and_b32 vcc_lo, exec_lo, s3
	s_ashr_i32 s3, s2, 31
	s_cbranch_vccnz .LBB650_34
; %bb.33:
	s_lshl_b64 s[4:5], s[2:3], 2
	s_add_u32 s4, s1, s4
	s_addc_u32 s5, s8, s5
	s_load_dword s4, s[4:5], 0x0
	s_waitcnt lgkmcnt(0)
	v_fmac_f32_e64 v1, s9, s4
.LBB650_34:
	s_or_b32 s10, s10, exec_lo
.LBB650_35:
	s_or_b32 exec_lo, exec_lo, s0
.LBB650_36:
	s_and_saveexec_b32 s0, s10
	s_cbranch_execz .LBB650_38
; %bb.37:
	s_lshl_b64 s[2:3], s[2:3], 2
	v_mov_b32_e32 v0, 0
	s_add_u32 s0, s1, s2
	s_addc_u32 s1, s8, s3
	global_store_dword v0, v1, s[0:1]
.LBB650_38:
	s_endpgm
	.section	.rodata,"a",@progbits
	.p2align	6, 0x0
	.amdhsa_kernel _ZL32rocblas_gemvt_warp_reduce_kernelILb0ELi1024Ei16rocblas_bfloat16PKffEviiT3_lPKT2_lT1_lS6_lS7_lS3_lPT4_lS7_li
		.amdhsa_group_segment_fixed_size 128
		.amdhsa_private_segment_fixed_size 0
		.amdhsa_kernarg_size 140
		.amdhsa_user_sgpr_count 6
		.amdhsa_user_sgpr_private_segment_buffer 1
		.amdhsa_user_sgpr_dispatch_ptr 0
		.amdhsa_user_sgpr_queue_ptr 0
		.amdhsa_user_sgpr_kernarg_segment_ptr 1
		.amdhsa_user_sgpr_dispatch_id 0
		.amdhsa_user_sgpr_flat_scratch_init 0
		.amdhsa_user_sgpr_private_segment_size 0
		.amdhsa_wavefront_size32 1
		.amdhsa_uses_dynamic_stack 0
		.amdhsa_system_sgpr_private_segment_wavefront_offset 0
		.amdhsa_system_sgpr_workgroup_id_x 1
		.amdhsa_system_sgpr_workgroup_id_y 0
		.amdhsa_system_sgpr_workgroup_id_z 1
		.amdhsa_system_sgpr_workgroup_info 0
		.amdhsa_system_vgpr_workitem_id 0
		.amdhsa_next_free_vgpr 12
		.amdhsa_next_free_sgpr 26
		.amdhsa_reserve_vcc 1
		.amdhsa_reserve_flat_scratch 0
		.amdhsa_float_round_mode_32 0
		.amdhsa_float_round_mode_16_64 0
		.amdhsa_float_denorm_mode_32 3
		.amdhsa_float_denorm_mode_16_64 3
		.amdhsa_dx10_clamp 1
		.amdhsa_ieee_mode 1
		.amdhsa_fp16_overflow 0
		.amdhsa_workgroup_processor_mode 1
		.amdhsa_memory_ordered 1
		.amdhsa_forward_progress 1
		.amdhsa_shared_vgpr_count 0
		.amdhsa_exception_fp_ieee_invalid_op 0
		.amdhsa_exception_fp_denorm_src 0
		.amdhsa_exception_fp_ieee_div_zero 0
		.amdhsa_exception_fp_ieee_overflow 0
		.amdhsa_exception_fp_ieee_underflow 0
		.amdhsa_exception_fp_ieee_inexact 0
		.amdhsa_exception_int_div_zero 0
	.end_amdhsa_kernel
	.section	.text._ZL32rocblas_gemvt_warp_reduce_kernelILb0ELi1024Ei16rocblas_bfloat16PKffEviiT3_lPKT2_lT1_lS6_lS7_lS3_lPT4_lS7_li,"axG",@progbits,_ZL32rocblas_gemvt_warp_reduce_kernelILb0ELi1024Ei16rocblas_bfloat16PKffEviiT3_lPKT2_lT1_lS6_lS7_lS3_lPT4_lS7_li,comdat
.Lfunc_end650:
	.size	_ZL32rocblas_gemvt_warp_reduce_kernelILb0ELi1024Ei16rocblas_bfloat16PKffEviiT3_lPKT2_lT1_lS6_lS7_lS3_lPT4_lS7_li, .Lfunc_end650-_ZL32rocblas_gemvt_warp_reduce_kernelILb0ELi1024Ei16rocblas_bfloat16PKffEviiT3_lPKT2_lT1_lS6_lS7_lS3_lPT4_lS7_li
                                        ; -- End function
	.set _ZL32rocblas_gemvt_warp_reduce_kernelILb0ELi1024Ei16rocblas_bfloat16PKffEviiT3_lPKT2_lT1_lS6_lS7_lS3_lPT4_lS7_li.num_vgpr, 12
	.set _ZL32rocblas_gemvt_warp_reduce_kernelILb0ELi1024Ei16rocblas_bfloat16PKffEviiT3_lPKT2_lT1_lS6_lS7_lS3_lPT4_lS7_li.num_agpr, 0
	.set _ZL32rocblas_gemvt_warp_reduce_kernelILb0ELi1024Ei16rocblas_bfloat16PKffEviiT3_lPKT2_lT1_lS6_lS7_lS3_lPT4_lS7_li.numbered_sgpr, 26
	.set _ZL32rocblas_gemvt_warp_reduce_kernelILb0ELi1024Ei16rocblas_bfloat16PKffEviiT3_lPKT2_lT1_lS6_lS7_lS3_lPT4_lS7_li.num_named_barrier, 0
	.set _ZL32rocblas_gemvt_warp_reduce_kernelILb0ELi1024Ei16rocblas_bfloat16PKffEviiT3_lPKT2_lT1_lS6_lS7_lS3_lPT4_lS7_li.private_seg_size, 0
	.set _ZL32rocblas_gemvt_warp_reduce_kernelILb0ELi1024Ei16rocblas_bfloat16PKffEviiT3_lPKT2_lT1_lS6_lS7_lS3_lPT4_lS7_li.uses_vcc, 1
	.set _ZL32rocblas_gemvt_warp_reduce_kernelILb0ELi1024Ei16rocblas_bfloat16PKffEviiT3_lPKT2_lT1_lS6_lS7_lS3_lPT4_lS7_li.uses_flat_scratch, 0
	.set _ZL32rocblas_gemvt_warp_reduce_kernelILb0ELi1024Ei16rocblas_bfloat16PKffEviiT3_lPKT2_lT1_lS6_lS7_lS3_lPT4_lS7_li.has_dyn_sized_stack, 0
	.set _ZL32rocblas_gemvt_warp_reduce_kernelILb0ELi1024Ei16rocblas_bfloat16PKffEviiT3_lPKT2_lT1_lS6_lS7_lS3_lPT4_lS7_li.has_recursion, 0
	.set _ZL32rocblas_gemvt_warp_reduce_kernelILb0ELi1024Ei16rocblas_bfloat16PKffEviiT3_lPKT2_lT1_lS6_lS7_lS3_lPT4_lS7_li.has_indirect_call, 0
	.section	.AMDGPU.csdata,"",@progbits
; Kernel info:
; codeLenInByte = 1552
; TotalNumSgprs: 28
; NumVgprs: 12
; ScratchSize: 0
; MemoryBound: 0
; FloatMode: 240
; IeeeMode: 1
; LDSByteSize: 128 bytes/workgroup (compile time only)
; SGPRBlocks: 0
; VGPRBlocks: 1
; NumSGPRsForWavesPerEU: 28
; NumVGPRsForWavesPerEU: 12
; Occupancy: 16
; WaveLimiterHint : 1
; COMPUTE_PGM_RSRC2:SCRATCH_EN: 0
; COMPUTE_PGM_RSRC2:USER_SGPR: 6
; COMPUTE_PGM_RSRC2:TRAP_HANDLER: 0
; COMPUTE_PGM_RSRC2:TGID_X_EN: 1
; COMPUTE_PGM_RSRC2:TGID_Y_EN: 0
; COMPUTE_PGM_RSRC2:TGID_Z_EN: 1
; COMPUTE_PGM_RSRC2:TIDIG_COMP_CNT: 0
	.section	.text._ZL32rocblas_gemvt_warp_reduce_kernelILb0ELi1024El16rocblas_bfloat16PKffEviiT3_lPKT2_lT1_lS6_lS7_lS3_lPT4_lS7_li,"axG",@progbits,_ZL32rocblas_gemvt_warp_reduce_kernelILb0ELi1024El16rocblas_bfloat16PKffEviiT3_lPKT2_lT1_lS6_lS7_lS3_lPT4_lS7_li,comdat
	.globl	_ZL32rocblas_gemvt_warp_reduce_kernelILb0ELi1024El16rocblas_bfloat16PKffEviiT3_lPKT2_lT1_lS6_lS7_lS3_lPT4_lS7_li ; -- Begin function _ZL32rocblas_gemvt_warp_reduce_kernelILb0ELi1024El16rocblas_bfloat16PKffEviiT3_lPKT2_lT1_lS6_lS7_lS3_lPT4_lS7_li
	.p2align	8
	.type	_ZL32rocblas_gemvt_warp_reduce_kernelILb0ELi1024El16rocblas_bfloat16PKffEviiT3_lPKT2_lT1_lS6_lS7_lS3_lPT4_lS7_li,@function
_ZL32rocblas_gemvt_warp_reduce_kernelILb0ELi1024El16rocblas_bfloat16PKffEviiT3_lPKT2_lT1_lS6_lS7_lS3_lPT4_lS7_li: ; @_ZL32rocblas_gemvt_warp_reduce_kernelILb0ELi1024El16rocblas_bfloat16PKffEviiT3_lPKT2_lT1_lS6_lS7_lS3_lPT4_lS7_li
; %bb.0:
	s_clause 0x1
	s_load_dwordx16 s[36:51], s[4:5], 0x8
	s_load_dwordx16 s[8:23], s[4:5], 0x48
	s_waitcnt lgkmcnt(0)
	s_mul_i32 s1, s39, s7
	s_mul_hi_u32 s2, s38, s7
	s_mul_i32 s0, s38, s7
	s_add_i32 s1, s2, s1
	s_mul_i32 s2, s15, s7
	s_lshl_b64 s[0:1], s[0:1], 2
	s_mul_hi_u32 s3, s14, s7
	s_add_u32 s0, s36, s0
	s_addc_u32 s1, s37, s1
	s_add_i32 s3, s3, s2
	s_mul_i32 s2, s14, s7
	s_mov_b32 s14, 0
	s_lshl_b64 s[2:3], s[2:3], 2
	s_add_u32 s2, s12, s2
	s_addc_u32 s3, s13, s3
	s_load_dword s15, s[0:1], 0x0
	s_load_dword s13, s[2:3], 0x0
	s_waitcnt lgkmcnt(0)
	v_cmp_eq_f32_e64 s0, s15, 0
	v_cmp_eq_f32_e64 s1, s13, 1.0
	s_and_b32 s0, s0, s1
	s_and_b32 vcc_lo, exec_lo, s0
	s_cbranch_vccnz .LBB651_38
; %bb.1:
	s_mul_i32 s1, s23, s7
	s_mul_hi_u32 s2, s22, s7
	s_mul_i32 s0, s22, s7
	s_add_i32 s1, s2, s1
	v_cmp_neq_f32_e64 s22, s15, 0
	s_lshl_b64 s[0:1], s[0:1], 2
	s_add_u32 s0, s16, s0
	s_addc_u32 s12, s17, s1
	s_lshl_b64 s[2:3], s[18:19], 2
	s_add_u32 s1, s0, s2
	v_cmp_eq_u32_e64 s0, 0, v0
	s_addc_u32 s12, s12, s3
	s_and_b32 vcc_lo, exec_lo, s22
	s_cbranch_vccnz .LBB651_5
; %bb.2:
	s_mov_b32 s16, 0
                                        ; implicit-def: $vgpr1
                                        ; implicit-def: $sgpr2_sgpr3
	s_and_saveexec_b32 s17, s0
	s_cbranch_execz .LBB651_6
; %bb.3:
	s_ashr_i32 s2, s6, 31
	v_cmp_eq_f32_e64 s0, s13, 0
	s_mul_hi_u32 s3, s20, s6
	s_mul_i32 s2, s20, s2
	s_mul_i32 s14, s21, s6
	s_add_i32 s2, s3, s2
	s_and_b32 vcc_lo, exec_lo, s0
	s_add_i32 s3, s2, s14
	s_mul_i32 s2, s20, s6
	s_cbranch_vccnz .LBB651_7
; %bb.4:
	s_lshl_b64 s[18:19], s[2:3], 2
	s_add_u32 s18, s1, s18
	s_addc_u32 s19, s12, s19
	s_load_dword s0, s[18:19], 0x0
	s_waitcnt lgkmcnt(0)
	v_mul_f32_e64 v1, s13, s0
	s_branch .LBB651_8
.LBB651_5:
                                        ; implicit-def: $vgpr1
                                        ; implicit-def: $sgpr2_sgpr3
	s_cbranch_execnz .LBB651_9
	s_branch .LBB651_36
.LBB651_6:
	s_or_b32 exec_lo, exec_lo, s17
	s_and_b32 vcc_lo, exec_lo, s16
	s_cbranch_vccnz .LBB651_9
	s_branch .LBB651_36
.LBB651_7:
	v_mov_b32_e32 v1, 0
.LBB651_8:
	s_mov_b32 s14, exec_lo
	s_or_b32 exec_lo, exec_lo, s17
	s_and_b32 vcc_lo, exec_lo, s16
	s_cbranch_vccz .LBB651_36
.LBB651_9:
	s_load_dword s5, s[4:5], 0x0
	s_mul_i32 s0, s11, s7
	s_mul_i32 s3, s47, s7
	s_mul_hi_u32 s11, s46, s7
	s_mul_i32 s2, s46, s7
	s_add_i32 s3, s11, s3
	s_mul_hi_u32 s4, s10, s7
	s_lshl_b64 s[16:17], s[2:3], 1
	s_add_i32 s3, s4, s0
	s_add_u32 s0, s40, s16
	s_addc_u32 s2, s41, s17
	s_lshl_b64 s[16:17], s[42:43], 1
	s_mul_hi_u32 s4, s44, s6
	s_add_u32 s0, s0, s16
	s_addc_u32 s2, s2, s17
	s_ashr_i32 s16, s6, 31
	s_mul_i32 s11, s45, s6
	s_mul_i32 s17, s44, s16
	;; [unrolled: 1-line block ×3, first 2 shown]
	s_add_i32 s4, s4, s17
	s_waitcnt lgkmcnt(0)
	v_cmp_gt_i32_e32 vcc_lo, s5, v0
	s_add_i32 s19, s4, s11
	s_ashr_i32 s4, s5, 31
	s_lshl_b64 s[18:19], s[18:19], 1
	s_lshr_b32 s4, s4, 22
	v_cndmask_b32_e32 v1, 0, v0, vcc_lo
	v_mov_b32_e32 v7, 0
	s_add_i32 s4, s5, s4
	s_mov_b32 s17, 0
	s_and_b32 s4, s4, 0xfffffc00
	v_lshlrev_b32_e32 v1, 1, v1
	v_add_co_u32 v1, s0, s0, v1
	v_add_co_ci_u32_e64 v2, null, s2, 0, s0
	s_mul_i32 s2, s10, s7
	v_add_co_u32 v1, vcc_lo, v1, s18
	v_add_co_ci_u32_e64 v2, null, s19, v2, vcc_lo
	s_mov_b32 s7, exec_lo
	v_cmpx_gt_i32_e64 s4, v0
	s_cbranch_execz .LBB651_17
; %bb.10:
	v_mad_u64_u32 v[5:6], null, s8, v0, 0
	s_lshl_b64 s[18:19], s[50:51], 1
	s_lshl_b64 s[10:11], s[2:3], 1
	s_add_u32 s0, s48, s18
	s_addc_u32 s18, s49, s19
	s_add_u32 s0, s0, s10
	s_addc_u32 s10, s18, s11
	v_mov_b32_e32 v3, v6
	v_mov_b32_e32 v8, 0
	;; [unrolled: 1-line block ×4, first 2 shown]
	v_mad_u64_u32 v[3:4], null, s9, v0, v[3:4]
	v_mov_b32_e32 v6, v3
	v_mov_b32_e32 v4, v2
	;; [unrolled: 1-line block ×3, first 2 shown]
	v_lshlrev_b64 v[5:6], 1, v[5:6]
	v_add_co_u32 v5, vcc_lo, s0, v5
	v_add_co_ci_u32_e64 v6, null, s10, v6, vcc_lo
	s_lshl_b64 s[10:11], s[8:9], 11
	s_inst_prefetch 0x1
	s_branch .LBB651_12
	.p2align	6
.LBB651_11:                             ;   in Loop: Header=BB651_12 Depth=1
	s_or_b32 exec_lo, exec_lo, s0
	v_add_nc_u32_e32 v9, 0x400, v9
	v_and_b32_e32 v10, 0xffff0000, v11
	v_add_co_u32 v3, vcc_lo, 0x800, v3
	v_add_co_ci_u32_e64 v4, null, 0, v4, vcc_lo
	v_cmp_le_i32_e32 vcc_lo, s4, v9
	v_add_co_u32 v5, s0, v5, s10
	v_add_f32_e32 v7, v7, v10
	v_add_co_ci_u32_e64 v6, null, s11, v6, s0
	s_or_b32 s17, vcc_lo, s17
	s_andn2_b32 exec_lo, exec_lo, s17
	s_cbranch_execz .LBB651_16
.LBB651_12:                             ; =>This Inner Loop Header: Depth=1
	global_load_ushort v10, v[5:6], off
	global_load_ushort v11, v[3:4], off
	s_waitcnt vmcnt(1)
	v_lshlrev_b32_e32 v10, 16, v10
	s_waitcnt vmcnt(0)
	v_lshlrev_b32_e32 v11, 16, v11
	v_mul_f32_e32 v10, v11, v10
	v_and_b32_e32 v11, 0x7f800000, v10
	v_cmp_ne_u32_e32 vcc_lo, 0x7f800000, v11
                                        ; implicit-def: $vgpr11
	s_and_saveexec_b32 s0, vcc_lo
	s_xor_b32 s0, exec_lo, s0
; %bb.13:                               ;   in Loop: Header=BB651_12 Depth=1
	v_bfe_u32 v11, v10, 16, 1
	v_add3_u32 v11, v10, v11, 0x7fff
                                        ; implicit-def: $vgpr10
; %bb.14:                               ;   in Loop: Header=BB651_12 Depth=1
	s_andn2_saveexec_b32 s0, s0
	s_cbranch_execz .LBB651_11
; %bb.15:                               ;   in Loop: Header=BB651_12 Depth=1
	v_or_b32_e32 v11, 0x10000, v10
	v_cmp_eq_u32_sdwa vcc_lo, v10, v8 src0_sel:WORD_0 src1_sel:DWORD
	v_cndmask_b32_e32 v11, v11, v10, vcc_lo
	s_branch .LBB651_11
.LBB651_16:
	s_inst_prefetch 0x2
	s_or_b32 exec_lo, exec_lo, s17
.LBB651_17:
	s_or_b32 exec_lo, exec_lo, s7
	v_or_b32_e32 v3, s4, v0
	s_mov_b32 s0, exec_lo
	v_cmpx_gt_i32_e64 s5, v3
	s_cbranch_execz .LBB651_23
; %bb.18:
	v_ashrrev_i32_e32 v5, 31, v3
	v_mul_lo_u32 v6, s9, v3
	v_mad_u64_u32 v[3:4], null, s8, v3, 0
	s_lshl_b64 s[2:3], s[2:3], 1
	v_mul_lo_u32 v5, s8, v5
	s_add_u32 s5, s48, s2
	s_addc_u32 s7, s49, s3
	s_lshl_b64 s[2:3], s[50:51], 1
	s_add_u32 s8, s5, s2
	s_addc_u32 s7, s7, s3
	s_ashr_i32 s5, s4, 31
	v_add3_u32 v4, v4, v5, v6
	s_lshl_b64 s[2:3], s[4:5], 1
	v_lshlrev_b64 v[3:4], 1, v[3:4]
	v_add_co_u32 v3, vcc_lo, s8, v3
	v_add_co_ci_u32_e64 v4, null, s7, v4, vcc_lo
	v_add_co_u32 v1, vcc_lo, v1, s2
	v_add_co_ci_u32_e64 v2, null, s3, v2, vcc_lo
	global_load_ushort v3, v[3:4], off
	global_load_ushort v1, v[1:2], off
	s_waitcnt vmcnt(1)
	v_lshlrev_b32_e32 v2, 16, v3
	s_waitcnt vmcnt(0)
	v_lshlrev_b32_e32 v1, 16, v1
	v_mul_f32_e32 v1, v1, v2
	v_and_b32_e32 v2, 0x7f800000, v1
	v_cmp_ne_u32_e32 vcc_lo, 0x7f800000, v2
                                        ; implicit-def: $vgpr2
	s_and_saveexec_b32 s2, vcc_lo
	s_xor_b32 s2, exec_lo, s2
; %bb.19:
	v_bfe_u32 v2, v1, 16, 1
	v_add3_u32 v2, v1, v2, 0x7fff
                                        ; implicit-def: $vgpr1
; %bb.20:
	s_andn2_saveexec_b32 s2, s2
; %bb.21:
	v_mov_b32_e32 v2, 0
	v_or_b32_e32 v3, 0x10000, v1
	v_cmp_eq_u32_sdwa vcc_lo, v1, v2 src0_sel:WORD_0 src1_sel:DWORD
	v_cndmask_b32_e32 v2, v3, v1, vcc_lo
; %bb.22:
	s_or_b32 exec_lo, exec_lo, s2
	v_and_b32_e32 v1, 0xffff0000, v2
	v_add_f32_e32 v7, v7, v1
.LBB651_23:
	s_or_b32 exec_lo, exec_lo, s0
	v_and_b32_e32 v8, 31, v0
	v_cmp_gt_u32_e32 vcc_lo, 32, v0
	v_lshlrev_b32_e32 v1, 2, v8
	s_and_saveexec_b32 s0, vcc_lo
; %bb.24:
	v_mov_b32_e32 v2, 0
	ds_write_b32 v1, v2
; %bb.25:
	s_or_b32 exec_lo, exec_lo, s0
	v_mbcnt_lo_u32_b32 v6, -1, 0
	s_mov_b32 s2, exec_lo
	s_waitcnt lgkmcnt(0)
	s_barrier
	buffer_gl0_inv
	v_lshl_or_b32 v2, v6, 2, 64
	v_cmp_gt_u32_e64 s0, 24, v6
	ds_bpermute_b32 v4, v2, v7
	v_cndmask_b32_e64 v3, 0, 8, s0
	v_cmp_gt_u32_e64 s0, 28, v6
	v_add_lshl_u32 v3, v3, v6, 2
	s_waitcnt lgkmcnt(0)
	v_add_f32_e32 v5, v7, v4
	v_cndmask_b32_e64 v4, 0, 4, s0
	v_cmp_gt_u32_e64 s0, 30, v6
	ds_bpermute_b32 v7, v3, v5
	v_add_lshl_u32 v4, v4, v6, 2
	s_waitcnt lgkmcnt(0)
	v_add_f32_e32 v7, v5, v7
	v_cndmask_b32_e64 v5, 0, 2, s0
	v_cmp_ne_u32_e64 s0, 31, v6
	ds_bpermute_b32 v9, v4, v7
	v_add_lshl_u32 v5, v5, v6, 2
	v_add_co_ci_u32_e64 v6, null, 0, v6, s0
	v_lshlrev_b32_e32 v6, 2, v6
	s_waitcnt lgkmcnt(0)
	v_add_f32_e32 v7, v7, v9
	ds_bpermute_b32 v9, v5, v7
	s_waitcnt lgkmcnt(0)
	v_add_f32_e32 v7, v7, v9
	ds_bpermute_b32 v9, v6, v7
	v_cmpx_eq_u32_e32 0, v8
	s_cbranch_execz .LBB651_27
; %bb.26:
	v_lshrrev_b32_e32 v8, 3, v0
	s_waitcnt lgkmcnt(0)
	v_add_f32_e32 v7, v7, v9
	v_and_b32_e32 v8, 0x7c, v8
	ds_write_b32 v8, v7
.LBB651_27:
	s_or_b32 exec_lo, exec_lo, s2
	v_mov_b32_e32 v7, 0
	s_waitcnt lgkmcnt(0)
	s_barrier
	buffer_gl0_inv
	s_and_saveexec_b32 s0, vcc_lo
; %bb.28:
	ds_read_b32 v7, v1
; %bb.29:
	s_or_b32 exec_lo, exec_lo, s0
	s_and_saveexec_b32 s0, vcc_lo
	s_cbranch_execz .LBB651_31
; %bb.30:
	s_waitcnt lgkmcnt(0)
	ds_bpermute_b32 v1, v2, v7
	s_waitcnt lgkmcnt(0)
	v_add_f32_e32 v1, v7, v1
	ds_bpermute_b32 v2, v3, v1
	s_waitcnt lgkmcnt(0)
	v_add_f32_e32 v1, v1, v2
	;; [unrolled: 3-line block ×5, first 2 shown]
.LBB651_31:
	s_or_b32 exec_lo, exec_lo, s0
	s_mov_b32 s0, exec_lo
                                        ; implicit-def: $vgpr1
                                        ; implicit-def: $sgpr2_sgpr3
	v_cmpx_eq_u32_e32 0, v0
	s_cbranch_execz .LBB651_35
; %bb.32:
	v_cmp_eq_f32_e64 s4, s13, 0
	s_mul_i32 s2, s20, s16
	s_mul_hi_u32 s3, s20, s6
	s_waitcnt lgkmcnt(0)
	v_mul_f32_e32 v1, s15, v7
	s_add_i32 s2, s3, s2
	s_mul_i32 s3, s21, s6
	s_and_b32 vcc_lo, exec_lo, s4
	s_add_i32 s3, s2, s3
	s_mul_i32 s2, s20, s6
	s_cbranch_vccnz .LBB651_34
; %bb.33:
	s_lshl_b64 s[4:5], s[2:3], 2
	s_add_u32 s4, s1, s4
	s_addc_u32 s5, s12, s5
	s_load_dword s4, s[4:5], 0x0
	s_waitcnt lgkmcnt(0)
	v_fmac_f32_e64 v1, s13, s4
.LBB651_34:
	s_or_b32 s14, s14, exec_lo
.LBB651_35:
	s_or_b32 exec_lo, exec_lo, s0
.LBB651_36:
	s_and_saveexec_b32 s0, s14
	s_cbranch_execz .LBB651_38
; %bb.37:
	s_lshl_b64 s[2:3], s[2:3], 2
	v_mov_b32_e32 v0, 0
	s_add_u32 s0, s1, s2
	s_addc_u32 s1, s12, s3
	global_store_dword v0, v1, s[0:1]
.LBB651_38:
	s_endpgm
	.section	.rodata,"a",@progbits
	.p2align	6, 0x0
	.amdhsa_kernel _ZL32rocblas_gemvt_warp_reduce_kernelILb0ELi1024El16rocblas_bfloat16PKffEviiT3_lPKT2_lT1_lS6_lS7_lS3_lPT4_lS7_li
		.amdhsa_group_segment_fixed_size 128
		.amdhsa_private_segment_fixed_size 0
		.amdhsa_kernarg_size 140
		.amdhsa_user_sgpr_count 6
		.amdhsa_user_sgpr_private_segment_buffer 1
		.amdhsa_user_sgpr_dispatch_ptr 0
		.amdhsa_user_sgpr_queue_ptr 0
		.amdhsa_user_sgpr_kernarg_segment_ptr 1
		.amdhsa_user_sgpr_dispatch_id 0
		.amdhsa_user_sgpr_flat_scratch_init 0
		.amdhsa_user_sgpr_private_segment_size 0
		.amdhsa_wavefront_size32 1
		.amdhsa_uses_dynamic_stack 0
		.amdhsa_system_sgpr_private_segment_wavefront_offset 0
		.amdhsa_system_sgpr_workgroup_id_x 1
		.amdhsa_system_sgpr_workgroup_id_y 0
		.amdhsa_system_sgpr_workgroup_id_z 1
		.amdhsa_system_sgpr_workgroup_info 0
		.amdhsa_system_vgpr_workitem_id 0
		.amdhsa_next_free_vgpr 12
		.amdhsa_next_free_sgpr 52
		.amdhsa_reserve_vcc 1
		.amdhsa_reserve_flat_scratch 0
		.amdhsa_float_round_mode_32 0
		.amdhsa_float_round_mode_16_64 0
		.amdhsa_float_denorm_mode_32 3
		.amdhsa_float_denorm_mode_16_64 3
		.amdhsa_dx10_clamp 1
		.amdhsa_ieee_mode 1
		.amdhsa_fp16_overflow 0
		.amdhsa_workgroup_processor_mode 1
		.amdhsa_memory_ordered 1
		.amdhsa_forward_progress 1
		.amdhsa_shared_vgpr_count 0
		.amdhsa_exception_fp_ieee_invalid_op 0
		.amdhsa_exception_fp_denorm_src 0
		.amdhsa_exception_fp_ieee_div_zero 0
		.amdhsa_exception_fp_ieee_overflow 0
		.amdhsa_exception_fp_ieee_underflow 0
		.amdhsa_exception_fp_ieee_inexact 0
		.amdhsa_exception_int_div_zero 0
	.end_amdhsa_kernel
	.section	.text._ZL32rocblas_gemvt_warp_reduce_kernelILb0ELi1024El16rocblas_bfloat16PKffEviiT3_lPKT2_lT1_lS6_lS7_lS3_lPT4_lS7_li,"axG",@progbits,_ZL32rocblas_gemvt_warp_reduce_kernelILb0ELi1024El16rocblas_bfloat16PKffEviiT3_lPKT2_lT1_lS6_lS7_lS3_lPT4_lS7_li,comdat
.Lfunc_end651:
	.size	_ZL32rocblas_gemvt_warp_reduce_kernelILb0ELi1024El16rocblas_bfloat16PKffEviiT3_lPKT2_lT1_lS6_lS7_lS3_lPT4_lS7_li, .Lfunc_end651-_ZL32rocblas_gemvt_warp_reduce_kernelILb0ELi1024El16rocblas_bfloat16PKffEviiT3_lPKT2_lT1_lS6_lS7_lS3_lPT4_lS7_li
                                        ; -- End function
	.set _ZL32rocblas_gemvt_warp_reduce_kernelILb0ELi1024El16rocblas_bfloat16PKffEviiT3_lPKT2_lT1_lS6_lS7_lS3_lPT4_lS7_li.num_vgpr, 12
	.set _ZL32rocblas_gemvt_warp_reduce_kernelILb0ELi1024El16rocblas_bfloat16PKffEviiT3_lPKT2_lT1_lS6_lS7_lS3_lPT4_lS7_li.num_agpr, 0
	.set _ZL32rocblas_gemvt_warp_reduce_kernelILb0ELi1024El16rocblas_bfloat16PKffEviiT3_lPKT2_lT1_lS6_lS7_lS3_lPT4_lS7_li.numbered_sgpr, 52
	.set _ZL32rocblas_gemvt_warp_reduce_kernelILb0ELi1024El16rocblas_bfloat16PKffEviiT3_lPKT2_lT1_lS6_lS7_lS3_lPT4_lS7_li.num_named_barrier, 0
	.set _ZL32rocblas_gemvt_warp_reduce_kernelILb0ELi1024El16rocblas_bfloat16PKffEviiT3_lPKT2_lT1_lS6_lS7_lS3_lPT4_lS7_li.private_seg_size, 0
	.set _ZL32rocblas_gemvt_warp_reduce_kernelILb0ELi1024El16rocblas_bfloat16PKffEviiT3_lPKT2_lT1_lS6_lS7_lS3_lPT4_lS7_li.uses_vcc, 1
	.set _ZL32rocblas_gemvt_warp_reduce_kernelILb0ELi1024El16rocblas_bfloat16PKffEviiT3_lPKT2_lT1_lS6_lS7_lS3_lPT4_lS7_li.uses_flat_scratch, 0
	.set _ZL32rocblas_gemvt_warp_reduce_kernelILb0ELi1024El16rocblas_bfloat16PKffEviiT3_lPKT2_lT1_lS6_lS7_lS3_lPT4_lS7_li.has_dyn_sized_stack, 0
	.set _ZL32rocblas_gemvt_warp_reduce_kernelILb0ELi1024El16rocblas_bfloat16PKffEviiT3_lPKT2_lT1_lS6_lS7_lS3_lPT4_lS7_li.has_recursion, 0
	.set _ZL32rocblas_gemvt_warp_reduce_kernelILb0ELi1024El16rocblas_bfloat16PKffEviiT3_lPKT2_lT1_lS6_lS7_lS3_lPT4_lS7_li.has_indirect_call, 0
	.section	.AMDGPU.csdata,"",@progbits
; Kernel info:
; codeLenInByte = 1636
; TotalNumSgprs: 54
; NumVgprs: 12
; ScratchSize: 0
; MemoryBound: 0
; FloatMode: 240
; IeeeMode: 1
; LDSByteSize: 128 bytes/workgroup (compile time only)
; SGPRBlocks: 0
; VGPRBlocks: 1
; NumSGPRsForWavesPerEU: 54
; NumVGPRsForWavesPerEU: 12
; Occupancy: 16
; WaveLimiterHint : 0
; COMPUTE_PGM_RSRC2:SCRATCH_EN: 0
; COMPUTE_PGM_RSRC2:USER_SGPR: 6
; COMPUTE_PGM_RSRC2:TRAP_HANDLER: 0
; COMPUTE_PGM_RSRC2:TGID_X_EN: 1
; COMPUTE_PGM_RSRC2:TGID_Y_EN: 0
; COMPUTE_PGM_RSRC2:TGID_Z_EN: 1
; COMPUTE_PGM_RSRC2:TIDIG_COMP_CNT: 0
	.section	.text._ZL32rocblas_gemvt_warp_reduce_kernelILb0ELi1024Ei16rocblas_bfloat16ffEviiT3_lPKT2_lT1_lS4_lS5_lS1_lPT4_lS5_li,"axG",@progbits,_ZL32rocblas_gemvt_warp_reduce_kernelILb0ELi1024Ei16rocblas_bfloat16ffEviiT3_lPKT2_lT1_lS4_lS5_lS1_lPT4_lS5_li,comdat
	.globl	_ZL32rocblas_gemvt_warp_reduce_kernelILb0ELi1024Ei16rocblas_bfloat16ffEviiT3_lPKT2_lT1_lS4_lS5_lS1_lPT4_lS5_li ; -- Begin function _ZL32rocblas_gemvt_warp_reduce_kernelILb0ELi1024Ei16rocblas_bfloat16ffEviiT3_lPKT2_lT1_lS4_lS5_lS1_lPT4_lS5_li
	.p2align	8
	.type	_ZL32rocblas_gemvt_warp_reduce_kernelILb0ELi1024Ei16rocblas_bfloat16ffEviiT3_lPKT2_lT1_lS4_lS5_lS1_lPT4_lS5_li,@function
_ZL32rocblas_gemvt_warp_reduce_kernelILb0ELi1024Ei16rocblas_bfloat16ffEviiT3_lPKT2_lT1_lS4_lS5_lS1_lPT4_lS5_li: ; @_ZL32rocblas_gemvt_warp_reduce_kernelILb0ELi1024Ei16rocblas_bfloat16ffEviiT3_lPKT2_lT1_lS4_lS5_lS1_lPT4_lS5_li
; %bb.0:
	s_clause 0x1
	s_load_dword s12, s[4:5], 0x8
	s_load_dword s10, s[4:5], 0x58
	s_mov_b32 s11, 0
	s_waitcnt lgkmcnt(0)
	v_cmp_eq_f32_e64 s0, s12, 0
	v_cmp_eq_f32_e64 s1, s10, 1.0
	s_and_b32 s0, s0, s1
	s_and_b32 vcc_lo, exec_lo, s0
	s_cbranch_vccnz .LBB652_38
; %bb.1:
	s_clause 0x2
	s_load_dwordx2 s[8:9], s[4:5], 0x80
	s_load_dwordx4 s[0:3], s[4:5], 0x68
	s_load_dword s13, s[4:5], 0x78
	s_waitcnt lgkmcnt(0)
	s_mul_i32 s9, s9, s7
	s_mul_hi_u32 s14, s8, s7
	s_mul_i32 s8, s8, s7
	s_add_i32 s9, s14, s9
	v_cmp_neq_f32_e64 s14, s12, 0
	s_lshl_b64 s[8:9], s[8:9], 2
	s_add_u32 s8, s0, s8
	s_addc_u32 s9, s1, s9
	s_lshl_b64 s[0:1], s[2:3], 2
	s_add_u32 s8, s8, s0
	v_cmp_eq_u32_e64 s0, 0, v0
	s_addc_u32 s9, s9, s1
	s_and_b32 vcc_lo, exec_lo, s14
	s_cbranch_vccnz .LBB652_5
; %bb.2:
	s_mov_b32 s1, 0
                                        ; implicit-def: $vgpr1
                                        ; implicit-def: $sgpr2_sgpr3
	s_and_saveexec_b32 s14, s0
	s_cbranch_execz .LBB652_6
; %bb.3:
	v_cmp_eq_f32_e64 s0, s10, 0
	s_mul_i32 s2, s13, s6
	s_ashr_i32 s3, s2, 31
	s_and_b32 vcc_lo, exec_lo, s0
	s_cbranch_vccnz .LBB652_7
; %bb.4:
	s_lshl_b64 s[16:17], s[2:3], 2
	s_add_u32 s16, s8, s16
	s_addc_u32 s17, s9, s17
	s_load_dword s0, s[16:17], 0x0
	s_waitcnt lgkmcnt(0)
	v_mul_f32_e64 v1, s10, s0
	s_branch .LBB652_8
.LBB652_5:
                                        ; implicit-def: $vgpr1
                                        ; implicit-def: $sgpr2_sgpr3
	s_cbranch_execnz .LBB652_9
	s_branch .LBB652_36
.LBB652_6:
	s_or_b32 exec_lo, exec_lo, s14
	s_and_b32 vcc_lo, exec_lo, s1
	s_cbranch_vccnz .LBB652_9
	s_branch .LBB652_36
.LBB652_7:
	v_mov_b32_e32 v1, 0
.LBB652_8:
	s_mov_b32 s11, exec_lo
	s_or_b32 exec_lo, exec_lo, s14
	s_and_b32 vcc_lo, exec_lo, s1
	s_cbranch_vccz .LBB652_36
.LBB652_9:
	s_clause 0x6
	s_load_dwordx2 s[20:21], s[4:5], 0x50
	s_load_dwordx4 s[16:19], s[4:5], 0x30
	s_load_dwordx2 s[22:23], s[4:5], 0x40
	s_load_dword s14, s[4:5], 0x0
	s_load_dwordx4 s[0:3], s[4:5], 0x18
	s_load_dword s15, s[4:5], 0x28
	s_load_dword s4, s[4:5], 0x48
	v_mov_b32_e32 v7, 0
	s_waitcnt lgkmcnt(0)
	s_mul_i32 s5, s21, s7
	s_mul_hi_u32 s21, s20, s7
	s_mul_i32 s20, s20, s7
	s_add_i32 s21, s21, s5
	v_cmp_gt_i32_e32 vcc_lo, s14, v0
	s_lshl_b64 s[20:21], s[20:21], 1
	s_mul_i32 s17, s17, s7
	s_add_u32 s5, s18, s20
	s_addc_u32 s20, s19, s21
	s_lshl_b64 s[18:19], s[22:23], 1
	s_mul_hi_u32 s24, s16, s7
	s_add_u32 s5, s5, s18
	v_cndmask_b32_e32 v1, 0, v0, vcc_lo
	s_mul_i32 s16, s16, s7
	s_addc_u32 s7, s20, s19
	s_add_i32 s17, s24, s17
	s_mul_i32 s18, s15, s6
	s_lshl_b64 s[16:17], s[16:17], 1
	v_lshlrev_b32_e32 v1, 1, v1
	s_add_u32 s15, s0, s16
	s_addc_u32 s16, s1, s17
	s_lshl_b64 s[0:1], s[2:3], 1
	s_mov_b32 s3, 0
	s_add_u32 s0, s15, s0
	s_addc_u32 s1, s16, s1
	v_add_co_u32 v1, s0, s0, v1
	s_ashr_i32 s19, s18, 31
	v_add_co_ci_u32_e64 v2, null, s1, 0, s0
	s_lshl_b64 s[0:1], s[18:19], 1
	s_ashr_i32 s2, s14, 31
	v_add_co_u32 v1, vcc_lo, v1, s0
	s_lshr_b32 s2, s2, 22
	v_add_co_ci_u32_e64 v2, null, s1, v2, vcc_lo
	s_add_i32 s2, s14, s2
	s_mov_b32 s1, exec_lo
	s_and_b32 s2, s2, 0xfffffc00
	v_cmpx_gt_i32_e64 s2, v0
	s_cbranch_execz .LBB652_17
; %bb.10:
	v_mul_lo_u32 v3, v0, s4
	v_mov_b32_e32 v6, v2
	v_mov_b32_e32 v8, 0
	;; [unrolled: 1-line block ×5, first 2 shown]
	s_lshl_b32 s15, s4, 10
	s_branch .LBB652_12
.LBB652_11:                             ;   in Loop: Header=BB652_12 Depth=1
	s_or_b32 exec_lo, exec_lo, s0
	v_add_nc_u32_e32 v9, 0x400, v9
	v_and_b32_e32 v4, 0xffff0000, v10
	v_add_co_u32 v5, s0, 0x800, v5
	v_add_nc_u32_e32 v3, s15, v3
	v_cmp_le_i32_e32 vcc_lo, s2, v9
	v_add_f32_e32 v7, v7, v4
	v_add_co_ci_u32_e64 v6, null, 0, v6, s0
	s_or_b32 s3, vcc_lo, s3
	s_andn2_b32 exec_lo, exec_lo, s3
	s_cbranch_execz .LBB652_16
.LBB652_12:                             ; =>This Inner Loop Header: Depth=1
	v_ashrrev_i32_e32 v4, 31, v3
	v_lshlrev_b64 v[10:11], 1, v[3:4]
	v_add_co_u32 v10, vcc_lo, s5, v10
	v_add_co_ci_u32_e64 v11, null, s7, v11, vcc_lo
	global_load_ushort v4, v[5:6], off
	global_load_ushort v10, v[10:11], off
	s_waitcnt vmcnt(1)
	v_lshlrev_b32_e32 v4, 16, v4
	s_waitcnt vmcnt(0)
	v_lshlrev_b32_e32 v10, 16, v10
	v_mul_f32_e32 v4, v4, v10
	v_and_b32_e32 v10, 0x7f800000, v4
	v_cmp_ne_u32_e32 vcc_lo, 0x7f800000, v10
                                        ; implicit-def: $vgpr10
	s_and_saveexec_b32 s0, vcc_lo
	s_xor_b32 s0, exec_lo, s0
; %bb.13:                               ;   in Loop: Header=BB652_12 Depth=1
	v_bfe_u32 v10, v4, 16, 1
	v_add3_u32 v10, v4, v10, 0x7fff
                                        ; implicit-def: $vgpr4
; %bb.14:                               ;   in Loop: Header=BB652_12 Depth=1
	s_andn2_saveexec_b32 s0, s0
	s_cbranch_execz .LBB652_11
; %bb.15:                               ;   in Loop: Header=BB652_12 Depth=1
	v_or_b32_e32 v10, 0x10000, v4
	v_cmp_eq_u32_sdwa vcc_lo, v4, v8 src0_sel:WORD_0 src1_sel:DWORD
	v_cndmask_b32_e32 v10, v10, v4, vcc_lo
	s_branch .LBB652_11
.LBB652_16:
	s_or_b32 exec_lo, exec_lo, s3
.LBB652_17:
	s_or_b32 exec_lo, exec_lo, s1
	v_or_b32_e32 v3, s2, v0
	s_mov_b32 s0, exec_lo
	v_cmpx_gt_i32_e64 s14, v3
	s_cbranch_execz .LBB652_23
; %bb.18:
	v_mul_lo_u32 v3, s4, v3
	s_ashr_i32 s3, s2, 31
	s_lshl_b64 s[2:3], s[2:3], 1
	v_ashrrev_i32_e32 v4, 31, v3
	v_lshlrev_b64 v[3:4], 1, v[3:4]
	v_add_co_u32 v3, vcc_lo, s5, v3
	v_add_co_ci_u32_e64 v4, null, s7, v4, vcc_lo
	v_add_co_u32 v1, vcc_lo, v1, s2
	v_add_co_ci_u32_e64 v2, null, s3, v2, vcc_lo
	global_load_ushort v3, v[3:4], off
	global_load_ushort v1, v[1:2], off
	s_waitcnt vmcnt(1)
	v_lshlrev_b32_e32 v2, 16, v3
	s_waitcnt vmcnt(0)
	v_lshlrev_b32_e32 v1, 16, v1
	v_mul_f32_e32 v1, v1, v2
	v_and_b32_e32 v2, 0x7f800000, v1
	v_cmp_ne_u32_e32 vcc_lo, 0x7f800000, v2
                                        ; implicit-def: $vgpr2
	s_and_saveexec_b32 s1, vcc_lo
	s_xor_b32 s1, exec_lo, s1
; %bb.19:
	v_bfe_u32 v2, v1, 16, 1
	v_add3_u32 v2, v1, v2, 0x7fff
                                        ; implicit-def: $vgpr1
; %bb.20:
	s_andn2_saveexec_b32 s1, s1
; %bb.21:
	v_mov_b32_e32 v2, 0
	v_or_b32_e32 v3, 0x10000, v1
	v_cmp_eq_u32_sdwa vcc_lo, v1, v2 src0_sel:WORD_0 src1_sel:DWORD
	v_cndmask_b32_e32 v2, v3, v1, vcc_lo
; %bb.22:
	s_or_b32 exec_lo, exec_lo, s1
	v_and_b32_e32 v1, 0xffff0000, v2
	v_add_f32_e32 v7, v7, v1
.LBB652_23:
	s_or_b32 exec_lo, exec_lo, s0
	v_and_b32_e32 v8, 31, v0
	v_cmp_gt_u32_e32 vcc_lo, 32, v0
	v_lshlrev_b32_e32 v1, 2, v8
	s_and_saveexec_b32 s0, vcc_lo
; %bb.24:
	v_mov_b32_e32 v2, 0
	ds_write_b32 v1, v2
; %bb.25:
	s_or_b32 exec_lo, exec_lo, s0
	v_mbcnt_lo_u32_b32 v6, -1, 0
	s_mov_b32 s1, exec_lo
	s_waitcnt lgkmcnt(0)
	s_barrier
	buffer_gl0_inv
	v_lshl_or_b32 v2, v6, 2, 64
	v_cmp_gt_u32_e64 s0, 24, v6
	ds_bpermute_b32 v4, v2, v7
	v_cndmask_b32_e64 v3, 0, 8, s0
	v_cmp_gt_u32_e64 s0, 28, v6
	v_add_lshl_u32 v3, v3, v6, 2
	s_waitcnt lgkmcnt(0)
	v_add_f32_e32 v5, v7, v4
	v_cndmask_b32_e64 v4, 0, 4, s0
	v_cmp_gt_u32_e64 s0, 30, v6
	ds_bpermute_b32 v7, v3, v5
	v_add_lshl_u32 v4, v4, v6, 2
	s_waitcnt lgkmcnt(0)
	v_add_f32_e32 v7, v5, v7
	v_cndmask_b32_e64 v5, 0, 2, s0
	v_cmp_ne_u32_e64 s0, 31, v6
	ds_bpermute_b32 v9, v4, v7
	v_add_lshl_u32 v5, v5, v6, 2
	v_add_co_ci_u32_e64 v6, null, 0, v6, s0
	v_lshlrev_b32_e32 v6, 2, v6
	s_waitcnt lgkmcnt(0)
	v_add_f32_e32 v7, v7, v9
	ds_bpermute_b32 v9, v5, v7
	s_waitcnt lgkmcnt(0)
	v_add_f32_e32 v7, v7, v9
	ds_bpermute_b32 v9, v6, v7
	v_cmpx_eq_u32_e32 0, v8
	s_cbranch_execz .LBB652_27
; %bb.26:
	v_lshrrev_b32_e32 v8, 3, v0
	s_waitcnt lgkmcnt(0)
	v_add_f32_e32 v7, v7, v9
	v_and_b32_e32 v8, 0x7c, v8
	ds_write_b32 v8, v7
.LBB652_27:
	s_or_b32 exec_lo, exec_lo, s1
	v_mov_b32_e32 v7, 0
	s_waitcnt lgkmcnt(0)
	s_barrier
	buffer_gl0_inv
	s_and_saveexec_b32 s0, vcc_lo
; %bb.28:
	ds_read_b32 v7, v1
; %bb.29:
	s_or_b32 exec_lo, exec_lo, s0
	s_and_saveexec_b32 s0, vcc_lo
	s_cbranch_execz .LBB652_31
; %bb.30:
	s_waitcnt lgkmcnt(0)
	ds_bpermute_b32 v1, v2, v7
	s_waitcnt lgkmcnt(0)
	v_add_f32_e32 v1, v7, v1
	ds_bpermute_b32 v2, v3, v1
	s_waitcnt lgkmcnt(0)
	v_add_f32_e32 v1, v1, v2
	;; [unrolled: 3-line block ×5, first 2 shown]
.LBB652_31:
	s_or_b32 exec_lo, exec_lo, s0
	s_mov_b32 s0, exec_lo
                                        ; implicit-def: $vgpr1
                                        ; implicit-def: $sgpr2_sgpr3
	v_cmpx_eq_u32_e32 0, v0
	s_cbranch_execz .LBB652_35
; %bb.32:
	v_cmp_eq_f32_e64 s1, s10, 0
	s_waitcnt lgkmcnt(0)
	v_mul_f32_e32 v1, s12, v7
	s_mul_i32 s2, s13, s6
	s_ashr_i32 s3, s2, 31
	s_and_b32 vcc_lo, exec_lo, s1
	s_cbranch_vccnz .LBB652_34
; %bb.33:
	s_lshl_b64 s[4:5], s[2:3], 2
	s_add_u32 s4, s8, s4
	s_addc_u32 s5, s9, s5
	s_load_dword s1, s[4:5], 0x0
	s_waitcnt lgkmcnt(0)
	v_fmac_f32_e64 v1, s10, s1
.LBB652_34:
	s_or_b32 s11, s11, exec_lo
.LBB652_35:
	s_or_b32 exec_lo, exec_lo, s0
.LBB652_36:
	s_and_saveexec_b32 s0, s11
	s_cbranch_execz .LBB652_38
; %bb.37:
	s_lshl_b64 s[0:1], s[2:3], 2
	v_mov_b32_e32 v0, 0
	s_add_u32 s0, s8, s0
	s_addc_u32 s1, s9, s1
	global_store_dword v0, v1, s[0:1]
.LBB652_38:
	s_endpgm
	.section	.rodata,"a",@progbits
	.p2align	6, 0x0
	.amdhsa_kernel _ZL32rocblas_gemvt_warp_reduce_kernelILb0ELi1024Ei16rocblas_bfloat16ffEviiT3_lPKT2_lT1_lS4_lS5_lS1_lPT4_lS5_li
		.amdhsa_group_segment_fixed_size 128
		.amdhsa_private_segment_fixed_size 0
		.amdhsa_kernarg_size 140
		.amdhsa_user_sgpr_count 6
		.amdhsa_user_sgpr_private_segment_buffer 1
		.amdhsa_user_sgpr_dispatch_ptr 0
		.amdhsa_user_sgpr_queue_ptr 0
		.amdhsa_user_sgpr_kernarg_segment_ptr 1
		.amdhsa_user_sgpr_dispatch_id 0
		.amdhsa_user_sgpr_flat_scratch_init 0
		.amdhsa_user_sgpr_private_segment_size 0
		.amdhsa_wavefront_size32 1
		.amdhsa_uses_dynamic_stack 0
		.amdhsa_system_sgpr_private_segment_wavefront_offset 0
		.amdhsa_system_sgpr_workgroup_id_x 1
		.amdhsa_system_sgpr_workgroup_id_y 0
		.amdhsa_system_sgpr_workgroup_id_z 1
		.amdhsa_system_sgpr_workgroup_info 0
		.amdhsa_system_vgpr_workitem_id 0
		.amdhsa_next_free_vgpr 12
		.amdhsa_next_free_sgpr 25
		.amdhsa_reserve_vcc 1
		.amdhsa_reserve_flat_scratch 0
		.amdhsa_float_round_mode_32 0
		.amdhsa_float_round_mode_16_64 0
		.amdhsa_float_denorm_mode_32 3
		.amdhsa_float_denorm_mode_16_64 3
		.amdhsa_dx10_clamp 1
		.amdhsa_ieee_mode 1
		.amdhsa_fp16_overflow 0
		.amdhsa_workgroup_processor_mode 1
		.amdhsa_memory_ordered 1
		.amdhsa_forward_progress 1
		.amdhsa_shared_vgpr_count 0
		.amdhsa_exception_fp_ieee_invalid_op 0
		.amdhsa_exception_fp_denorm_src 0
		.amdhsa_exception_fp_ieee_div_zero 0
		.amdhsa_exception_fp_ieee_overflow 0
		.amdhsa_exception_fp_ieee_underflow 0
		.amdhsa_exception_fp_ieee_inexact 0
		.amdhsa_exception_int_div_zero 0
	.end_amdhsa_kernel
	.section	.text._ZL32rocblas_gemvt_warp_reduce_kernelILb0ELi1024Ei16rocblas_bfloat16ffEviiT3_lPKT2_lT1_lS4_lS5_lS1_lPT4_lS5_li,"axG",@progbits,_ZL32rocblas_gemvt_warp_reduce_kernelILb0ELi1024Ei16rocblas_bfloat16ffEviiT3_lPKT2_lT1_lS4_lS5_lS1_lPT4_lS5_li,comdat
.Lfunc_end652:
	.size	_ZL32rocblas_gemvt_warp_reduce_kernelILb0ELi1024Ei16rocblas_bfloat16ffEviiT3_lPKT2_lT1_lS4_lS5_lS1_lPT4_lS5_li, .Lfunc_end652-_ZL32rocblas_gemvt_warp_reduce_kernelILb0ELi1024Ei16rocblas_bfloat16ffEviiT3_lPKT2_lT1_lS4_lS5_lS1_lPT4_lS5_li
                                        ; -- End function
	.set _ZL32rocblas_gemvt_warp_reduce_kernelILb0ELi1024Ei16rocblas_bfloat16ffEviiT3_lPKT2_lT1_lS4_lS5_lS1_lPT4_lS5_li.num_vgpr, 12
	.set _ZL32rocblas_gemvt_warp_reduce_kernelILb0ELi1024Ei16rocblas_bfloat16ffEviiT3_lPKT2_lT1_lS4_lS5_lS1_lPT4_lS5_li.num_agpr, 0
	.set _ZL32rocblas_gemvt_warp_reduce_kernelILb0ELi1024Ei16rocblas_bfloat16ffEviiT3_lPKT2_lT1_lS4_lS5_lS1_lPT4_lS5_li.numbered_sgpr, 25
	.set _ZL32rocblas_gemvt_warp_reduce_kernelILb0ELi1024Ei16rocblas_bfloat16ffEviiT3_lPKT2_lT1_lS4_lS5_lS1_lPT4_lS5_li.num_named_barrier, 0
	.set _ZL32rocblas_gemvt_warp_reduce_kernelILb0ELi1024Ei16rocblas_bfloat16ffEviiT3_lPKT2_lT1_lS4_lS5_lS1_lPT4_lS5_li.private_seg_size, 0
	.set _ZL32rocblas_gemvt_warp_reduce_kernelILb0ELi1024Ei16rocblas_bfloat16ffEviiT3_lPKT2_lT1_lS4_lS5_lS1_lPT4_lS5_li.uses_vcc, 1
	.set _ZL32rocblas_gemvt_warp_reduce_kernelILb0ELi1024Ei16rocblas_bfloat16ffEviiT3_lPKT2_lT1_lS4_lS5_lS1_lPT4_lS5_li.uses_flat_scratch, 0
	.set _ZL32rocblas_gemvt_warp_reduce_kernelILb0ELi1024Ei16rocblas_bfloat16ffEviiT3_lPKT2_lT1_lS4_lS5_lS1_lPT4_lS5_li.has_dyn_sized_stack, 0
	.set _ZL32rocblas_gemvt_warp_reduce_kernelILb0ELi1024Ei16rocblas_bfloat16ffEviiT3_lPKT2_lT1_lS4_lS5_lS1_lPT4_lS5_li.has_recursion, 0
	.set _ZL32rocblas_gemvt_warp_reduce_kernelILb0ELi1024Ei16rocblas_bfloat16ffEviiT3_lPKT2_lT1_lS4_lS5_lS1_lPT4_lS5_li.has_indirect_call, 0
	.section	.AMDGPU.csdata,"",@progbits
; Kernel info:
; codeLenInByte = 1492
; TotalNumSgprs: 27
; NumVgprs: 12
; ScratchSize: 0
; MemoryBound: 0
; FloatMode: 240
; IeeeMode: 1
; LDSByteSize: 128 bytes/workgroup (compile time only)
; SGPRBlocks: 0
; VGPRBlocks: 1
; NumSGPRsForWavesPerEU: 27
; NumVGPRsForWavesPerEU: 12
; Occupancy: 16
; WaveLimiterHint : 1
; COMPUTE_PGM_RSRC2:SCRATCH_EN: 0
; COMPUTE_PGM_RSRC2:USER_SGPR: 6
; COMPUTE_PGM_RSRC2:TRAP_HANDLER: 0
; COMPUTE_PGM_RSRC2:TGID_X_EN: 1
; COMPUTE_PGM_RSRC2:TGID_Y_EN: 0
; COMPUTE_PGM_RSRC2:TGID_Z_EN: 1
; COMPUTE_PGM_RSRC2:TIDIG_COMP_CNT: 0
	.section	.text._ZL32rocblas_gemvt_warp_reduce_kernelILb0ELi1024El16rocblas_bfloat16ffEviiT3_lPKT2_lT1_lS4_lS5_lS1_lPT4_lS5_li,"axG",@progbits,_ZL32rocblas_gemvt_warp_reduce_kernelILb0ELi1024El16rocblas_bfloat16ffEviiT3_lPKT2_lT1_lS4_lS5_lS1_lPT4_lS5_li,comdat
	.globl	_ZL32rocblas_gemvt_warp_reduce_kernelILb0ELi1024El16rocblas_bfloat16ffEviiT3_lPKT2_lT1_lS4_lS5_lS1_lPT4_lS5_li ; -- Begin function _ZL32rocblas_gemvt_warp_reduce_kernelILb0ELi1024El16rocblas_bfloat16ffEviiT3_lPKT2_lT1_lS4_lS5_lS1_lPT4_lS5_li
	.p2align	8
	.type	_ZL32rocblas_gemvt_warp_reduce_kernelILb0ELi1024El16rocblas_bfloat16ffEviiT3_lPKT2_lT1_lS4_lS5_lS1_lPT4_lS5_li,@function
_ZL32rocblas_gemvt_warp_reduce_kernelILb0ELi1024El16rocblas_bfloat16ffEviiT3_lPKT2_lT1_lS4_lS5_lS1_lPT4_lS5_li: ; @_ZL32rocblas_gemvt_warp_reduce_kernelILb0ELi1024El16rocblas_bfloat16ffEviiT3_lPKT2_lT1_lS4_lS5_lS1_lPT4_lS5_li
; %bb.0:
	s_clause 0x1
	s_load_dword s30, s[4:5], 0x8
	s_load_dword s28, s[4:5], 0x58
	s_mov_b32 s29, 0
	s_waitcnt lgkmcnt(0)
	v_cmp_eq_f32_e64 s0, s30, 0
	v_cmp_eq_f32_e64 s1, s28, 1.0
	s_and_b32 s0, s0, s1
	s_and_b32 vcc_lo, exec_lo, s0
	s_cbranch_vccnz .LBB653_38
; %bb.1:
	s_load_dwordx8 s[20:27], s[4:5], 0x68
	v_cmp_neq_f32_e64 s8, s30, 0
	s_waitcnt lgkmcnt(0)
	s_mul_i32 s1, s27, s7
	s_mul_hi_u32 s2, s26, s7
	s_mul_i32 s0, s26, s7
	s_add_i32 s1, s2, s1
	s_lshl_b64 s[0:1], s[0:1], 2
	s_add_u32 s0, s20, s0
	s_addc_u32 s9, s21, s1
	s_lshl_b64 s[2:3], s[22:23], 2
	s_add_u32 s1, s0, s2
	v_cmp_eq_u32_e64 s0, 0, v0
	s_addc_u32 s26, s9, s3
	s_and_b32 vcc_lo, exec_lo, s8
	s_cbranch_vccnz .LBB653_5
; %bb.2:
	s_mov_b32 s8, 0
                                        ; implicit-def: $vgpr1
                                        ; implicit-def: $sgpr2_sgpr3
	s_and_saveexec_b32 s9, s0
	s_cbranch_execz .LBB653_6
; %bb.3:
	s_ashr_i32 s2, s6, 31
	v_cmp_eq_f32_e64 s0, s28, 0
	s_mul_hi_u32 s3, s24, s6
	s_mul_i32 s2, s24, s2
	s_mul_i32 s10, s25, s6
	s_add_i32 s2, s3, s2
	s_and_b32 vcc_lo, exec_lo, s0
	s_add_i32 s3, s2, s10
	s_mul_i32 s2, s24, s6
	s_cbranch_vccnz .LBB653_7
; %bb.4:
	s_lshl_b64 s[10:11], s[2:3], 2
	s_add_u32 s10, s1, s10
	s_addc_u32 s11, s26, s11
	s_load_dword s0, s[10:11], 0x0
	s_waitcnt lgkmcnt(0)
	v_mul_f32_e64 v1, s28, s0
	s_branch .LBB653_8
.LBB653_5:
                                        ; implicit-def: $vgpr1
                                        ; implicit-def: $sgpr2_sgpr3
	s_cbranch_execnz .LBB653_9
	s_branch .LBB653_36
.LBB653_6:
	s_or_b32 exec_lo, exec_lo, s9
	s_and_b32 vcc_lo, exec_lo, s8
	s_cbranch_vccnz .LBB653_9
	s_branch .LBB653_36
.LBB653_7:
	v_mov_b32_e32 v1, 0
.LBB653_8:
	s_mov_b32 s29, exec_lo
	s_or_b32 exec_lo, exec_lo, s9
	s_and_b32 vcc_lo, exec_lo, s8
	s_cbranch_vccz .LBB653_36
.LBB653_9:
	s_clause 0x1
	s_load_dwordx16 s[8:23], s[4:5], 0x18
	s_load_dword s5, s[4:5], 0x0
	v_mov_b32_e32 v7, 0
	s_waitcnt lgkmcnt(0)
	s_mul_i32 s3, s15, s7
	v_cmp_gt_i32_e32 vcc_lo, s5, v0
	s_mul_hi_u32 s15, s14, s7
	s_mul_i32 s2, s14, s7
	s_add_i32 s3, s15, s3
	s_mul_i32 s0, s23, s7
	v_cndmask_b32_e32 v1, 0, v0, vcc_lo
	s_mul_hi_u32 s4, s22, s7
	s_lshl_b64 s[34:35], s[2:3], 1
	s_add_i32 s3, s4, s0
	s_add_u32 s0, s8, s34
	v_lshlrev_b32_e32 v1, 1, v1
	s_addc_u32 s2, s9, s35
	s_lshl_b64 s[8:9], s[10:11], 1
	s_mul_hi_u32 s23, s12, s6
	s_add_u32 s0, s0, s8
	s_addc_u32 s2, s2, s9
	s_ashr_i32 s10, s6, 31
	v_add_co_u32 v1, s0, s0, v1
	v_add_co_ci_u32_e64 v2, null, s2, 0, s0
	s_mul_i32 s0, s12, s10
	s_mul_i32 s13, s13, s6
	s_add_i32 s0, s23, s0
	s_mul_i32 s14, s12, s6
	s_add_i32 s15, s0, s13
	s_ashr_i32 s4, s5, 31
	s_lshl_b64 s[8:9], s[14:15], 1
	s_lshr_b32 s2, s4, 22
	v_add_co_u32 v1, vcc_lo, v1, s8
	v_add_co_ci_u32_e64 v2, null, s9, v2, vcc_lo
	s_add_i32 s2, s5, s2
	s_mov_b32 s11, 0
	s_and_b32 s4, s2, 0xfffffc00
	s_mul_i32 s2, s22, s7
	s_mov_b32 s7, exec_lo
	v_cmpx_gt_i32_e64 s4, v0
	s_cbranch_execz .LBB653_17
; %bb.10:
	v_mad_u64_u32 v[5:6], null, s20, v0, 0
	s_lshl_b64 s[12:13], s[18:19], 1
	s_lshl_b64 s[8:9], s[2:3], 1
	s_add_u32 s0, s16, s12
	s_addc_u32 s12, s17, s13
	s_add_u32 s0, s0, s8
	s_addc_u32 s8, s12, s9
	v_mov_b32_e32 v3, v6
	v_mov_b32_e32 v8, 0
	;; [unrolled: 1-line block ×4, first 2 shown]
	v_mad_u64_u32 v[3:4], null, s21, v0, v[3:4]
	v_mov_b32_e32 v6, v3
	v_mov_b32_e32 v4, v2
	;; [unrolled: 1-line block ×3, first 2 shown]
	v_lshlrev_b64 v[5:6], 1, v[5:6]
	v_add_co_u32 v5, vcc_lo, s0, v5
	v_add_co_ci_u32_e64 v6, null, s8, v6, vcc_lo
	s_lshl_b64 s[8:9], s[20:21], 11
	s_inst_prefetch 0x1
	s_branch .LBB653_12
	.p2align	6
.LBB653_11:                             ;   in Loop: Header=BB653_12 Depth=1
	s_or_b32 exec_lo, exec_lo, s0
	v_add_nc_u32_e32 v9, 0x400, v9
	v_and_b32_e32 v10, 0xffff0000, v11
	v_add_co_u32 v3, vcc_lo, 0x800, v3
	v_add_co_ci_u32_e64 v4, null, 0, v4, vcc_lo
	v_cmp_le_i32_e32 vcc_lo, s4, v9
	v_add_co_u32 v5, s0, v5, s8
	v_add_f32_e32 v7, v7, v10
	v_add_co_ci_u32_e64 v6, null, s9, v6, s0
	s_or_b32 s11, vcc_lo, s11
	s_andn2_b32 exec_lo, exec_lo, s11
	s_cbranch_execz .LBB653_16
.LBB653_12:                             ; =>This Inner Loop Header: Depth=1
	global_load_ushort v10, v[5:6], off
	global_load_ushort v11, v[3:4], off
	s_waitcnt vmcnt(1)
	v_lshlrev_b32_e32 v10, 16, v10
	s_waitcnt vmcnt(0)
	v_lshlrev_b32_e32 v11, 16, v11
	v_mul_f32_e32 v10, v11, v10
	v_and_b32_e32 v11, 0x7f800000, v10
	v_cmp_ne_u32_e32 vcc_lo, 0x7f800000, v11
                                        ; implicit-def: $vgpr11
	s_and_saveexec_b32 s0, vcc_lo
	s_xor_b32 s0, exec_lo, s0
; %bb.13:                               ;   in Loop: Header=BB653_12 Depth=1
	v_bfe_u32 v11, v10, 16, 1
	v_add3_u32 v11, v10, v11, 0x7fff
                                        ; implicit-def: $vgpr10
; %bb.14:                               ;   in Loop: Header=BB653_12 Depth=1
	s_andn2_saveexec_b32 s0, s0
	s_cbranch_execz .LBB653_11
; %bb.15:                               ;   in Loop: Header=BB653_12 Depth=1
	v_or_b32_e32 v11, 0x10000, v10
	v_cmp_eq_u32_sdwa vcc_lo, v10, v8 src0_sel:WORD_0 src1_sel:DWORD
	v_cndmask_b32_e32 v11, v11, v10, vcc_lo
	s_branch .LBB653_11
.LBB653_16:
	s_inst_prefetch 0x2
	s_or_b32 exec_lo, exec_lo, s11
.LBB653_17:
	s_or_b32 exec_lo, exec_lo, s7
	v_or_b32_e32 v3, s4, v0
	s_mov_b32 s0, exec_lo
	v_cmpx_gt_i32_e64 s5, v3
	s_cbranch_execz .LBB653_23
; %bb.18:
	v_ashrrev_i32_e32 v5, 31, v3
	v_mul_lo_u32 v6, s21, v3
	v_mad_u64_u32 v[3:4], null, s20, v3, 0
	s_lshl_b64 s[2:3], s[2:3], 1
	v_mul_lo_u32 v5, s20, v5
	s_add_u32 s5, s16, s2
	s_addc_u32 s7, s17, s3
	s_lshl_b64 s[2:3], s[18:19], 1
	s_add_u32 s8, s5, s2
	s_addc_u32 s7, s7, s3
	s_ashr_i32 s5, s4, 31
	v_add3_u32 v4, v4, v5, v6
	s_lshl_b64 s[2:3], s[4:5], 1
	v_lshlrev_b64 v[3:4], 1, v[3:4]
	v_add_co_u32 v3, vcc_lo, s8, v3
	v_add_co_ci_u32_e64 v4, null, s7, v4, vcc_lo
	v_add_co_u32 v1, vcc_lo, v1, s2
	v_add_co_ci_u32_e64 v2, null, s3, v2, vcc_lo
	global_load_ushort v3, v[3:4], off
	global_load_ushort v1, v[1:2], off
	s_waitcnt vmcnt(1)
	v_lshlrev_b32_e32 v2, 16, v3
	s_waitcnt vmcnt(0)
	v_lshlrev_b32_e32 v1, 16, v1
	v_mul_f32_e32 v1, v1, v2
	v_and_b32_e32 v2, 0x7f800000, v1
	v_cmp_ne_u32_e32 vcc_lo, 0x7f800000, v2
                                        ; implicit-def: $vgpr2
	s_and_saveexec_b32 s2, vcc_lo
	s_xor_b32 s2, exec_lo, s2
; %bb.19:
	v_bfe_u32 v2, v1, 16, 1
	v_add3_u32 v2, v1, v2, 0x7fff
                                        ; implicit-def: $vgpr1
; %bb.20:
	s_andn2_saveexec_b32 s2, s2
; %bb.21:
	v_mov_b32_e32 v2, 0
	v_or_b32_e32 v3, 0x10000, v1
	v_cmp_eq_u32_sdwa vcc_lo, v1, v2 src0_sel:WORD_0 src1_sel:DWORD
	v_cndmask_b32_e32 v2, v3, v1, vcc_lo
; %bb.22:
	s_or_b32 exec_lo, exec_lo, s2
	v_and_b32_e32 v1, 0xffff0000, v2
	v_add_f32_e32 v7, v7, v1
.LBB653_23:
	s_or_b32 exec_lo, exec_lo, s0
	v_and_b32_e32 v8, 31, v0
	v_cmp_gt_u32_e32 vcc_lo, 32, v0
	v_lshlrev_b32_e32 v1, 2, v8
	s_and_saveexec_b32 s0, vcc_lo
; %bb.24:
	v_mov_b32_e32 v2, 0
	ds_write_b32 v1, v2
; %bb.25:
	s_or_b32 exec_lo, exec_lo, s0
	v_mbcnt_lo_u32_b32 v6, -1, 0
	s_mov_b32 s2, exec_lo
	s_waitcnt lgkmcnt(0)
	s_barrier
	buffer_gl0_inv
	v_lshl_or_b32 v2, v6, 2, 64
	v_cmp_gt_u32_e64 s0, 24, v6
	ds_bpermute_b32 v4, v2, v7
	v_cndmask_b32_e64 v3, 0, 8, s0
	v_cmp_gt_u32_e64 s0, 28, v6
	v_add_lshl_u32 v3, v3, v6, 2
	s_waitcnt lgkmcnt(0)
	v_add_f32_e32 v5, v7, v4
	v_cndmask_b32_e64 v4, 0, 4, s0
	v_cmp_gt_u32_e64 s0, 30, v6
	ds_bpermute_b32 v7, v3, v5
	v_add_lshl_u32 v4, v4, v6, 2
	s_waitcnt lgkmcnt(0)
	v_add_f32_e32 v7, v5, v7
	v_cndmask_b32_e64 v5, 0, 2, s0
	v_cmp_ne_u32_e64 s0, 31, v6
	ds_bpermute_b32 v9, v4, v7
	v_add_lshl_u32 v5, v5, v6, 2
	v_add_co_ci_u32_e64 v6, null, 0, v6, s0
	v_lshlrev_b32_e32 v6, 2, v6
	s_waitcnt lgkmcnt(0)
	v_add_f32_e32 v7, v7, v9
	ds_bpermute_b32 v9, v5, v7
	s_waitcnt lgkmcnt(0)
	v_add_f32_e32 v7, v7, v9
	ds_bpermute_b32 v9, v6, v7
	v_cmpx_eq_u32_e32 0, v8
	s_cbranch_execz .LBB653_27
; %bb.26:
	v_lshrrev_b32_e32 v8, 3, v0
	s_waitcnt lgkmcnt(0)
	v_add_f32_e32 v7, v7, v9
	v_and_b32_e32 v8, 0x7c, v8
	ds_write_b32 v8, v7
.LBB653_27:
	s_or_b32 exec_lo, exec_lo, s2
	v_mov_b32_e32 v7, 0
	s_waitcnt lgkmcnt(0)
	s_barrier
	buffer_gl0_inv
	s_and_saveexec_b32 s0, vcc_lo
; %bb.28:
	ds_read_b32 v7, v1
; %bb.29:
	s_or_b32 exec_lo, exec_lo, s0
	s_and_saveexec_b32 s0, vcc_lo
	s_cbranch_execz .LBB653_31
; %bb.30:
	s_waitcnt lgkmcnt(0)
	ds_bpermute_b32 v1, v2, v7
	s_waitcnt lgkmcnt(0)
	v_add_f32_e32 v1, v7, v1
	ds_bpermute_b32 v2, v3, v1
	s_waitcnt lgkmcnt(0)
	v_add_f32_e32 v1, v1, v2
	;; [unrolled: 3-line block ×5, first 2 shown]
.LBB653_31:
	s_or_b32 exec_lo, exec_lo, s0
	s_mov_b32 s0, exec_lo
                                        ; implicit-def: $vgpr1
                                        ; implicit-def: $sgpr2_sgpr3
	v_cmpx_eq_u32_e32 0, v0
	s_cbranch_execz .LBB653_35
; %bb.32:
	v_cmp_eq_f32_e64 s4, s28, 0
	s_mul_i32 s2, s24, s10
	s_mul_hi_u32 s3, s24, s6
	s_waitcnt lgkmcnt(0)
	v_mul_f32_e32 v1, s30, v7
	s_add_i32 s2, s3, s2
	s_mul_i32 s3, s25, s6
	s_and_b32 vcc_lo, exec_lo, s4
	s_add_i32 s3, s2, s3
	s_mul_i32 s2, s24, s6
	s_cbranch_vccnz .LBB653_34
; %bb.33:
	s_lshl_b64 s[4:5], s[2:3], 2
	s_add_u32 s4, s1, s4
	s_addc_u32 s5, s26, s5
	s_load_dword s4, s[4:5], 0x0
	s_waitcnt lgkmcnt(0)
	v_fmac_f32_e64 v1, s28, s4
.LBB653_34:
	s_or_b32 s29, s29, exec_lo
.LBB653_35:
	s_or_b32 exec_lo, exec_lo, s0
.LBB653_36:
	s_and_saveexec_b32 s0, s29
	s_cbranch_execz .LBB653_38
; %bb.37:
	s_lshl_b64 s[2:3], s[2:3], 2
	v_mov_b32_e32 v0, 0
	s_add_u32 s0, s1, s2
	s_addc_u32 s1, s26, s3
	global_store_dword v0, v1, s[0:1]
.LBB653_38:
	s_endpgm
	.section	.rodata,"a",@progbits
	.p2align	6, 0x0
	.amdhsa_kernel _ZL32rocblas_gemvt_warp_reduce_kernelILb0ELi1024El16rocblas_bfloat16ffEviiT3_lPKT2_lT1_lS4_lS5_lS1_lPT4_lS5_li
		.amdhsa_group_segment_fixed_size 128
		.amdhsa_private_segment_fixed_size 0
		.amdhsa_kernarg_size 140
		.amdhsa_user_sgpr_count 6
		.amdhsa_user_sgpr_private_segment_buffer 1
		.amdhsa_user_sgpr_dispatch_ptr 0
		.amdhsa_user_sgpr_queue_ptr 0
		.amdhsa_user_sgpr_kernarg_segment_ptr 1
		.amdhsa_user_sgpr_dispatch_id 0
		.amdhsa_user_sgpr_flat_scratch_init 0
		.amdhsa_user_sgpr_private_segment_size 0
		.amdhsa_wavefront_size32 1
		.amdhsa_uses_dynamic_stack 0
		.amdhsa_system_sgpr_private_segment_wavefront_offset 0
		.amdhsa_system_sgpr_workgroup_id_x 1
		.amdhsa_system_sgpr_workgroup_id_y 0
		.amdhsa_system_sgpr_workgroup_id_z 1
		.amdhsa_system_sgpr_workgroup_info 0
		.amdhsa_system_vgpr_workitem_id 0
		.amdhsa_next_free_vgpr 12
		.amdhsa_next_free_sgpr 36
		.amdhsa_reserve_vcc 1
		.amdhsa_reserve_flat_scratch 0
		.amdhsa_float_round_mode_32 0
		.amdhsa_float_round_mode_16_64 0
		.amdhsa_float_denorm_mode_32 3
		.amdhsa_float_denorm_mode_16_64 3
		.amdhsa_dx10_clamp 1
		.amdhsa_ieee_mode 1
		.amdhsa_fp16_overflow 0
		.amdhsa_workgroup_processor_mode 1
		.amdhsa_memory_ordered 1
		.amdhsa_forward_progress 1
		.amdhsa_shared_vgpr_count 0
		.amdhsa_exception_fp_ieee_invalid_op 0
		.amdhsa_exception_fp_denorm_src 0
		.amdhsa_exception_fp_ieee_div_zero 0
		.amdhsa_exception_fp_ieee_overflow 0
		.amdhsa_exception_fp_ieee_underflow 0
		.amdhsa_exception_fp_ieee_inexact 0
		.amdhsa_exception_int_div_zero 0
	.end_amdhsa_kernel
	.section	.text._ZL32rocblas_gemvt_warp_reduce_kernelILb0ELi1024El16rocblas_bfloat16ffEviiT3_lPKT2_lT1_lS4_lS5_lS1_lPT4_lS5_li,"axG",@progbits,_ZL32rocblas_gemvt_warp_reduce_kernelILb0ELi1024El16rocblas_bfloat16ffEviiT3_lPKT2_lT1_lS4_lS5_lS1_lPT4_lS5_li,comdat
.Lfunc_end653:
	.size	_ZL32rocblas_gemvt_warp_reduce_kernelILb0ELi1024El16rocblas_bfloat16ffEviiT3_lPKT2_lT1_lS4_lS5_lS1_lPT4_lS5_li, .Lfunc_end653-_ZL32rocblas_gemvt_warp_reduce_kernelILb0ELi1024El16rocblas_bfloat16ffEviiT3_lPKT2_lT1_lS4_lS5_lS1_lPT4_lS5_li
                                        ; -- End function
	.set _ZL32rocblas_gemvt_warp_reduce_kernelILb0ELi1024El16rocblas_bfloat16ffEviiT3_lPKT2_lT1_lS4_lS5_lS1_lPT4_lS5_li.num_vgpr, 12
	.set _ZL32rocblas_gemvt_warp_reduce_kernelILb0ELi1024El16rocblas_bfloat16ffEviiT3_lPKT2_lT1_lS4_lS5_lS1_lPT4_lS5_li.num_agpr, 0
	.set _ZL32rocblas_gemvt_warp_reduce_kernelILb0ELi1024El16rocblas_bfloat16ffEviiT3_lPKT2_lT1_lS4_lS5_lS1_lPT4_lS5_li.numbered_sgpr, 36
	.set _ZL32rocblas_gemvt_warp_reduce_kernelILb0ELi1024El16rocblas_bfloat16ffEviiT3_lPKT2_lT1_lS4_lS5_lS1_lPT4_lS5_li.num_named_barrier, 0
	.set _ZL32rocblas_gemvt_warp_reduce_kernelILb0ELi1024El16rocblas_bfloat16ffEviiT3_lPKT2_lT1_lS4_lS5_lS1_lPT4_lS5_li.private_seg_size, 0
	.set _ZL32rocblas_gemvt_warp_reduce_kernelILb0ELi1024El16rocblas_bfloat16ffEviiT3_lPKT2_lT1_lS4_lS5_lS1_lPT4_lS5_li.uses_vcc, 1
	.set _ZL32rocblas_gemvt_warp_reduce_kernelILb0ELi1024El16rocblas_bfloat16ffEviiT3_lPKT2_lT1_lS4_lS5_lS1_lPT4_lS5_li.uses_flat_scratch, 0
	.set _ZL32rocblas_gemvt_warp_reduce_kernelILb0ELi1024El16rocblas_bfloat16ffEviiT3_lPKT2_lT1_lS4_lS5_lS1_lPT4_lS5_li.has_dyn_sized_stack, 0
	.set _ZL32rocblas_gemvt_warp_reduce_kernelILb0ELi1024El16rocblas_bfloat16ffEviiT3_lPKT2_lT1_lS4_lS5_lS1_lPT4_lS5_li.has_recursion, 0
	.set _ZL32rocblas_gemvt_warp_reduce_kernelILb0ELi1024El16rocblas_bfloat16ffEviiT3_lPKT2_lT1_lS4_lS5_lS1_lPT4_lS5_li.has_indirect_call, 0
	.section	.AMDGPU.csdata,"",@progbits
; Kernel info:
; codeLenInByte = 1572
; TotalNumSgprs: 38
; NumVgprs: 12
; ScratchSize: 0
; MemoryBound: 0
; FloatMode: 240
; IeeeMode: 1
; LDSByteSize: 128 bytes/workgroup (compile time only)
; SGPRBlocks: 0
; VGPRBlocks: 1
; NumSGPRsForWavesPerEU: 38
; NumVGPRsForWavesPerEU: 12
; Occupancy: 16
; WaveLimiterHint : 1
; COMPUTE_PGM_RSRC2:SCRATCH_EN: 0
; COMPUTE_PGM_RSRC2:USER_SGPR: 6
; COMPUTE_PGM_RSRC2:TRAP_HANDLER: 0
; COMPUTE_PGM_RSRC2:TGID_X_EN: 1
; COMPUTE_PGM_RSRC2:TGID_Y_EN: 0
; COMPUTE_PGM_RSRC2:TGID_Z_EN: 1
; COMPUTE_PGM_RSRC2:TIDIG_COMP_CNT: 0
	.section	.text._ZL22rocblas_gemvtsm_kernelILb1ELi256E16rocblas_bfloat16PKffEviiT2_lPKT1_lilS6_lilS3_lPT3_lil,"axG",@progbits,_ZL22rocblas_gemvtsm_kernelILb1ELi256E16rocblas_bfloat16PKffEviiT2_lPKT1_lilS6_lilS3_lPT3_lil,comdat
	.globl	_ZL22rocblas_gemvtsm_kernelILb1ELi256E16rocblas_bfloat16PKffEviiT2_lPKT1_lilS6_lilS3_lPT3_lil ; -- Begin function _ZL22rocblas_gemvtsm_kernelILb1ELi256E16rocblas_bfloat16PKffEviiT2_lPKT1_lilS6_lilS3_lPT3_lil
	.p2align	8
	.type	_ZL22rocblas_gemvtsm_kernelILb1ELi256E16rocblas_bfloat16PKffEviiT2_lPKT1_lilS6_lilS3_lPT3_lil,@function
_ZL22rocblas_gemvtsm_kernelILb1ELi256E16rocblas_bfloat16PKffEviiT2_lPKT1_lilS6_lilS3_lPT3_lil: ; @_ZL22rocblas_gemvtsm_kernelILb1ELi256E16rocblas_bfloat16PKffEviiT2_lPKT1_lilS6_lilS3_lPT3_lil
; %bb.0:
	s_clause 0x1
	s_load_dwordx8 s[8:15], s[4:5], 0x8
	s_load_dwordx8 s[16:23], s[4:5], 0x50
	s_waitcnt lgkmcnt(0)
	s_mul_i32 s1, s11, s6
	s_mul_hi_u32 s2, s10, s6
	s_mul_i32 s0, s10, s6
	s_add_i32 s1, s2, s1
	s_mul_i32 s2, s21, s6
	s_lshl_b64 s[0:1], s[0:1], 2
	s_mul_hi_u32 s3, s20, s6
	s_add_u32 s0, s8, s0
	s_addc_u32 s1, s9, s1
	s_add_i32 s3, s3, s2
	s_mul_i32 s2, s20, s6
	s_lshl_b64 s[2:3], s[2:3], 2
	s_add_u32 s2, s18, s2
	s_addc_u32 s3, s19, s3
	s_load_dword s26, s[0:1], 0x0
	s_load_dword s7, s[2:3], 0x0
	s_waitcnt lgkmcnt(0)
	v_cmp_eq_f32_e64 s0, s26, 0
	v_cmp_eq_f32_e64 s1, s7, 1.0
	s_and_b32 s0, s0, s1
	s_and_b32 vcc_lo, exec_lo, s0
	s_cbranch_vccnz .LBB654_58
; %bb.1:
	s_clause 0x3
	s_load_dwordx2 s[0:1], s[4:5], 0x80
	s_load_dwordx2 s[18:19], s[4:5], 0x70
	s_load_dword s8, s[4:5], 0x78
	s_load_dwordx2 s[10:11], s[4:5], 0x0
	v_cmp_neq_f32_e64 s2, s26, 0
	s_and_b32 vcc_lo, exec_lo, s2
	s_waitcnt lgkmcnt(0)
	s_mul_i32 s1, s1, s6
	s_mul_hi_u32 s2, s0, s6
	s_mul_i32 s20, s0, s6
	s_add_i32 s21, s2, s1
	s_cbranch_vccnz .LBB654_9
; %bb.2:
	s_cmp_gt_i32 s11, 0
	v_cmp_neq_f32_e64 s0, s7, 0
	s_cselect_b32 s2, -1, 0
	v_cndmask_b32_e64 v1, 0, 1, s2
	s_and_b32 vcc_lo, exec_lo, s0
	v_cmp_ne_u32_e64 s0, 1, v1
	s_cbranch_vccnz .LBB654_10
; %bb.3:
	s_and_b32 vcc_lo, exec_lo, s0
	s_cbranch_vccnz .LBB654_8
; %bb.4:
	v_mad_i64_i32 v[1:2], null, s8, v0, 0
	s_lshl_b64 s[24:25], s[18:19], 2
	s_ashr_i32 s9, s8, 31
	s_lshl_b64 s[0:1], s[20:21], 2
	s_add_u32 s3, s22, s24
	s_addc_u32 s24, s23, s25
	s_add_u32 s0, s3, s0
	v_lshlrev_b64 v[1:2], 2, v[1:2]
	s_addc_u32 s1, s24, s1
	v_mov_b32_e32 v3, 0
	s_mov_b32 s3, 0
	v_add_co_u32 v1, vcc_lo, s0, v1
	v_add_co_ci_u32_e64 v2, null, s1, v2, vcc_lo
	s_lshl_b64 s[0:1], s[8:9], 10
	s_branch .LBB654_6
.LBB654_5:                              ;   in Loop: Header=BB654_6 Depth=1
	s_or_b32 exec_lo, exec_lo, s9
	v_add_co_u32 v1, vcc_lo, v1, s0
	v_add_co_ci_u32_e64 v2, null, s1, v2, vcc_lo
	s_addk_i32 s3, 0x100
	s_cmp_ge_i32 s3, s11
	s_cbranch_scc1 .LBB654_8
.LBB654_6:                              ; =>This Inner Loop Header: Depth=1
	v_add_nc_u32_e32 v4, s3, v0
	s_mov_b32 s9, exec_lo
	v_cmpx_gt_i32_e64 s11, v4
	s_cbranch_execz .LBB654_5
; %bb.7:                                ;   in Loop: Header=BB654_6 Depth=1
	global_store_dword v[1:2], v3, off
	s_branch .LBB654_5
.LBB654_8:
	s_cbranch_execz .LBB654_11
	s_branch .LBB654_16
.LBB654_9:
	s_branch .LBB654_17
.LBB654_10:
.LBB654_11:
	s_andn2_b32 vcc_lo, exec_lo, s2
	s_cbranch_vccnz .LBB654_16
; %bb.12:
	v_mad_i64_i32 v[1:2], null, s8, v0, 0
	s_lshl_b64 s[2:3], s[18:19], 2
	s_ashr_i32 s9, s8, 31
	s_lshl_b64 s[0:1], s[20:21], 2
	s_add_u32 s2, s22, s2
	s_addc_u32 s3, s23, s3
	s_add_u32 s0, s2, s0
	v_lshlrev_b64 v[1:2], 2, v[1:2]
	s_addc_u32 s1, s3, s1
	s_mov_b32 s2, 0
	v_add_co_u32 v1, vcc_lo, s0, v1
	v_add_co_ci_u32_e64 v2, null, s1, v2, vcc_lo
	s_lshl_b64 s[0:1], s[8:9], 10
	s_branch .LBB654_14
	.p2align	6
.LBB654_13:                             ;   in Loop: Header=BB654_14 Depth=1
	s_or_b32 exec_lo, exec_lo, s3
	v_add_co_u32 v1, vcc_lo, v1, s0
	v_add_co_ci_u32_e64 v2, null, s1, v2, vcc_lo
	s_addk_i32 s2, 0x100
	s_cmp_ge_i32 s2, s11
	s_cbranch_scc1 .LBB654_16
.LBB654_14:                             ; =>This Inner Loop Header: Depth=1
	v_add_nc_u32_e32 v3, s2, v0
	s_mov_b32 s3, exec_lo
	v_cmpx_gt_i32_e64 s11, v3
	s_cbranch_execz .LBB654_13
; %bb.15:                               ;   in Loop: Header=BB654_14 Depth=1
	global_load_dword v3, v[1:2], off
	s_waitcnt vmcnt(0)
	v_mul_f32_e32 v3, s7, v3
	global_store_dword v[1:2], v3, off
	s_branch .LBB654_13
.LBB654_16:
	s_cbranch_execnz .LBB654_58
.LBB654_17:
	s_clause 0x1
	s_load_dwordx4 s[0:3], s[4:5], 0x30
	s_load_dwordx2 s[24:25], s[4:5], 0x40
	s_mov_b32 s9, exec_lo
	v_cmpx_gt_i32_e64 s10, v0
	s_cbranch_execz .LBB654_23
; %bb.18:
	s_load_dword s27, s[4:5], 0x48
	s_mul_i32 s17, s17, s6
	s_mul_hi_u32 s28, s16, s6
	s_mul_i32 s16, s16, s6
	s_add_i32 s17, s28, s17
	s_lshl_b64 s[16:17], s[16:17], 1
	s_waitcnt lgkmcnt(0)
	s_add_u32 s16, s2, s16
	s_addc_u32 s17, s3, s17
	s_lshl_b64 s[2:3], s[24:25], 1
	s_add_u32 s2, s16, s2
	s_addc_u32 s3, s17, s3
	v_mad_i64_i32 v[1:2], null, s27, v0, 0
	v_lshlrev_b64 v[1:2], 1, v[1:2]
	v_add_co_u32 v1, vcc_lo, s2, v1
	v_add_co_ci_u32_e64 v2, null, s3, v2, vcc_lo
	global_load_ushort v1, v[1:2], off
	s_waitcnt vmcnt(0)
	v_lshlrev_b32_e32 v1, 16, v1
	v_mul_f32_e32 v1, s26, v1
	v_and_b32_e32 v2, 0x7f800000, v1
	v_cmp_ne_u32_e32 vcc_lo, 0x7f800000, v2
                                        ; implicit-def: $vgpr2
	s_and_saveexec_b32 s2, vcc_lo
	s_xor_b32 s2, exec_lo, s2
; %bb.19:
	v_bfe_u32 v2, v1, 16, 1
	v_add3_u32 v2, v1, v2, 0x7fff
                                        ; implicit-def: $vgpr1
; %bb.20:
	s_andn2_saveexec_b32 s2, s2
; %bb.21:
	v_mov_b32_e32 v2, 0
	v_or_b32_e32 v3, 0x10000, v1
	v_cmp_eq_u32_sdwa vcc_lo, v1, v2 src0_sel:WORD_0 src1_sel:DWORD
	v_cndmask_b32_e32 v2, v3, v1, vcc_lo
; %bb.22:
	s_or_b32 exec_lo, exec_lo, s2
	v_and_b32_e32 v1, 0xffff0000, v2
	v_lshlrev_b32_e32 v2, 2, v0
	ds_write_b32 v2, v1
.LBB654_23:
	s_or_b32 exec_lo, exec_lo, s9
	s_cmp_lt_i32 s11, 1
	s_waitcnt lgkmcnt(0)
	s_waitcnt_vscnt null, 0x0
	s_barrier
	buffer_gl0_inv
	s_cbranch_scc1 .LBB654_58
; %bb.24:
	s_load_dword s24, s[4:5], 0x28
	s_lshl_b64 s[2:3], s[20:21], 2
	s_mul_i32 s1, s1, s6
	s_mul_hi_u32 s20, s0, s6
	s_mul_i32 s0, s0, s6
	s_add_u32 s6, s22, s2
	s_addc_u32 s9, s23, s3
	s_lshl_b64 s[4:5], s[18:19], 2
	v_cmp_neq_f32_e64 s2, s7, 0
	s_add_u32 s3, s6, s4
	s_addc_u32 s4, s9, s5
	s_ashr_i32 s5, s8, 31
	v_mov_b32_e32 v9, 0
	s_waitcnt lgkmcnt(0)
	s_ashr_i32 s25, s24, 31
	s_cmp_gt_i32 s10, 0
	v_mad_i64_i32 v[1:2], null, s24, v0, 0
	s_cselect_b32 s6, -1, 0
	s_and_b32 s9, s10, 3
	s_cmp_gt_u32 s10, 3
	s_cselect_b32 s16, -1, 0
	s_and_b32 s10, s10, 0x7ffffffc
	s_cmp_lg_u32 s9, 0
	v_lshlrev_b64 v[1:2], 1, v[1:2]
	s_cselect_b32 s17, -1, 0
	s_add_i32 s1, s20, s1
	s_lshl_b64 s[14:15], s[14:15], 1
	s_lshl_b64 s[0:1], s[0:1], 1
	s_add_u32 s12, s12, s14
	s_addc_u32 s13, s13, s15
	s_add_u32 s0, s12, s0
	s_addc_u32 s1, s13, s1
	v_add_co_u32 v7, vcc_lo, s0, v1
	v_add_co_ci_u32_e64 v8, null, s1, v2, vcc_lo
	s_mov_b32 s12, 0
	v_add_co_u32 v1, vcc_lo, v7, 4
	v_add_co_ci_u32_e64 v2, null, 0, v8, vcc_lo
	s_lshl_b64 s[0:1], s[24:25], 9
	s_branch .LBB654_27
.LBB654_25:                             ;   in Loop: Header=BB654_27 Depth=1
	s_inst_prefetch 0x2
	v_add_co_u32 v3, vcc_lo, s3, v3
	v_add_co_ci_u32_e64 v4, null, s4, v4, vcc_lo
	global_store_dword v[3:4], v10, off
.LBB654_26:                             ;   in Loop: Header=BB654_27 Depth=1
	s_or_b32 exec_lo, exec_lo, s13
	v_add_co_u32 v1, vcc_lo, v1, s0
	v_add_co_ci_u32_e64 v2, null, s1, v2, vcc_lo
	v_add_co_u32 v7, vcc_lo, v7, s0
	v_add_co_ci_u32_e64 v8, null, s1, v8, vcc_lo
	s_addk_i32 s12, 0x100
	s_cmp_ge_i32 s12, s11
	s_cbranch_scc1 .LBB654_58
.LBB654_27:                             ; =>This Loop Header: Depth=1
                                        ;     Child Loop BB654_34 Depth 2
                                        ;     Child Loop BB654_54 Depth 2
	v_add_nc_u32_e32 v3, s12, v0
	s_mov_b32 s13, exec_lo
	v_cmpx_gt_i32_e64 s11, v3
	s_cbranch_execz .LBB654_26
; %bb.28:                               ;   in Loop: Header=BB654_27 Depth=1
	v_mad_u64_u32 v[4:5], null, v3, s8, 0
	s_andn2_b32 vcc_lo, exec_lo, s2
	v_mad_u64_u32 v[5:6], null, v3, s5, v[5:6]
	v_lshlrev_b64 v[3:4], 2, v[4:5]
	s_cbranch_vccnz .LBB654_30
; %bb.29:                               ;   in Loop: Header=BB654_27 Depth=1
	v_add_co_u32 v5, vcc_lo, s3, v3
	v_add_co_ci_u32_e64 v6, null, s4, v4, vcc_lo
	global_load_dword v5, v[5:6], off
	s_waitcnt vmcnt(0)
	v_mul_f32_e32 v10, s7, v5
	s_andn2_b32 vcc_lo, exec_lo, s6
	s_cbranch_vccz .LBB654_31
	s_branch .LBB654_25
.LBB654_30:                             ;   in Loop: Header=BB654_27 Depth=1
	v_mov_b32_e32 v10, 0
	s_andn2_b32 vcc_lo, exec_lo, s6
	s_cbranch_vccnz .LBB654_25
.LBB654_31:                             ;   in Loop: Header=BB654_27 Depth=1
	s_andn2_b32 vcc_lo, exec_lo, s16
	s_mov_b32 s14, 0
	s_cbranch_vccnz .LBB654_51
; %bb.32:                               ;   in Loop: Header=BB654_27 Depth=1
	v_mov_b32_e32 v6, v2
	v_mov_b32_e32 v5, v1
	s_mov_b32 s15, 0
	s_branch .LBB654_34
.LBB654_33:                             ;   in Loop: Header=BB654_34 Depth=2
	s_or_b32 exec_lo, exec_lo, s18
	v_and_b32_e32 v11, 0xffff0000, v11
	v_and_b32_e32 v12, 0xffff0000, v12
	v_add_co_u32 v5, vcc_lo, v5, 8
	v_add_co_ci_u32_e64 v6, null, 0, v6, vcc_lo
	v_add_f32_e32 v10, v10, v11
	v_and_b32_e32 v11, 0xffff0000, v13
	s_add_i32 s15, s15, 4
	s_add_i32 s14, s14, 16
	s_cmp_eq_u32 s10, s15
	v_add_f32_e32 v10, v10, v12
	v_and_b32_e32 v12, 0xffff0000, v14
	v_add_f32_e32 v10, v10, v11
	v_add_f32_e32 v10, v10, v12
	s_cbranch_scc1 .LBB654_50
.LBB654_34:                             ;   Parent Loop BB654_27 Depth=1
                                        ; =>  This Inner Loop Header: Depth=2
	global_load_ushort v11, v[5:6], off offset:-4
	v_mov_b32_e32 v12, s14
	ds_read_b32 v12, v12
	s_waitcnt vmcnt(0)
	v_lshlrev_b32_e32 v11, 16, v11
	s_waitcnt lgkmcnt(0)
	v_mul_f32_e32 v12, v12, v11
	v_and_b32_e32 v11, 0x7f800000, v12
	v_cmp_ne_u32_e32 vcc_lo, 0x7f800000, v11
                                        ; implicit-def: $vgpr11
	s_and_saveexec_b32 s18, vcc_lo
	s_xor_b32 s18, exec_lo, s18
; %bb.35:                               ;   in Loop: Header=BB654_34 Depth=2
	v_bfe_u32 v11, v12, 16, 1
	v_add3_u32 v11, v12, v11, 0x7fff
                                        ; implicit-def: $vgpr12
; %bb.36:                               ;   in Loop: Header=BB654_34 Depth=2
	s_andn2_saveexec_b32 s18, s18
; %bb.37:                               ;   in Loop: Header=BB654_34 Depth=2
	v_or_b32_e32 v11, 0x10000, v12
	v_cmp_eq_u32_sdwa vcc_lo, v12, v9 src0_sel:WORD_0 src1_sel:DWORD
	v_cndmask_b32_e32 v11, v11, v12, vcc_lo
; %bb.38:                               ;   in Loop: Header=BB654_34 Depth=2
	s_or_b32 exec_lo, exec_lo, s18
	global_load_ushort v12, v[5:6], off offset:-2
	v_mov_b32_e32 v13, s14
	ds_read_b32 v13, v13 offset:4
	s_waitcnt vmcnt(0)
	v_lshlrev_b32_e32 v12, 16, v12
	s_waitcnt lgkmcnt(0)
	v_mul_f32_e32 v13, v13, v12
	v_and_b32_e32 v12, 0x7f800000, v13
	v_cmp_ne_u32_e32 vcc_lo, 0x7f800000, v12
                                        ; implicit-def: $vgpr12
	s_and_saveexec_b32 s18, vcc_lo
	s_xor_b32 s18, exec_lo, s18
; %bb.39:                               ;   in Loop: Header=BB654_34 Depth=2
	v_bfe_u32 v12, v13, 16, 1
	v_add3_u32 v12, v13, v12, 0x7fff
                                        ; implicit-def: $vgpr13
; %bb.40:                               ;   in Loop: Header=BB654_34 Depth=2
	s_andn2_saveexec_b32 s18, s18
; %bb.41:                               ;   in Loop: Header=BB654_34 Depth=2
	v_or_b32_e32 v12, 0x10000, v13
	v_cmp_eq_u32_sdwa vcc_lo, v13, v9 src0_sel:WORD_0 src1_sel:DWORD
	v_cndmask_b32_e32 v12, v12, v13, vcc_lo
; %bb.42:                               ;   in Loop: Header=BB654_34 Depth=2
	s_or_b32 exec_lo, exec_lo, s18
	global_load_ushort v13, v[5:6], off
	v_mov_b32_e32 v14, s14
	ds_read_b32 v14, v14 offset:8
	s_waitcnt vmcnt(0)
	v_lshlrev_b32_e32 v13, 16, v13
	s_waitcnt lgkmcnt(0)
	v_mul_f32_e32 v14, v14, v13
	v_and_b32_e32 v13, 0x7f800000, v14
	v_cmp_ne_u32_e32 vcc_lo, 0x7f800000, v13
                                        ; implicit-def: $vgpr13
	s_and_saveexec_b32 s18, vcc_lo
	s_xor_b32 s18, exec_lo, s18
; %bb.43:                               ;   in Loop: Header=BB654_34 Depth=2
	v_bfe_u32 v13, v14, 16, 1
	v_add3_u32 v13, v14, v13, 0x7fff
                                        ; implicit-def: $vgpr14
; %bb.44:                               ;   in Loop: Header=BB654_34 Depth=2
	s_andn2_saveexec_b32 s18, s18
; %bb.45:                               ;   in Loop: Header=BB654_34 Depth=2
	v_or_b32_e32 v13, 0x10000, v14
	v_cmp_eq_u32_sdwa vcc_lo, v14, v9 src0_sel:WORD_0 src1_sel:DWORD
	v_cndmask_b32_e32 v13, v13, v14, vcc_lo
; %bb.46:                               ;   in Loop: Header=BB654_34 Depth=2
	s_or_b32 exec_lo, exec_lo, s18
	global_load_ushort v14, v[5:6], off offset:2
	v_mov_b32_e32 v15, s14
	ds_read_b32 v15, v15 offset:12
	s_waitcnt vmcnt(0)
	v_lshlrev_b32_e32 v14, 16, v14
	s_waitcnt lgkmcnt(0)
	v_mul_f32_e32 v15, v15, v14
	v_and_b32_e32 v14, 0x7f800000, v15
	v_cmp_ne_u32_e32 vcc_lo, 0x7f800000, v14
                                        ; implicit-def: $vgpr14
	s_and_saveexec_b32 s18, vcc_lo
	s_xor_b32 s18, exec_lo, s18
; %bb.47:                               ;   in Loop: Header=BB654_34 Depth=2
	v_bfe_u32 v14, v15, 16, 1
	v_add3_u32 v14, v15, v14, 0x7fff
                                        ; implicit-def: $vgpr15
; %bb.48:                               ;   in Loop: Header=BB654_34 Depth=2
	s_andn2_saveexec_b32 s18, s18
	s_cbranch_execz .LBB654_33
; %bb.49:                               ;   in Loop: Header=BB654_34 Depth=2
	v_or_b32_e32 v14, 0x10000, v15
	v_cmp_eq_u32_sdwa vcc_lo, v15, v9 src0_sel:WORD_0 src1_sel:DWORD
	v_cndmask_b32_e32 v14, v14, v15, vcc_lo
	s_branch .LBB654_33
.LBB654_50:                             ;   in Loop: Header=BB654_27 Depth=1
	s_mov_b32 s14, s10
.LBB654_51:                             ;   in Loop: Header=BB654_27 Depth=1
	s_andn2_b32 vcc_lo, exec_lo, s17
	s_cbranch_vccnz .LBB654_25
; %bb.52:                               ;   in Loop: Header=BB654_27 Depth=1
	s_lshl_b32 s15, s14, 1
	s_lshl_b32 s14, s14, 2
	v_add_co_u32 v5, vcc_lo, v7, s15
	v_add_co_ci_u32_e64 v6, null, 0, v8, vcc_lo
	s_mov_b32 s15, s9
	s_inst_prefetch 0x1
	s_branch .LBB654_54
	.p2align	6
.LBB654_53:                             ;   in Loop: Header=BB654_54 Depth=2
	s_or_b32 exec_lo, exec_lo, s18
	v_and_b32_e32 v11, 0xffff0000, v12
	v_add_co_u32 v5, vcc_lo, v5, 2
	v_add_co_ci_u32_e64 v6, null, 0, v6, vcc_lo
	v_add_f32_e32 v10, v10, v11
	s_add_i32 s15, s15, -1
	s_add_i32 s14, s14, 4
	s_cmp_lg_u32 s15, 0
	s_cbranch_scc0 .LBB654_25
.LBB654_54:                             ;   Parent Loop BB654_27 Depth=1
                                        ; =>  This Inner Loop Header: Depth=2
	global_load_ushort v11, v[5:6], off
	v_mov_b32_e32 v12, s14
	ds_read_b32 v12, v12
	s_waitcnt vmcnt(0)
	v_lshlrev_b32_e32 v11, 16, v11
	s_waitcnt lgkmcnt(0)
	v_mul_f32_e32 v11, v12, v11
	v_and_b32_e32 v12, 0x7f800000, v11
	v_cmp_ne_u32_e32 vcc_lo, 0x7f800000, v12
                                        ; implicit-def: $vgpr12
	s_and_saveexec_b32 s18, vcc_lo
	s_xor_b32 s18, exec_lo, s18
; %bb.55:                               ;   in Loop: Header=BB654_54 Depth=2
	v_bfe_u32 v12, v11, 16, 1
	v_add3_u32 v12, v11, v12, 0x7fff
                                        ; implicit-def: $vgpr11
; %bb.56:                               ;   in Loop: Header=BB654_54 Depth=2
	s_andn2_saveexec_b32 s18, s18
	s_cbranch_execz .LBB654_53
; %bb.57:                               ;   in Loop: Header=BB654_54 Depth=2
	v_or_b32_e32 v12, 0x10000, v11
	v_cmp_eq_u32_sdwa vcc_lo, v11, v9 src0_sel:WORD_0 src1_sel:DWORD
	v_cndmask_b32_e32 v12, v12, v11, vcc_lo
	s_branch .LBB654_53
.LBB654_58:
	s_endpgm
	.section	.rodata,"a",@progbits
	.p2align	6, 0x0
	.amdhsa_kernel _ZL22rocblas_gemvtsm_kernelILb1ELi256E16rocblas_bfloat16PKffEviiT2_lPKT1_lilS6_lilS3_lPT3_lil
		.amdhsa_group_segment_fixed_size 256
		.amdhsa_private_segment_fixed_size 0
		.amdhsa_kernarg_size 136
		.amdhsa_user_sgpr_count 6
		.amdhsa_user_sgpr_private_segment_buffer 1
		.amdhsa_user_sgpr_dispatch_ptr 0
		.amdhsa_user_sgpr_queue_ptr 0
		.amdhsa_user_sgpr_kernarg_segment_ptr 1
		.amdhsa_user_sgpr_dispatch_id 0
		.amdhsa_user_sgpr_flat_scratch_init 0
		.amdhsa_user_sgpr_private_segment_size 0
		.amdhsa_wavefront_size32 1
		.amdhsa_uses_dynamic_stack 0
		.amdhsa_system_sgpr_private_segment_wavefront_offset 0
		.amdhsa_system_sgpr_workgroup_id_x 1
		.amdhsa_system_sgpr_workgroup_id_y 0
		.amdhsa_system_sgpr_workgroup_id_z 0
		.amdhsa_system_sgpr_workgroup_info 0
		.amdhsa_system_vgpr_workitem_id 0
		.amdhsa_next_free_vgpr 16
		.amdhsa_next_free_sgpr 29
		.amdhsa_reserve_vcc 1
		.amdhsa_reserve_flat_scratch 0
		.amdhsa_float_round_mode_32 0
		.amdhsa_float_round_mode_16_64 0
		.amdhsa_float_denorm_mode_32 3
		.amdhsa_float_denorm_mode_16_64 3
		.amdhsa_dx10_clamp 1
		.amdhsa_ieee_mode 1
		.amdhsa_fp16_overflow 0
		.amdhsa_workgroup_processor_mode 1
		.amdhsa_memory_ordered 1
		.amdhsa_forward_progress 1
		.amdhsa_shared_vgpr_count 0
		.amdhsa_exception_fp_ieee_invalid_op 0
		.amdhsa_exception_fp_denorm_src 0
		.amdhsa_exception_fp_ieee_div_zero 0
		.amdhsa_exception_fp_ieee_overflow 0
		.amdhsa_exception_fp_ieee_underflow 0
		.amdhsa_exception_fp_ieee_inexact 0
		.amdhsa_exception_int_div_zero 0
	.end_amdhsa_kernel
	.section	.text._ZL22rocblas_gemvtsm_kernelILb1ELi256E16rocblas_bfloat16PKffEviiT2_lPKT1_lilS6_lilS3_lPT3_lil,"axG",@progbits,_ZL22rocblas_gemvtsm_kernelILb1ELi256E16rocblas_bfloat16PKffEviiT2_lPKT1_lilS6_lilS3_lPT3_lil,comdat
.Lfunc_end654:
	.size	_ZL22rocblas_gemvtsm_kernelILb1ELi256E16rocblas_bfloat16PKffEviiT2_lPKT1_lilS6_lilS3_lPT3_lil, .Lfunc_end654-_ZL22rocblas_gemvtsm_kernelILb1ELi256E16rocblas_bfloat16PKffEviiT2_lPKT1_lilS6_lilS3_lPT3_lil
                                        ; -- End function
	.set _ZL22rocblas_gemvtsm_kernelILb1ELi256E16rocblas_bfloat16PKffEviiT2_lPKT1_lilS6_lilS3_lPT3_lil.num_vgpr, 16
	.set _ZL22rocblas_gemvtsm_kernelILb1ELi256E16rocblas_bfloat16PKffEviiT2_lPKT1_lilS6_lilS3_lPT3_lil.num_agpr, 0
	.set _ZL22rocblas_gemvtsm_kernelILb1ELi256E16rocblas_bfloat16PKffEviiT2_lPKT1_lilS6_lilS3_lPT3_lil.numbered_sgpr, 29
	.set _ZL22rocblas_gemvtsm_kernelILb1ELi256E16rocblas_bfloat16PKffEviiT2_lPKT1_lilS6_lilS3_lPT3_lil.num_named_barrier, 0
	.set _ZL22rocblas_gemvtsm_kernelILb1ELi256E16rocblas_bfloat16PKffEviiT2_lPKT1_lilS6_lilS3_lPT3_lil.private_seg_size, 0
	.set _ZL22rocblas_gemvtsm_kernelILb1ELi256E16rocblas_bfloat16PKffEviiT2_lPKT1_lilS6_lilS3_lPT3_lil.uses_vcc, 1
	.set _ZL22rocblas_gemvtsm_kernelILb1ELi256E16rocblas_bfloat16PKffEviiT2_lPKT1_lilS6_lilS3_lPT3_lil.uses_flat_scratch, 0
	.set _ZL22rocblas_gemvtsm_kernelILb1ELi256E16rocblas_bfloat16PKffEviiT2_lPKT1_lilS6_lilS3_lPT3_lil.has_dyn_sized_stack, 0
	.set _ZL22rocblas_gemvtsm_kernelILb1ELi256E16rocblas_bfloat16PKffEviiT2_lPKT1_lilS6_lilS3_lPT3_lil.has_recursion, 0
	.set _ZL22rocblas_gemvtsm_kernelILb1ELi256E16rocblas_bfloat16PKffEviiT2_lPKT1_lilS6_lilS3_lPT3_lil.has_indirect_call, 0
	.section	.AMDGPU.csdata,"",@progbits
; Kernel info:
; codeLenInByte = 2020
; TotalNumSgprs: 31
; NumVgprs: 16
; ScratchSize: 0
; MemoryBound: 0
; FloatMode: 240
; IeeeMode: 1
; LDSByteSize: 256 bytes/workgroup (compile time only)
; SGPRBlocks: 0
; VGPRBlocks: 1
; NumSGPRsForWavesPerEU: 31
; NumVGPRsForWavesPerEU: 16
; Occupancy: 16
; WaveLimiterHint : 1
; COMPUTE_PGM_RSRC2:SCRATCH_EN: 0
; COMPUTE_PGM_RSRC2:USER_SGPR: 6
; COMPUTE_PGM_RSRC2:TRAP_HANDLER: 0
; COMPUTE_PGM_RSRC2:TGID_X_EN: 1
; COMPUTE_PGM_RSRC2:TGID_Y_EN: 0
; COMPUTE_PGM_RSRC2:TGID_Z_EN: 0
; COMPUTE_PGM_RSRC2:TIDIG_COMP_CNT: 0
	.section	.text._ZL22rocblas_gemvtsm_kernelILb1ELi256E16rocblas_bfloat16ffEviiT2_lPKT1_lilS4_lilS1_lPT3_lil,"axG",@progbits,_ZL22rocblas_gemvtsm_kernelILb1ELi256E16rocblas_bfloat16ffEviiT2_lPKT1_lilS4_lilS1_lPT3_lil,comdat
	.globl	_ZL22rocblas_gemvtsm_kernelILb1ELi256E16rocblas_bfloat16ffEviiT2_lPKT1_lilS4_lilS1_lPT3_lil ; -- Begin function _ZL22rocblas_gemvtsm_kernelILb1ELi256E16rocblas_bfloat16ffEviiT2_lPKT1_lilS4_lilS1_lPT3_lil
	.p2align	8
	.type	_ZL22rocblas_gemvtsm_kernelILb1ELi256E16rocblas_bfloat16ffEviiT2_lPKT1_lilS4_lilS1_lPT3_lil,@function
_ZL22rocblas_gemvtsm_kernelILb1ELi256E16rocblas_bfloat16ffEviiT2_lPKT1_lilS4_lilS1_lPT3_lil: ; @_ZL22rocblas_gemvtsm_kernelILb1ELi256E16rocblas_bfloat16ffEviiT2_lPKT1_lilS4_lilS1_lPT3_lil
; %bb.0:
	s_clause 0x1
	s_load_dwordx4 s[8:11], s[4:5], 0x0
	s_load_dword s7, s[4:5], 0x58
	s_waitcnt lgkmcnt(0)
	v_cmp_eq_f32_e64 s0, s10, 0
	v_cmp_eq_f32_e64 s1, s7, 1.0
	s_and_b32 s0, s0, s1
	s_and_b32 vcc_lo, exec_lo, s0
	s_cbranch_vccnz .LBB655_58
; %bb.1:
	s_clause 0x2
	s_load_dwordx2 s[0:1], s[4:5], 0x80
	s_load_dwordx4 s[12:15], s[4:5], 0x68
	s_load_dword s20, s[4:5], 0x78
	v_cmp_neq_f32_e64 s2, s10, 0
	s_and_b32 vcc_lo, exec_lo, s2
	s_waitcnt lgkmcnt(0)
	s_mul_i32 s1, s1, s6
	s_mul_hi_u32 s2, s0, s6
	s_mul_i32 s22, s0, s6
	s_add_i32 s23, s2, s1
	s_cbranch_vccnz .LBB655_9
; %bb.2:
	s_cmp_gt_i32 s9, 0
	v_cmp_neq_f32_e64 s0, s7, 0
	s_cselect_b32 s2, -1, 0
	v_cndmask_b32_e64 v1, 0, 1, s2
	s_and_b32 vcc_lo, exec_lo, s0
	v_cmp_ne_u32_e64 s0, 1, v1
	s_cbranch_vccnz .LBB655_10
; %bb.3:
	s_and_b32 vcc_lo, exec_lo, s0
	s_cbranch_vccnz .LBB655_8
; %bb.4:
	v_mad_i64_i32 v[1:2], null, s20, v0, 0
	s_lshl_b64 s[16:17], s[14:15], 2
	s_ashr_i32 s21, s20, 31
	s_lshl_b64 s[0:1], s[22:23], 2
	s_add_u32 s3, s12, s16
	s_addc_u32 s11, s13, s17
	s_add_u32 s0, s3, s0
	v_lshlrev_b64 v[1:2], 2, v[1:2]
	s_addc_u32 s1, s11, s1
	v_mov_b32_e32 v3, 0
	s_mov_b32 s3, 0
	v_add_co_u32 v1, vcc_lo, s0, v1
	v_add_co_ci_u32_e64 v2, null, s1, v2, vcc_lo
	s_lshl_b64 s[0:1], s[20:21], 10
	s_branch .LBB655_6
.LBB655_5:                              ;   in Loop: Header=BB655_6 Depth=1
	s_or_b32 exec_lo, exec_lo, s11
	v_add_co_u32 v1, vcc_lo, v1, s0
	v_add_co_ci_u32_e64 v2, null, s1, v2, vcc_lo
	s_addk_i32 s3, 0x100
	s_cmp_ge_i32 s3, s9
	s_cbranch_scc1 .LBB655_8
.LBB655_6:                              ; =>This Inner Loop Header: Depth=1
	v_add_nc_u32_e32 v4, s3, v0
	s_mov_b32 s11, exec_lo
	v_cmpx_gt_i32_e64 s9, v4
	s_cbranch_execz .LBB655_5
; %bb.7:                                ;   in Loop: Header=BB655_6 Depth=1
	global_store_dword v[1:2], v3, off
	s_branch .LBB655_5
.LBB655_8:
	s_cbranch_execz .LBB655_11
	s_branch .LBB655_16
.LBB655_9:
	s_branch .LBB655_17
.LBB655_10:
.LBB655_11:
	s_andn2_b32 vcc_lo, exec_lo, s2
	s_cbranch_vccnz .LBB655_16
; %bb.12:
	v_mad_i64_i32 v[1:2], null, s20, v0, 0
	s_lshl_b64 s[2:3], s[14:15], 2
	s_ashr_i32 s21, s20, 31
	s_lshl_b64 s[0:1], s[22:23], 2
	s_add_u32 s2, s12, s2
	s_addc_u32 s3, s13, s3
	s_add_u32 s0, s2, s0
	v_lshlrev_b64 v[1:2], 2, v[1:2]
	s_addc_u32 s1, s3, s1
	s_mov_b32 s2, 0
	v_add_co_u32 v1, vcc_lo, s0, v1
	v_add_co_ci_u32_e64 v2, null, s1, v2, vcc_lo
	s_lshl_b64 s[0:1], s[20:21], 10
	s_branch .LBB655_14
	.p2align	6
.LBB655_13:                             ;   in Loop: Header=BB655_14 Depth=1
	s_or_b32 exec_lo, exec_lo, s3
	v_add_co_u32 v1, vcc_lo, v1, s0
	v_add_co_ci_u32_e64 v2, null, s1, v2, vcc_lo
	s_addk_i32 s2, 0x100
	s_cmp_ge_i32 s2, s9
	s_cbranch_scc1 .LBB655_16
.LBB655_14:                             ; =>This Inner Loop Header: Depth=1
	v_add_nc_u32_e32 v3, s2, v0
	s_mov_b32 s3, exec_lo
	v_cmpx_gt_i32_e64 s9, v3
	s_cbranch_execz .LBB655_13
; %bb.15:                               ;   in Loop: Header=BB655_14 Depth=1
	global_load_dword v3, v[1:2], off
	s_waitcnt vmcnt(0)
	v_mul_f32_e32 v3, s7, v3
	global_store_dword v[1:2], v3, off
	s_branch .LBB655_13
.LBB655_16:
	s_cbranch_execnz .LBB655_58
.LBB655_17:
	s_clause 0x1
	s_load_dwordx4 s[0:3], s[4:5], 0x30
	s_load_dwordx2 s[16:17], s[4:5], 0x40
	s_mov_b32 s11, exec_lo
	v_cmpx_gt_i32_e64 s8, v0
	s_cbranch_execz .LBB655_23
; %bb.18:
	s_clause 0x1
	s_load_dwordx2 s[18:19], s[4:5], 0x50
	s_load_dword s21, s[4:5], 0x48
	s_waitcnt lgkmcnt(0)
	s_mul_i32 s19, s19, s6
	v_mad_i64_i32 v[1:2], null, s21, v0, 0
	s_mul_hi_u32 s24, s18, s6
	s_mul_i32 s18, s18, s6
	s_add_i32 s19, s24, s19
	s_lshl_b64 s[18:19], s[18:19], 1
	s_add_u32 s18, s2, s18
	v_lshlrev_b64 v[1:2], 1, v[1:2]
	s_addc_u32 s19, s3, s19
	s_lshl_b64 s[2:3], s[16:17], 1
	s_add_u32 s2, s18, s2
	s_addc_u32 s3, s19, s3
	v_add_co_u32 v1, vcc_lo, s2, v1
	v_add_co_ci_u32_e64 v2, null, s3, v2, vcc_lo
	global_load_ushort v1, v[1:2], off
	s_waitcnt vmcnt(0)
	v_lshlrev_b32_e32 v1, 16, v1
	v_mul_f32_e32 v1, s10, v1
	v_and_b32_e32 v2, 0x7f800000, v1
	v_cmp_ne_u32_e32 vcc_lo, 0x7f800000, v2
                                        ; implicit-def: $vgpr2
	s_and_saveexec_b32 s2, vcc_lo
	s_xor_b32 s2, exec_lo, s2
; %bb.19:
	v_bfe_u32 v2, v1, 16, 1
	v_add3_u32 v2, v1, v2, 0x7fff
                                        ; implicit-def: $vgpr1
; %bb.20:
	s_andn2_saveexec_b32 s2, s2
; %bb.21:
	v_mov_b32_e32 v2, 0
	v_or_b32_e32 v3, 0x10000, v1
	v_cmp_eq_u32_sdwa vcc_lo, v1, v2 src0_sel:WORD_0 src1_sel:DWORD
	v_cndmask_b32_e32 v2, v3, v1, vcc_lo
; %bb.22:
	s_or_b32 exec_lo, exec_lo, s2
	v_and_b32_e32 v1, 0xffff0000, v2
	v_lshlrev_b32_e32 v2, 2, v0
	ds_write_b32 v2, v1
.LBB655_23:
	s_or_b32 exec_lo, exec_lo, s11
	s_cmp_lt_i32 s9, 1
	s_waitcnt lgkmcnt(0)
	s_waitcnt_vscnt null, 0x0
	s_barrier
	buffer_gl0_inv
	s_cbranch_scc1 .LBB655_58
; %bb.24:
	s_clause 0x1
	s_load_dword s24, s[4:5], 0x28
	s_load_dwordx4 s[16:19], s[4:5], 0x18
	s_lshl_b64 s[2:3], s[22:23], 2
	s_mul_i32 s1, s1, s6
	s_mul_hi_u32 s21, s0, s6
	s_mul_i32 s0, s0, s6
	s_add_u32 s6, s12, s2
	s_addc_u32 s10, s13, s3
	s_lshl_b64 s[4:5], s[14:15], 2
	v_cmp_neq_f32_e64 s2, s7, 0
	s_add_u32 s3, s6, s4
	s_addc_u32 s4, s10, s5
	s_ashr_i32 s5, s20, 31
	v_mov_b32_e32 v9, 0
	s_waitcnt lgkmcnt(0)
	s_ashr_i32 s25, s24, 31
	s_cmp_gt_i32 s8, 0
	v_mad_i64_i32 v[1:2], null, s24, v0, 0
	s_cselect_b32 s6, -1, 0
	s_and_b32 s10, s8, 3
	s_cmp_gt_u32 s8, 3
	s_cselect_b32 s11, -1, 0
	s_and_b32 s8, s8, 0x7ffffffc
	s_cmp_lg_u32 s10, 0
	v_lshlrev_b64 v[1:2], 1, v[1:2]
	s_cselect_b32 s12, -1, 0
	s_add_i32 s1, s21, s1
	s_lshl_b64 s[14:15], s[18:19], 1
	s_lshl_b64 s[0:1], s[0:1], 1
	s_add_u32 s13, s16, s14
	s_addc_u32 s14, s17, s15
	s_add_u32 s0, s13, s0
	s_addc_u32 s1, s14, s1
	v_add_co_u32 v7, vcc_lo, s0, v1
	v_add_co_ci_u32_e64 v8, null, s1, v2, vcc_lo
	s_mov_b32 s13, 0
	v_add_co_u32 v1, vcc_lo, v7, 4
	v_add_co_ci_u32_e64 v2, null, 0, v8, vcc_lo
	s_lshl_b64 s[0:1], s[24:25], 9
	s_branch .LBB655_27
.LBB655_25:                             ;   in Loop: Header=BB655_27 Depth=1
	s_inst_prefetch 0x2
	v_add_co_u32 v3, vcc_lo, s3, v3
	v_add_co_ci_u32_e64 v4, null, s4, v4, vcc_lo
	global_store_dword v[3:4], v10, off
.LBB655_26:                             ;   in Loop: Header=BB655_27 Depth=1
	s_or_b32 exec_lo, exec_lo, s14
	v_add_co_u32 v1, vcc_lo, v1, s0
	v_add_co_ci_u32_e64 v2, null, s1, v2, vcc_lo
	v_add_co_u32 v7, vcc_lo, v7, s0
	v_add_co_ci_u32_e64 v8, null, s1, v8, vcc_lo
	s_addk_i32 s13, 0x100
	s_cmp_ge_i32 s13, s9
	s_cbranch_scc1 .LBB655_58
.LBB655_27:                             ; =>This Loop Header: Depth=1
                                        ;     Child Loop BB655_34 Depth 2
                                        ;     Child Loop BB655_54 Depth 2
	v_add_nc_u32_e32 v3, s13, v0
	s_mov_b32 s14, exec_lo
	v_cmpx_gt_i32_e64 s9, v3
	s_cbranch_execz .LBB655_26
; %bb.28:                               ;   in Loop: Header=BB655_27 Depth=1
	v_mad_u64_u32 v[4:5], null, v3, s20, 0
	s_andn2_b32 vcc_lo, exec_lo, s2
	v_mad_u64_u32 v[5:6], null, v3, s5, v[5:6]
	v_lshlrev_b64 v[3:4], 2, v[4:5]
	s_cbranch_vccnz .LBB655_30
; %bb.29:                               ;   in Loop: Header=BB655_27 Depth=1
	v_add_co_u32 v5, vcc_lo, s3, v3
	v_add_co_ci_u32_e64 v6, null, s4, v4, vcc_lo
	global_load_dword v5, v[5:6], off
	s_waitcnt vmcnt(0)
	v_mul_f32_e32 v10, s7, v5
	s_andn2_b32 vcc_lo, exec_lo, s6
	s_cbranch_vccz .LBB655_31
	s_branch .LBB655_25
.LBB655_30:                             ;   in Loop: Header=BB655_27 Depth=1
	v_mov_b32_e32 v10, 0
	s_andn2_b32 vcc_lo, exec_lo, s6
	s_cbranch_vccnz .LBB655_25
.LBB655_31:                             ;   in Loop: Header=BB655_27 Depth=1
	s_andn2_b32 vcc_lo, exec_lo, s11
	s_mov_b32 s15, 0
	s_cbranch_vccnz .LBB655_51
; %bb.32:                               ;   in Loop: Header=BB655_27 Depth=1
	v_mov_b32_e32 v6, v2
	v_mov_b32_e32 v5, v1
	s_mov_b32 s16, 0
	s_branch .LBB655_34
.LBB655_33:                             ;   in Loop: Header=BB655_34 Depth=2
	s_or_b32 exec_lo, exec_lo, s17
	v_and_b32_e32 v11, 0xffff0000, v11
	v_and_b32_e32 v12, 0xffff0000, v12
	v_add_co_u32 v5, vcc_lo, v5, 8
	v_add_co_ci_u32_e64 v6, null, 0, v6, vcc_lo
	v_add_f32_e32 v10, v10, v11
	v_and_b32_e32 v11, 0xffff0000, v13
	s_add_i32 s16, s16, 4
	s_add_i32 s15, s15, 16
	s_cmp_eq_u32 s8, s16
	v_add_f32_e32 v10, v10, v12
	v_and_b32_e32 v12, 0xffff0000, v14
	v_add_f32_e32 v10, v10, v11
	v_add_f32_e32 v10, v10, v12
	s_cbranch_scc1 .LBB655_50
.LBB655_34:                             ;   Parent Loop BB655_27 Depth=1
                                        ; =>  This Inner Loop Header: Depth=2
	global_load_ushort v11, v[5:6], off offset:-4
	v_mov_b32_e32 v12, s15
	ds_read_b32 v12, v12
	s_waitcnt vmcnt(0)
	v_lshlrev_b32_e32 v11, 16, v11
	s_waitcnt lgkmcnt(0)
	v_mul_f32_e32 v12, v12, v11
	v_and_b32_e32 v11, 0x7f800000, v12
	v_cmp_ne_u32_e32 vcc_lo, 0x7f800000, v11
                                        ; implicit-def: $vgpr11
	s_and_saveexec_b32 s17, vcc_lo
	s_xor_b32 s17, exec_lo, s17
; %bb.35:                               ;   in Loop: Header=BB655_34 Depth=2
	v_bfe_u32 v11, v12, 16, 1
	v_add3_u32 v11, v12, v11, 0x7fff
                                        ; implicit-def: $vgpr12
; %bb.36:                               ;   in Loop: Header=BB655_34 Depth=2
	s_andn2_saveexec_b32 s17, s17
; %bb.37:                               ;   in Loop: Header=BB655_34 Depth=2
	v_or_b32_e32 v11, 0x10000, v12
	v_cmp_eq_u32_sdwa vcc_lo, v12, v9 src0_sel:WORD_0 src1_sel:DWORD
	v_cndmask_b32_e32 v11, v11, v12, vcc_lo
; %bb.38:                               ;   in Loop: Header=BB655_34 Depth=2
	s_or_b32 exec_lo, exec_lo, s17
	global_load_ushort v12, v[5:6], off offset:-2
	v_mov_b32_e32 v13, s15
	ds_read_b32 v13, v13 offset:4
	s_waitcnt vmcnt(0)
	v_lshlrev_b32_e32 v12, 16, v12
	s_waitcnt lgkmcnt(0)
	v_mul_f32_e32 v13, v13, v12
	v_and_b32_e32 v12, 0x7f800000, v13
	v_cmp_ne_u32_e32 vcc_lo, 0x7f800000, v12
                                        ; implicit-def: $vgpr12
	s_and_saveexec_b32 s17, vcc_lo
	s_xor_b32 s17, exec_lo, s17
; %bb.39:                               ;   in Loop: Header=BB655_34 Depth=2
	v_bfe_u32 v12, v13, 16, 1
	v_add3_u32 v12, v13, v12, 0x7fff
                                        ; implicit-def: $vgpr13
; %bb.40:                               ;   in Loop: Header=BB655_34 Depth=2
	s_andn2_saveexec_b32 s17, s17
; %bb.41:                               ;   in Loop: Header=BB655_34 Depth=2
	v_or_b32_e32 v12, 0x10000, v13
	v_cmp_eq_u32_sdwa vcc_lo, v13, v9 src0_sel:WORD_0 src1_sel:DWORD
	v_cndmask_b32_e32 v12, v12, v13, vcc_lo
; %bb.42:                               ;   in Loop: Header=BB655_34 Depth=2
	s_or_b32 exec_lo, exec_lo, s17
	global_load_ushort v13, v[5:6], off
	v_mov_b32_e32 v14, s15
	ds_read_b32 v14, v14 offset:8
	s_waitcnt vmcnt(0)
	v_lshlrev_b32_e32 v13, 16, v13
	s_waitcnt lgkmcnt(0)
	v_mul_f32_e32 v14, v14, v13
	v_and_b32_e32 v13, 0x7f800000, v14
	v_cmp_ne_u32_e32 vcc_lo, 0x7f800000, v13
                                        ; implicit-def: $vgpr13
	s_and_saveexec_b32 s17, vcc_lo
	s_xor_b32 s17, exec_lo, s17
; %bb.43:                               ;   in Loop: Header=BB655_34 Depth=2
	v_bfe_u32 v13, v14, 16, 1
	v_add3_u32 v13, v14, v13, 0x7fff
                                        ; implicit-def: $vgpr14
; %bb.44:                               ;   in Loop: Header=BB655_34 Depth=2
	s_andn2_saveexec_b32 s17, s17
; %bb.45:                               ;   in Loop: Header=BB655_34 Depth=2
	v_or_b32_e32 v13, 0x10000, v14
	v_cmp_eq_u32_sdwa vcc_lo, v14, v9 src0_sel:WORD_0 src1_sel:DWORD
	v_cndmask_b32_e32 v13, v13, v14, vcc_lo
; %bb.46:                               ;   in Loop: Header=BB655_34 Depth=2
	s_or_b32 exec_lo, exec_lo, s17
	global_load_ushort v14, v[5:6], off offset:2
	v_mov_b32_e32 v15, s15
	ds_read_b32 v15, v15 offset:12
	s_waitcnt vmcnt(0)
	v_lshlrev_b32_e32 v14, 16, v14
	s_waitcnt lgkmcnt(0)
	v_mul_f32_e32 v15, v15, v14
	v_and_b32_e32 v14, 0x7f800000, v15
	v_cmp_ne_u32_e32 vcc_lo, 0x7f800000, v14
                                        ; implicit-def: $vgpr14
	s_and_saveexec_b32 s17, vcc_lo
	s_xor_b32 s17, exec_lo, s17
; %bb.47:                               ;   in Loop: Header=BB655_34 Depth=2
	v_bfe_u32 v14, v15, 16, 1
	v_add3_u32 v14, v15, v14, 0x7fff
                                        ; implicit-def: $vgpr15
; %bb.48:                               ;   in Loop: Header=BB655_34 Depth=2
	s_andn2_saveexec_b32 s17, s17
	s_cbranch_execz .LBB655_33
; %bb.49:                               ;   in Loop: Header=BB655_34 Depth=2
	v_or_b32_e32 v14, 0x10000, v15
	v_cmp_eq_u32_sdwa vcc_lo, v15, v9 src0_sel:WORD_0 src1_sel:DWORD
	v_cndmask_b32_e32 v14, v14, v15, vcc_lo
	s_branch .LBB655_33
.LBB655_50:                             ;   in Loop: Header=BB655_27 Depth=1
	s_mov_b32 s15, s8
.LBB655_51:                             ;   in Loop: Header=BB655_27 Depth=1
	s_andn2_b32 vcc_lo, exec_lo, s12
	s_cbranch_vccnz .LBB655_25
; %bb.52:                               ;   in Loop: Header=BB655_27 Depth=1
	s_lshl_b32 s16, s15, 1
	s_lshl_b32 s15, s15, 2
	v_add_co_u32 v5, vcc_lo, v7, s16
	v_add_co_ci_u32_e64 v6, null, 0, v8, vcc_lo
	s_mov_b32 s16, s10
	s_inst_prefetch 0x1
	s_branch .LBB655_54
	.p2align	6
.LBB655_53:                             ;   in Loop: Header=BB655_54 Depth=2
	s_or_b32 exec_lo, exec_lo, s17
	v_and_b32_e32 v11, 0xffff0000, v12
	v_add_co_u32 v5, vcc_lo, v5, 2
	v_add_co_ci_u32_e64 v6, null, 0, v6, vcc_lo
	v_add_f32_e32 v10, v10, v11
	s_add_i32 s16, s16, -1
	s_add_i32 s15, s15, 4
	s_cmp_lg_u32 s16, 0
	s_cbranch_scc0 .LBB655_25
.LBB655_54:                             ;   Parent Loop BB655_27 Depth=1
                                        ; =>  This Inner Loop Header: Depth=2
	global_load_ushort v11, v[5:6], off
	v_mov_b32_e32 v12, s15
	ds_read_b32 v12, v12
	s_waitcnt vmcnt(0)
	v_lshlrev_b32_e32 v11, 16, v11
	s_waitcnt lgkmcnt(0)
	v_mul_f32_e32 v11, v12, v11
	v_and_b32_e32 v12, 0x7f800000, v11
	v_cmp_ne_u32_e32 vcc_lo, 0x7f800000, v12
                                        ; implicit-def: $vgpr12
	s_and_saveexec_b32 s17, vcc_lo
	s_xor_b32 s17, exec_lo, s17
; %bb.55:                               ;   in Loop: Header=BB655_54 Depth=2
	v_bfe_u32 v12, v11, 16, 1
	v_add3_u32 v12, v11, v12, 0x7fff
                                        ; implicit-def: $vgpr11
; %bb.56:                               ;   in Loop: Header=BB655_54 Depth=2
	s_andn2_saveexec_b32 s17, s17
	s_cbranch_execz .LBB655_53
; %bb.57:                               ;   in Loop: Header=BB655_54 Depth=2
	v_or_b32_e32 v12, 0x10000, v11
	v_cmp_eq_u32_sdwa vcc_lo, v11, v9 src0_sel:WORD_0 src1_sel:DWORD
	v_cndmask_b32_e32 v12, v12, v11, vcc_lo
	s_branch .LBB655_53
.LBB655_58:
	s_endpgm
	.section	.rodata,"a",@progbits
	.p2align	6, 0x0
	.amdhsa_kernel _ZL22rocblas_gemvtsm_kernelILb1ELi256E16rocblas_bfloat16ffEviiT2_lPKT1_lilS4_lilS1_lPT3_lil
		.amdhsa_group_segment_fixed_size 256
		.amdhsa_private_segment_fixed_size 0
		.amdhsa_kernarg_size 136
		.amdhsa_user_sgpr_count 6
		.amdhsa_user_sgpr_private_segment_buffer 1
		.amdhsa_user_sgpr_dispatch_ptr 0
		.amdhsa_user_sgpr_queue_ptr 0
		.amdhsa_user_sgpr_kernarg_segment_ptr 1
		.amdhsa_user_sgpr_dispatch_id 0
		.amdhsa_user_sgpr_flat_scratch_init 0
		.amdhsa_user_sgpr_private_segment_size 0
		.amdhsa_wavefront_size32 1
		.amdhsa_uses_dynamic_stack 0
		.amdhsa_system_sgpr_private_segment_wavefront_offset 0
		.amdhsa_system_sgpr_workgroup_id_x 1
		.amdhsa_system_sgpr_workgroup_id_y 0
		.amdhsa_system_sgpr_workgroup_id_z 0
		.amdhsa_system_sgpr_workgroup_info 0
		.amdhsa_system_vgpr_workitem_id 0
		.amdhsa_next_free_vgpr 16
		.amdhsa_next_free_sgpr 26
		.amdhsa_reserve_vcc 1
		.amdhsa_reserve_flat_scratch 0
		.amdhsa_float_round_mode_32 0
		.amdhsa_float_round_mode_16_64 0
		.amdhsa_float_denorm_mode_32 3
		.amdhsa_float_denorm_mode_16_64 3
		.amdhsa_dx10_clamp 1
		.amdhsa_ieee_mode 1
		.amdhsa_fp16_overflow 0
		.amdhsa_workgroup_processor_mode 1
		.amdhsa_memory_ordered 1
		.amdhsa_forward_progress 1
		.amdhsa_shared_vgpr_count 0
		.amdhsa_exception_fp_ieee_invalid_op 0
		.amdhsa_exception_fp_denorm_src 0
		.amdhsa_exception_fp_ieee_div_zero 0
		.amdhsa_exception_fp_ieee_overflow 0
		.amdhsa_exception_fp_ieee_underflow 0
		.amdhsa_exception_fp_ieee_inexact 0
		.amdhsa_exception_int_div_zero 0
	.end_amdhsa_kernel
	.section	.text._ZL22rocblas_gemvtsm_kernelILb1ELi256E16rocblas_bfloat16ffEviiT2_lPKT1_lilS4_lilS1_lPT3_lil,"axG",@progbits,_ZL22rocblas_gemvtsm_kernelILb1ELi256E16rocblas_bfloat16ffEviiT2_lPKT1_lilS4_lilS1_lPT3_lil,comdat
.Lfunc_end655:
	.size	_ZL22rocblas_gemvtsm_kernelILb1ELi256E16rocblas_bfloat16ffEviiT2_lPKT1_lilS4_lilS1_lPT3_lil, .Lfunc_end655-_ZL22rocblas_gemvtsm_kernelILb1ELi256E16rocblas_bfloat16ffEviiT2_lPKT1_lilS4_lilS1_lPT3_lil
                                        ; -- End function
	.set _ZL22rocblas_gemvtsm_kernelILb1ELi256E16rocblas_bfloat16ffEviiT2_lPKT1_lilS4_lilS1_lPT3_lil.num_vgpr, 16
	.set _ZL22rocblas_gemvtsm_kernelILb1ELi256E16rocblas_bfloat16ffEviiT2_lPKT1_lilS4_lilS1_lPT3_lil.num_agpr, 0
	.set _ZL22rocblas_gemvtsm_kernelILb1ELi256E16rocblas_bfloat16ffEviiT2_lPKT1_lilS4_lilS1_lPT3_lil.numbered_sgpr, 26
	.set _ZL22rocblas_gemvtsm_kernelILb1ELi256E16rocblas_bfloat16ffEviiT2_lPKT1_lilS4_lilS1_lPT3_lil.num_named_barrier, 0
	.set _ZL22rocblas_gemvtsm_kernelILb1ELi256E16rocblas_bfloat16ffEviiT2_lPKT1_lilS4_lilS1_lPT3_lil.private_seg_size, 0
	.set _ZL22rocblas_gemvtsm_kernelILb1ELi256E16rocblas_bfloat16ffEviiT2_lPKT1_lilS4_lilS1_lPT3_lil.uses_vcc, 1
	.set _ZL22rocblas_gemvtsm_kernelILb1ELi256E16rocblas_bfloat16ffEviiT2_lPKT1_lilS4_lilS1_lPT3_lil.uses_flat_scratch, 0
	.set _ZL22rocblas_gemvtsm_kernelILb1ELi256E16rocblas_bfloat16ffEviiT2_lPKT1_lilS4_lilS1_lPT3_lil.has_dyn_sized_stack, 0
	.set _ZL22rocblas_gemvtsm_kernelILb1ELi256E16rocblas_bfloat16ffEviiT2_lPKT1_lilS4_lilS1_lPT3_lil.has_recursion, 0
	.set _ZL22rocblas_gemvtsm_kernelILb1ELi256E16rocblas_bfloat16ffEviiT2_lPKT1_lilS4_lilS1_lPT3_lil.has_indirect_call, 0
	.section	.AMDGPU.csdata,"",@progbits
; Kernel info:
; codeLenInByte = 2020
; TotalNumSgprs: 28
; NumVgprs: 16
; ScratchSize: 0
; MemoryBound: 0
; FloatMode: 240
; IeeeMode: 1
; LDSByteSize: 256 bytes/workgroup (compile time only)
; SGPRBlocks: 0
; VGPRBlocks: 1
; NumSGPRsForWavesPerEU: 28
; NumVGPRsForWavesPerEU: 16
; Occupancy: 16
; WaveLimiterHint : 1
; COMPUTE_PGM_RSRC2:SCRATCH_EN: 0
; COMPUTE_PGM_RSRC2:USER_SGPR: 6
; COMPUTE_PGM_RSRC2:TRAP_HANDLER: 0
; COMPUTE_PGM_RSRC2:TGID_X_EN: 1
; COMPUTE_PGM_RSRC2:TGID_Y_EN: 0
; COMPUTE_PGM_RSRC2:TGID_Z_EN: 0
; COMPUTE_PGM_RSRC2:TIDIG_COMP_CNT: 0
	.section	.text._ZL20rocblas_gemvt_kernelILb1ELi256E16rocblas_bfloat16PKffEviiT2_lPKT1_lilS6_lilS3_lPT3_lili,"axG",@progbits,_ZL20rocblas_gemvt_kernelILb1ELi256E16rocblas_bfloat16PKffEviiT2_lPKT1_lilS6_lilS3_lPT3_lili,comdat
	.globl	_ZL20rocblas_gemvt_kernelILb1ELi256E16rocblas_bfloat16PKffEviiT2_lPKT1_lilS6_lilS3_lPT3_lili ; -- Begin function _ZL20rocblas_gemvt_kernelILb1ELi256E16rocblas_bfloat16PKffEviiT2_lPKT1_lilS6_lilS3_lPT3_lili
	.p2align	8
	.type	_ZL20rocblas_gemvt_kernelILb1ELi256E16rocblas_bfloat16PKffEviiT2_lPKT1_lilS6_lilS3_lPT3_lili,@function
_ZL20rocblas_gemvt_kernelILb1ELi256E16rocblas_bfloat16PKffEviiT2_lPKT1_lilS6_lilS3_lPT3_lili: ; @_ZL20rocblas_gemvt_kernelILb1ELi256E16rocblas_bfloat16PKffEviiT2_lPKT1_lilS6_lilS3_lPT3_lili
; %bb.0:
	s_clause 0x1
	s_load_dwordx8 s[8:15], s[4:5], 0x8
	s_load_dwordx8 s[16:23], s[4:5], 0x50
	s_waitcnt lgkmcnt(0)
	s_mul_i32 s1, s11, s7
	s_mul_hi_u32 s2, s10, s7
	s_mul_i32 s0, s10, s7
	s_add_i32 s1, s2, s1
	s_mul_i32 s2, s21, s7
	s_lshl_b64 s[0:1], s[0:1], 2
	s_mul_hi_u32 s3, s20, s7
	s_add_u32 s0, s8, s0
	s_addc_u32 s1, s9, s1
	s_add_i32 s3, s3, s2
	s_mul_i32 s2, s20, s7
	s_mov_b32 s21, 0
	s_lshl_b64 s[2:3], s[2:3], 2
	s_add_u32 s2, s18, s2
	s_addc_u32 s3, s19, s3
	s_load_dword s24, s[0:1], 0x0
	s_load_dword s20, s[2:3], 0x0
	s_waitcnt lgkmcnt(0)
	v_cmp_eq_f32_e64 s0, s24, 0
	v_cmp_eq_f32_e64 s1, s20, 1.0
	s_and_b32 s0, s0, s1
	s_and_b32 vcc_lo, exec_lo, s0
	s_cbranch_vccnz .LBB656_45
; %bb.1:
	s_clause 0x2
	s_load_dwordx2 s[0:1], s[4:5], 0x80
	s_load_dwordx2 s[2:3], s[4:5], 0x70
	s_load_dword s25, s[4:5], 0x78
	s_waitcnt lgkmcnt(0)
	s_mul_i32 s1, s1, s7
	s_mul_hi_u32 s8, s0, s7
	s_mul_i32 s0, s0, s7
	s_add_i32 s1, s8, s1
	v_cmp_neq_f32_e64 s8, s24, 0
	s_lshl_b64 s[0:1], s[0:1], 2
	s_add_u32 s9, s22, s0
	s_addc_u32 s10, s23, s1
	s_lshl_b64 s[0:1], s[2:3], 2
	s_add_u32 s18, s9, s0
	v_cmp_eq_u32_e64 s0, 0, v0
	s_addc_u32 s19, s10, s1
	s_and_b32 vcc_lo, exec_lo, s8
	s_cbranch_vccnz .LBB656_5
; %bb.2:
	s_mov_b32 s1, 0
                                        ; implicit-def: $vgpr1
                                        ; implicit-def: $sgpr2_sgpr3
	s_and_saveexec_b32 s8, s0
	s_cbranch_execz .LBB656_6
; %bb.3:
	v_cmp_eq_f32_e64 s0, s20, 0
	s_mul_hi_i32 s3, s25, s6
	s_mul_i32 s2, s25, s6
	s_and_b32 vcc_lo, exec_lo, s0
	s_cbranch_vccnz .LBB656_7
; %bb.4:
	s_lshl_b64 s[10:11], s[2:3], 2
	s_add_u32 s10, s18, s10
	s_addc_u32 s11, s19, s11
	s_load_dword s0, s[10:11], 0x0
	s_waitcnt lgkmcnt(0)
	v_mul_f32_e64 v1, s20, s0
	s_branch .LBB656_8
.LBB656_5:
                                        ; implicit-def: $vgpr1
                                        ; implicit-def: $sgpr2_sgpr3
	s_cbranch_execnz .LBB656_9
	s_branch .LBB656_43
.LBB656_6:
	s_or_b32 exec_lo, exec_lo, s8
	s_and_b32 vcc_lo, exec_lo, s1
	s_cbranch_vccnz .LBB656_9
	s_branch .LBB656_43
.LBB656_7:
	v_mov_b32_e32 v1, 0
.LBB656_8:
	s_mov_b32 s21, exec_lo
	s_or_b32 exec_lo, exec_lo, s8
	s_and_b32 vcc_lo, exec_lo, s1
	s_cbranch_vccz .LBB656_43
.LBB656_9:
	s_clause 0x4
	s_load_dwordx4 s[0:3], s[4:5], 0x30
	s_load_dword s22, s[4:5], 0x0
	s_load_dword s23, s[4:5], 0x28
	s_load_dwordx2 s[8:9], s[4:5], 0x40
	s_load_dword s4, s[4:5], 0x48
	s_mul_i32 s11, s17, s7
	s_mul_hi_u32 s17, s16, s7
	s_mul_i32 s10, s16, s7
	s_add_i32 s11, s17, s11
	v_mov_b32_e32 v7, 0
	s_waitcnt lgkmcnt(0)
	s_mul_i32 s1, s1, s7
	v_cmp_gt_i32_e32 vcc_lo, s22, v0
	s_mul_hi_u32 s5, s0, s7
	s_mul_i32 s0, s0, s7
	s_add_i32 s1, s5, s1
	s_mul_hi_i32 s17, s23, s6
	v_cndmask_b32_e32 v1, 0, v0, vcc_lo
	s_lshl_b64 s[0:1], s[0:1], 1
	s_mul_i32 s16, s23, s6
	s_add_u32 s5, s12, s0
	s_addc_u32 s7, s13, s1
	v_lshlrev_b32_e32 v1, 1, v1
	s_lshl_b64 s[0:1], s[14:15], 1
	s_add_u32 s5, s5, s0
	s_addc_u32 s7, s7, s1
	v_add_co_u32 v1, s5, s5, v1
	v_add_co_ci_u32_e64 v2, null, s7, 0, s5
	s_ashr_i32 s12, s22, 31
	s_lshl_b64 s[0:1], s[16:17], 1
	s_lshr_b32 s12, s12, 24
	v_add_co_u32 v1, vcc_lo, v1, s0
	s_add_i32 s5, s22, s12
	v_add_co_ci_u32_e64 v2, null, s1, v2, vcc_lo
	s_and_b32 s0, s5, 0xffffff00
	s_cmpk_lt_i32 s22, 0x100
	s_mov_b32 s1, 0
	s_cbranch_scc1 .LBB656_16
; %bb.10:
	v_mad_i64_i32 v[3:4], null, s4, v0, 0
	s_lshl_b64 s[14:15], s[8:9], 1
	s_ashr_i32 s5, s4, 31
	s_lshl_b64 s[12:13], s[10:11], 1
	s_add_u32 s7, s2, s14
	s_addc_u32 s14, s3, s15
	s_add_u32 s7, s7, s12
	v_lshlrev_b64 v[3:4], 1, v[3:4]
	s_addc_u32 s12, s14, s13
	v_mov_b32_e32 v6, v2
	v_mov_b32_e32 v8, 0
	;; [unrolled: 1-line block ×4, first 2 shown]
	v_add_co_u32 v3, vcc_lo, s7, v3
	v_add_co_ci_u32_e64 v4, null, s12, v4, vcc_lo
	s_lshl_b64 s[12:13], s[4:5], 9
	s_inst_prefetch 0x1
	s_branch .LBB656_12
	.p2align	6
.LBB656_11:                             ;   in Loop: Header=BB656_12 Depth=1
	s_or_b32 exec_lo, exec_lo, s5
	v_and_b32_e32 v9, 0xffff0000, v10
	v_add_co_u32 v3, vcc_lo, v3, s12
	v_add_co_ci_u32_e64 v4, null, s13, v4, vcc_lo
	v_add_co_u32 v5, vcc_lo, 0x200, v5
	v_add_f32_e32 v7, v7, v9
	v_add_co_ci_u32_e64 v6, null, 0, v6, vcc_lo
	s_addk_i32 s1, 0x100
	s_cmp_ge_i32 s1, s0
	s_cbranch_scc1 .LBB656_16
.LBB656_12:                             ; =>This Inner Loop Header: Depth=1
	global_load_ushort v9, v[3:4], off
	global_load_ushort v10, v[5:6], off
	s_waitcnt vmcnt(1)
	v_lshlrev_b32_e32 v9, 16, v9
	s_waitcnt vmcnt(0)
	v_lshlrev_b32_e32 v10, 16, v10
	v_mul_f32_e32 v9, v10, v9
	v_and_b32_e32 v10, 0x7f800000, v9
	v_cmp_ne_u32_e32 vcc_lo, 0x7f800000, v10
                                        ; implicit-def: $vgpr10
	s_and_saveexec_b32 s5, vcc_lo
	s_xor_b32 s5, exec_lo, s5
; %bb.13:                               ;   in Loop: Header=BB656_12 Depth=1
	v_bfe_u32 v10, v9, 16, 1
	v_add3_u32 v10, v9, v10, 0x7fff
                                        ; implicit-def: $vgpr9
; %bb.14:                               ;   in Loop: Header=BB656_12 Depth=1
	s_andn2_saveexec_b32 s5, s5
	s_cbranch_execz .LBB656_11
; %bb.15:                               ;   in Loop: Header=BB656_12 Depth=1
	v_or_b32_e32 v10, 0x10000, v9
	v_cmp_eq_u32_sdwa vcc_lo, v9, v8 src0_sel:WORD_0 src1_sel:DWORD
	v_cndmask_b32_e32 v10, v10, v9, vcc_lo
	s_branch .LBB656_11
.LBB656_16:
	s_inst_prefetch 0x2
	v_add_nc_u32_e32 v3, s0, v0
	s_mov_b32 s5, exec_lo
	v_cmpx_gt_i32_e64 s22, v3
	s_cbranch_execz .LBB656_22
; %bb.17:
	v_mad_i64_i32 v[3:4], null, s4, v3, 0
	s_lshl_b64 s[10:11], s[10:11], 1
	s_add_u32 s1, s2, s10
	s_addc_u32 s4, s3, s11
	s_lshl_b64 s[2:3], s[8:9], 1
	s_add_u32 s2, s1, s2
	v_lshlrev_b64 v[3:4], 1, v[3:4]
	s_addc_u32 s3, s4, s3
	s_ashr_i32 s1, s0, 31
	s_lshl_b64 s[0:1], s[0:1], 1
	v_add_co_u32 v3, vcc_lo, s2, v3
	v_add_co_ci_u32_e64 v4, null, s3, v4, vcc_lo
	v_add_co_u32 v1, vcc_lo, v1, s0
	v_add_co_ci_u32_e64 v2, null, s1, v2, vcc_lo
	global_load_ushort v3, v[3:4], off
	global_load_ushort v1, v[1:2], off
	s_waitcnt vmcnt(1)
	v_lshlrev_b32_e32 v2, 16, v3
	s_waitcnt vmcnt(0)
	v_lshlrev_b32_e32 v1, 16, v1
	v_mul_f32_e32 v1, v1, v2
	v_and_b32_e32 v2, 0x7f800000, v1
	v_cmp_ne_u32_e32 vcc_lo, 0x7f800000, v2
                                        ; implicit-def: $vgpr2
	s_and_saveexec_b32 s0, vcc_lo
	s_xor_b32 s0, exec_lo, s0
; %bb.18:
	v_bfe_u32 v2, v1, 16, 1
	v_add3_u32 v2, v1, v2, 0x7fff
                                        ; implicit-def: $vgpr1
; %bb.19:
	s_andn2_saveexec_b32 s0, s0
; %bb.20:
	v_mov_b32_e32 v2, 0
	v_or_b32_e32 v3, 0x10000, v1
	v_cmp_eq_u32_sdwa vcc_lo, v1, v2 src0_sel:WORD_0 src1_sel:DWORD
	v_cndmask_b32_e32 v2, v3, v1, vcc_lo
; %bb.21:
	s_or_b32 exec_lo, exec_lo, s0
	v_and_b32_e32 v1, 0xffff0000, v2
	v_add_f32_e32 v7, v7, v1
.LBB656_22:
	s_or_b32 exec_lo, exec_lo, s5
	v_lshlrev_b32_e32 v1, 2, v0
	s_mov_b32 s0, exec_lo
	ds_write_b32 v1, v7
	s_waitcnt lgkmcnt(0)
	s_barrier
	buffer_gl0_inv
	v_cmpx_gt_u32_e32 0x80, v0
	s_cbranch_execz .LBB656_24
; %bb.23:
	ds_read2st64_b32 v[2:3], v1 offset1:2
	s_waitcnt lgkmcnt(0)
	v_add_f32_e32 v2, v3, v2
	ds_write_b32 v1, v2
.LBB656_24:
	s_or_b32 exec_lo, exec_lo, s0
	s_mov_b32 s0, exec_lo
	s_waitcnt lgkmcnt(0)
	s_barrier
	buffer_gl0_inv
	v_cmpx_gt_u32_e32 64, v0
	s_cbranch_execz .LBB656_26
; %bb.25:
	ds_read2st64_b32 v[2:3], v1 offset1:1
	s_waitcnt lgkmcnt(0)
	v_add_f32_e32 v2, v3, v2
	ds_write_b32 v1, v2
.LBB656_26:
	s_or_b32 exec_lo, exec_lo, s0
	s_mov_b32 s0, exec_lo
	s_waitcnt lgkmcnt(0)
	s_barrier
	buffer_gl0_inv
	v_cmpx_gt_u32_e32 32, v0
	s_cbranch_execz .LBB656_28
; %bb.27:
	ds_read2_b32 v[2:3], v1 offset1:32
	s_waitcnt lgkmcnt(0)
	v_add_f32_e32 v2, v3, v2
	ds_write_b32 v1, v2
.LBB656_28:
	s_or_b32 exec_lo, exec_lo, s0
	s_mov_b32 s0, exec_lo
	s_waitcnt lgkmcnt(0)
	s_barrier
	buffer_gl0_inv
	v_cmpx_gt_u32_e32 16, v0
	s_cbranch_execz .LBB656_30
; %bb.29:
	ds_read2_b32 v[2:3], v1 offset1:16
	s_waitcnt lgkmcnt(0)
	v_add_f32_e32 v2, v3, v2
	ds_write_b32 v1, v2
.LBB656_30:
	;; [unrolled: 13-line block ×5, first 2 shown]
	s_or_b32 exec_lo, exec_lo, s0
	v_cmp_eq_u32_e32 vcc_lo, 0, v0
	s_waitcnt lgkmcnt(0)
	s_barrier
	buffer_gl0_inv
	s_and_saveexec_b32 s0, vcc_lo
	s_cbranch_execz .LBB656_38
; %bb.37:
	v_mov_b32_e32 v2, 0
	ds_read_b64 v[0:1], v2
	s_waitcnt lgkmcnt(0)
	v_add_f32_e32 v0, v1, v0
	ds_write_b32 v2, v0
.LBB656_38:
	s_or_b32 exec_lo, exec_lo, s0
	s_waitcnt lgkmcnt(0)
	s_barrier
	buffer_gl0_inv
                                        ; implicit-def: $vgpr1
                                        ; implicit-def: $sgpr2_sgpr3
	s_and_saveexec_b32 s0, vcc_lo
	s_cbranch_execz .LBB656_42
; %bb.39:
	v_mov_b32_e32 v0, 0
	v_cmp_eq_f32_e64 s1, s20, 0
	s_mul_hi_i32 s3, s25, s6
	s_mul_i32 s2, s25, s6
	ds_read_b32 v0, v0
	s_and_b32 vcc_lo, exec_lo, s1
	s_waitcnt lgkmcnt(0)
	v_mul_f32_e32 v1, s24, v0
	s_cbranch_vccnz .LBB656_41
; %bb.40:
	s_lshl_b64 s[4:5], s[2:3], 2
	s_add_u32 s4, s18, s4
	s_addc_u32 s5, s19, s5
	s_load_dword s1, s[4:5], 0x0
	s_waitcnt lgkmcnt(0)
	v_fmac_f32_e64 v1, s20, s1
.LBB656_41:
	s_or_b32 s21, s21, exec_lo
.LBB656_42:
	s_or_b32 exec_lo, exec_lo, s0
.LBB656_43:
	s_and_saveexec_b32 s0, s21
	s_cbranch_execz .LBB656_45
; %bb.44:
	s_lshl_b64 s[0:1], s[2:3], 2
	v_mov_b32_e32 v0, 0
	s_add_u32 s0, s18, s0
	s_addc_u32 s1, s19, s1
	global_store_dword v0, v1, s[0:1]
.LBB656_45:
	s_endpgm
	.section	.rodata,"a",@progbits
	.p2align	6, 0x0
	.amdhsa_kernel _ZL20rocblas_gemvt_kernelILb1ELi256E16rocblas_bfloat16PKffEviiT2_lPKT1_lilS6_lilS3_lPT3_lili
		.amdhsa_group_segment_fixed_size 1024
		.amdhsa_private_segment_fixed_size 0
		.amdhsa_kernarg_size 140
		.amdhsa_user_sgpr_count 6
		.amdhsa_user_sgpr_private_segment_buffer 1
		.amdhsa_user_sgpr_dispatch_ptr 0
		.amdhsa_user_sgpr_queue_ptr 0
		.amdhsa_user_sgpr_kernarg_segment_ptr 1
		.amdhsa_user_sgpr_dispatch_id 0
		.amdhsa_user_sgpr_flat_scratch_init 0
		.amdhsa_user_sgpr_private_segment_size 0
		.amdhsa_wavefront_size32 1
		.amdhsa_uses_dynamic_stack 0
		.amdhsa_system_sgpr_private_segment_wavefront_offset 0
		.amdhsa_system_sgpr_workgroup_id_x 1
		.amdhsa_system_sgpr_workgroup_id_y 0
		.amdhsa_system_sgpr_workgroup_id_z 1
		.amdhsa_system_sgpr_workgroup_info 0
		.amdhsa_system_vgpr_workitem_id 0
		.amdhsa_next_free_vgpr 11
		.amdhsa_next_free_sgpr 26
		.amdhsa_reserve_vcc 1
		.amdhsa_reserve_flat_scratch 0
		.amdhsa_float_round_mode_32 0
		.amdhsa_float_round_mode_16_64 0
		.amdhsa_float_denorm_mode_32 3
		.amdhsa_float_denorm_mode_16_64 3
		.amdhsa_dx10_clamp 1
		.amdhsa_ieee_mode 1
		.amdhsa_fp16_overflow 0
		.amdhsa_workgroup_processor_mode 1
		.amdhsa_memory_ordered 1
		.amdhsa_forward_progress 1
		.amdhsa_shared_vgpr_count 0
		.amdhsa_exception_fp_ieee_invalid_op 0
		.amdhsa_exception_fp_denorm_src 0
		.amdhsa_exception_fp_ieee_div_zero 0
		.amdhsa_exception_fp_ieee_overflow 0
		.amdhsa_exception_fp_ieee_underflow 0
		.amdhsa_exception_fp_ieee_inexact 0
		.amdhsa_exception_int_div_zero 0
	.end_amdhsa_kernel
	.section	.text._ZL20rocblas_gemvt_kernelILb1ELi256E16rocblas_bfloat16PKffEviiT2_lPKT1_lilS6_lilS3_lPT3_lili,"axG",@progbits,_ZL20rocblas_gemvt_kernelILb1ELi256E16rocblas_bfloat16PKffEviiT2_lPKT1_lilS6_lilS3_lPT3_lili,comdat
.Lfunc_end656:
	.size	_ZL20rocblas_gemvt_kernelILb1ELi256E16rocblas_bfloat16PKffEviiT2_lPKT1_lilS6_lilS3_lPT3_lili, .Lfunc_end656-_ZL20rocblas_gemvt_kernelILb1ELi256E16rocblas_bfloat16PKffEviiT2_lPKT1_lilS6_lilS3_lPT3_lili
                                        ; -- End function
	.set _ZL20rocblas_gemvt_kernelILb1ELi256E16rocblas_bfloat16PKffEviiT2_lPKT1_lilS6_lilS3_lPT3_lili.num_vgpr, 11
	.set _ZL20rocblas_gemvt_kernelILb1ELi256E16rocblas_bfloat16PKffEviiT2_lPKT1_lilS6_lilS3_lPT3_lili.num_agpr, 0
	.set _ZL20rocblas_gemvt_kernelILb1ELi256E16rocblas_bfloat16PKffEviiT2_lPKT1_lilS6_lilS3_lPT3_lili.numbered_sgpr, 26
	.set _ZL20rocblas_gemvt_kernelILb1ELi256E16rocblas_bfloat16PKffEviiT2_lPKT1_lilS6_lilS3_lPT3_lili.num_named_barrier, 0
	.set _ZL20rocblas_gemvt_kernelILb1ELi256E16rocblas_bfloat16PKffEviiT2_lPKT1_lilS6_lilS3_lPT3_lili.private_seg_size, 0
	.set _ZL20rocblas_gemvt_kernelILb1ELi256E16rocblas_bfloat16PKffEviiT2_lPKT1_lilS6_lilS3_lPT3_lili.uses_vcc, 1
	.set _ZL20rocblas_gemvt_kernelILb1ELi256E16rocblas_bfloat16PKffEviiT2_lPKT1_lilS6_lilS3_lPT3_lili.uses_flat_scratch, 0
	.set _ZL20rocblas_gemvt_kernelILb1ELi256E16rocblas_bfloat16PKffEviiT2_lPKT1_lilS6_lilS3_lPT3_lili.has_dyn_sized_stack, 0
	.set _ZL20rocblas_gemvt_kernelILb1ELi256E16rocblas_bfloat16PKffEviiT2_lPKT1_lilS6_lilS3_lPT3_lili.has_recursion, 0
	.set _ZL20rocblas_gemvt_kernelILb1ELi256E16rocblas_bfloat16PKffEviiT2_lPKT1_lilS6_lilS3_lPT3_lili.has_indirect_call, 0
	.section	.AMDGPU.csdata,"",@progbits
; Kernel info:
; codeLenInByte = 1660
; TotalNumSgprs: 28
; NumVgprs: 11
; ScratchSize: 0
; MemoryBound: 0
; FloatMode: 240
; IeeeMode: 1
; LDSByteSize: 1024 bytes/workgroup (compile time only)
; SGPRBlocks: 0
; VGPRBlocks: 1
; NumSGPRsForWavesPerEU: 28
; NumVGPRsForWavesPerEU: 11
; Occupancy: 16
; WaveLimiterHint : 1
; COMPUTE_PGM_RSRC2:SCRATCH_EN: 0
; COMPUTE_PGM_RSRC2:USER_SGPR: 6
; COMPUTE_PGM_RSRC2:TRAP_HANDLER: 0
; COMPUTE_PGM_RSRC2:TGID_X_EN: 1
; COMPUTE_PGM_RSRC2:TGID_Y_EN: 0
; COMPUTE_PGM_RSRC2:TGID_Z_EN: 1
; COMPUTE_PGM_RSRC2:TIDIG_COMP_CNT: 0
	.section	.text._ZL20rocblas_gemvt_kernelILb1ELi256E16rocblas_bfloat16ffEviiT2_lPKT1_lilS4_lilS1_lPT3_lili,"axG",@progbits,_ZL20rocblas_gemvt_kernelILb1ELi256E16rocblas_bfloat16ffEviiT2_lPKT1_lilS4_lilS1_lPT3_lili,comdat
	.globl	_ZL20rocblas_gemvt_kernelILb1ELi256E16rocblas_bfloat16ffEviiT2_lPKT1_lilS4_lilS1_lPT3_lili ; -- Begin function _ZL20rocblas_gemvt_kernelILb1ELi256E16rocblas_bfloat16ffEviiT2_lPKT1_lilS4_lilS1_lPT3_lili
	.p2align	8
	.type	_ZL20rocblas_gemvt_kernelILb1ELi256E16rocblas_bfloat16ffEviiT2_lPKT1_lilS4_lilS1_lPT3_lili,@function
_ZL20rocblas_gemvt_kernelILb1ELi256E16rocblas_bfloat16ffEviiT2_lPKT1_lilS4_lilS1_lPT3_lili: ; @_ZL20rocblas_gemvt_kernelILb1ELi256E16rocblas_bfloat16ffEviiT2_lPKT1_lilS4_lilS1_lPT3_lili
; %bb.0:
	s_clause 0x1
	s_load_dword s18, s[4:5], 0x8
	s_load_dword s16, s[4:5], 0x58
	s_mov_b32 s17, 0
	s_waitcnt lgkmcnt(0)
	v_cmp_eq_f32_e64 s0, s18, 0
	v_cmp_eq_f32_e64 s1, s16, 1.0
	s_and_b32 s0, s0, s1
	s_and_b32 vcc_lo, exec_lo, s0
	s_cbranch_vccnz .LBB657_45
; %bb.1:
	s_clause 0x2
	s_load_dwordx2 s[8:9], s[4:5], 0x80
	s_load_dwordx4 s[0:3], s[4:5], 0x68
	s_load_dword s19, s[4:5], 0x78
	s_waitcnt lgkmcnt(0)
	s_mul_i32 s9, s9, s7
	s_mul_hi_u32 s10, s8, s7
	s_mul_i32 s8, s8, s7
	s_add_i32 s9, s10, s9
	v_cmp_neq_f32_e64 s10, s18, 0
	s_lshl_b64 s[8:9], s[8:9], 2
	s_add_u32 s8, s0, s8
	s_addc_u32 s9, s1, s9
	s_lshl_b64 s[0:1], s[2:3], 2
	s_add_u32 s14, s8, s0
	v_cmp_eq_u32_e64 s0, 0, v0
	s_addc_u32 s15, s9, s1
	s_and_b32 vcc_lo, exec_lo, s10
	s_cbranch_vccnz .LBB657_5
; %bb.2:
	s_mov_b32 s1, 0
                                        ; implicit-def: $vgpr1
                                        ; implicit-def: $sgpr2_sgpr3
	s_and_saveexec_b32 s8, s0
	s_cbranch_execz .LBB657_6
; %bb.3:
	v_cmp_eq_f32_e64 s0, s16, 0
	s_mul_hi_i32 s3, s19, s6
	s_mul_i32 s2, s19, s6
	s_and_b32 vcc_lo, exec_lo, s0
	s_cbranch_vccnz .LBB657_7
; %bb.4:
	s_lshl_b64 s[10:11], s[2:3], 2
	s_add_u32 s10, s14, s10
	s_addc_u32 s11, s15, s11
	s_load_dword s0, s[10:11], 0x0
	s_waitcnt lgkmcnt(0)
	v_mul_f32_e64 v1, s16, s0
	s_branch .LBB657_8
.LBB657_5:
                                        ; implicit-def: $vgpr1
                                        ; implicit-def: $sgpr2_sgpr3
	s_cbranch_execnz .LBB657_9
	s_branch .LBB657_43
.LBB657_6:
	s_or_b32 exec_lo, exec_lo, s8
	s_and_b32 vcc_lo, exec_lo, s1
	s_cbranch_vccnz .LBB657_9
	s_branch .LBB657_43
.LBB657_7:
	v_mov_b32_e32 v1, 0
.LBB657_8:
	s_mov_b32 s17, exec_lo
	s_or_b32 exec_lo, exec_lo, s8
	s_and_b32 vcc_lo, exec_lo, s1
	s_cbranch_vccz .LBB657_43
.LBB657_9:
	s_clause 0x6
	s_load_dwordx2 s[10:11], s[4:5], 0x50
	s_load_dwordx4 s[0:3], s[4:5], 0x30
	s_load_dword s20, s[4:5], 0x0
	s_load_dword s12, s[4:5], 0x28
	s_load_dwordx4 s[24:27], s[4:5], 0x18
	s_load_dwordx2 s[8:9], s[4:5], 0x40
	s_load_dword s4, s[4:5], 0x48
	v_mov_b32_e32 v7, 0
	s_waitcnt lgkmcnt(0)
	s_mul_i32 s5, s11, s7
	s_mul_i32 s1, s1, s7
	v_cmp_gt_i32_e32 vcc_lo, s20, v0
	s_mul_hi_u32 s21, s0, s7
	s_mul_i32 s0, s0, s7
	s_add_i32 s1, s21, s1
	s_mul_hi_u32 s11, s10, s7
	v_cndmask_b32_e32 v1, 0, v0, vcc_lo
	s_lshl_b64 s[0:1], s[0:1], 1
	s_add_i32 s11, s11, s5
	s_add_u32 s5, s24, s0
	s_mul_i32 s10, s10, s7
	v_lshlrev_b32_e32 v1, 1, v1
	s_addc_u32 s7, s25, s1
	s_lshl_b64 s[0:1], s[26:27], 1
	s_mul_hi_i32 s13, s12, s6
	s_add_u32 s5, s5, s0
	s_addc_u32 s7, s7, s1
	v_add_co_u32 v1, s5, s5, v1
	s_mul_i32 s12, s12, s6
	v_add_co_ci_u32_e64 v2, null, s7, 0, s5
	s_ashr_i32 s21, s20, 31
	s_lshl_b64 s[0:1], s[12:13], 1
	s_lshr_b32 s12, s21, 24
	v_add_co_u32 v1, vcc_lo, v1, s0
	s_add_i32 s5, s20, s12
	v_add_co_ci_u32_e64 v2, null, s1, v2, vcc_lo
	s_and_b32 s0, s5, 0xffffff00
	s_cmpk_lt_i32 s20, 0x100
	s_mov_b32 s1, 0
	s_cbranch_scc1 .LBB657_16
; %bb.10:
	v_mad_i64_i32 v[3:4], null, s4, v0, 0
	s_lshl_b64 s[22:23], s[8:9], 1
	s_ashr_i32 s5, s4, 31
	s_lshl_b64 s[12:13], s[10:11], 1
	s_add_u32 s7, s2, s22
	s_addc_u32 s21, s3, s23
	s_add_u32 s7, s7, s12
	v_lshlrev_b64 v[3:4], 1, v[3:4]
	s_addc_u32 s12, s21, s13
	v_mov_b32_e32 v6, v2
	v_mov_b32_e32 v8, 0
	;; [unrolled: 1-line block ×4, first 2 shown]
	v_add_co_u32 v3, vcc_lo, s7, v3
	v_add_co_ci_u32_e64 v4, null, s12, v4, vcc_lo
	s_lshl_b64 s[12:13], s[4:5], 9
	s_inst_prefetch 0x1
	s_branch .LBB657_12
	.p2align	6
.LBB657_11:                             ;   in Loop: Header=BB657_12 Depth=1
	s_or_b32 exec_lo, exec_lo, s5
	v_and_b32_e32 v9, 0xffff0000, v10
	v_add_co_u32 v3, vcc_lo, v3, s12
	v_add_co_ci_u32_e64 v4, null, s13, v4, vcc_lo
	v_add_co_u32 v5, vcc_lo, 0x200, v5
	v_add_f32_e32 v7, v7, v9
	v_add_co_ci_u32_e64 v6, null, 0, v6, vcc_lo
	s_addk_i32 s1, 0x100
	s_cmp_ge_i32 s1, s0
	s_cbranch_scc1 .LBB657_16
.LBB657_12:                             ; =>This Inner Loop Header: Depth=1
	global_load_ushort v9, v[3:4], off
	global_load_ushort v10, v[5:6], off
	s_waitcnt vmcnt(1)
	v_lshlrev_b32_e32 v9, 16, v9
	s_waitcnt vmcnt(0)
	v_lshlrev_b32_e32 v10, 16, v10
	v_mul_f32_e32 v9, v10, v9
	v_and_b32_e32 v10, 0x7f800000, v9
	v_cmp_ne_u32_e32 vcc_lo, 0x7f800000, v10
                                        ; implicit-def: $vgpr10
	s_and_saveexec_b32 s5, vcc_lo
	s_xor_b32 s5, exec_lo, s5
; %bb.13:                               ;   in Loop: Header=BB657_12 Depth=1
	v_bfe_u32 v10, v9, 16, 1
	v_add3_u32 v10, v9, v10, 0x7fff
                                        ; implicit-def: $vgpr9
; %bb.14:                               ;   in Loop: Header=BB657_12 Depth=1
	s_andn2_saveexec_b32 s5, s5
	s_cbranch_execz .LBB657_11
; %bb.15:                               ;   in Loop: Header=BB657_12 Depth=1
	v_or_b32_e32 v10, 0x10000, v9
	v_cmp_eq_u32_sdwa vcc_lo, v9, v8 src0_sel:WORD_0 src1_sel:DWORD
	v_cndmask_b32_e32 v10, v10, v9, vcc_lo
	s_branch .LBB657_11
.LBB657_16:
	s_inst_prefetch 0x2
	v_add_nc_u32_e32 v3, s0, v0
	s_mov_b32 s5, exec_lo
	v_cmpx_gt_i32_e64 s20, v3
	s_cbranch_execz .LBB657_22
; %bb.17:
	v_mad_i64_i32 v[3:4], null, s4, v3, 0
	s_lshl_b64 s[10:11], s[10:11], 1
	s_add_u32 s1, s2, s10
	s_addc_u32 s4, s3, s11
	s_lshl_b64 s[2:3], s[8:9], 1
	s_add_u32 s2, s1, s2
	v_lshlrev_b64 v[3:4], 1, v[3:4]
	s_addc_u32 s3, s4, s3
	s_ashr_i32 s1, s0, 31
	s_lshl_b64 s[0:1], s[0:1], 1
	v_add_co_u32 v3, vcc_lo, s2, v3
	v_add_co_ci_u32_e64 v4, null, s3, v4, vcc_lo
	v_add_co_u32 v1, vcc_lo, v1, s0
	v_add_co_ci_u32_e64 v2, null, s1, v2, vcc_lo
	global_load_ushort v3, v[3:4], off
	global_load_ushort v1, v[1:2], off
	s_waitcnt vmcnt(1)
	v_lshlrev_b32_e32 v2, 16, v3
	s_waitcnt vmcnt(0)
	v_lshlrev_b32_e32 v1, 16, v1
	v_mul_f32_e32 v1, v1, v2
	v_and_b32_e32 v2, 0x7f800000, v1
	v_cmp_ne_u32_e32 vcc_lo, 0x7f800000, v2
                                        ; implicit-def: $vgpr2
	s_and_saveexec_b32 s0, vcc_lo
	s_xor_b32 s0, exec_lo, s0
; %bb.18:
	v_bfe_u32 v2, v1, 16, 1
	v_add3_u32 v2, v1, v2, 0x7fff
                                        ; implicit-def: $vgpr1
; %bb.19:
	s_andn2_saveexec_b32 s0, s0
; %bb.20:
	v_mov_b32_e32 v2, 0
	v_or_b32_e32 v3, 0x10000, v1
	v_cmp_eq_u32_sdwa vcc_lo, v1, v2 src0_sel:WORD_0 src1_sel:DWORD
	v_cndmask_b32_e32 v2, v3, v1, vcc_lo
; %bb.21:
	s_or_b32 exec_lo, exec_lo, s0
	v_and_b32_e32 v1, 0xffff0000, v2
	v_add_f32_e32 v7, v7, v1
.LBB657_22:
	s_or_b32 exec_lo, exec_lo, s5
	v_lshlrev_b32_e32 v1, 2, v0
	s_mov_b32 s0, exec_lo
	ds_write_b32 v1, v7
	s_waitcnt lgkmcnt(0)
	s_barrier
	buffer_gl0_inv
	v_cmpx_gt_u32_e32 0x80, v0
	s_cbranch_execz .LBB657_24
; %bb.23:
	ds_read2st64_b32 v[2:3], v1 offset1:2
	s_waitcnt lgkmcnt(0)
	v_add_f32_e32 v2, v3, v2
	ds_write_b32 v1, v2
.LBB657_24:
	s_or_b32 exec_lo, exec_lo, s0
	s_mov_b32 s0, exec_lo
	s_waitcnt lgkmcnt(0)
	s_barrier
	buffer_gl0_inv
	v_cmpx_gt_u32_e32 64, v0
	s_cbranch_execz .LBB657_26
; %bb.25:
	ds_read2st64_b32 v[2:3], v1 offset1:1
	s_waitcnt lgkmcnt(0)
	v_add_f32_e32 v2, v3, v2
	ds_write_b32 v1, v2
.LBB657_26:
	s_or_b32 exec_lo, exec_lo, s0
	s_mov_b32 s0, exec_lo
	s_waitcnt lgkmcnt(0)
	s_barrier
	buffer_gl0_inv
	v_cmpx_gt_u32_e32 32, v0
	s_cbranch_execz .LBB657_28
; %bb.27:
	ds_read2_b32 v[2:3], v1 offset1:32
	s_waitcnt lgkmcnt(0)
	v_add_f32_e32 v2, v3, v2
	ds_write_b32 v1, v2
.LBB657_28:
	s_or_b32 exec_lo, exec_lo, s0
	s_mov_b32 s0, exec_lo
	s_waitcnt lgkmcnt(0)
	s_barrier
	buffer_gl0_inv
	v_cmpx_gt_u32_e32 16, v0
	s_cbranch_execz .LBB657_30
; %bb.29:
	ds_read2_b32 v[2:3], v1 offset1:16
	s_waitcnt lgkmcnt(0)
	v_add_f32_e32 v2, v3, v2
	ds_write_b32 v1, v2
.LBB657_30:
	;; [unrolled: 13-line block ×5, first 2 shown]
	s_or_b32 exec_lo, exec_lo, s0
	v_cmp_eq_u32_e32 vcc_lo, 0, v0
	s_waitcnt lgkmcnt(0)
	s_barrier
	buffer_gl0_inv
	s_and_saveexec_b32 s0, vcc_lo
	s_cbranch_execz .LBB657_38
; %bb.37:
	v_mov_b32_e32 v2, 0
	ds_read_b64 v[0:1], v2
	s_waitcnt lgkmcnt(0)
	v_add_f32_e32 v0, v1, v0
	ds_write_b32 v2, v0
.LBB657_38:
	s_or_b32 exec_lo, exec_lo, s0
	s_waitcnt lgkmcnt(0)
	s_barrier
	buffer_gl0_inv
                                        ; implicit-def: $vgpr1
                                        ; implicit-def: $sgpr2_sgpr3
	s_and_saveexec_b32 s0, vcc_lo
	s_cbranch_execz .LBB657_42
; %bb.39:
	v_mov_b32_e32 v0, 0
	v_cmp_eq_f32_e64 s1, s16, 0
	s_mul_hi_i32 s3, s19, s6
	s_mul_i32 s2, s19, s6
	ds_read_b32 v0, v0
	s_and_b32 vcc_lo, exec_lo, s1
	s_waitcnt lgkmcnt(0)
	v_mul_f32_e32 v1, s18, v0
	s_cbranch_vccnz .LBB657_41
; %bb.40:
	s_lshl_b64 s[4:5], s[2:3], 2
	s_add_u32 s4, s14, s4
	s_addc_u32 s5, s15, s5
	s_load_dword s1, s[4:5], 0x0
	s_waitcnt lgkmcnt(0)
	v_fmac_f32_e64 v1, s16, s1
.LBB657_41:
	s_or_b32 s17, s17, exec_lo
.LBB657_42:
	s_or_b32 exec_lo, exec_lo, s0
.LBB657_43:
	s_and_saveexec_b32 s0, s17
	s_cbranch_execz .LBB657_45
; %bb.44:
	s_lshl_b64 s[0:1], s[2:3], 2
	v_mov_b32_e32 v0, 0
	s_add_u32 s0, s14, s0
	s_addc_u32 s1, s15, s1
	global_store_dword v0, v1, s[0:1]
.LBB657_45:
	s_endpgm
	.section	.rodata,"a",@progbits
	.p2align	6, 0x0
	.amdhsa_kernel _ZL20rocblas_gemvt_kernelILb1ELi256E16rocblas_bfloat16ffEviiT2_lPKT1_lilS4_lilS1_lPT3_lili
		.amdhsa_group_segment_fixed_size 1024
		.amdhsa_private_segment_fixed_size 0
		.amdhsa_kernarg_size 140
		.amdhsa_user_sgpr_count 6
		.amdhsa_user_sgpr_private_segment_buffer 1
		.amdhsa_user_sgpr_dispatch_ptr 0
		.amdhsa_user_sgpr_queue_ptr 0
		.amdhsa_user_sgpr_kernarg_segment_ptr 1
		.amdhsa_user_sgpr_dispatch_id 0
		.amdhsa_user_sgpr_flat_scratch_init 0
		.amdhsa_user_sgpr_private_segment_size 0
		.amdhsa_wavefront_size32 1
		.amdhsa_uses_dynamic_stack 0
		.amdhsa_system_sgpr_private_segment_wavefront_offset 0
		.amdhsa_system_sgpr_workgroup_id_x 1
		.amdhsa_system_sgpr_workgroup_id_y 0
		.amdhsa_system_sgpr_workgroup_id_z 1
		.amdhsa_system_sgpr_workgroup_info 0
		.amdhsa_system_vgpr_workitem_id 0
		.amdhsa_next_free_vgpr 11
		.amdhsa_next_free_sgpr 28
		.amdhsa_reserve_vcc 1
		.amdhsa_reserve_flat_scratch 0
		.amdhsa_float_round_mode_32 0
		.amdhsa_float_round_mode_16_64 0
		.amdhsa_float_denorm_mode_32 3
		.amdhsa_float_denorm_mode_16_64 3
		.amdhsa_dx10_clamp 1
		.amdhsa_ieee_mode 1
		.amdhsa_fp16_overflow 0
		.amdhsa_workgroup_processor_mode 1
		.amdhsa_memory_ordered 1
		.amdhsa_forward_progress 1
		.amdhsa_shared_vgpr_count 0
		.amdhsa_exception_fp_ieee_invalid_op 0
		.amdhsa_exception_fp_denorm_src 0
		.amdhsa_exception_fp_ieee_div_zero 0
		.amdhsa_exception_fp_ieee_overflow 0
		.amdhsa_exception_fp_ieee_underflow 0
		.amdhsa_exception_fp_ieee_inexact 0
		.amdhsa_exception_int_div_zero 0
	.end_amdhsa_kernel
	.section	.text._ZL20rocblas_gemvt_kernelILb1ELi256E16rocblas_bfloat16ffEviiT2_lPKT1_lilS4_lilS1_lPT3_lili,"axG",@progbits,_ZL20rocblas_gemvt_kernelILb1ELi256E16rocblas_bfloat16ffEviiT2_lPKT1_lilS4_lilS1_lPT3_lili,comdat
.Lfunc_end657:
	.size	_ZL20rocblas_gemvt_kernelILb1ELi256E16rocblas_bfloat16ffEviiT2_lPKT1_lilS4_lilS1_lPT3_lili, .Lfunc_end657-_ZL20rocblas_gemvt_kernelILb1ELi256E16rocblas_bfloat16ffEviiT2_lPKT1_lilS4_lilS1_lPT3_lili
                                        ; -- End function
	.set _ZL20rocblas_gemvt_kernelILb1ELi256E16rocblas_bfloat16ffEviiT2_lPKT1_lilS4_lilS1_lPT3_lili.num_vgpr, 11
	.set _ZL20rocblas_gemvt_kernelILb1ELi256E16rocblas_bfloat16ffEviiT2_lPKT1_lilS4_lilS1_lPT3_lili.num_agpr, 0
	.set _ZL20rocblas_gemvt_kernelILb1ELi256E16rocblas_bfloat16ffEviiT2_lPKT1_lilS4_lilS1_lPT3_lili.numbered_sgpr, 28
	.set _ZL20rocblas_gemvt_kernelILb1ELi256E16rocblas_bfloat16ffEviiT2_lPKT1_lilS4_lilS1_lPT3_lili.num_named_barrier, 0
	.set _ZL20rocblas_gemvt_kernelILb1ELi256E16rocblas_bfloat16ffEviiT2_lPKT1_lilS4_lilS1_lPT3_lili.private_seg_size, 0
	.set _ZL20rocblas_gemvt_kernelILb1ELi256E16rocblas_bfloat16ffEviiT2_lPKT1_lilS4_lilS1_lPT3_lili.uses_vcc, 1
	.set _ZL20rocblas_gemvt_kernelILb1ELi256E16rocblas_bfloat16ffEviiT2_lPKT1_lilS4_lilS1_lPT3_lili.uses_flat_scratch, 0
	.set _ZL20rocblas_gemvt_kernelILb1ELi256E16rocblas_bfloat16ffEviiT2_lPKT1_lilS4_lilS1_lPT3_lili.has_dyn_sized_stack, 0
	.set _ZL20rocblas_gemvt_kernelILb1ELi256E16rocblas_bfloat16ffEviiT2_lPKT1_lilS4_lilS1_lPT3_lili.has_recursion, 0
	.set _ZL20rocblas_gemvt_kernelILb1ELi256E16rocblas_bfloat16ffEviiT2_lPKT1_lilS4_lilS1_lPT3_lili.has_indirect_call, 0
	.section	.AMDGPU.csdata,"",@progbits
; Kernel info:
; codeLenInByte = 1596
; TotalNumSgprs: 30
; NumVgprs: 11
; ScratchSize: 0
; MemoryBound: 0
; FloatMode: 240
; IeeeMode: 1
; LDSByteSize: 1024 bytes/workgroup (compile time only)
; SGPRBlocks: 0
; VGPRBlocks: 1
; NumSGPRsForWavesPerEU: 30
; NumVGPRsForWavesPerEU: 11
; Occupancy: 16
; WaveLimiterHint : 1
; COMPUTE_PGM_RSRC2:SCRATCH_EN: 0
; COMPUTE_PGM_RSRC2:USER_SGPR: 6
; COMPUTE_PGM_RSRC2:TRAP_HANDLER: 0
; COMPUTE_PGM_RSRC2:TGID_X_EN: 1
; COMPUTE_PGM_RSRC2:TGID_Y_EN: 0
; COMPUTE_PGM_RSRC2:TGID_Z_EN: 1
; COMPUTE_PGM_RSRC2:TIDIG_COMP_CNT: 0
	.section	.text._ZL32rocblas_gemvt_warp_reduce_kernelILb1ELi1024Ei16rocblas_bfloat16PKffEviiT3_lPKT2_lT1_lS6_lS7_lS3_lPT4_lS7_li,"axG",@progbits,_ZL32rocblas_gemvt_warp_reduce_kernelILb1ELi1024Ei16rocblas_bfloat16PKffEviiT3_lPKT2_lT1_lS6_lS7_lS3_lPT4_lS7_li,comdat
	.globl	_ZL32rocblas_gemvt_warp_reduce_kernelILb1ELi1024Ei16rocblas_bfloat16PKffEviiT3_lPKT2_lT1_lS6_lS7_lS3_lPT4_lS7_li ; -- Begin function _ZL32rocblas_gemvt_warp_reduce_kernelILb1ELi1024Ei16rocblas_bfloat16PKffEviiT3_lPKT2_lT1_lS6_lS7_lS3_lPT4_lS7_li
	.p2align	8
	.type	_ZL32rocblas_gemvt_warp_reduce_kernelILb1ELi1024Ei16rocblas_bfloat16PKffEviiT3_lPKT2_lT1_lS6_lS7_lS3_lPT4_lS7_li,@function
_ZL32rocblas_gemvt_warp_reduce_kernelILb1ELi1024Ei16rocblas_bfloat16PKffEviiT3_lPKT2_lT1_lS6_lS7_lS3_lPT4_lS7_li: ; @_ZL32rocblas_gemvt_warp_reduce_kernelILb1ELi1024Ei16rocblas_bfloat16PKffEviiT3_lPKT2_lT1_lS6_lS7_lS3_lPT4_lS7_li
; %bb.0:
	s_clause 0x1
	s_load_dwordx8 s[8:15], s[4:5], 0x8
	s_load_dwordx8 s[16:23], s[4:5], 0x50
	s_waitcnt lgkmcnt(0)
	s_mul_i32 s1, s11, s7
	s_mul_hi_u32 s2, s10, s7
	s_mul_i32 s0, s10, s7
	s_add_i32 s1, s2, s1
	s_mul_i32 s2, s21, s7
	s_lshl_b64 s[0:1], s[0:1], 2
	s_mul_hi_u32 s3, s20, s7
	s_add_u32 s0, s8, s0
	s_addc_u32 s1, s9, s1
	s_add_i32 s3, s3, s2
	s_mul_i32 s2, s20, s7
	s_mov_b32 s10, 0
	s_lshl_b64 s[2:3], s[2:3], 2
	s_add_u32 s2, s18, s2
	s_addc_u32 s3, s19, s3
	s_load_dword s11, s[0:1], 0x0
	s_load_dword s9, s[2:3], 0x0
	s_waitcnt lgkmcnt(0)
	v_cmp_eq_f32_e64 s0, s11, 0
	v_cmp_eq_f32_e64 s1, s9, 1.0
	s_and_b32 s0, s0, s1
	s_and_b32 vcc_lo, exec_lo, s0
	s_cbranch_vccnz .LBB658_38
; %bb.1:
	s_clause 0x2
	s_load_dwordx2 s[0:1], s[4:5], 0x80
	s_load_dwordx2 s[2:3], s[4:5], 0x70
	s_load_dword s18, s[4:5], 0x78
	v_cmp_neq_f32_e64 s19, s11, 0
	s_waitcnt lgkmcnt(0)
	s_mul_i32 s1, s1, s7
	s_mul_hi_u32 s8, s0, s7
	s_mul_i32 s0, s0, s7
	s_add_i32 s1, s8, s1
	s_lshl_b64 s[0:1], s[0:1], 2
	s_add_u32 s0, s22, s0
	s_addc_u32 s8, s23, s1
	s_lshl_b64 s[2:3], s[2:3], 2
	s_add_u32 s1, s0, s2
	v_cmp_eq_u32_e64 s0, 0, v0
	s_addc_u32 s8, s8, s3
	s_and_b32 vcc_lo, exec_lo, s19
	s_cbranch_vccnz .LBB658_5
; %bb.2:
	s_mov_b32 s19, 0
                                        ; implicit-def: $vgpr1
                                        ; implicit-def: $sgpr2_sgpr3
	s_and_saveexec_b32 s20, s0
	s_cbranch_execz .LBB658_6
; %bb.3:
	v_cmp_eq_f32_e64 s0, s9, 0
	s_mul_i32 s2, s18, s6
	s_ashr_i32 s3, s2, 31
	s_and_b32 vcc_lo, exec_lo, s0
	s_cbranch_vccnz .LBB658_7
; %bb.4:
	s_lshl_b64 s[22:23], s[2:3], 2
	s_add_u32 s22, s1, s22
	s_addc_u32 s23, s8, s23
	s_load_dword s0, s[22:23], 0x0
	s_waitcnt lgkmcnt(0)
	v_mul_f32_e64 v1, s9, s0
	s_branch .LBB658_8
.LBB658_5:
                                        ; implicit-def: $vgpr1
                                        ; implicit-def: $sgpr2_sgpr3
	s_cbranch_execnz .LBB658_9
	s_branch .LBB658_36
.LBB658_6:
	s_or_b32 exec_lo, exec_lo, s20
	s_and_b32 vcc_lo, exec_lo, s19
	s_cbranch_vccnz .LBB658_9
	s_branch .LBB658_36
.LBB658_7:
	v_mov_b32_e32 v1, 0
.LBB658_8:
	s_mov_b32 s10, exec_lo
	s_or_b32 exec_lo, exec_lo, s20
	s_and_b32 vcc_lo, exec_lo, s19
	s_cbranch_vccz .LBB658_36
.LBB658_9:
	s_clause 0x3
	s_load_dwordx4 s[20:23], s[4:5], 0x30
	s_load_dwordx2 s[24:25], s[4:5], 0x40
	s_load_dword s3, s[4:5], 0x0
	s_load_dword s0, s[4:5], 0x28
	s_mul_i32 s2, s17, s7
	s_mul_hi_u32 s17, s16, s7
	s_mul_i32 s16, s16, s7
	s_add_i32 s17, s17, s2
	s_load_dword s4, s[4:5], 0x48
	s_lshl_b64 s[16:17], s[16:17], 1
	v_mov_b32_e32 v7, 0
	s_waitcnt lgkmcnt(0)
	s_add_u32 s2, s22, s16
	s_addc_u32 s22, s23, s17
	v_cmp_gt_i32_e32 vcc_lo, s3, v0
	s_lshl_b64 s[16:17], s[24:25], 1
	s_mul_i32 s19, s21, s7
	s_mul_hi_u32 s21, s20, s7
	s_add_u32 s5, s2, s16
	v_cndmask_b32_e32 v1, 0, v0, vcc_lo
	s_mul_i32 s20, s20, s7
	s_addc_u32 s7, s22, s17
	s_add_i32 s21, s21, s19
	s_lshl_b64 s[16:17], s[20:21], 1
	s_mul_i32 s20, s0, s6
	s_add_u32 s0, s12, s16
	v_lshlrev_b32_e32 v1, 1, v1
	s_addc_u32 s2, s13, s17
	s_lshl_b64 s[12:13], s[14:15], 1
	s_add_u32 s0, s0, s12
	s_addc_u32 s2, s2, s13
	v_add_co_u32 v1, s0, s0, v1
	s_ashr_i32 s12, s3, 31
	s_ashr_i32 s21, s20, 31
	v_add_co_ci_u32_e64 v2, null, s2, 0, s0
	s_lshr_b32 s0, s12, 22
	s_lshl_b64 s[12:13], s[20:21], 1
	s_add_i32 s0, s3, s0
	v_add_co_u32 v1, vcc_lo, v1, s12
	v_add_co_ci_u32_e64 v2, null, s13, v2, vcc_lo
	s_and_b32 s2, s0, 0xfffffc00
	s_mov_b32 s13, 0
	s_mov_b32 s12, exec_lo
	v_cmpx_gt_i32_e64 s2, v0
	s_cbranch_execz .LBB658_17
; %bb.10:
	v_mul_lo_u32 v3, v0, s4
	v_mov_b32_e32 v6, v2
	v_mov_b32_e32 v8, 0
	;; [unrolled: 1-line block ×5, first 2 shown]
	s_lshl_b32 s14, s4, 10
	s_branch .LBB658_12
.LBB658_11:                             ;   in Loop: Header=BB658_12 Depth=1
	s_or_b32 exec_lo, exec_lo, s0
	v_add_nc_u32_e32 v9, 0x400, v9
	v_and_b32_e32 v4, 0xffff0000, v10
	v_add_co_u32 v5, s0, 0x800, v5
	v_add_nc_u32_e32 v3, s14, v3
	v_cmp_le_i32_e32 vcc_lo, s2, v9
	v_add_f32_e32 v7, v7, v4
	v_add_co_ci_u32_e64 v6, null, 0, v6, s0
	s_or_b32 s13, vcc_lo, s13
	s_andn2_b32 exec_lo, exec_lo, s13
	s_cbranch_execz .LBB658_16
.LBB658_12:                             ; =>This Inner Loop Header: Depth=1
	v_ashrrev_i32_e32 v4, 31, v3
	v_lshlrev_b64 v[10:11], 1, v[3:4]
	v_add_co_u32 v10, vcc_lo, s5, v10
	v_add_co_ci_u32_e64 v11, null, s7, v11, vcc_lo
	global_load_ushort v4, v[5:6], off
	global_load_ushort v10, v[10:11], off
	s_waitcnt vmcnt(1)
	v_lshlrev_b32_e32 v4, 16, v4
	s_waitcnt vmcnt(0)
	v_lshlrev_b32_e32 v10, 16, v10
	v_mul_f32_e32 v4, v4, v10
	v_and_b32_e32 v10, 0x7f800000, v4
	v_cmp_ne_u32_e32 vcc_lo, 0x7f800000, v10
                                        ; implicit-def: $vgpr10
	s_and_saveexec_b32 s0, vcc_lo
	s_xor_b32 s0, exec_lo, s0
; %bb.13:                               ;   in Loop: Header=BB658_12 Depth=1
	v_bfe_u32 v10, v4, 16, 1
	v_add3_u32 v10, v4, v10, 0x7fff
                                        ; implicit-def: $vgpr4
; %bb.14:                               ;   in Loop: Header=BB658_12 Depth=1
	s_andn2_saveexec_b32 s0, s0
	s_cbranch_execz .LBB658_11
; %bb.15:                               ;   in Loop: Header=BB658_12 Depth=1
	v_or_b32_e32 v10, 0x10000, v4
	v_cmp_eq_u32_sdwa vcc_lo, v4, v8 src0_sel:WORD_0 src1_sel:DWORD
	v_cndmask_b32_e32 v10, v10, v4, vcc_lo
	s_branch .LBB658_11
.LBB658_16:
	s_or_b32 exec_lo, exec_lo, s13
.LBB658_17:
	s_or_b32 exec_lo, exec_lo, s12
	v_or_b32_e32 v3, s2, v0
	s_mov_b32 s0, exec_lo
	v_cmpx_gt_i32_e64 s3, v3
	s_cbranch_execz .LBB658_23
; %bb.18:
	v_mul_lo_u32 v3, s4, v3
	s_ashr_i32 s3, s2, 31
	s_lshl_b64 s[2:3], s[2:3], 1
	v_ashrrev_i32_e32 v4, 31, v3
	v_lshlrev_b64 v[3:4], 1, v[3:4]
	v_add_co_u32 v3, vcc_lo, s5, v3
	v_add_co_ci_u32_e64 v4, null, s7, v4, vcc_lo
	v_add_co_u32 v1, vcc_lo, v1, s2
	v_add_co_ci_u32_e64 v2, null, s3, v2, vcc_lo
	global_load_ushort v3, v[3:4], off
	global_load_ushort v1, v[1:2], off
	s_waitcnt vmcnt(1)
	v_lshlrev_b32_e32 v2, 16, v3
	s_waitcnt vmcnt(0)
	v_lshlrev_b32_e32 v1, 16, v1
	v_mul_f32_e32 v1, v1, v2
	v_and_b32_e32 v2, 0x7f800000, v1
	v_cmp_ne_u32_e32 vcc_lo, 0x7f800000, v2
                                        ; implicit-def: $vgpr2
	s_and_saveexec_b32 s2, vcc_lo
	s_xor_b32 s2, exec_lo, s2
; %bb.19:
	v_bfe_u32 v2, v1, 16, 1
	v_add3_u32 v2, v1, v2, 0x7fff
                                        ; implicit-def: $vgpr1
; %bb.20:
	s_andn2_saveexec_b32 s2, s2
; %bb.21:
	v_mov_b32_e32 v2, 0
	v_or_b32_e32 v3, 0x10000, v1
	v_cmp_eq_u32_sdwa vcc_lo, v1, v2 src0_sel:WORD_0 src1_sel:DWORD
	v_cndmask_b32_e32 v2, v3, v1, vcc_lo
; %bb.22:
	s_or_b32 exec_lo, exec_lo, s2
	v_and_b32_e32 v1, 0xffff0000, v2
	v_add_f32_e32 v7, v7, v1
.LBB658_23:
	s_or_b32 exec_lo, exec_lo, s0
	v_and_b32_e32 v8, 31, v0
	v_cmp_gt_u32_e32 vcc_lo, 32, v0
	v_lshlrev_b32_e32 v1, 2, v8
	s_and_saveexec_b32 s0, vcc_lo
; %bb.24:
	v_mov_b32_e32 v2, 0
	ds_write_b32 v1, v2
; %bb.25:
	s_or_b32 exec_lo, exec_lo, s0
	v_mbcnt_lo_u32_b32 v6, -1, 0
	s_mov_b32 s2, exec_lo
	s_waitcnt lgkmcnt(0)
	s_barrier
	buffer_gl0_inv
	v_lshl_or_b32 v2, v6, 2, 64
	v_cmp_gt_u32_e64 s0, 24, v6
	ds_bpermute_b32 v4, v2, v7
	v_cndmask_b32_e64 v3, 0, 8, s0
	v_cmp_gt_u32_e64 s0, 28, v6
	v_add_lshl_u32 v3, v3, v6, 2
	s_waitcnt lgkmcnt(0)
	v_add_f32_e32 v5, v7, v4
	v_cndmask_b32_e64 v4, 0, 4, s0
	v_cmp_gt_u32_e64 s0, 30, v6
	ds_bpermute_b32 v7, v3, v5
	v_add_lshl_u32 v4, v4, v6, 2
	s_waitcnt lgkmcnt(0)
	v_add_f32_e32 v7, v5, v7
	v_cndmask_b32_e64 v5, 0, 2, s0
	v_cmp_ne_u32_e64 s0, 31, v6
	ds_bpermute_b32 v9, v4, v7
	v_add_lshl_u32 v5, v5, v6, 2
	v_add_co_ci_u32_e64 v6, null, 0, v6, s0
	v_lshlrev_b32_e32 v6, 2, v6
	s_waitcnt lgkmcnt(0)
	v_add_f32_e32 v7, v7, v9
	ds_bpermute_b32 v9, v5, v7
	s_waitcnt lgkmcnt(0)
	v_add_f32_e32 v7, v7, v9
	ds_bpermute_b32 v9, v6, v7
	v_cmpx_eq_u32_e32 0, v8
	s_cbranch_execz .LBB658_27
; %bb.26:
	v_lshrrev_b32_e32 v8, 3, v0
	s_waitcnt lgkmcnt(0)
	v_add_f32_e32 v7, v7, v9
	v_and_b32_e32 v8, 0x7c, v8
	ds_write_b32 v8, v7
.LBB658_27:
	s_or_b32 exec_lo, exec_lo, s2
	v_mov_b32_e32 v7, 0
	s_waitcnt lgkmcnt(0)
	s_barrier
	buffer_gl0_inv
	s_and_saveexec_b32 s0, vcc_lo
; %bb.28:
	ds_read_b32 v7, v1
; %bb.29:
	s_or_b32 exec_lo, exec_lo, s0
	s_and_saveexec_b32 s0, vcc_lo
	s_cbranch_execz .LBB658_31
; %bb.30:
	s_waitcnt lgkmcnt(0)
	ds_bpermute_b32 v1, v2, v7
	s_waitcnt lgkmcnt(0)
	v_add_f32_e32 v1, v7, v1
	ds_bpermute_b32 v2, v3, v1
	s_waitcnt lgkmcnt(0)
	v_add_f32_e32 v1, v1, v2
	;; [unrolled: 3-line block ×5, first 2 shown]
.LBB658_31:
	s_or_b32 exec_lo, exec_lo, s0
	s_mov_b32 s0, exec_lo
                                        ; implicit-def: $vgpr1
                                        ; implicit-def: $sgpr2_sgpr3
	v_cmpx_eq_u32_e32 0, v0
	s_cbranch_execz .LBB658_35
; %bb.32:
	v_cmp_eq_f32_e64 s3, s9, 0
	s_waitcnt lgkmcnt(0)
	v_mul_f32_e32 v1, s11, v7
	s_mul_i32 s2, s18, s6
	s_and_b32 vcc_lo, exec_lo, s3
	s_ashr_i32 s3, s2, 31
	s_cbranch_vccnz .LBB658_34
; %bb.33:
	s_lshl_b64 s[4:5], s[2:3], 2
	s_add_u32 s4, s1, s4
	s_addc_u32 s5, s8, s5
	s_load_dword s4, s[4:5], 0x0
	s_waitcnt lgkmcnt(0)
	v_fmac_f32_e64 v1, s9, s4
.LBB658_34:
	s_or_b32 s10, s10, exec_lo
.LBB658_35:
	s_or_b32 exec_lo, exec_lo, s0
.LBB658_36:
	s_and_saveexec_b32 s0, s10
	s_cbranch_execz .LBB658_38
; %bb.37:
	s_lshl_b64 s[2:3], s[2:3], 2
	v_mov_b32_e32 v0, 0
	s_add_u32 s0, s1, s2
	s_addc_u32 s1, s8, s3
	global_store_dword v0, v1, s[0:1]
.LBB658_38:
	s_endpgm
	.section	.rodata,"a",@progbits
	.p2align	6, 0x0
	.amdhsa_kernel _ZL32rocblas_gemvt_warp_reduce_kernelILb1ELi1024Ei16rocblas_bfloat16PKffEviiT3_lPKT2_lT1_lS6_lS7_lS3_lPT4_lS7_li
		.amdhsa_group_segment_fixed_size 128
		.amdhsa_private_segment_fixed_size 0
		.amdhsa_kernarg_size 140
		.amdhsa_user_sgpr_count 6
		.amdhsa_user_sgpr_private_segment_buffer 1
		.amdhsa_user_sgpr_dispatch_ptr 0
		.amdhsa_user_sgpr_queue_ptr 0
		.amdhsa_user_sgpr_kernarg_segment_ptr 1
		.amdhsa_user_sgpr_dispatch_id 0
		.amdhsa_user_sgpr_flat_scratch_init 0
		.amdhsa_user_sgpr_private_segment_size 0
		.amdhsa_wavefront_size32 1
		.amdhsa_uses_dynamic_stack 0
		.amdhsa_system_sgpr_private_segment_wavefront_offset 0
		.amdhsa_system_sgpr_workgroup_id_x 1
		.amdhsa_system_sgpr_workgroup_id_y 0
		.amdhsa_system_sgpr_workgroup_id_z 1
		.amdhsa_system_sgpr_workgroup_info 0
		.amdhsa_system_vgpr_workitem_id 0
		.amdhsa_next_free_vgpr 12
		.amdhsa_next_free_sgpr 26
		.amdhsa_reserve_vcc 1
		.amdhsa_reserve_flat_scratch 0
		.amdhsa_float_round_mode_32 0
		.amdhsa_float_round_mode_16_64 0
		.amdhsa_float_denorm_mode_32 3
		.amdhsa_float_denorm_mode_16_64 3
		.amdhsa_dx10_clamp 1
		.amdhsa_ieee_mode 1
		.amdhsa_fp16_overflow 0
		.amdhsa_workgroup_processor_mode 1
		.amdhsa_memory_ordered 1
		.amdhsa_forward_progress 1
		.amdhsa_shared_vgpr_count 0
		.amdhsa_exception_fp_ieee_invalid_op 0
		.amdhsa_exception_fp_denorm_src 0
		.amdhsa_exception_fp_ieee_div_zero 0
		.amdhsa_exception_fp_ieee_overflow 0
		.amdhsa_exception_fp_ieee_underflow 0
		.amdhsa_exception_fp_ieee_inexact 0
		.amdhsa_exception_int_div_zero 0
	.end_amdhsa_kernel
	.section	.text._ZL32rocblas_gemvt_warp_reduce_kernelILb1ELi1024Ei16rocblas_bfloat16PKffEviiT3_lPKT2_lT1_lS6_lS7_lS3_lPT4_lS7_li,"axG",@progbits,_ZL32rocblas_gemvt_warp_reduce_kernelILb1ELi1024Ei16rocblas_bfloat16PKffEviiT3_lPKT2_lT1_lS6_lS7_lS3_lPT4_lS7_li,comdat
.Lfunc_end658:
	.size	_ZL32rocblas_gemvt_warp_reduce_kernelILb1ELi1024Ei16rocblas_bfloat16PKffEviiT3_lPKT2_lT1_lS6_lS7_lS3_lPT4_lS7_li, .Lfunc_end658-_ZL32rocblas_gemvt_warp_reduce_kernelILb1ELi1024Ei16rocblas_bfloat16PKffEviiT3_lPKT2_lT1_lS6_lS7_lS3_lPT4_lS7_li
                                        ; -- End function
	.set _ZL32rocblas_gemvt_warp_reduce_kernelILb1ELi1024Ei16rocblas_bfloat16PKffEviiT3_lPKT2_lT1_lS6_lS7_lS3_lPT4_lS7_li.num_vgpr, 12
	.set _ZL32rocblas_gemvt_warp_reduce_kernelILb1ELi1024Ei16rocblas_bfloat16PKffEviiT3_lPKT2_lT1_lS6_lS7_lS3_lPT4_lS7_li.num_agpr, 0
	.set _ZL32rocblas_gemvt_warp_reduce_kernelILb1ELi1024Ei16rocblas_bfloat16PKffEviiT3_lPKT2_lT1_lS6_lS7_lS3_lPT4_lS7_li.numbered_sgpr, 26
	.set _ZL32rocblas_gemvt_warp_reduce_kernelILb1ELi1024Ei16rocblas_bfloat16PKffEviiT3_lPKT2_lT1_lS6_lS7_lS3_lPT4_lS7_li.num_named_barrier, 0
	.set _ZL32rocblas_gemvt_warp_reduce_kernelILb1ELi1024Ei16rocblas_bfloat16PKffEviiT3_lPKT2_lT1_lS6_lS7_lS3_lPT4_lS7_li.private_seg_size, 0
	.set _ZL32rocblas_gemvt_warp_reduce_kernelILb1ELi1024Ei16rocblas_bfloat16PKffEviiT3_lPKT2_lT1_lS6_lS7_lS3_lPT4_lS7_li.uses_vcc, 1
	.set _ZL32rocblas_gemvt_warp_reduce_kernelILb1ELi1024Ei16rocblas_bfloat16PKffEviiT3_lPKT2_lT1_lS6_lS7_lS3_lPT4_lS7_li.uses_flat_scratch, 0
	.set _ZL32rocblas_gemvt_warp_reduce_kernelILb1ELi1024Ei16rocblas_bfloat16PKffEviiT3_lPKT2_lT1_lS6_lS7_lS3_lPT4_lS7_li.has_dyn_sized_stack, 0
	.set _ZL32rocblas_gemvt_warp_reduce_kernelILb1ELi1024Ei16rocblas_bfloat16PKffEviiT3_lPKT2_lT1_lS6_lS7_lS3_lPT4_lS7_li.has_recursion, 0
	.set _ZL32rocblas_gemvt_warp_reduce_kernelILb1ELi1024Ei16rocblas_bfloat16PKffEviiT3_lPKT2_lT1_lS6_lS7_lS3_lPT4_lS7_li.has_indirect_call, 0
	.section	.AMDGPU.csdata,"",@progbits
; Kernel info:
; codeLenInByte = 1552
; TotalNumSgprs: 28
; NumVgprs: 12
; ScratchSize: 0
; MemoryBound: 0
; FloatMode: 240
; IeeeMode: 1
; LDSByteSize: 128 bytes/workgroup (compile time only)
; SGPRBlocks: 0
; VGPRBlocks: 1
; NumSGPRsForWavesPerEU: 28
; NumVGPRsForWavesPerEU: 12
; Occupancy: 16
; WaveLimiterHint : 1
; COMPUTE_PGM_RSRC2:SCRATCH_EN: 0
; COMPUTE_PGM_RSRC2:USER_SGPR: 6
; COMPUTE_PGM_RSRC2:TRAP_HANDLER: 0
; COMPUTE_PGM_RSRC2:TGID_X_EN: 1
; COMPUTE_PGM_RSRC2:TGID_Y_EN: 0
; COMPUTE_PGM_RSRC2:TGID_Z_EN: 1
; COMPUTE_PGM_RSRC2:TIDIG_COMP_CNT: 0
	.section	.text._ZL32rocblas_gemvt_warp_reduce_kernelILb1ELi1024El16rocblas_bfloat16PKffEviiT3_lPKT2_lT1_lS6_lS7_lS3_lPT4_lS7_li,"axG",@progbits,_ZL32rocblas_gemvt_warp_reduce_kernelILb1ELi1024El16rocblas_bfloat16PKffEviiT3_lPKT2_lT1_lS6_lS7_lS3_lPT4_lS7_li,comdat
	.globl	_ZL32rocblas_gemvt_warp_reduce_kernelILb1ELi1024El16rocblas_bfloat16PKffEviiT3_lPKT2_lT1_lS6_lS7_lS3_lPT4_lS7_li ; -- Begin function _ZL32rocblas_gemvt_warp_reduce_kernelILb1ELi1024El16rocblas_bfloat16PKffEviiT3_lPKT2_lT1_lS6_lS7_lS3_lPT4_lS7_li
	.p2align	8
	.type	_ZL32rocblas_gemvt_warp_reduce_kernelILb1ELi1024El16rocblas_bfloat16PKffEviiT3_lPKT2_lT1_lS6_lS7_lS3_lPT4_lS7_li,@function
_ZL32rocblas_gemvt_warp_reduce_kernelILb1ELi1024El16rocblas_bfloat16PKffEviiT3_lPKT2_lT1_lS6_lS7_lS3_lPT4_lS7_li: ; @_ZL32rocblas_gemvt_warp_reduce_kernelILb1ELi1024El16rocblas_bfloat16PKffEviiT3_lPKT2_lT1_lS6_lS7_lS3_lPT4_lS7_li
; %bb.0:
	s_clause 0x1
	s_load_dwordx16 s[36:51], s[4:5], 0x8
	s_load_dwordx16 s[8:23], s[4:5], 0x48
	s_waitcnt lgkmcnt(0)
	s_mul_i32 s1, s39, s7
	s_mul_hi_u32 s2, s38, s7
	s_mul_i32 s0, s38, s7
	s_add_i32 s1, s2, s1
	s_mul_i32 s2, s15, s7
	s_lshl_b64 s[0:1], s[0:1], 2
	s_mul_hi_u32 s3, s14, s7
	s_add_u32 s0, s36, s0
	s_addc_u32 s1, s37, s1
	s_add_i32 s3, s3, s2
	s_mul_i32 s2, s14, s7
	s_mov_b32 s14, 0
	s_lshl_b64 s[2:3], s[2:3], 2
	s_add_u32 s2, s12, s2
	s_addc_u32 s3, s13, s3
	s_load_dword s15, s[0:1], 0x0
	s_load_dword s13, s[2:3], 0x0
	s_waitcnt lgkmcnt(0)
	v_cmp_eq_f32_e64 s0, s15, 0
	v_cmp_eq_f32_e64 s1, s13, 1.0
	s_and_b32 s0, s0, s1
	s_and_b32 vcc_lo, exec_lo, s0
	s_cbranch_vccnz .LBB659_38
; %bb.1:
	s_mul_i32 s1, s23, s7
	s_mul_hi_u32 s2, s22, s7
	s_mul_i32 s0, s22, s7
	s_add_i32 s1, s2, s1
	v_cmp_neq_f32_e64 s22, s15, 0
	s_lshl_b64 s[0:1], s[0:1], 2
	s_add_u32 s0, s16, s0
	s_addc_u32 s12, s17, s1
	s_lshl_b64 s[2:3], s[18:19], 2
	s_add_u32 s1, s0, s2
	v_cmp_eq_u32_e64 s0, 0, v0
	s_addc_u32 s12, s12, s3
	s_and_b32 vcc_lo, exec_lo, s22
	s_cbranch_vccnz .LBB659_5
; %bb.2:
	s_mov_b32 s16, 0
                                        ; implicit-def: $vgpr1
                                        ; implicit-def: $sgpr2_sgpr3
	s_and_saveexec_b32 s17, s0
	s_cbranch_execz .LBB659_6
; %bb.3:
	s_ashr_i32 s2, s6, 31
	v_cmp_eq_f32_e64 s0, s13, 0
	s_mul_hi_u32 s3, s20, s6
	s_mul_i32 s2, s20, s2
	s_mul_i32 s14, s21, s6
	s_add_i32 s2, s3, s2
	s_and_b32 vcc_lo, exec_lo, s0
	s_add_i32 s3, s2, s14
	s_mul_i32 s2, s20, s6
	s_cbranch_vccnz .LBB659_7
; %bb.4:
	s_lshl_b64 s[18:19], s[2:3], 2
	s_add_u32 s18, s1, s18
	s_addc_u32 s19, s12, s19
	s_load_dword s0, s[18:19], 0x0
	s_waitcnt lgkmcnt(0)
	v_mul_f32_e64 v1, s13, s0
	s_branch .LBB659_8
.LBB659_5:
                                        ; implicit-def: $vgpr1
                                        ; implicit-def: $sgpr2_sgpr3
	s_cbranch_execnz .LBB659_9
	s_branch .LBB659_36
.LBB659_6:
	s_or_b32 exec_lo, exec_lo, s17
	s_and_b32 vcc_lo, exec_lo, s16
	s_cbranch_vccnz .LBB659_9
	s_branch .LBB659_36
.LBB659_7:
	v_mov_b32_e32 v1, 0
.LBB659_8:
	s_mov_b32 s14, exec_lo
	s_or_b32 exec_lo, exec_lo, s17
	s_and_b32 vcc_lo, exec_lo, s16
	s_cbranch_vccz .LBB659_36
.LBB659_9:
	s_load_dword s5, s[4:5], 0x0
	s_mul_i32 s0, s11, s7
	s_mul_i32 s3, s47, s7
	s_mul_hi_u32 s11, s46, s7
	s_mul_i32 s2, s46, s7
	s_add_i32 s3, s11, s3
	s_mul_hi_u32 s4, s10, s7
	s_lshl_b64 s[16:17], s[2:3], 1
	s_add_i32 s3, s4, s0
	s_add_u32 s0, s40, s16
	s_addc_u32 s2, s41, s17
	s_lshl_b64 s[16:17], s[42:43], 1
	s_mul_hi_u32 s4, s44, s6
	s_add_u32 s0, s0, s16
	s_addc_u32 s2, s2, s17
	s_ashr_i32 s16, s6, 31
	s_mul_i32 s11, s45, s6
	s_mul_i32 s17, s44, s16
	;; [unrolled: 1-line block ×3, first 2 shown]
	s_add_i32 s4, s4, s17
	s_waitcnt lgkmcnt(0)
	v_cmp_gt_i32_e32 vcc_lo, s5, v0
	s_add_i32 s19, s4, s11
	s_ashr_i32 s4, s5, 31
	s_lshl_b64 s[18:19], s[18:19], 1
	s_lshr_b32 s4, s4, 22
	v_cndmask_b32_e32 v1, 0, v0, vcc_lo
	v_mov_b32_e32 v7, 0
	s_add_i32 s4, s5, s4
	s_mov_b32 s17, 0
	s_and_b32 s4, s4, 0xfffffc00
	v_lshlrev_b32_e32 v1, 1, v1
	v_add_co_u32 v1, s0, s0, v1
	v_add_co_ci_u32_e64 v2, null, s2, 0, s0
	s_mul_i32 s2, s10, s7
	v_add_co_u32 v1, vcc_lo, v1, s18
	v_add_co_ci_u32_e64 v2, null, s19, v2, vcc_lo
	s_mov_b32 s7, exec_lo
	v_cmpx_gt_i32_e64 s4, v0
	s_cbranch_execz .LBB659_17
; %bb.10:
	v_mad_u64_u32 v[5:6], null, s8, v0, 0
	s_lshl_b64 s[18:19], s[50:51], 1
	s_lshl_b64 s[10:11], s[2:3], 1
	s_add_u32 s0, s48, s18
	s_addc_u32 s18, s49, s19
	s_add_u32 s0, s0, s10
	s_addc_u32 s10, s18, s11
	v_mov_b32_e32 v3, v6
	v_mov_b32_e32 v8, 0
	;; [unrolled: 1-line block ×4, first 2 shown]
	v_mad_u64_u32 v[3:4], null, s9, v0, v[3:4]
	v_mov_b32_e32 v6, v3
	v_mov_b32_e32 v4, v2
	;; [unrolled: 1-line block ×3, first 2 shown]
	v_lshlrev_b64 v[5:6], 1, v[5:6]
	v_add_co_u32 v5, vcc_lo, s0, v5
	v_add_co_ci_u32_e64 v6, null, s10, v6, vcc_lo
	s_lshl_b64 s[10:11], s[8:9], 11
	s_inst_prefetch 0x1
	s_branch .LBB659_12
	.p2align	6
.LBB659_11:                             ;   in Loop: Header=BB659_12 Depth=1
	s_or_b32 exec_lo, exec_lo, s0
	v_add_nc_u32_e32 v9, 0x400, v9
	v_and_b32_e32 v10, 0xffff0000, v11
	v_add_co_u32 v3, vcc_lo, 0x800, v3
	v_add_co_ci_u32_e64 v4, null, 0, v4, vcc_lo
	v_cmp_le_i32_e32 vcc_lo, s4, v9
	v_add_co_u32 v5, s0, v5, s10
	v_add_f32_e32 v7, v7, v10
	v_add_co_ci_u32_e64 v6, null, s11, v6, s0
	s_or_b32 s17, vcc_lo, s17
	s_andn2_b32 exec_lo, exec_lo, s17
	s_cbranch_execz .LBB659_16
.LBB659_12:                             ; =>This Inner Loop Header: Depth=1
	global_load_ushort v10, v[5:6], off
	global_load_ushort v11, v[3:4], off
	s_waitcnt vmcnt(1)
	v_lshlrev_b32_e32 v10, 16, v10
	s_waitcnt vmcnt(0)
	v_lshlrev_b32_e32 v11, 16, v11
	v_mul_f32_e32 v10, v11, v10
	v_and_b32_e32 v11, 0x7f800000, v10
	v_cmp_ne_u32_e32 vcc_lo, 0x7f800000, v11
                                        ; implicit-def: $vgpr11
	s_and_saveexec_b32 s0, vcc_lo
	s_xor_b32 s0, exec_lo, s0
; %bb.13:                               ;   in Loop: Header=BB659_12 Depth=1
	v_bfe_u32 v11, v10, 16, 1
	v_add3_u32 v11, v10, v11, 0x7fff
                                        ; implicit-def: $vgpr10
; %bb.14:                               ;   in Loop: Header=BB659_12 Depth=1
	s_andn2_saveexec_b32 s0, s0
	s_cbranch_execz .LBB659_11
; %bb.15:                               ;   in Loop: Header=BB659_12 Depth=1
	v_or_b32_e32 v11, 0x10000, v10
	v_cmp_eq_u32_sdwa vcc_lo, v10, v8 src0_sel:WORD_0 src1_sel:DWORD
	v_cndmask_b32_e32 v11, v11, v10, vcc_lo
	s_branch .LBB659_11
.LBB659_16:
	s_inst_prefetch 0x2
	s_or_b32 exec_lo, exec_lo, s17
.LBB659_17:
	s_or_b32 exec_lo, exec_lo, s7
	v_or_b32_e32 v3, s4, v0
	s_mov_b32 s0, exec_lo
	v_cmpx_gt_i32_e64 s5, v3
	s_cbranch_execz .LBB659_23
; %bb.18:
	v_ashrrev_i32_e32 v5, 31, v3
	v_mul_lo_u32 v6, s9, v3
	v_mad_u64_u32 v[3:4], null, s8, v3, 0
	s_lshl_b64 s[2:3], s[2:3], 1
	v_mul_lo_u32 v5, s8, v5
	s_add_u32 s5, s48, s2
	s_addc_u32 s7, s49, s3
	s_lshl_b64 s[2:3], s[50:51], 1
	s_add_u32 s8, s5, s2
	s_addc_u32 s7, s7, s3
	s_ashr_i32 s5, s4, 31
	v_add3_u32 v4, v4, v5, v6
	s_lshl_b64 s[2:3], s[4:5], 1
	v_lshlrev_b64 v[3:4], 1, v[3:4]
	v_add_co_u32 v3, vcc_lo, s8, v3
	v_add_co_ci_u32_e64 v4, null, s7, v4, vcc_lo
	v_add_co_u32 v1, vcc_lo, v1, s2
	v_add_co_ci_u32_e64 v2, null, s3, v2, vcc_lo
	global_load_ushort v3, v[3:4], off
	global_load_ushort v1, v[1:2], off
	s_waitcnt vmcnt(1)
	v_lshlrev_b32_e32 v2, 16, v3
	s_waitcnt vmcnt(0)
	v_lshlrev_b32_e32 v1, 16, v1
	v_mul_f32_e32 v1, v1, v2
	v_and_b32_e32 v2, 0x7f800000, v1
	v_cmp_ne_u32_e32 vcc_lo, 0x7f800000, v2
                                        ; implicit-def: $vgpr2
	s_and_saveexec_b32 s2, vcc_lo
	s_xor_b32 s2, exec_lo, s2
; %bb.19:
	v_bfe_u32 v2, v1, 16, 1
	v_add3_u32 v2, v1, v2, 0x7fff
                                        ; implicit-def: $vgpr1
; %bb.20:
	s_andn2_saveexec_b32 s2, s2
; %bb.21:
	v_mov_b32_e32 v2, 0
	v_or_b32_e32 v3, 0x10000, v1
	v_cmp_eq_u32_sdwa vcc_lo, v1, v2 src0_sel:WORD_0 src1_sel:DWORD
	v_cndmask_b32_e32 v2, v3, v1, vcc_lo
; %bb.22:
	s_or_b32 exec_lo, exec_lo, s2
	v_and_b32_e32 v1, 0xffff0000, v2
	v_add_f32_e32 v7, v7, v1
.LBB659_23:
	s_or_b32 exec_lo, exec_lo, s0
	v_and_b32_e32 v8, 31, v0
	v_cmp_gt_u32_e32 vcc_lo, 32, v0
	v_lshlrev_b32_e32 v1, 2, v8
	s_and_saveexec_b32 s0, vcc_lo
; %bb.24:
	v_mov_b32_e32 v2, 0
	ds_write_b32 v1, v2
; %bb.25:
	s_or_b32 exec_lo, exec_lo, s0
	v_mbcnt_lo_u32_b32 v6, -1, 0
	s_mov_b32 s2, exec_lo
	s_waitcnt lgkmcnt(0)
	s_barrier
	buffer_gl0_inv
	v_lshl_or_b32 v2, v6, 2, 64
	v_cmp_gt_u32_e64 s0, 24, v6
	ds_bpermute_b32 v4, v2, v7
	v_cndmask_b32_e64 v3, 0, 8, s0
	v_cmp_gt_u32_e64 s0, 28, v6
	v_add_lshl_u32 v3, v3, v6, 2
	s_waitcnt lgkmcnt(0)
	v_add_f32_e32 v5, v7, v4
	v_cndmask_b32_e64 v4, 0, 4, s0
	v_cmp_gt_u32_e64 s0, 30, v6
	ds_bpermute_b32 v7, v3, v5
	v_add_lshl_u32 v4, v4, v6, 2
	s_waitcnt lgkmcnt(0)
	v_add_f32_e32 v7, v5, v7
	v_cndmask_b32_e64 v5, 0, 2, s0
	v_cmp_ne_u32_e64 s0, 31, v6
	ds_bpermute_b32 v9, v4, v7
	v_add_lshl_u32 v5, v5, v6, 2
	v_add_co_ci_u32_e64 v6, null, 0, v6, s0
	v_lshlrev_b32_e32 v6, 2, v6
	s_waitcnt lgkmcnt(0)
	v_add_f32_e32 v7, v7, v9
	ds_bpermute_b32 v9, v5, v7
	s_waitcnt lgkmcnt(0)
	v_add_f32_e32 v7, v7, v9
	ds_bpermute_b32 v9, v6, v7
	v_cmpx_eq_u32_e32 0, v8
	s_cbranch_execz .LBB659_27
; %bb.26:
	v_lshrrev_b32_e32 v8, 3, v0
	s_waitcnt lgkmcnt(0)
	v_add_f32_e32 v7, v7, v9
	v_and_b32_e32 v8, 0x7c, v8
	ds_write_b32 v8, v7
.LBB659_27:
	s_or_b32 exec_lo, exec_lo, s2
	v_mov_b32_e32 v7, 0
	s_waitcnt lgkmcnt(0)
	s_barrier
	buffer_gl0_inv
	s_and_saveexec_b32 s0, vcc_lo
; %bb.28:
	ds_read_b32 v7, v1
; %bb.29:
	s_or_b32 exec_lo, exec_lo, s0
	s_and_saveexec_b32 s0, vcc_lo
	s_cbranch_execz .LBB659_31
; %bb.30:
	s_waitcnt lgkmcnt(0)
	ds_bpermute_b32 v1, v2, v7
	s_waitcnt lgkmcnt(0)
	v_add_f32_e32 v1, v7, v1
	ds_bpermute_b32 v2, v3, v1
	s_waitcnt lgkmcnt(0)
	v_add_f32_e32 v1, v1, v2
	;; [unrolled: 3-line block ×5, first 2 shown]
.LBB659_31:
	s_or_b32 exec_lo, exec_lo, s0
	s_mov_b32 s0, exec_lo
                                        ; implicit-def: $vgpr1
                                        ; implicit-def: $sgpr2_sgpr3
	v_cmpx_eq_u32_e32 0, v0
	s_cbranch_execz .LBB659_35
; %bb.32:
	v_cmp_eq_f32_e64 s4, s13, 0
	s_mul_i32 s2, s20, s16
	s_mul_hi_u32 s3, s20, s6
	s_waitcnt lgkmcnt(0)
	v_mul_f32_e32 v1, s15, v7
	s_add_i32 s2, s3, s2
	s_mul_i32 s3, s21, s6
	s_and_b32 vcc_lo, exec_lo, s4
	s_add_i32 s3, s2, s3
	s_mul_i32 s2, s20, s6
	s_cbranch_vccnz .LBB659_34
; %bb.33:
	s_lshl_b64 s[4:5], s[2:3], 2
	s_add_u32 s4, s1, s4
	s_addc_u32 s5, s12, s5
	s_load_dword s4, s[4:5], 0x0
	s_waitcnt lgkmcnt(0)
	v_fmac_f32_e64 v1, s13, s4
.LBB659_34:
	s_or_b32 s14, s14, exec_lo
.LBB659_35:
	s_or_b32 exec_lo, exec_lo, s0
.LBB659_36:
	s_and_saveexec_b32 s0, s14
	s_cbranch_execz .LBB659_38
; %bb.37:
	s_lshl_b64 s[2:3], s[2:3], 2
	v_mov_b32_e32 v0, 0
	s_add_u32 s0, s1, s2
	s_addc_u32 s1, s12, s3
	global_store_dword v0, v1, s[0:1]
.LBB659_38:
	s_endpgm
	.section	.rodata,"a",@progbits
	.p2align	6, 0x0
	.amdhsa_kernel _ZL32rocblas_gemvt_warp_reduce_kernelILb1ELi1024El16rocblas_bfloat16PKffEviiT3_lPKT2_lT1_lS6_lS7_lS3_lPT4_lS7_li
		.amdhsa_group_segment_fixed_size 128
		.amdhsa_private_segment_fixed_size 0
		.amdhsa_kernarg_size 140
		.amdhsa_user_sgpr_count 6
		.amdhsa_user_sgpr_private_segment_buffer 1
		.amdhsa_user_sgpr_dispatch_ptr 0
		.amdhsa_user_sgpr_queue_ptr 0
		.amdhsa_user_sgpr_kernarg_segment_ptr 1
		.amdhsa_user_sgpr_dispatch_id 0
		.amdhsa_user_sgpr_flat_scratch_init 0
		.amdhsa_user_sgpr_private_segment_size 0
		.amdhsa_wavefront_size32 1
		.amdhsa_uses_dynamic_stack 0
		.amdhsa_system_sgpr_private_segment_wavefront_offset 0
		.amdhsa_system_sgpr_workgroup_id_x 1
		.amdhsa_system_sgpr_workgroup_id_y 0
		.amdhsa_system_sgpr_workgroup_id_z 1
		.amdhsa_system_sgpr_workgroup_info 0
		.amdhsa_system_vgpr_workitem_id 0
		.amdhsa_next_free_vgpr 12
		.amdhsa_next_free_sgpr 52
		.amdhsa_reserve_vcc 1
		.amdhsa_reserve_flat_scratch 0
		.amdhsa_float_round_mode_32 0
		.amdhsa_float_round_mode_16_64 0
		.amdhsa_float_denorm_mode_32 3
		.amdhsa_float_denorm_mode_16_64 3
		.amdhsa_dx10_clamp 1
		.amdhsa_ieee_mode 1
		.amdhsa_fp16_overflow 0
		.amdhsa_workgroup_processor_mode 1
		.amdhsa_memory_ordered 1
		.amdhsa_forward_progress 1
		.amdhsa_shared_vgpr_count 0
		.amdhsa_exception_fp_ieee_invalid_op 0
		.amdhsa_exception_fp_denorm_src 0
		.amdhsa_exception_fp_ieee_div_zero 0
		.amdhsa_exception_fp_ieee_overflow 0
		.amdhsa_exception_fp_ieee_underflow 0
		.amdhsa_exception_fp_ieee_inexact 0
		.amdhsa_exception_int_div_zero 0
	.end_amdhsa_kernel
	.section	.text._ZL32rocblas_gemvt_warp_reduce_kernelILb1ELi1024El16rocblas_bfloat16PKffEviiT3_lPKT2_lT1_lS6_lS7_lS3_lPT4_lS7_li,"axG",@progbits,_ZL32rocblas_gemvt_warp_reduce_kernelILb1ELi1024El16rocblas_bfloat16PKffEviiT3_lPKT2_lT1_lS6_lS7_lS3_lPT4_lS7_li,comdat
.Lfunc_end659:
	.size	_ZL32rocblas_gemvt_warp_reduce_kernelILb1ELi1024El16rocblas_bfloat16PKffEviiT3_lPKT2_lT1_lS6_lS7_lS3_lPT4_lS7_li, .Lfunc_end659-_ZL32rocblas_gemvt_warp_reduce_kernelILb1ELi1024El16rocblas_bfloat16PKffEviiT3_lPKT2_lT1_lS6_lS7_lS3_lPT4_lS7_li
                                        ; -- End function
	.set _ZL32rocblas_gemvt_warp_reduce_kernelILb1ELi1024El16rocblas_bfloat16PKffEviiT3_lPKT2_lT1_lS6_lS7_lS3_lPT4_lS7_li.num_vgpr, 12
	.set _ZL32rocblas_gemvt_warp_reduce_kernelILb1ELi1024El16rocblas_bfloat16PKffEviiT3_lPKT2_lT1_lS6_lS7_lS3_lPT4_lS7_li.num_agpr, 0
	.set _ZL32rocblas_gemvt_warp_reduce_kernelILb1ELi1024El16rocblas_bfloat16PKffEviiT3_lPKT2_lT1_lS6_lS7_lS3_lPT4_lS7_li.numbered_sgpr, 52
	.set _ZL32rocblas_gemvt_warp_reduce_kernelILb1ELi1024El16rocblas_bfloat16PKffEviiT3_lPKT2_lT1_lS6_lS7_lS3_lPT4_lS7_li.num_named_barrier, 0
	.set _ZL32rocblas_gemvt_warp_reduce_kernelILb1ELi1024El16rocblas_bfloat16PKffEviiT3_lPKT2_lT1_lS6_lS7_lS3_lPT4_lS7_li.private_seg_size, 0
	.set _ZL32rocblas_gemvt_warp_reduce_kernelILb1ELi1024El16rocblas_bfloat16PKffEviiT3_lPKT2_lT1_lS6_lS7_lS3_lPT4_lS7_li.uses_vcc, 1
	.set _ZL32rocblas_gemvt_warp_reduce_kernelILb1ELi1024El16rocblas_bfloat16PKffEviiT3_lPKT2_lT1_lS6_lS7_lS3_lPT4_lS7_li.uses_flat_scratch, 0
	.set _ZL32rocblas_gemvt_warp_reduce_kernelILb1ELi1024El16rocblas_bfloat16PKffEviiT3_lPKT2_lT1_lS6_lS7_lS3_lPT4_lS7_li.has_dyn_sized_stack, 0
	.set _ZL32rocblas_gemvt_warp_reduce_kernelILb1ELi1024El16rocblas_bfloat16PKffEviiT3_lPKT2_lT1_lS6_lS7_lS3_lPT4_lS7_li.has_recursion, 0
	.set _ZL32rocblas_gemvt_warp_reduce_kernelILb1ELi1024El16rocblas_bfloat16PKffEviiT3_lPKT2_lT1_lS6_lS7_lS3_lPT4_lS7_li.has_indirect_call, 0
	.section	.AMDGPU.csdata,"",@progbits
; Kernel info:
; codeLenInByte = 1636
; TotalNumSgprs: 54
; NumVgprs: 12
; ScratchSize: 0
; MemoryBound: 0
; FloatMode: 240
; IeeeMode: 1
; LDSByteSize: 128 bytes/workgroup (compile time only)
; SGPRBlocks: 0
; VGPRBlocks: 1
; NumSGPRsForWavesPerEU: 54
; NumVGPRsForWavesPerEU: 12
; Occupancy: 16
; WaveLimiterHint : 0
; COMPUTE_PGM_RSRC2:SCRATCH_EN: 0
; COMPUTE_PGM_RSRC2:USER_SGPR: 6
; COMPUTE_PGM_RSRC2:TRAP_HANDLER: 0
; COMPUTE_PGM_RSRC2:TGID_X_EN: 1
; COMPUTE_PGM_RSRC2:TGID_Y_EN: 0
; COMPUTE_PGM_RSRC2:TGID_Z_EN: 1
; COMPUTE_PGM_RSRC2:TIDIG_COMP_CNT: 0
	.section	.text._ZL32rocblas_gemvt_warp_reduce_kernelILb1ELi1024Ei16rocblas_bfloat16ffEviiT3_lPKT2_lT1_lS4_lS5_lS1_lPT4_lS5_li,"axG",@progbits,_ZL32rocblas_gemvt_warp_reduce_kernelILb1ELi1024Ei16rocblas_bfloat16ffEviiT3_lPKT2_lT1_lS4_lS5_lS1_lPT4_lS5_li,comdat
	.globl	_ZL32rocblas_gemvt_warp_reduce_kernelILb1ELi1024Ei16rocblas_bfloat16ffEviiT3_lPKT2_lT1_lS4_lS5_lS1_lPT4_lS5_li ; -- Begin function _ZL32rocblas_gemvt_warp_reduce_kernelILb1ELi1024Ei16rocblas_bfloat16ffEviiT3_lPKT2_lT1_lS4_lS5_lS1_lPT4_lS5_li
	.p2align	8
	.type	_ZL32rocblas_gemvt_warp_reduce_kernelILb1ELi1024Ei16rocblas_bfloat16ffEviiT3_lPKT2_lT1_lS4_lS5_lS1_lPT4_lS5_li,@function
_ZL32rocblas_gemvt_warp_reduce_kernelILb1ELi1024Ei16rocblas_bfloat16ffEviiT3_lPKT2_lT1_lS4_lS5_lS1_lPT4_lS5_li: ; @_ZL32rocblas_gemvt_warp_reduce_kernelILb1ELi1024Ei16rocblas_bfloat16ffEviiT3_lPKT2_lT1_lS4_lS5_lS1_lPT4_lS5_li
; %bb.0:
	s_clause 0x1
	s_load_dword s12, s[4:5], 0x8
	s_load_dword s10, s[4:5], 0x58
	s_mov_b32 s11, 0
	s_waitcnt lgkmcnt(0)
	v_cmp_eq_f32_e64 s0, s12, 0
	v_cmp_eq_f32_e64 s1, s10, 1.0
	s_and_b32 s0, s0, s1
	s_and_b32 vcc_lo, exec_lo, s0
	s_cbranch_vccnz .LBB660_38
; %bb.1:
	s_clause 0x2
	s_load_dwordx2 s[8:9], s[4:5], 0x80
	s_load_dwordx4 s[0:3], s[4:5], 0x68
	s_load_dword s13, s[4:5], 0x78
	s_waitcnt lgkmcnt(0)
	s_mul_i32 s9, s9, s7
	s_mul_hi_u32 s14, s8, s7
	s_mul_i32 s8, s8, s7
	s_add_i32 s9, s14, s9
	v_cmp_neq_f32_e64 s14, s12, 0
	s_lshl_b64 s[8:9], s[8:9], 2
	s_add_u32 s8, s0, s8
	s_addc_u32 s9, s1, s9
	s_lshl_b64 s[0:1], s[2:3], 2
	s_add_u32 s8, s8, s0
	v_cmp_eq_u32_e64 s0, 0, v0
	s_addc_u32 s9, s9, s1
	s_and_b32 vcc_lo, exec_lo, s14
	s_cbranch_vccnz .LBB660_5
; %bb.2:
	s_mov_b32 s1, 0
                                        ; implicit-def: $vgpr1
                                        ; implicit-def: $sgpr2_sgpr3
	s_and_saveexec_b32 s14, s0
	s_cbranch_execz .LBB660_6
; %bb.3:
	v_cmp_eq_f32_e64 s0, s10, 0
	s_mul_i32 s2, s13, s6
	s_ashr_i32 s3, s2, 31
	s_and_b32 vcc_lo, exec_lo, s0
	s_cbranch_vccnz .LBB660_7
; %bb.4:
	s_lshl_b64 s[16:17], s[2:3], 2
	s_add_u32 s16, s8, s16
	s_addc_u32 s17, s9, s17
	s_load_dword s0, s[16:17], 0x0
	s_waitcnt lgkmcnt(0)
	v_mul_f32_e64 v1, s10, s0
	s_branch .LBB660_8
.LBB660_5:
                                        ; implicit-def: $vgpr1
                                        ; implicit-def: $sgpr2_sgpr3
	s_cbranch_execnz .LBB660_9
	s_branch .LBB660_36
.LBB660_6:
	s_or_b32 exec_lo, exec_lo, s14
	s_and_b32 vcc_lo, exec_lo, s1
	s_cbranch_vccnz .LBB660_9
	s_branch .LBB660_36
.LBB660_7:
	v_mov_b32_e32 v1, 0
.LBB660_8:
	s_mov_b32 s11, exec_lo
	s_or_b32 exec_lo, exec_lo, s14
	s_and_b32 vcc_lo, exec_lo, s1
	s_cbranch_vccz .LBB660_36
.LBB660_9:
	s_clause 0x6
	s_load_dwordx2 s[20:21], s[4:5], 0x50
	s_load_dwordx4 s[16:19], s[4:5], 0x30
	s_load_dwordx2 s[22:23], s[4:5], 0x40
	s_load_dword s14, s[4:5], 0x0
	s_load_dwordx4 s[0:3], s[4:5], 0x18
	s_load_dword s15, s[4:5], 0x28
	s_load_dword s4, s[4:5], 0x48
	v_mov_b32_e32 v7, 0
	s_waitcnt lgkmcnt(0)
	s_mul_i32 s5, s21, s7
	s_mul_hi_u32 s21, s20, s7
	s_mul_i32 s20, s20, s7
	s_add_i32 s21, s21, s5
	v_cmp_gt_i32_e32 vcc_lo, s14, v0
	s_lshl_b64 s[20:21], s[20:21], 1
	s_mul_i32 s17, s17, s7
	s_add_u32 s5, s18, s20
	s_addc_u32 s20, s19, s21
	s_lshl_b64 s[18:19], s[22:23], 1
	s_mul_hi_u32 s24, s16, s7
	s_add_u32 s5, s5, s18
	v_cndmask_b32_e32 v1, 0, v0, vcc_lo
	s_mul_i32 s16, s16, s7
	s_addc_u32 s7, s20, s19
	s_add_i32 s17, s24, s17
	s_mul_i32 s18, s15, s6
	s_lshl_b64 s[16:17], s[16:17], 1
	v_lshlrev_b32_e32 v1, 1, v1
	s_add_u32 s15, s0, s16
	s_addc_u32 s16, s1, s17
	s_lshl_b64 s[0:1], s[2:3], 1
	s_mov_b32 s3, 0
	s_add_u32 s0, s15, s0
	s_addc_u32 s1, s16, s1
	v_add_co_u32 v1, s0, s0, v1
	s_ashr_i32 s19, s18, 31
	v_add_co_ci_u32_e64 v2, null, s1, 0, s0
	s_lshl_b64 s[0:1], s[18:19], 1
	s_ashr_i32 s2, s14, 31
	v_add_co_u32 v1, vcc_lo, v1, s0
	s_lshr_b32 s2, s2, 22
	v_add_co_ci_u32_e64 v2, null, s1, v2, vcc_lo
	s_add_i32 s2, s14, s2
	s_mov_b32 s1, exec_lo
	s_and_b32 s2, s2, 0xfffffc00
	v_cmpx_gt_i32_e64 s2, v0
	s_cbranch_execz .LBB660_17
; %bb.10:
	v_mul_lo_u32 v3, v0, s4
	v_mov_b32_e32 v6, v2
	v_mov_b32_e32 v8, 0
	;; [unrolled: 1-line block ×5, first 2 shown]
	s_lshl_b32 s15, s4, 10
	s_branch .LBB660_12
.LBB660_11:                             ;   in Loop: Header=BB660_12 Depth=1
	s_or_b32 exec_lo, exec_lo, s0
	v_add_nc_u32_e32 v9, 0x400, v9
	v_and_b32_e32 v4, 0xffff0000, v10
	v_add_co_u32 v5, s0, 0x800, v5
	v_add_nc_u32_e32 v3, s15, v3
	v_cmp_le_i32_e32 vcc_lo, s2, v9
	v_add_f32_e32 v7, v7, v4
	v_add_co_ci_u32_e64 v6, null, 0, v6, s0
	s_or_b32 s3, vcc_lo, s3
	s_andn2_b32 exec_lo, exec_lo, s3
	s_cbranch_execz .LBB660_16
.LBB660_12:                             ; =>This Inner Loop Header: Depth=1
	v_ashrrev_i32_e32 v4, 31, v3
	v_lshlrev_b64 v[10:11], 1, v[3:4]
	v_add_co_u32 v10, vcc_lo, s5, v10
	v_add_co_ci_u32_e64 v11, null, s7, v11, vcc_lo
	global_load_ushort v4, v[5:6], off
	global_load_ushort v10, v[10:11], off
	s_waitcnt vmcnt(1)
	v_lshlrev_b32_e32 v4, 16, v4
	s_waitcnt vmcnt(0)
	v_lshlrev_b32_e32 v10, 16, v10
	v_mul_f32_e32 v4, v4, v10
	v_and_b32_e32 v10, 0x7f800000, v4
	v_cmp_ne_u32_e32 vcc_lo, 0x7f800000, v10
                                        ; implicit-def: $vgpr10
	s_and_saveexec_b32 s0, vcc_lo
	s_xor_b32 s0, exec_lo, s0
; %bb.13:                               ;   in Loop: Header=BB660_12 Depth=1
	v_bfe_u32 v10, v4, 16, 1
	v_add3_u32 v10, v4, v10, 0x7fff
                                        ; implicit-def: $vgpr4
; %bb.14:                               ;   in Loop: Header=BB660_12 Depth=1
	s_andn2_saveexec_b32 s0, s0
	s_cbranch_execz .LBB660_11
; %bb.15:                               ;   in Loop: Header=BB660_12 Depth=1
	v_or_b32_e32 v10, 0x10000, v4
	v_cmp_eq_u32_sdwa vcc_lo, v4, v8 src0_sel:WORD_0 src1_sel:DWORD
	v_cndmask_b32_e32 v10, v10, v4, vcc_lo
	s_branch .LBB660_11
.LBB660_16:
	s_or_b32 exec_lo, exec_lo, s3
.LBB660_17:
	s_or_b32 exec_lo, exec_lo, s1
	v_or_b32_e32 v3, s2, v0
	s_mov_b32 s0, exec_lo
	v_cmpx_gt_i32_e64 s14, v3
	s_cbranch_execz .LBB660_23
; %bb.18:
	v_mul_lo_u32 v3, s4, v3
	s_ashr_i32 s3, s2, 31
	s_lshl_b64 s[2:3], s[2:3], 1
	v_ashrrev_i32_e32 v4, 31, v3
	v_lshlrev_b64 v[3:4], 1, v[3:4]
	v_add_co_u32 v3, vcc_lo, s5, v3
	v_add_co_ci_u32_e64 v4, null, s7, v4, vcc_lo
	v_add_co_u32 v1, vcc_lo, v1, s2
	v_add_co_ci_u32_e64 v2, null, s3, v2, vcc_lo
	global_load_ushort v3, v[3:4], off
	global_load_ushort v1, v[1:2], off
	s_waitcnt vmcnt(1)
	v_lshlrev_b32_e32 v2, 16, v3
	s_waitcnt vmcnt(0)
	v_lshlrev_b32_e32 v1, 16, v1
	v_mul_f32_e32 v1, v1, v2
	v_and_b32_e32 v2, 0x7f800000, v1
	v_cmp_ne_u32_e32 vcc_lo, 0x7f800000, v2
                                        ; implicit-def: $vgpr2
	s_and_saveexec_b32 s1, vcc_lo
	s_xor_b32 s1, exec_lo, s1
; %bb.19:
	v_bfe_u32 v2, v1, 16, 1
	v_add3_u32 v2, v1, v2, 0x7fff
                                        ; implicit-def: $vgpr1
; %bb.20:
	s_andn2_saveexec_b32 s1, s1
; %bb.21:
	v_mov_b32_e32 v2, 0
	v_or_b32_e32 v3, 0x10000, v1
	v_cmp_eq_u32_sdwa vcc_lo, v1, v2 src0_sel:WORD_0 src1_sel:DWORD
	v_cndmask_b32_e32 v2, v3, v1, vcc_lo
; %bb.22:
	s_or_b32 exec_lo, exec_lo, s1
	v_and_b32_e32 v1, 0xffff0000, v2
	v_add_f32_e32 v7, v7, v1
.LBB660_23:
	s_or_b32 exec_lo, exec_lo, s0
	v_and_b32_e32 v8, 31, v0
	v_cmp_gt_u32_e32 vcc_lo, 32, v0
	v_lshlrev_b32_e32 v1, 2, v8
	s_and_saveexec_b32 s0, vcc_lo
; %bb.24:
	v_mov_b32_e32 v2, 0
	ds_write_b32 v1, v2
; %bb.25:
	s_or_b32 exec_lo, exec_lo, s0
	v_mbcnt_lo_u32_b32 v6, -1, 0
	s_mov_b32 s1, exec_lo
	s_waitcnt lgkmcnt(0)
	s_barrier
	buffer_gl0_inv
	v_lshl_or_b32 v2, v6, 2, 64
	v_cmp_gt_u32_e64 s0, 24, v6
	ds_bpermute_b32 v4, v2, v7
	v_cndmask_b32_e64 v3, 0, 8, s0
	v_cmp_gt_u32_e64 s0, 28, v6
	v_add_lshl_u32 v3, v3, v6, 2
	s_waitcnt lgkmcnt(0)
	v_add_f32_e32 v5, v7, v4
	v_cndmask_b32_e64 v4, 0, 4, s0
	v_cmp_gt_u32_e64 s0, 30, v6
	ds_bpermute_b32 v7, v3, v5
	v_add_lshl_u32 v4, v4, v6, 2
	s_waitcnt lgkmcnt(0)
	v_add_f32_e32 v7, v5, v7
	v_cndmask_b32_e64 v5, 0, 2, s0
	v_cmp_ne_u32_e64 s0, 31, v6
	ds_bpermute_b32 v9, v4, v7
	v_add_lshl_u32 v5, v5, v6, 2
	v_add_co_ci_u32_e64 v6, null, 0, v6, s0
	v_lshlrev_b32_e32 v6, 2, v6
	s_waitcnt lgkmcnt(0)
	v_add_f32_e32 v7, v7, v9
	ds_bpermute_b32 v9, v5, v7
	s_waitcnt lgkmcnt(0)
	v_add_f32_e32 v7, v7, v9
	ds_bpermute_b32 v9, v6, v7
	v_cmpx_eq_u32_e32 0, v8
	s_cbranch_execz .LBB660_27
; %bb.26:
	v_lshrrev_b32_e32 v8, 3, v0
	s_waitcnt lgkmcnt(0)
	v_add_f32_e32 v7, v7, v9
	v_and_b32_e32 v8, 0x7c, v8
	ds_write_b32 v8, v7
.LBB660_27:
	s_or_b32 exec_lo, exec_lo, s1
	v_mov_b32_e32 v7, 0
	s_waitcnt lgkmcnt(0)
	s_barrier
	buffer_gl0_inv
	s_and_saveexec_b32 s0, vcc_lo
; %bb.28:
	ds_read_b32 v7, v1
; %bb.29:
	s_or_b32 exec_lo, exec_lo, s0
	s_and_saveexec_b32 s0, vcc_lo
	s_cbranch_execz .LBB660_31
; %bb.30:
	s_waitcnt lgkmcnt(0)
	ds_bpermute_b32 v1, v2, v7
	s_waitcnt lgkmcnt(0)
	v_add_f32_e32 v1, v7, v1
	ds_bpermute_b32 v2, v3, v1
	s_waitcnt lgkmcnt(0)
	v_add_f32_e32 v1, v1, v2
	;; [unrolled: 3-line block ×5, first 2 shown]
.LBB660_31:
	s_or_b32 exec_lo, exec_lo, s0
	s_mov_b32 s0, exec_lo
                                        ; implicit-def: $vgpr1
                                        ; implicit-def: $sgpr2_sgpr3
	v_cmpx_eq_u32_e32 0, v0
	s_cbranch_execz .LBB660_35
; %bb.32:
	v_cmp_eq_f32_e64 s1, s10, 0
	s_waitcnt lgkmcnt(0)
	v_mul_f32_e32 v1, s12, v7
	s_mul_i32 s2, s13, s6
	s_ashr_i32 s3, s2, 31
	s_and_b32 vcc_lo, exec_lo, s1
	s_cbranch_vccnz .LBB660_34
; %bb.33:
	s_lshl_b64 s[4:5], s[2:3], 2
	s_add_u32 s4, s8, s4
	s_addc_u32 s5, s9, s5
	s_load_dword s1, s[4:5], 0x0
	s_waitcnt lgkmcnt(0)
	v_fmac_f32_e64 v1, s10, s1
.LBB660_34:
	s_or_b32 s11, s11, exec_lo
.LBB660_35:
	s_or_b32 exec_lo, exec_lo, s0
.LBB660_36:
	s_and_saveexec_b32 s0, s11
	s_cbranch_execz .LBB660_38
; %bb.37:
	s_lshl_b64 s[0:1], s[2:3], 2
	v_mov_b32_e32 v0, 0
	s_add_u32 s0, s8, s0
	s_addc_u32 s1, s9, s1
	global_store_dword v0, v1, s[0:1]
.LBB660_38:
	s_endpgm
	.section	.rodata,"a",@progbits
	.p2align	6, 0x0
	.amdhsa_kernel _ZL32rocblas_gemvt_warp_reduce_kernelILb1ELi1024Ei16rocblas_bfloat16ffEviiT3_lPKT2_lT1_lS4_lS5_lS1_lPT4_lS5_li
		.amdhsa_group_segment_fixed_size 128
		.amdhsa_private_segment_fixed_size 0
		.amdhsa_kernarg_size 140
		.amdhsa_user_sgpr_count 6
		.amdhsa_user_sgpr_private_segment_buffer 1
		.amdhsa_user_sgpr_dispatch_ptr 0
		.amdhsa_user_sgpr_queue_ptr 0
		.amdhsa_user_sgpr_kernarg_segment_ptr 1
		.amdhsa_user_sgpr_dispatch_id 0
		.amdhsa_user_sgpr_flat_scratch_init 0
		.amdhsa_user_sgpr_private_segment_size 0
		.amdhsa_wavefront_size32 1
		.amdhsa_uses_dynamic_stack 0
		.amdhsa_system_sgpr_private_segment_wavefront_offset 0
		.amdhsa_system_sgpr_workgroup_id_x 1
		.amdhsa_system_sgpr_workgroup_id_y 0
		.amdhsa_system_sgpr_workgroup_id_z 1
		.amdhsa_system_sgpr_workgroup_info 0
		.amdhsa_system_vgpr_workitem_id 0
		.amdhsa_next_free_vgpr 12
		.amdhsa_next_free_sgpr 25
		.amdhsa_reserve_vcc 1
		.amdhsa_reserve_flat_scratch 0
		.amdhsa_float_round_mode_32 0
		.amdhsa_float_round_mode_16_64 0
		.amdhsa_float_denorm_mode_32 3
		.amdhsa_float_denorm_mode_16_64 3
		.amdhsa_dx10_clamp 1
		.amdhsa_ieee_mode 1
		.amdhsa_fp16_overflow 0
		.amdhsa_workgroup_processor_mode 1
		.amdhsa_memory_ordered 1
		.amdhsa_forward_progress 1
		.amdhsa_shared_vgpr_count 0
		.amdhsa_exception_fp_ieee_invalid_op 0
		.amdhsa_exception_fp_denorm_src 0
		.amdhsa_exception_fp_ieee_div_zero 0
		.amdhsa_exception_fp_ieee_overflow 0
		.amdhsa_exception_fp_ieee_underflow 0
		.amdhsa_exception_fp_ieee_inexact 0
		.amdhsa_exception_int_div_zero 0
	.end_amdhsa_kernel
	.section	.text._ZL32rocblas_gemvt_warp_reduce_kernelILb1ELi1024Ei16rocblas_bfloat16ffEviiT3_lPKT2_lT1_lS4_lS5_lS1_lPT4_lS5_li,"axG",@progbits,_ZL32rocblas_gemvt_warp_reduce_kernelILb1ELi1024Ei16rocblas_bfloat16ffEviiT3_lPKT2_lT1_lS4_lS5_lS1_lPT4_lS5_li,comdat
.Lfunc_end660:
	.size	_ZL32rocblas_gemvt_warp_reduce_kernelILb1ELi1024Ei16rocblas_bfloat16ffEviiT3_lPKT2_lT1_lS4_lS5_lS1_lPT4_lS5_li, .Lfunc_end660-_ZL32rocblas_gemvt_warp_reduce_kernelILb1ELi1024Ei16rocblas_bfloat16ffEviiT3_lPKT2_lT1_lS4_lS5_lS1_lPT4_lS5_li
                                        ; -- End function
	.set _ZL32rocblas_gemvt_warp_reduce_kernelILb1ELi1024Ei16rocblas_bfloat16ffEviiT3_lPKT2_lT1_lS4_lS5_lS1_lPT4_lS5_li.num_vgpr, 12
	.set _ZL32rocblas_gemvt_warp_reduce_kernelILb1ELi1024Ei16rocblas_bfloat16ffEviiT3_lPKT2_lT1_lS4_lS5_lS1_lPT4_lS5_li.num_agpr, 0
	.set _ZL32rocblas_gemvt_warp_reduce_kernelILb1ELi1024Ei16rocblas_bfloat16ffEviiT3_lPKT2_lT1_lS4_lS5_lS1_lPT4_lS5_li.numbered_sgpr, 25
	.set _ZL32rocblas_gemvt_warp_reduce_kernelILb1ELi1024Ei16rocblas_bfloat16ffEviiT3_lPKT2_lT1_lS4_lS5_lS1_lPT4_lS5_li.num_named_barrier, 0
	.set _ZL32rocblas_gemvt_warp_reduce_kernelILb1ELi1024Ei16rocblas_bfloat16ffEviiT3_lPKT2_lT1_lS4_lS5_lS1_lPT4_lS5_li.private_seg_size, 0
	.set _ZL32rocblas_gemvt_warp_reduce_kernelILb1ELi1024Ei16rocblas_bfloat16ffEviiT3_lPKT2_lT1_lS4_lS5_lS1_lPT4_lS5_li.uses_vcc, 1
	.set _ZL32rocblas_gemvt_warp_reduce_kernelILb1ELi1024Ei16rocblas_bfloat16ffEviiT3_lPKT2_lT1_lS4_lS5_lS1_lPT4_lS5_li.uses_flat_scratch, 0
	.set _ZL32rocblas_gemvt_warp_reduce_kernelILb1ELi1024Ei16rocblas_bfloat16ffEviiT3_lPKT2_lT1_lS4_lS5_lS1_lPT4_lS5_li.has_dyn_sized_stack, 0
	.set _ZL32rocblas_gemvt_warp_reduce_kernelILb1ELi1024Ei16rocblas_bfloat16ffEviiT3_lPKT2_lT1_lS4_lS5_lS1_lPT4_lS5_li.has_recursion, 0
	.set _ZL32rocblas_gemvt_warp_reduce_kernelILb1ELi1024Ei16rocblas_bfloat16ffEviiT3_lPKT2_lT1_lS4_lS5_lS1_lPT4_lS5_li.has_indirect_call, 0
	.section	.AMDGPU.csdata,"",@progbits
; Kernel info:
; codeLenInByte = 1492
; TotalNumSgprs: 27
; NumVgprs: 12
; ScratchSize: 0
; MemoryBound: 0
; FloatMode: 240
; IeeeMode: 1
; LDSByteSize: 128 bytes/workgroup (compile time only)
; SGPRBlocks: 0
; VGPRBlocks: 1
; NumSGPRsForWavesPerEU: 27
; NumVGPRsForWavesPerEU: 12
; Occupancy: 16
; WaveLimiterHint : 1
; COMPUTE_PGM_RSRC2:SCRATCH_EN: 0
; COMPUTE_PGM_RSRC2:USER_SGPR: 6
; COMPUTE_PGM_RSRC2:TRAP_HANDLER: 0
; COMPUTE_PGM_RSRC2:TGID_X_EN: 1
; COMPUTE_PGM_RSRC2:TGID_Y_EN: 0
; COMPUTE_PGM_RSRC2:TGID_Z_EN: 1
; COMPUTE_PGM_RSRC2:TIDIG_COMP_CNT: 0
	.section	.text._ZL32rocblas_gemvt_warp_reduce_kernelILb1ELi1024El16rocblas_bfloat16ffEviiT3_lPKT2_lT1_lS4_lS5_lS1_lPT4_lS5_li,"axG",@progbits,_ZL32rocblas_gemvt_warp_reduce_kernelILb1ELi1024El16rocblas_bfloat16ffEviiT3_lPKT2_lT1_lS4_lS5_lS1_lPT4_lS5_li,comdat
	.globl	_ZL32rocblas_gemvt_warp_reduce_kernelILb1ELi1024El16rocblas_bfloat16ffEviiT3_lPKT2_lT1_lS4_lS5_lS1_lPT4_lS5_li ; -- Begin function _ZL32rocblas_gemvt_warp_reduce_kernelILb1ELi1024El16rocblas_bfloat16ffEviiT3_lPKT2_lT1_lS4_lS5_lS1_lPT4_lS5_li
	.p2align	8
	.type	_ZL32rocblas_gemvt_warp_reduce_kernelILb1ELi1024El16rocblas_bfloat16ffEviiT3_lPKT2_lT1_lS4_lS5_lS1_lPT4_lS5_li,@function
_ZL32rocblas_gemvt_warp_reduce_kernelILb1ELi1024El16rocblas_bfloat16ffEviiT3_lPKT2_lT1_lS4_lS5_lS1_lPT4_lS5_li: ; @_ZL32rocblas_gemvt_warp_reduce_kernelILb1ELi1024El16rocblas_bfloat16ffEviiT3_lPKT2_lT1_lS4_lS5_lS1_lPT4_lS5_li
; %bb.0:
	s_clause 0x1
	s_load_dword s30, s[4:5], 0x8
	s_load_dword s28, s[4:5], 0x58
	s_mov_b32 s29, 0
	s_waitcnt lgkmcnt(0)
	v_cmp_eq_f32_e64 s0, s30, 0
	v_cmp_eq_f32_e64 s1, s28, 1.0
	s_and_b32 s0, s0, s1
	s_and_b32 vcc_lo, exec_lo, s0
	s_cbranch_vccnz .LBB661_38
; %bb.1:
	s_load_dwordx8 s[20:27], s[4:5], 0x68
	v_cmp_neq_f32_e64 s8, s30, 0
	s_waitcnt lgkmcnt(0)
	s_mul_i32 s1, s27, s7
	s_mul_hi_u32 s2, s26, s7
	s_mul_i32 s0, s26, s7
	s_add_i32 s1, s2, s1
	s_lshl_b64 s[0:1], s[0:1], 2
	s_add_u32 s0, s20, s0
	s_addc_u32 s9, s21, s1
	s_lshl_b64 s[2:3], s[22:23], 2
	s_add_u32 s1, s0, s2
	v_cmp_eq_u32_e64 s0, 0, v0
	s_addc_u32 s26, s9, s3
	s_and_b32 vcc_lo, exec_lo, s8
	s_cbranch_vccnz .LBB661_5
; %bb.2:
	s_mov_b32 s8, 0
                                        ; implicit-def: $vgpr1
                                        ; implicit-def: $sgpr2_sgpr3
	s_and_saveexec_b32 s9, s0
	s_cbranch_execz .LBB661_6
; %bb.3:
	s_ashr_i32 s2, s6, 31
	v_cmp_eq_f32_e64 s0, s28, 0
	s_mul_hi_u32 s3, s24, s6
	s_mul_i32 s2, s24, s2
	s_mul_i32 s10, s25, s6
	s_add_i32 s2, s3, s2
	s_and_b32 vcc_lo, exec_lo, s0
	s_add_i32 s3, s2, s10
	s_mul_i32 s2, s24, s6
	s_cbranch_vccnz .LBB661_7
; %bb.4:
	s_lshl_b64 s[10:11], s[2:3], 2
	s_add_u32 s10, s1, s10
	s_addc_u32 s11, s26, s11
	s_load_dword s0, s[10:11], 0x0
	s_waitcnt lgkmcnt(0)
	v_mul_f32_e64 v1, s28, s0
	s_branch .LBB661_8
.LBB661_5:
                                        ; implicit-def: $vgpr1
                                        ; implicit-def: $sgpr2_sgpr3
	s_cbranch_execnz .LBB661_9
	s_branch .LBB661_36
.LBB661_6:
	s_or_b32 exec_lo, exec_lo, s9
	s_and_b32 vcc_lo, exec_lo, s8
	s_cbranch_vccnz .LBB661_9
	s_branch .LBB661_36
.LBB661_7:
	v_mov_b32_e32 v1, 0
.LBB661_8:
	s_mov_b32 s29, exec_lo
	s_or_b32 exec_lo, exec_lo, s9
	s_and_b32 vcc_lo, exec_lo, s8
	s_cbranch_vccz .LBB661_36
.LBB661_9:
	s_clause 0x1
	s_load_dwordx16 s[8:23], s[4:5], 0x18
	s_load_dword s5, s[4:5], 0x0
	v_mov_b32_e32 v7, 0
	s_waitcnt lgkmcnt(0)
	s_mul_i32 s3, s15, s7
	v_cmp_gt_i32_e32 vcc_lo, s5, v0
	s_mul_hi_u32 s15, s14, s7
	s_mul_i32 s2, s14, s7
	s_add_i32 s3, s15, s3
	s_mul_i32 s0, s23, s7
	v_cndmask_b32_e32 v1, 0, v0, vcc_lo
	s_mul_hi_u32 s4, s22, s7
	s_lshl_b64 s[34:35], s[2:3], 1
	s_add_i32 s3, s4, s0
	s_add_u32 s0, s8, s34
	v_lshlrev_b32_e32 v1, 1, v1
	s_addc_u32 s2, s9, s35
	s_lshl_b64 s[8:9], s[10:11], 1
	s_mul_hi_u32 s23, s12, s6
	s_add_u32 s0, s0, s8
	s_addc_u32 s2, s2, s9
	s_ashr_i32 s10, s6, 31
	v_add_co_u32 v1, s0, s0, v1
	v_add_co_ci_u32_e64 v2, null, s2, 0, s0
	s_mul_i32 s0, s12, s10
	s_mul_i32 s13, s13, s6
	s_add_i32 s0, s23, s0
	s_mul_i32 s14, s12, s6
	s_add_i32 s15, s0, s13
	s_ashr_i32 s4, s5, 31
	s_lshl_b64 s[8:9], s[14:15], 1
	s_lshr_b32 s2, s4, 22
	v_add_co_u32 v1, vcc_lo, v1, s8
	v_add_co_ci_u32_e64 v2, null, s9, v2, vcc_lo
	s_add_i32 s2, s5, s2
	s_mov_b32 s11, 0
	s_and_b32 s4, s2, 0xfffffc00
	s_mul_i32 s2, s22, s7
	s_mov_b32 s7, exec_lo
	v_cmpx_gt_i32_e64 s4, v0
	s_cbranch_execz .LBB661_17
; %bb.10:
	v_mad_u64_u32 v[5:6], null, s20, v0, 0
	s_lshl_b64 s[12:13], s[18:19], 1
	s_lshl_b64 s[8:9], s[2:3], 1
	s_add_u32 s0, s16, s12
	s_addc_u32 s12, s17, s13
	s_add_u32 s0, s0, s8
	s_addc_u32 s8, s12, s9
	v_mov_b32_e32 v3, v6
	v_mov_b32_e32 v8, 0
	v_mov_b32_e32 v9, v0
	v_mov_b32_e32 v7, 0
	v_mad_u64_u32 v[3:4], null, s21, v0, v[3:4]
	v_mov_b32_e32 v6, v3
	v_mov_b32_e32 v4, v2
	;; [unrolled: 1-line block ×3, first 2 shown]
	v_lshlrev_b64 v[5:6], 1, v[5:6]
	v_add_co_u32 v5, vcc_lo, s0, v5
	v_add_co_ci_u32_e64 v6, null, s8, v6, vcc_lo
	s_lshl_b64 s[8:9], s[20:21], 11
	s_inst_prefetch 0x1
	s_branch .LBB661_12
	.p2align	6
.LBB661_11:                             ;   in Loop: Header=BB661_12 Depth=1
	s_or_b32 exec_lo, exec_lo, s0
	v_add_nc_u32_e32 v9, 0x400, v9
	v_and_b32_e32 v10, 0xffff0000, v11
	v_add_co_u32 v3, vcc_lo, 0x800, v3
	v_add_co_ci_u32_e64 v4, null, 0, v4, vcc_lo
	v_cmp_le_i32_e32 vcc_lo, s4, v9
	v_add_co_u32 v5, s0, v5, s8
	v_add_f32_e32 v7, v7, v10
	v_add_co_ci_u32_e64 v6, null, s9, v6, s0
	s_or_b32 s11, vcc_lo, s11
	s_andn2_b32 exec_lo, exec_lo, s11
	s_cbranch_execz .LBB661_16
.LBB661_12:                             ; =>This Inner Loop Header: Depth=1
	global_load_ushort v10, v[5:6], off
	global_load_ushort v11, v[3:4], off
	s_waitcnt vmcnt(1)
	v_lshlrev_b32_e32 v10, 16, v10
	s_waitcnt vmcnt(0)
	v_lshlrev_b32_e32 v11, 16, v11
	v_mul_f32_e32 v10, v11, v10
	v_and_b32_e32 v11, 0x7f800000, v10
	v_cmp_ne_u32_e32 vcc_lo, 0x7f800000, v11
                                        ; implicit-def: $vgpr11
	s_and_saveexec_b32 s0, vcc_lo
	s_xor_b32 s0, exec_lo, s0
; %bb.13:                               ;   in Loop: Header=BB661_12 Depth=1
	v_bfe_u32 v11, v10, 16, 1
	v_add3_u32 v11, v10, v11, 0x7fff
                                        ; implicit-def: $vgpr10
; %bb.14:                               ;   in Loop: Header=BB661_12 Depth=1
	s_andn2_saveexec_b32 s0, s0
	s_cbranch_execz .LBB661_11
; %bb.15:                               ;   in Loop: Header=BB661_12 Depth=1
	v_or_b32_e32 v11, 0x10000, v10
	v_cmp_eq_u32_sdwa vcc_lo, v10, v8 src0_sel:WORD_0 src1_sel:DWORD
	v_cndmask_b32_e32 v11, v11, v10, vcc_lo
	s_branch .LBB661_11
.LBB661_16:
	s_inst_prefetch 0x2
	s_or_b32 exec_lo, exec_lo, s11
.LBB661_17:
	s_or_b32 exec_lo, exec_lo, s7
	v_or_b32_e32 v3, s4, v0
	s_mov_b32 s0, exec_lo
	v_cmpx_gt_i32_e64 s5, v3
	s_cbranch_execz .LBB661_23
; %bb.18:
	v_ashrrev_i32_e32 v5, 31, v3
	v_mul_lo_u32 v6, s21, v3
	v_mad_u64_u32 v[3:4], null, s20, v3, 0
	s_lshl_b64 s[2:3], s[2:3], 1
	v_mul_lo_u32 v5, s20, v5
	s_add_u32 s5, s16, s2
	s_addc_u32 s7, s17, s3
	s_lshl_b64 s[2:3], s[18:19], 1
	s_add_u32 s8, s5, s2
	s_addc_u32 s7, s7, s3
	s_ashr_i32 s5, s4, 31
	v_add3_u32 v4, v4, v5, v6
	s_lshl_b64 s[2:3], s[4:5], 1
	v_lshlrev_b64 v[3:4], 1, v[3:4]
	v_add_co_u32 v3, vcc_lo, s8, v3
	v_add_co_ci_u32_e64 v4, null, s7, v4, vcc_lo
	v_add_co_u32 v1, vcc_lo, v1, s2
	v_add_co_ci_u32_e64 v2, null, s3, v2, vcc_lo
	global_load_ushort v3, v[3:4], off
	global_load_ushort v1, v[1:2], off
	s_waitcnt vmcnt(1)
	v_lshlrev_b32_e32 v2, 16, v3
	s_waitcnt vmcnt(0)
	v_lshlrev_b32_e32 v1, 16, v1
	v_mul_f32_e32 v1, v1, v2
	v_and_b32_e32 v2, 0x7f800000, v1
	v_cmp_ne_u32_e32 vcc_lo, 0x7f800000, v2
                                        ; implicit-def: $vgpr2
	s_and_saveexec_b32 s2, vcc_lo
	s_xor_b32 s2, exec_lo, s2
; %bb.19:
	v_bfe_u32 v2, v1, 16, 1
	v_add3_u32 v2, v1, v2, 0x7fff
                                        ; implicit-def: $vgpr1
; %bb.20:
	s_andn2_saveexec_b32 s2, s2
; %bb.21:
	v_mov_b32_e32 v2, 0
	v_or_b32_e32 v3, 0x10000, v1
	v_cmp_eq_u32_sdwa vcc_lo, v1, v2 src0_sel:WORD_0 src1_sel:DWORD
	v_cndmask_b32_e32 v2, v3, v1, vcc_lo
; %bb.22:
	s_or_b32 exec_lo, exec_lo, s2
	v_and_b32_e32 v1, 0xffff0000, v2
	v_add_f32_e32 v7, v7, v1
.LBB661_23:
	s_or_b32 exec_lo, exec_lo, s0
	v_and_b32_e32 v8, 31, v0
	v_cmp_gt_u32_e32 vcc_lo, 32, v0
	v_lshlrev_b32_e32 v1, 2, v8
	s_and_saveexec_b32 s0, vcc_lo
; %bb.24:
	v_mov_b32_e32 v2, 0
	ds_write_b32 v1, v2
; %bb.25:
	s_or_b32 exec_lo, exec_lo, s0
	v_mbcnt_lo_u32_b32 v6, -1, 0
	s_mov_b32 s2, exec_lo
	s_waitcnt lgkmcnt(0)
	s_barrier
	buffer_gl0_inv
	v_lshl_or_b32 v2, v6, 2, 64
	v_cmp_gt_u32_e64 s0, 24, v6
	ds_bpermute_b32 v4, v2, v7
	v_cndmask_b32_e64 v3, 0, 8, s0
	v_cmp_gt_u32_e64 s0, 28, v6
	v_add_lshl_u32 v3, v3, v6, 2
	s_waitcnt lgkmcnt(0)
	v_add_f32_e32 v5, v7, v4
	v_cndmask_b32_e64 v4, 0, 4, s0
	v_cmp_gt_u32_e64 s0, 30, v6
	ds_bpermute_b32 v7, v3, v5
	v_add_lshl_u32 v4, v4, v6, 2
	s_waitcnt lgkmcnt(0)
	v_add_f32_e32 v7, v5, v7
	v_cndmask_b32_e64 v5, 0, 2, s0
	v_cmp_ne_u32_e64 s0, 31, v6
	ds_bpermute_b32 v9, v4, v7
	v_add_lshl_u32 v5, v5, v6, 2
	v_add_co_ci_u32_e64 v6, null, 0, v6, s0
	v_lshlrev_b32_e32 v6, 2, v6
	s_waitcnt lgkmcnt(0)
	v_add_f32_e32 v7, v7, v9
	ds_bpermute_b32 v9, v5, v7
	s_waitcnt lgkmcnt(0)
	v_add_f32_e32 v7, v7, v9
	ds_bpermute_b32 v9, v6, v7
	v_cmpx_eq_u32_e32 0, v8
	s_cbranch_execz .LBB661_27
; %bb.26:
	v_lshrrev_b32_e32 v8, 3, v0
	s_waitcnt lgkmcnt(0)
	v_add_f32_e32 v7, v7, v9
	v_and_b32_e32 v8, 0x7c, v8
	ds_write_b32 v8, v7
.LBB661_27:
	s_or_b32 exec_lo, exec_lo, s2
	v_mov_b32_e32 v7, 0
	s_waitcnt lgkmcnt(0)
	s_barrier
	buffer_gl0_inv
	s_and_saveexec_b32 s0, vcc_lo
; %bb.28:
	ds_read_b32 v7, v1
; %bb.29:
	s_or_b32 exec_lo, exec_lo, s0
	s_and_saveexec_b32 s0, vcc_lo
	s_cbranch_execz .LBB661_31
; %bb.30:
	s_waitcnt lgkmcnt(0)
	ds_bpermute_b32 v1, v2, v7
	s_waitcnt lgkmcnt(0)
	v_add_f32_e32 v1, v7, v1
	ds_bpermute_b32 v2, v3, v1
	s_waitcnt lgkmcnt(0)
	v_add_f32_e32 v1, v1, v2
	ds_bpermute_b32 v2, v4, v1
	s_waitcnt lgkmcnt(0)
	v_add_f32_e32 v1, v1, v2
	ds_bpermute_b32 v2, v5, v1
	s_waitcnt lgkmcnt(0)
	v_add_f32_e32 v1, v1, v2
	ds_bpermute_b32 v2, v6, v1
	s_waitcnt lgkmcnt(0)
	v_add_f32_e32 v7, v1, v2
.LBB661_31:
	s_or_b32 exec_lo, exec_lo, s0
	s_mov_b32 s0, exec_lo
                                        ; implicit-def: $vgpr1
                                        ; implicit-def: $sgpr2_sgpr3
	v_cmpx_eq_u32_e32 0, v0
	s_cbranch_execz .LBB661_35
; %bb.32:
	v_cmp_eq_f32_e64 s4, s28, 0
	s_mul_i32 s2, s24, s10
	s_mul_hi_u32 s3, s24, s6
	s_waitcnt lgkmcnt(0)
	v_mul_f32_e32 v1, s30, v7
	s_add_i32 s2, s3, s2
	s_mul_i32 s3, s25, s6
	s_and_b32 vcc_lo, exec_lo, s4
	s_add_i32 s3, s2, s3
	s_mul_i32 s2, s24, s6
	s_cbranch_vccnz .LBB661_34
; %bb.33:
	s_lshl_b64 s[4:5], s[2:3], 2
	s_add_u32 s4, s1, s4
	s_addc_u32 s5, s26, s5
	s_load_dword s4, s[4:5], 0x0
	s_waitcnt lgkmcnt(0)
	v_fmac_f32_e64 v1, s28, s4
.LBB661_34:
	s_or_b32 s29, s29, exec_lo
.LBB661_35:
	s_or_b32 exec_lo, exec_lo, s0
.LBB661_36:
	s_and_saveexec_b32 s0, s29
	s_cbranch_execz .LBB661_38
; %bb.37:
	s_lshl_b64 s[2:3], s[2:3], 2
	v_mov_b32_e32 v0, 0
	s_add_u32 s0, s1, s2
	s_addc_u32 s1, s26, s3
	global_store_dword v0, v1, s[0:1]
.LBB661_38:
	s_endpgm
	.section	.rodata,"a",@progbits
	.p2align	6, 0x0
	.amdhsa_kernel _ZL32rocblas_gemvt_warp_reduce_kernelILb1ELi1024El16rocblas_bfloat16ffEviiT3_lPKT2_lT1_lS4_lS5_lS1_lPT4_lS5_li
		.amdhsa_group_segment_fixed_size 128
		.amdhsa_private_segment_fixed_size 0
		.amdhsa_kernarg_size 140
		.amdhsa_user_sgpr_count 6
		.amdhsa_user_sgpr_private_segment_buffer 1
		.amdhsa_user_sgpr_dispatch_ptr 0
		.amdhsa_user_sgpr_queue_ptr 0
		.amdhsa_user_sgpr_kernarg_segment_ptr 1
		.amdhsa_user_sgpr_dispatch_id 0
		.amdhsa_user_sgpr_flat_scratch_init 0
		.amdhsa_user_sgpr_private_segment_size 0
		.amdhsa_wavefront_size32 1
		.amdhsa_uses_dynamic_stack 0
		.amdhsa_system_sgpr_private_segment_wavefront_offset 0
		.amdhsa_system_sgpr_workgroup_id_x 1
		.amdhsa_system_sgpr_workgroup_id_y 0
		.amdhsa_system_sgpr_workgroup_id_z 1
		.amdhsa_system_sgpr_workgroup_info 0
		.amdhsa_system_vgpr_workitem_id 0
		.amdhsa_next_free_vgpr 12
		.amdhsa_next_free_sgpr 36
		.amdhsa_reserve_vcc 1
		.amdhsa_reserve_flat_scratch 0
		.amdhsa_float_round_mode_32 0
		.amdhsa_float_round_mode_16_64 0
		.amdhsa_float_denorm_mode_32 3
		.amdhsa_float_denorm_mode_16_64 3
		.amdhsa_dx10_clamp 1
		.amdhsa_ieee_mode 1
		.amdhsa_fp16_overflow 0
		.amdhsa_workgroup_processor_mode 1
		.amdhsa_memory_ordered 1
		.amdhsa_forward_progress 1
		.amdhsa_shared_vgpr_count 0
		.amdhsa_exception_fp_ieee_invalid_op 0
		.amdhsa_exception_fp_denorm_src 0
		.amdhsa_exception_fp_ieee_div_zero 0
		.amdhsa_exception_fp_ieee_overflow 0
		.amdhsa_exception_fp_ieee_underflow 0
		.amdhsa_exception_fp_ieee_inexact 0
		.amdhsa_exception_int_div_zero 0
	.end_amdhsa_kernel
	.section	.text._ZL32rocblas_gemvt_warp_reduce_kernelILb1ELi1024El16rocblas_bfloat16ffEviiT3_lPKT2_lT1_lS4_lS5_lS1_lPT4_lS5_li,"axG",@progbits,_ZL32rocblas_gemvt_warp_reduce_kernelILb1ELi1024El16rocblas_bfloat16ffEviiT3_lPKT2_lT1_lS4_lS5_lS1_lPT4_lS5_li,comdat
.Lfunc_end661:
	.size	_ZL32rocblas_gemvt_warp_reduce_kernelILb1ELi1024El16rocblas_bfloat16ffEviiT3_lPKT2_lT1_lS4_lS5_lS1_lPT4_lS5_li, .Lfunc_end661-_ZL32rocblas_gemvt_warp_reduce_kernelILb1ELi1024El16rocblas_bfloat16ffEviiT3_lPKT2_lT1_lS4_lS5_lS1_lPT4_lS5_li
                                        ; -- End function
	.set _ZL32rocblas_gemvt_warp_reduce_kernelILb1ELi1024El16rocblas_bfloat16ffEviiT3_lPKT2_lT1_lS4_lS5_lS1_lPT4_lS5_li.num_vgpr, 12
	.set _ZL32rocblas_gemvt_warp_reduce_kernelILb1ELi1024El16rocblas_bfloat16ffEviiT3_lPKT2_lT1_lS4_lS5_lS1_lPT4_lS5_li.num_agpr, 0
	.set _ZL32rocblas_gemvt_warp_reduce_kernelILb1ELi1024El16rocblas_bfloat16ffEviiT3_lPKT2_lT1_lS4_lS5_lS1_lPT4_lS5_li.numbered_sgpr, 36
	.set _ZL32rocblas_gemvt_warp_reduce_kernelILb1ELi1024El16rocblas_bfloat16ffEviiT3_lPKT2_lT1_lS4_lS5_lS1_lPT4_lS5_li.num_named_barrier, 0
	.set _ZL32rocblas_gemvt_warp_reduce_kernelILb1ELi1024El16rocblas_bfloat16ffEviiT3_lPKT2_lT1_lS4_lS5_lS1_lPT4_lS5_li.private_seg_size, 0
	.set _ZL32rocblas_gemvt_warp_reduce_kernelILb1ELi1024El16rocblas_bfloat16ffEviiT3_lPKT2_lT1_lS4_lS5_lS1_lPT4_lS5_li.uses_vcc, 1
	.set _ZL32rocblas_gemvt_warp_reduce_kernelILb1ELi1024El16rocblas_bfloat16ffEviiT3_lPKT2_lT1_lS4_lS5_lS1_lPT4_lS5_li.uses_flat_scratch, 0
	.set _ZL32rocblas_gemvt_warp_reduce_kernelILb1ELi1024El16rocblas_bfloat16ffEviiT3_lPKT2_lT1_lS4_lS5_lS1_lPT4_lS5_li.has_dyn_sized_stack, 0
	.set _ZL32rocblas_gemvt_warp_reduce_kernelILb1ELi1024El16rocblas_bfloat16ffEviiT3_lPKT2_lT1_lS4_lS5_lS1_lPT4_lS5_li.has_recursion, 0
	.set _ZL32rocblas_gemvt_warp_reduce_kernelILb1ELi1024El16rocblas_bfloat16ffEviiT3_lPKT2_lT1_lS4_lS5_lS1_lPT4_lS5_li.has_indirect_call, 0
	.section	.AMDGPU.csdata,"",@progbits
; Kernel info:
; codeLenInByte = 1572
; TotalNumSgprs: 38
; NumVgprs: 12
; ScratchSize: 0
; MemoryBound: 0
; FloatMode: 240
; IeeeMode: 1
; LDSByteSize: 128 bytes/workgroup (compile time only)
; SGPRBlocks: 0
; VGPRBlocks: 1
; NumSGPRsForWavesPerEU: 38
; NumVGPRsForWavesPerEU: 12
; Occupancy: 16
; WaveLimiterHint : 1
; COMPUTE_PGM_RSRC2:SCRATCH_EN: 0
; COMPUTE_PGM_RSRC2:USER_SGPR: 6
; COMPUTE_PGM_RSRC2:TRAP_HANDLER: 0
; COMPUTE_PGM_RSRC2:TGID_X_EN: 1
; COMPUTE_PGM_RSRC2:TGID_Y_EN: 0
; COMPUTE_PGM_RSRC2:TGID_Z_EN: 1
; COMPUTE_PGM_RSRC2:TIDIG_COMP_CNT: 0
	.section	.text._ZL34rocblas_gemvn_sm_mn_batched_kernelILi32ELi24EPK16rocblas_bfloat16PKfKPfEviiT2_lPKT1_lilSA_lilS7_lPT3_lili,"axG",@progbits,_ZL34rocblas_gemvn_sm_mn_batched_kernelILi32ELi24EPK16rocblas_bfloat16PKfKPfEviiT2_lPKT1_lilSA_lilS7_lPT3_lili,comdat
	.globl	_ZL34rocblas_gemvn_sm_mn_batched_kernelILi32ELi24EPK16rocblas_bfloat16PKfKPfEviiT2_lPKT1_lilSA_lilS7_lPT3_lili ; -- Begin function _ZL34rocblas_gemvn_sm_mn_batched_kernelILi32ELi24EPK16rocblas_bfloat16PKfKPfEviiT2_lPKT1_lilSA_lilS7_lPT3_lili
	.p2align	8
	.type	_ZL34rocblas_gemvn_sm_mn_batched_kernelILi32ELi24EPK16rocblas_bfloat16PKfKPfEviiT2_lPKT1_lilSA_lilS7_lPT3_lili,@function
_ZL34rocblas_gemvn_sm_mn_batched_kernelILi32ELi24EPK16rocblas_bfloat16PKfKPfEviiT2_lPKT1_lilSA_lilS7_lPT3_lili: ; @_ZL34rocblas_gemvn_sm_mn_batched_kernelILi32ELi24EPK16rocblas_bfloat16PKfKPfEviiT2_lPKT1_lilSA_lilS7_lPT3_lili
; %bb.0:
	s_endpgm
	.section	.rodata,"a",@progbits
	.p2align	6, 0x0
	.amdhsa_kernel _ZL34rocblas_gemvn_sm_mn_batched_kernelILi32ELi24EPK16rocblas_bfloat16PKfKPfEviiT2_lPKT1_lilSA_lilS7_lPT3_lili
		.amdhsa_group_segment_fixed_size 0
		.amdhsa_private_segment_fixed_size 0
		.amdhsa_kernarg_size 140
		.amdhsa_user_sgpr_count 6
		.amdhsa_user_sgpr_private_segment_buffer 1
		.amdhsa_user_sgpr_dispatch_ptr 0
		.amdhsa_user_sgpr_queue_ptr 0
		.amdhsa_user_sgpr_kernarg_segment_ptr 1
		.amdhsa_user_sgpr_dispatch_id 0
		.amdhsa_user_sgpr_flat_scratch_init 0
		.amdhsa_user_sgpr_private_segment_size 0
		.amdhsa_wavefront_size32 1
		.amdhsa_uses_dynamic_stack 0
		.amdhsa_system_sgpr_private_segment_wavefront_offset 0
		.amdhsa_system_sgpr_workgroup_id_x 1
		.amdhsa_system_sgpr_workgroup_id_y 0
		.amdhsa_system_sgpr_workgroup_id_z 0
		.amdhsa_system_sgpr_workgroup_info 0
		.amdhsa_system_vgpr_workitem_id 0
		.amdhsa_next_free_vgpr 1
		.amdhsa_next_free_sgpr 1
		.amdhsa_reserve_vcc 0
		.amdhsa_reserve_flat_scratch 0
		.amdhsa_float_round_mode_32 0
		.amdhsa_float_round_mode_16_64 0
		.amdhsa_float_denorm_mode_32 3
		.amdhsa_float_denorm_mode_16_64 3
		.amdhsa_dx10_clamp 1
		.amdhsa_ieee_mode 1
		.amdhsa_fp16_overflow 0
		.amdhsa_workgroup_processor_mode 1
		.amdhsa_memory_ordered 1
		.amdhsa_forward_progress 1
		.amdhsa_shared_vgpr_count 0
		.amdhsa_exception_fp_ieee_invalid_op 0
		.amdhsa_exception_fp_denorm_src 0
		.amdhsa_exception_fp_ieee_div_zero 0
		.amdhsa_exception_fp_ieee_overflow 0
		.amdhsa_exception_fp_ieee_underflow 0
		.amdhsa_exception_fp_ieee_inexact 0
		.amdhsa_exception_int_div_zero 0
	.end_amdhsa_kernel
	.section	.text._ZL34rocblas_gemvn_sm_mn_batched_kernelILi32ELi24EPK16rocblas_bfloat16PKfKPfEviiT2_lPKT1_lilSA_lilS7_lPT3_lili,"axG",@progbits,_ZL34rocblas_gemvn_sm_mn_batched_kernelILi32ELi24EPK16rocblas_bfloat16PKfKPfEviiT2_lPKT1_lilSA_lilS7_lPT3_lili,comdat
.Lfunc_end662:
	.size	_ZL34rocblas_gemvn_sm_mn_batched_kernelILi32ELi24EPK16rocblas_bfloat16PKfKPfEviiT2_lPKT1_lilSA_lilS7_lPT3_lili, .Lfunc_end662-_ZL34rocblas_gemvn_sm_mn_batched_kernelILi32ELi24EPK16rocblas_bfloat16PKfKPfEviiT2_lPKT1_lilSA_lilS7_lPT3_lili
                                        ; -- End function
	.set _ZL34rocblas_gemvn_sm_mn_batched_kernelILi32ELi24EPK16rocblas_bfloat16PKfKPfEviiT2_lPKT1_lilSA_lilS7_lPT3_lili.num_vgpr, 0
	.set _ZL34rocblas_gemvn_sm_mn_batched_kernelILi32ELi24EPK16rocblas_bfloat16PKfKPfEviiT2_lPKT1_lilSA_lilS7_lPT3_lili.num_agpr, 0
	.set _ZL34rocblas_gemvn_sm_mn_batched_kernelILi32ELi24EPK16rocblas_bfloat16PKfKPfEviiT2_lPKT1_lilSA_lilS7_lPT3_lili.numbered_sgpr, 0
	.set _ZL34rocblas_gemvn_sm_mn_batched_kernelILi32ELi24EPK16rocblas_bfloat16PKfKPfEviiT2_lPKT1_lilSA_lilS7_lPT3_lili.num_named_barrier, 0
	.set _ZL34rocblas_gemvn_sm_mn_batched_kernelILi32ELi24EPK16rocblas_bfloat16PKfKPfEviiT2_lPKT1_lilSA_lilS7_lPT3_lili.private_seg_size, 0
	.set _ZL34rocblas_gemvn_sm_mn_batched_kernelILi32ELi24EPK16rocblas_bfloat16PKfKPfEviiT2_lPKT1_lilSA_lilS7_lPT3_lili.uses_vcc, 0
	.set _ZL34rocblas_gemvn_sm_mn_batched_kernelILi32ELi24EPK16rocblas_bfloat16PKfKPfEviiT2_lPKT1_lilSA_lilS7_lPT3_lili.uses_flat_scratch, 0
	.set _ZL34rocblas_gemvn_sm_mn_batched_kernelILi32ELi24EPK16rocblas_bfloat16PKfKPfEviiT2_lPKT1_lilSA_lilS7_lPT3_lili.has_dyn_sized_stack, 0
	.set _ZL34rocblas_gemvn_sm_mn_batched_kernelILi32ELi24EPK16rocblas_bfloat16PKfKPfEviiT2_lPKT1_lilSA_lilS7_lPT3_lili.has_recursion, 0
	.set _ZL34rocblas_gemvn_sm_mn_batched_kernelILi32ELi24EPK16rocblas_bfloat16PKfKPfEviiT2_lPKT1_lilSA_lilS7_lPT3_lili.has_indirect_call, 0
	.section	.AMDGPU.csdata,"",@progbits
; Kernel info:
; codeLenInByte = 4
; TotalNumSgprs: 0
; NumVgprs: 0
; ScratchSize: 0
; MemoryBound: 0
; FloatMode: 240
; IeeeMode: 1
; LDSByteSize: 0 bytes/workgroup (compile time only)
; SGPRBlocks: 0
; VGPRBlocks: 0
; NumSGPRsForWavesPerEU: 1
; NumVGPRsForWavesPerEU: 1
; Occupancy: 16
; WaveLimiterHint : 0
; COMPUTE_PGM_RSRC2:SCRATCH_EN: 0
; COMPUTE_PGM_RSRC2:USER_SGPR: 6
; COMPUTE_PGM_RSRC2:TRAP_HANDLER: 0
; COMPUTE_PGM_RSRC2:TGID_X_EN: 1
; COMPUTE_PGM_RSRC2:TGID_Y_EN: 0
; COMPUTE_PGM_RSRC2:TGID_Z_EN: 0
; COMPUTE_PGM_RSRC2:TIDIG_COMP_CNT: 0
	.section	.text._ZL34rocblas_gemvn_sm_mn_batched_kernelILi32ELi24EPK16rocblas_bfloat16fKPfEviiT2_lPKT1_lilS8_lilS5_lPT3_lili,"axG",@progbits,_ZL34rocblas_gemvn_sm_mn_batched_kernelILi32ELi24EPK16rocblas_bfloat16fKPfEviiT2_lPKT1_lilS8_lilS5_lPT3_lili,comdat
	.globl	_ZL34rocblas_gemvn_sm_mn_batched_kernelILi32ELi24EPK16rocblas_bfloat16fKPfEviiT2_lPKT1_lilS8_lilS5_lPT3_lili ; -- Begin function _ZL34rocblas_gemvn_sm_mn_batched_kernelILi32ELi24EPK16rocblas_bfloat16fKPfEviiT2_lPKT1_lilS8_lilS5_lPT3_lili
	.p2align	8
	.type	_ZL34rocblas_gemvn_sm_mn_batched_kernelILi32ELi24EPK16rocblas_bfloat16fKPfEviiT2_lPKT1_lilS8_lilS5_lPT3_lili,@function
_ZL34rocblas_gemvn_sm_mn_batched_kernelILi32ELi24EPK16rocblas_bfloat16fKPfEviiT2_lPKT1_lilS8_lilS5_lPT3_lili: ; @_ZL34rocblas_gemvn_sm_mn_batched_kernelILi32ELi24EPK16rocblas_bfloat16fKPfEviiT2_lPKT1_lilS8_lilS5_lPT3_lili
; %bb.0:
	s_endpgm
	.section	.rodata,"a",@progbits
	.p2align	6, 0x0
	.amdhsa_kernel _ZL34rocblas_gemvn_sm_mn_batched_kernelILi32ELi24EPK16rocblas_bfloat16fKPfEviiT2_lPKT1_lilS8_lilS5_lPT3_lili
		.amdhsa_group_segment_fixed_size 0
		.amdhsa_private_segment_fixed_size 0
		.amdhsa_kernarg_size 140
		.amdhsa_user_sgpr_count 6
		.amdhsa_user_sgpr_private_segment_buffer 1
		.amdhsa_user_sgpr_dispatch_ptr 0
		.amdhsa_user_sgpr_queue_ptr 0
		.amdhsa_user_sgpr_kernarg_segment_ptr 1
		.amdhsa_user_sgpr_dispatch_id 0
		.amdhsa_user_sgpr_flat_scratch_init 0
		.amdhsa_user_sgpr_private_segment_size 0
		.amdhsa_wavefront_size32 1
		.amdhsa_uses_dynamic_stack 0
		.amdhsa_system_sgpr_private_segment_wavefront_offset 0
		.amdhsa_system_sgpr_workgroup_id_x 1
		.amdhsa_system_sgpr_workgroup_id_y 0
		.amdhsa_system_sgpr_workgroup_id_z 0
		.amdhsa_system_sgpr_workgroup_info 0
		.amdhsa_system_vgpr_workitem_id 0
		.amdhsa_next_free_vgpr 1
		.amdhsa_next_free_sgpr 1
		.amdhsa_reserve_vcc 0
		.amdhsa_reserve_flat_scratch 0
		.amdhsa_float_round_mode_32 0
		.amdhsa_float_round_mode_16_64 0
		.amdhsa_float_denorm_mode_32 3
		.amdhsa_float_denorm_mode_16_64 3
		.amdhsa_dx10_clamp 1
		.amdhsa_ieee_mode 1
		.amdhsa_fp16_overflow 0
		.amdhsa_workgroup_processor_mode 1
		.amdhsa_memory_ordered 1
		.amdhsa_forward_progress 1
		.amdhsa_shared_vgpr_count 0
		.amdhsa_exception_fp_ieee_invalid_op 0
		.amdhsa_exception_fp_denorm_src 0
		.amdhsa_exception_fp_ieee_div_zero 0
		.amdhsa_exception_fp_ieee_overflow 0
		.amdhsa_exception_fp_ieee_underflow 0
		.amdhsa_exception_fp_ieee_inexact 0
		.amdhsa_exception_int_div_zero 0
	.end_amdhsa_kernel
	.section	.text._ZL34rocblas_gemvn_sm_mn_batched_kernelILi32ELi24EPK16rocblas_bfloat16fKPfEviiT2_lPKT1_lilS8_lilS5_lPT3_lili,"axG",@progbits,_ZL34rocblas_gemvn_sm_mn_batched_kernelILi32ELi24EPK16rocblas_bfloat16fKPfEviiT2_lPKT1_lilS8_lilS5_lPT3_lili,comdat
.Lfunc_end663:
	.size	_ZL34rocblas_gemvn_sm_mn_batched_kernelILi32ELi24EPK16rocblas_bfloat16fKPfEviiT2_lPKT1_lilS8_lilS5_lPT3_lili, .Lfunc_end663-_ZL34rocblas_gemvn_sm_mn_batched_kernelILi32ELi24EPK16rocblas_bfloat16fKPfEviiT2_lPKT1_lilS8_lilS5_lPT3_lili
                                        ; -- End function
	.set _ZL34rocblas_gemvn_sm_mn_batched_kernelILi32ELi24EPK16rocblas_bfloat16fKPfEviiT2_lPKT1_lilS8_lilS5_lPT3_lili.num_vgpr, 0
	.set _ZL34rocblas_gemvn_sm_mn_batched_kernelILi32ELi24EPK16rocblas_bfloat16fKPfEviiT2_lPKT1_lilS8_lilS5_lPT3_lili.num_agpr, 0
	.set _ZL34rocblas_gemvn_sm_mn_batched_kernelILi32ELi24EPK16rocblas_bfloat16fKPfEviiT2_lPKT1_lilS8_lilS5_lPT3_lili.numbered_sgpr, 0
	.set _ZL34rocblas_gemvn_sm_mn_batched_kernelILi32ELi24EPK16rocblas_bfloat16fKPfEviiT2_lPKT1_lilS8_lilS5_lPT3_lili.num_named_barrier, 0
	.set _ZL34rocblas_gemvn_sm_mn_batched_kernelILi32ELi24EPK16rocblas_bfloat16fKPfEviiT2_lPKT1_lilS8_lilS5_lPT3_lili.private_seg_size, 0
	.set _ZL34rocblas_gemvn_sm_mn_batched_kernelILi32ELi24EPK16rocblas_bfloat16fKPfEviiT2_lPKT1_lilS8_lilS5_lPT3_lili.uses_vcc, 0
	.set _ZL34rocblas_gemvn_sm_mn_batched_kernelILi32ELi24EPK16rocblas_bfloat16fKPfEviiT2_lPKT1_lilS8_lilS5_lPT3_lili.uses_flat_scratch, 0
	.set _ZL34rocblas_gemvn_sm_mn_batched_kernelILi32ELi24EPK16rocblas_bfloat16fKPfEviiT2_lPKT1_lilS8_lilS5_lPT3_lili.has_dyn_sized_stack, 0
	.set _ZL34rocblas_gemvn_sm_mn_batched_kernelILi32ELi24EPK16rocblas_bfloat16fKPfEviiT2_lPKT1_lilS8_lilS5_lPT3_lili.has_recursion, 0
	.set _ZL34rocblas_gemvn_sm_mn_batched_kernelILi32ELi24EPK16rocblas_bfloat16fKPfEviiT2_lPKT1_lilS8_lilS5_lPT3_lili.has_indirect_call, 0
	.section	.AMDGPU.csdata,"",@progbits
; Kernel info:
; codeLenInByte = 4
; TotalNumSgprs: 0
; NumVgprs: 0
; ScratchSize: 0
; MemoryBound: 0
; FloatMode: 240
; IeeeMode: 1
; LDSByteSize: 0 bytes/workgroup (compile time only)
; SGPRBlocks: 0
; VGPRBlocks: 0
; NumSGPRsForWavesPerEU: 1
; NumVGPRsForWavesPerEU: 1
; Occupancy: 16
; WaveLimiterHint : 0
; COMPUTE_PGM_RSRC2:SCRATCH_EN: 0
; COMPUTE_PGM_RSRC2:USER_SGPR: 6
; COMPUTE_PGM_RSRC2:TRAP_HANDLER: 0
; COMPUTE_PGM_RSRC2:TGID_X_EN: 1
; COMPUTE_PGM_RSRC2:TGID_Y_EN: 0
; COMPUTE_PGM_RSRC2:TGID_Z_EN: 0
; COMPUTE_PGM_RSRC2:TIDIG_COMP_CNT: 0
	.section	.text._ZL20rocblas_gemvn_kernelILi64ELi4EiPK16rocblas_bfloat16PKfKPfEviiT3_lPKT2_lT1_lSA_lSB_lS7_lPT4_lSB_li,"axG",@progbits,_ZL20rocblas_gemvn_kernelILi64ELi4EiPK16rocblas_bfloat16PKfKPfEviiT3_lPKT2_lT1_lSA_lSB_lS7_lPT4_lSB_li,comdat
	.globl	_ZL20rocblas_gemvn_kernelILi64ELi4EiPK16rocblas_bfloat16PKfKPfEviiT3_lPKT2_lT1_lSA_lSB_lS7_lPT4_lSB_li ; -- Begin function _ZL20rocblas_gemvn_kernelILi64ELi4EiPK16rocblas_bfloat16PKfKPfEviiT3_lPKT2_lT1_lSA_lSB_lS7_lPT4_lSB_li
	.p2align	8
	.type	_ZL20rocblas_gemvn_kernelILi64ELi4EiPK16rocblas_bfloat16PKfKPfEviiT3_lPKT2_lT1_lSA_lSB_lS7_lPT4_lSB_li,@function
_ZL20rocblas_gemvn_kernelILi64ELi4EiPK16rocblas_bfloat16PKfKPfEviiT3_lPKT2_lT1_lSA_lSB_lS7_lPT4_lSB_li: ; @_ZL20rocblas_gemvn_kernelILi64ELi4EiPK16rocblas_bfloat16PKfKPfEviiT3_lPKT2_lT1_lSA_lSB_lS7_lPT4_lSB_li
; %bb.0:
	s_load_dwordx2 s[2:3], s[4:5], 0x9c
	s_waitcnt lgkmcnt(0)
	s_lshr_b32 s1, s2, 16
	s_and_b32 s2, s2, 0xffff
	s_and_b32 s3, s3, 0xffff
	s_mul_i32 s1, s1, s2
	s_mul_i32 s1, s1, s3
	s_cmpk_lg_i32 s1, 0x100
	s_cbranch_scc1 .LBB664_54
; %bb.1:
	s_clause 0x1
	s_load_dwordx8 s[16:23], s[4:5], 0x8
	s_load_dwordx8 s[8:15], s[4:5], 0x58
	s_mov_b32 s0, s7
	s_waitcnt lgkmcnt(0)
	s_mul_i32 s1, s19, s7
	s_mul_hi_u32 s3, s18, s7
	s_mul_i32 s2, s18, s7
	s_add_i32 s3, s3, s1
	s_mul_i32 s1, s11, s7
	s_lshl_b64 s[2:3], s[2:3], 2
	s_mul_hi_u32 s7, s10, s7
	s_add_u32 s2, s16, s2
	s_addc_u32 s3, s17, s3
	s_add_i32 s11, s7, s1
	s_mul_i32 s10, s10, s0
	s_lshl_b64 s[10:11], s[10:11], 2
	s_add_u32 s8, s8, s10
	s_addc_u32 s9, s9, s11
	s_load_dword s18, s[2:3], 0x0
	s_load_dword s7, s[8:9], 0x0
	s_waitcnt lgkmcnt(0)
	v_cmp_eq_f32_e64 s2, s18, 0
	v_cmp_eq_f32_e64 s1, s7, 1.0
	s_and_b32 s1, s2, s1
	s_and_b32 vcc_lo, exec_lo, s1
	s_mov_b32 s1, 0
	s_cbranch_vccnz .LBB664_54
; %bb.2:
	v_cmp_neq_f32_e64 s3, s18, 0
	s_mov_b64 s[16:17], 0
	s_and_b32 vcc_lo, exec_lo, s2
	s_mov_b64 s[10:11], 0
	s_cbranch_vccnz .LBB664_4
; %bb.3:
	s_lshl_b64 s[8:9], s[0:1], 3
	s_add_u32 s8, s20, s8
	s_addc_u32 s9, s21, s9
	s_lshl_b64 s[10:11], s[22:23], 1
	s_load_dwordx2 s[8:9], s[8:9], 0x0
	s_waitcnt lgkmcnt(0)
	s_add_u32 s10, s8, s10
	s_addc_u32 s11, s9, s11
.LBB664_4:
	s_andn2_b32 vcc_lo, exec_lo, s3
	s_cbranch_vccnz .LBB664_6
; %bb.5:
	s_load_dwordx4 s[20:23], s[4:5], 0x38
	s_lshl_b64 s[8:9], s[0:1], 3
	s_waitcnt lgkmcnt(0)
	s_add_u32 s8, s20, s8
	s_addc_u32 s9, s21, s9
	s_lshl_b64 s[16:17], s[22:23], 1
	s_load_dwordx2 s[8:9], s[8:9], 0x0
	s_waitcnt lgkmcnt(0)
	s_add_u32 s16, s8, s16
	s_addc_u32 s17, s9, s17
.LBB664_6:
	s_lshl_b64 s[0:1], s[0:1], 3
	v_lshlrev_b32_e32 v14, 6, v1
	s_add_u32 s0, s12, s0
	s_addc_u32 s1, s13, s1
	s_lshl_b64 s[14:15], s[14:15], 2
	s_load_dwordx2 s[12:13], s[0:1], 0x0
	s_clause 0x1
	s_load_dwordx2 s[8:9], s[4:5], 0x0
	s_load_dword s19, s[4:5], 0x78
	v_add_nc_u32_e32 v13, v14, v0
	v_cmp_gt_u32_e64 s0, 0x100, v13
	s_waitcnt lgkmcnt(0)
	s_add_u32 s12, s12, s14
	s_addc_u32 s13, s13, s15
	s_andn2_b32 vcc_lo, exec_lo, s2
	s_cbranch_vccnz .LBB664_13
; %bb.7:
	s_mov_b32 s1, 0
	s_mov_b32 s14, 0
                                        ; implicit-def: $vgpr3
                                        ; implicit-def: $vgpr4_vgpr5
	s_and_saveexec_b32 s2, s0
	s_cbranch_execz .LBB664_14
; %bb.8:
	v_lshl_or_b32 v2, s6, 8, v13
	v_mov_b32_e32 v3, 0
	s_ashr_i32 s15, s8, 31
	s_mov_b32 s14, s8
	s_mov_b32 s3, 0
	s_mov_b32 s0, exec_lo
                                        ; implicit-def: $vgpr4_vgpr5
	v_cmpx_gt_i64_e64 s[14:15], v[2:3]
	s_cbranch_execz .LBB664_12
; %bb.9:
	v_mad_u64_u32 v[4:5], null, s19, v2, 0
	s_ashr_i32 s3, s19, 31
	v_mad_u64_u32 v[5:6], null, s3, v2, v[5:6]
	v_cmp_eq_f32_e64 s3, s7, 0
	s_and_b32 vcc_lo, exec_lo, s3
	s_cbranch_vccnz .LBB664_11
; %bb.10:
	v_lshlrev_b64 v[2:3], 2, v[4:5]
	v_add_co_u32 v2, vcc_lo, s12, v2
	v_add_co_ci_u32_e64 v3, null, s13, v3, vcc_lo
	flat_load_dword v2, v[2:3]
	s_waitcnt vmcnt(0) lgkmcnt(0)
	v_mul_f32_e32 v3, s7, v2
.LBB664_11:
	s_mov_b32 s3, exec_lo
.LBB664_12:
	s_or_b32 exec_lo, exec_lo, s0
	s_and_b32 s14, s3, exec_lo
	s_or_b32 exec_lo, exec_lo, s2
	s_and_b32 vcc_lo, exec_lo, s1
	s_cbranch_vccnz .LBB664_15
	s_branch .LBB664_52
.LBB664_13:
	s_mov_b32 s14, 0
                                        ; implicit-def: $vgpr3
                                        ; implicit-def: $vgpr4_vgpr5
	s_cbranch_execnz .LBB664_15
	s_branch .LBB664_52
.LBB664_14:
	s_or_b32 exec_lo, exec_lo, s2
	s_and_b32 vcc_lo, exec_lo, s1
	s_cbranch_vccz .LBB664_52
.LBB664_15:
	s_clause 0x1
	s_load_dword s15, s[4:5], 0x28
	s_load_dword s4, s[4:5], 0x48
	s_ashr_i32 s0, s9, 31
	s_lshl_b32 s5, s6, 8
	s_lshr_b32 s0, s0, 28
	v_lshlrev_b32_e32 v20, 2, v1
	v_or_b32_e32 v19, s5, v0
	v_mov_b32_e32 v15, 0
	v_mov_b32_e32 v16, 0
	;; [unrolled: 1-line block ×4, first 2 shown]
	s_add_i32 s0, s9, s0
	s_mov_b32 s20, exec_lo
	s_and_b32 s6, s0, -16
	v_cmpx_gt_i32_e64 s6, v20
	s_cbranch_execz .LBB664_27
; %bb.16:
	v_add_nc_u32_e32 v5, 0xc0, v19
	s_waitcnt lgkmcnt(0)
	v_mul_lo_u32 v3, s15, v20
	v_add_nc_u32_e32 v2, 64, v19
	v_add_nc_u32_e32 v6, 2, v20
	;; [unrolled: 1-line block ×3, first 2 shown]
	v_cmp_gt_i32_e64 s2, s8, v5
	v_mul_lo_u32 v5, v1, s15
	v_add_nc_u32_e32 v7, 3, v20
	v_mul_lo_u32 v8, v1, s4
	v_cmp_gt_i32_e64 s0, s8, v2
	v_add3_u32 v21, v3, s15, v0
	v_mad_u64_u32 v[2:3], null, s15, v6, v[0:1]
	v_cmp_gt_i32_e64 s1, s8, v4
	v_mad_u64_u32 v[3:4], null, s15, v7, v[0:1]
	v_lshl_add_u32 v22, v5, 2, v0
	v_mad_u64_u32 v[4:5], null, s4, v20, s[4:5]
	v_mul_lo_u32 v23, s4, v6
	v_mul_lo_u32 v24, s4, v7
	v_lshlrev_b32_e32 v25, 2, v8
	v_mov_b32_e32 v15, 0
	v_mov_b32_e32 v16, 0
	;; [unrolled: 1-line block ×4, first 2 shown]
	s_lshl_b32 s21, s15, 4
	s_lshl_b32 s23, s4, 4
	s_mov_b32 s22, 0
	s_mov_b32 s24, 0
	v_cmp_gt_i32_e32 vcc_lo, s8, v19
	s_branch .LBB664_21
.LBB664_17:                             ;   in Loop: Header=BB664_21 Depth=1
	s_or_b32 exec_lo, exec_lo, s27
	s_waitcnt vmcnt(3) lgkmcnt(3)
	v_lshlrev_b32_e32 v5, 16, v41
	s_waitcnt vmcnt(2) lgkmcnt(2)
	v_lshlrev_b32_e32 v6, 16, v40
	v_fmac_f32_e32 v17, v33, v5
	s_waitcnt vmcnt(1) lgkmcnt(1)
	v_lshlrev_b32_e32 v5, 16, v39
	v_fmac_f32_e32 v17, v29, v6
	v_fmac_f32_e32 v17, v31, v5
	s_waitcnt vmcnt(0) lgkmcnt(0)
	v_lshlrev_b32_e32 v5, 16, v38
	v_fmac_f32_e32 v17, v27, v5
.LBB664_18:                             ;   in Loop: Header=BB664_21 Depth=1
	s_or_b32 exec_lo, exec_lo, s26
	s_waitcnt vmcnt(3) lgkmcnt(3)
	v_lshlrev_b32_e32 v5, 16, v37
	s_waitcnt vmcnt(2) lgkmcnt(2)
	v_lshlrev_b32_e32 v6, 16, v36
	v_fmac_f32_e32 v16, v33, v5
	s_waitcnt vmcnt(1) lgkmcnt(1)
	v_lshlrev_b32_e32 v5, 16, v35
	v_fmac_f32_e32 v16, v29, v6
	v_fmac_f32_e32 v16, v31, v5
	s_waitcnt vmcnt(0) lgkmcnt(0)
	v_lshlrev_b32_e32 v5, 16, v34
	v_fmac_f32_e32 v16, v27, v5
.LBB664_19:                             ;   in Loop: Header=BB664_21 Depth=1
	s_or_b32 exec_lo, exec_lo, s3
	s_waitcnt vmcnt(3) lgkmcnt(3)
	v_lshlrev_b32_e32 v5, 16, v32
	s_waitcnt vmcnt(2) lgkmcnt(2)
	v_lshlrev_b32_e32 v6, 16, v30
	v_fmac_f32_e32 v15, v33, v5
	s_waitcnt vmcnt(1) lgkmcnt(1)
	v_lshlrev_b32_e32 v5, 16, v28
	v_fmac_f32_e32 v15, v29, v6
	v_fmac_f32_e32 v15, v31, v5
	s_waitcnt vmcnt(0) lgkmcnt(0)
	v_lshlrev_b32_e32 v5, 16, v26
	v_fmac_f32_e32 v15, v27, v5
.LBB664_20:                             ;   in Loop: Header=BB664_21 Depth=1
	s_or_b32 exec_lo, exec_lo, s25
	v_add_nc_u32_e32 v20, 16, v20
	v_add_nc_u32_e32 v21, s21, v21
	;; [unrolled: 1-line block ×5, first 2 shown]
	v_cmp_le_i32_e64 s3, s6, v20
	s_add_i32 s24, s24, s23
	s_or_b32 s22, s3, s22
	s_andn2_b32 exec_lo, exec_lo, s22
	s_cbranch_execz .LBB664_26
.LBB664_21:                             ; =>This Inner Loop Header: Depth=1
	s_and_saveexec_b32 s25, vcc_lo
	s_cbranch_execz .LBB664_20
; %bb.22:                               ;   in Loop: Header=BB664_21 Depth=1
	v_add_nc_u32_e32 v5, s24, v25
	v_add_nc_u32_e32 v7, s24, v4
	;; [unrolled: 1-line block ×5, first 2 shown]
	v_ashrrev_i32_e32 v6, 31, v5
	v_ashrrev_i32_e32 v8, 31, v7
	;; [unrolled: 1-line block ×5, first 2 shown]
	v_lshlrev_b64 v[5:6], 1, v[5:6]
	v_lshlrev_b64 v[7:8], 1, v[7:8]
	;; [unrolled: 1-line block ×4, first 2 shown]
	v_add_nc_u32_e32 v28, s5, v21
	v_add_nc_u32_e32 v30, s5, v2
	v_add_co_u32 v5, s3, s16, v5
	v_add_co_ci_u32_e64 v6, null, s17, v6, s3
	v_add_co_u32 v7, s3, s16, v7
	v_add_co_ci_u32_e64 v8, null, s17, v8, s3
	;; [unrolled: 2-line block ×4, first 2 shown]
	v_lshlrev_b64 v[26:27], 1, v[26:27]
	s_clause 0x3
	flat_load_ushort v33, v[5:6]
	flat_load_ushort v34, v[7:8]
	;; [unrolled: 1-line block ×4, first 2 shown]
	v_add_nc_u32_e32 v9, s5, v3
	v_ashrrev_i32_e32 v29, 31, v28
	v_ashrrev_i32_e32 v31, 31, v30
	v_add_co_u32 v5, s3, s10, v26
	v_ashrrev_i32_e32 v10, 31, v9
	v_lshlrev_b64 v[7:8], 1, v[28:29]
	v_add_co_ci_u32_e64 v6, null, s11, v27, s3
	v_lshlrev_b64 v[26:27], 1, v[30:31]
	v_lshlrev_b64 v[9:10], 1, v[9:10]
	v_add_co_u32 v11, s3, s10, v7
	v_add_co_ci_u32_e64 v12, null, s11, v8, s3
	v_add_co_u32 v7, s3, s10, v26
	v_add_co_ci_u32_e64 v8, null, s11, v27, s3
	v_add_co_u32 v9, s3, s10, v9
	v_add_co_ci_u32_e64 v10, null, s11, v10, s3
	s_clause 0x3
	flat_load_ushort v32, v[5:6]
	flat_load_ushort v30, v[11:12]
	;; [unrolled: 1-line block ×4, first 2 shown]
	s_waitcnt vmcnt(7) lgkmcnt(7)
	v_lshlrev_b32_e32 v33, 16, v33
	s_waitcnt vmcnt(6) lgkmcnt(6)
	v_lshlrev_b32_e32 v29, 16, v34
	s_waitcnt vmcnt(5) lgkmcnt(5)
	v_lshlrev_b32_e32 v31, 16, v35
	s_waitcnt vmcnt(4) lgkmcnt(4)
	v_lshlrev_b32_e32 v27, 16, v36
	s_and_saveexec_b32 s3, s0
	s_cbranch_execz .LBB664_19
; %bb.23:                               ;   in Loop: Header=BB664_21 Depth=1
	s_clause 0x3
	flat_load_ushort v37, v[5:6] offset:128
	flat_load_ushort v36, v[11:12] offset:128
	flat_load_ushort v35, v[7:8] offset:128
	flat_load_ushort v34, v[9:10] offset:128
	s_and_saveexec_b32 s26, s1
	s_cbranch_execz .LBB664_18
; %bb.24:                               ;   in Loop: Header=BB664_21 Depth=1
	s_clause 0x3
	flat_load_ushort v41, v[5:6] offset:256
	flat_load_ushort v40, v[11:12] offset:256
	flat_load_ushort v39, v[7:8] offset:256
	flat_load_ushort v38, v[9:10] offset:256
	;; [unrolled: 8-line block ×3, first 2 shown]
	s_waitcnt vmcnt(3) lgkmcnt(3)
	v_lshlrev_b32_e32 v5, 16, v5
	s_waitcnt vmcnt(2) lgkmcnt(2)
	v_lshlrev_b32_e32 v6, 16, v6
	v_fmac_f32_e32 v18, v33, v5
	s_waitcnt vmcnt(1) lgkmcnt(1)
	v_lshlrev_b32_e32 v5, 16, v7
	v_fmac_f32_e32 v18, v29, v6
	;; [unrolled: 3-line block ×3, first 2 shown]
	v_fmac_f32_e32 v18, v27, v6
	s_branch .LBB664_17
.LBB664_26:
	s_or_b32 exec_lo, exec_lo, s22
.LBB664_27:
	s_or_b32 exec_lo, exec_lo, s20
	s_sub_i32 s0, s9, s6
	s_cmp_lt_i32 s0, 1
	s_cbranch_scc1 .LBB664_45
; %bb.28:
	v_cmp_gt_i32_e32 vcc_lo, s9, v20
	v_mov_b32_e32 v11, 0
	v_or_b32_e32 v2, 1, v20
	v_mov_b32_e32 v10, 0
	v_mov_b32_e32 v21, 0
	;; [unrolled: 1-line block ×3, first 2 shown]
	s_and_saveexec_b32 s1, vcc_lo
	s_cbranch_execz .LBB664_36
; %bb.29:
	s_waitcnt lgkmcnt(0)
	v_mul_lo_u32 v3, v20, s4
	v_mov_b32_e32 v12, 0
	v_mov_b32_e32 v10, 0
	;; [unrolled: 1-line block ×3, first 2 shown]
	s_mov_b32 s2, exec_lo
	v_ashrrev_i32_e32 v4, 31, v3
	v_lshlrev_b64 v[3:4], 1, v[3:4]
	v_add_co_u32 v3, s0, s16, v3
	v_add_co_ci_u32_e64 v4, null, s17, v4, s0
	flat_load_ushort v3, v[3:4]
	v_cmpx_gt_i32_e64 s9, v2
	s_cbranch_execz .LBB664_35
; %bb.30:
	v_mul_lo_u32 v4, v2, s4
	v_mov_b32_e32 v10, 0
	v_mov_b32_e32 v11, 0
	s_mov_b32 s3, exec_lo
	v_ashrrev_i32_e32 v5, 31, v4
	v_lshlrev_b64 v[4:5], 1, v[4:5]
	v_add_co_u32 v4, s0, s16, v4
	v_add_co_ci_u32_e64 v5, null, s17, v5, s0
	flat_load_ushort v4, v[4:5]
	v_or_b32_e32 v5, 2, v20
	v_cmpx_gt_i32_e64 s9, v5
	s_cbranch_execz .LBB664_34
; %bb.31:
	v_mul_lo_u32 v5, v5, s4
	v_mov_b32_e32 v10, 0
	s_mov_b32 s6, exec_lo
	v_ashrrev_i32_e32 v6, 31, v5
	v_lshlrev_b64 v[5:6], 1, v[5:6]
	v_add_co_u32 v5, s0, s16, v5
	v_add_co_ci_u32_e64 v6, null, s17, v6, s0
	flat_load_ushort v5, v[5:6]
	v_or_b32_e32 v6, 3, v20
	v_cmpx_gt_i32_e64 s9, v6
	s_cbranch_execz .LBB664_33
; %bb.32:
	v_mul_lo_u32 v6, v6, s4
	v_ashrrev_i32_e32 v7, 31, v6
	v_lshlrev_b64 v[6:7], 1, v[6:7]
	v_add_co_u32 v6, s0, s16, v6
	v_add_co_ci_u32_e64 v7, null, s17, v7, s0
	flat_load_ushort v6, v[6:7]
	s_waitcnt vmcnt(0) lgkmcnt(0)
	v_lshlrev_b32_e32 v10, 16, v6
.LBB664_33:
	s_or_b32 exec_lo, exec_lo, s6
	s_waitcnt vmcnt(0) lgkmcnt(0)
	v_lshlrev_b32_e32 v11, 16, v5
.LBB664_34:
	s_or_b32 exec_lo, exec_lo, s3
	s_waitcnt vmcnt(0) lgkmcnt(0)
	v_lshlrev_b32_e32 v12, 16, v4
.LBB664_35:
	s_or_b32 exec_lo, exec_lo, s2
	s_waitcnt vmcnt(0) lgkmcnt(0)
	v_lshlrev_b32_e32 v21, 16, v3
.LBB664_36:
	s_or_b32 exec_lo, exec_lo, s1
	s_mov_b32 s1, exec_lo
	v_cmpx_gt_i32_e64 s8, v19
	s_cbranch_execz .LBB664_44
; %bb.37:
	s_waitcnt lgkmcnt(0)
	v_mul_lo_u32 v3, v20, s15
	v_mul_lo_u32 v4, v2, s15
	v_or_b32_e32 v5, 2, v20
	v_or_b32_e32 v6, 3, v20
	s_mov_b32 s0, exec_lo
	v_mul_lo_u32 v7, v5, s15
	v_cndmask_b32_e32 v3, 0, v3, vcc_lo
	v_cmp_gt_i32_e32 vcc_lo, s9, v2
	v_mul_lo_u32 v8, v6, s15
	v_add_nc_u32_e32 v2, v3, v19
	v_cndmask_b32_e32 v4, 0, v4, vcc_lo
	v_cmp_gt_i32_e32 vcc_lo, s9, v5
	v_ashrrev_i32_e32 v3, 31, v2
	v_add_nc_u32_e32 v4, v4, v19
	v_cndmask_b32_e32 v7, 0, v7, vcc_lo
	v_cmp_gt_i32_e32 vcc_lo, s9, v6
	v_lshlrev_b64 v[2:3], 1, v[2:3]
	v_ashrrev_i32_e32 v5, 31, v4
	v_add_nc_u32_e32 v6, v7, v19
	v_cndmask_b32_e32 v8, 0, v8, vcc_lo
	v_lshlrev_b64 v[4:5], 1, v[4:5]
	v_ashrrev_i32_e32 v7, 31, v6
	v_add_nc_u32_e32 v8, v8, v19
	v_add_co_u32 v2, vcc_lo, s10, v2
	v_add_co_ci_u32_e64 v3, null, s11, v3, vcc_lo
	v_ashrrev_i32_e32 v9, 31, v8
	v_add_co_u32 v4, vcc_lo, s10, v4
	v_add_co_ci_u32_e64 v5, null, s11, v5, vcc_lo
	v_lshlrev_b64 v[6:7], 1, v[6:7]
	v_lshlrev_b64 v[8:9], 1, v[8:9]
	s_clause 0x1
	flat_load_ushort v20, v[2:3]
	flat_load_ushort v22, v[4:5]
	v_add_co_u32 v6, vcc_lo, s10, v6
	v_add_co_ci_u32_e64 v7, null, s11, v7, vcc_lo
	v_add_co_u32 v8, vcc_lo, s10, v8
	v_add_co_ci_u32_e64 v9, null, s11, v9, vcc_lo
	s_clause 0x1
	flat_load_ushort v23, v[6:7]
	flat_load_ushort v24, v[8:9]
	s_waitcnt vmcnt(3) lgkmcnt(3)
	v_lshlrev_b32_e32 v20, 16, v20
	s_waitcnt vmcnt(2) lgkmcnt(2)
	v_lshlrev_b32_e32 v22, 16, v22
	v_fmac_f32_e32 v15, v21, v20
	v_fmac_f32_e32 v15, v12, v22
	v_add_nc_u32_e32 v22, 64, v19
	s_waitcnt vmcnt(1) lgkmcnt(1)
	v_lshlrev_b32_e32 v23, 16, v23
	s_waitcnt vmcnt(0) lgkmcnt(0)
	v_lshlrev_b32_e32 v20, 16, v24
	v_fmac_f32_e32 v15, v11, v23
	v_cmpx_gt_i32_e64 s8, v22
	s_cbranch_execz .LBB664_43
; %bb.38:
	s_clause 0x3
	flat_load_ushort v22, v[2:3] offset:128
	flat_load_ushort v23, v[4:5] offset:128
	;; [unrolled: 1-line block ×4, first 2 shown]
	s_mov_b32 s2, exec_lo
	s_waitcnt vmcnt(3) lgkmcnt(3)
	v_lshlrev_b32_e32 v22, 16, v22
	s_waitcnt vmcnt(2) lgkmcnt(2)
	v_lshlrev_b32_e32 v23, 16, v23
	;; [unrolled: 2-line block ×3, first 2 shown]
	v_fmac_f32_e32 v16, v21, v22
	s_waitcnt vmcnt(0) lgkmcnt(0)
	v_lshlrev_b32_e32 v22, 16, v25
	v_fmac_f32_e32 v16, v12, v23
	v_add_nc_u32_e32 v23, 0x80, v19
	v_fmac_f32_e32 v16, v11, v24
	v_cmpx_gt_i32_e64 s8, v23
	s_cbranch_execz .LBB664_42
; %bb.39:
	s_clause 0x3
	flat_load_ushort v23, v[2:3] offset:256
	flat_load_ushort v24, v[4:5] offset:256
	;; [unrolled: 1-line block ×4, first 2 shown]
	s_mov_b32 s3, exec_lo
	s_waitcnt vmcnt(3) lgkmcnt(3)
	v_lshlrev_b32_e32 v23, 16, v23
	s_waitcnt vmcnt(2) lgkmcnt(2)
	v_lshlrev_b32_e32 v24, 16, v24
	v_fmac_f32_e32 v17, v21, v23
	s_waitcnt vmcnt(1) lgkmcnt(1)
	v_lshlrev_b32_e32 v23, 16, v25
	v_fmac_f32_e32 v17, v12, v24
	v_add_nc_u32_e32 v24, 0xc0, v19
	s_waitcnt vmcnt(0) lgkmcnt(0)
	v_lshlrev_b32_e32 v19, 16, v26
	v_fmac_f32_e32 v17, v11, v23
	v_cmpx_gt_i32_e64 s8, v24
	s_cbranch_execz .LBB664_41
; %bb.40:
	s_clause 0x3
	flat_load_ushort v2, v[2:3] offset:384
	flat_load_ushort v3, v[4:5] offset:384
	;; [unrolled: 1-line block ×4, first 2 shown]
	s_waitcnt vmcnt(3) lgkmcnt(3)
	v_lshlrev_b32_e32 v2, 16, v2
	s_waitcnt vmcnt(2) lgkmcnt(2)
	v_lshlrev_b32_e32 v3, 16, v3
	v_fmac_f32_e32 v18, v21, v2
	s_waitcnt vmcnt(1) lgkmcnt(1)
	v_lshlrev_b32_e32 v2, 16, v4
	v_fmac_f32_e32 v18, v12, v3
	;; [unrolled: 3-line block ×3, first 2 shown]
	v_fmac_f32_e32 v18, v10, v3
.LBB664_41:
	s_or_b32 exec_lo, exec_lo, s3
	v_fmac_f32_e32 v17, v10, v19
.LBB664_42:
	s_or_b32 exec_lo, exec_lo, s2
	v_fmac_f32_e32 v16, v10, v22
.LBB664_43:
	s_or_b32 exec_lo, exec_lo, s0
	v_fmac_f32_e32 v15, v10, v20
.LBB664_44:
	s_or_b32 exec_lo, exec_lo, s1
.LBB664_45:
	v_lshlrev_b32_e32 v0, 2, v0
	s_mov_b32 s0, exec_lo
                                        ; implicit-def: $vgpr3
                                        ; implicit-def: $vgpr4_vgpr5
	v_lshl_or_b32 v1, v1, 10, v0
	ds_write2st64_b32 v1, v15, v16 offset1:1
	ds_write2st64_b32 v1, v17, v18 offset0:2 offset1:3
	s_waitcnt lgkmcnt(0)
	s_barrier
	buffer_gl0_inv
	v_cmpx_gt_u32_e32 0x100, v13
	s_cbranch_execz .LBB664_51
; %bb.46:
	v_lshl_add_u32 v4, v14, 2, v0
	s_mov_b32 s2, s14
	s_mov_b32 s1, exec_lo
	ds_read2st64_b32 v[0:1], v4 offset1:4
	ds_read2st64_b32 v[2:3], v4 offset0:8 offset1:12
	s_waitcnt lgkmcnt(1)
	v_add_f32_e32 v0, v0, v1
	v_or_b32_e32 v1, s5, v13
	s_waitcnt lgkmcnt(0)
	v_add_f32_e32 v0, v2, v0
	v_add_f32_e32 v0, v3, v0
                                        ; implicit-def: $vgpr3
	ds_write_b32 v4, v0
                                        ; implicit-def: $vgpr4_vgpr5
	v_cmpx_gt_i32_e64 s8, v1
	s_cbranch_execz .LBB664_50
; %bb.47:
	v_mul_lo_u32 v4, s19, v1
	v_cmp_eq_f32_e64 s2, s7, 0
	v_mul_f32_e32 v3, s18, v0
	s_and_b32 vcc_lo, exec_lo, s2
	v_ashrrev_i32_e32 v5, 31, v4
	s_cbranch_vccnz .LBB664_49
; %bb.48:
	v_lshlrev_b64 v[0:1], 2, v[4:5]
	v_add_co_u32 v0, vcc_lo, s12, v0
	v_add_co_ci_u32_e64 v1, null, s13, v1, vcc_lo
	flat_load_dword v0, v[0:1]
	s_waitcnt vmcnt(0) lgkmcnt(0)
	v_fmac_f32_e32 v3, s7, v0
.LBB664_49:
	s_or_b32 s2, s14, exec_lo
.LBB664_50:
	s_or_b32 exec_lo, exec_lo, s1
	s_andn2_b32 s1, s14, exec_lo
	s_and_b32 s2, s2, exec_lo
	s_or_b32 s14, s1, s2
.LBB664_51:
	s_or_b32 exec_lo, exec_lo, s0
.LBB664_52:
	s_and_saveexec_b32 s0, s14
	s_cbranch_execz .LBB664_54
; %bb.53:
	v_lshlrev_b64 v[0:1], 2, v[4:5]
	v_add_co_u32 v0, vcc_lo, s12, v0
	v_add_co_ci_u32_e64 v1, null, s13, v1, vcc_lo
	flat_store_dword v[0:1], v3
.LBB664_54:
	s_endpgm
	.section	.rodata,"a",@progbits
	.p2align	6, 0x0
	.amdhsa_kernel _ZL20rocblas_gemvn_kernelILi64ELi4EiPK16rocblas_bfloat16PKfKPfEviiT3_lPKT2_lT1_lSA_lSB_lS7_lPT4_lSB_li
		.amdhsa_group_segment_fixed_size 4096
		.amdhsa_private_segment_fixed_size 0
		.amdhsa_kernarg_size 400
		.amdhsa_user_sgpr_count 6
		.amdhsa_user_sgpr_private_segment_buffer 1
		.amdhsa_user_sgpr_dispatch_ptr 0
		.amdhsa_user_sgpr_queue_ptr 0
		.amdhsa_user_sgpr_kernarg_segment_ptr 1
		.amdhsa_user_sgpr_dispatch_id 0
		.amdhsa_user_sgpr_flat_scratch_init 0
		.amdhsa_user_sgpr_private_segment_size 0
		.amdhsa_wavefront_size32 1
		.amdhsa_uses_dynamic_stack 0
		.amdhsa_system_sgpr_private_segment_wavefront_offset 0
		.amdhsa_system_sgpr_workgroup_id_x 1
		.amdhsa_system_sgpr_workgroup_id_y 0
		.amdhsa_system_sgpr_workgroup_id_z 1
		.amdhsa_system_sgpr_workgroup_info 0
		.amdhsa_system_vgpr_workitem_id 1
		.amdhsa_next_free_vgpr 42
		.amdhsa_next_free_sgpr 28
		.amdhsa_reserve_vcc 1
		.amdhsa_reserve_flat_scratch 1
		.amdhsa_float_round_mode_32 0
		.amdhsa_float_round_mode_16_64 0
		.amdhsa_float_denorm_mode_32 3
		.amdhsa_float_denorm_mode_16_64 3
		.amdhsa_dx10_clamp 1
		.amdhsa_ieee_mode 1
		.amdhsa_fp16_overflow 0
		.amdhsa_workgroup_processor_mode 1
		.amdhsa_memory_ordered 1
		.amdhsa_forward_progress 1
		.amdhsa_shared_vgpr_count 0
		.amdhsa_exception_fp_ieee_invalid_op 0
		.amdhsa_exception_fp_denorm_src 0
		.amdhsa_exception_fp_ieee_div_zero 0
		.amdhsa_exception_fp_ieee_overflow 0
		.amdhsa_exception_fp_ieee_underflow 0
		.amdhsa_exception_fp_ieee_inexact 0
		.amdhsa_exception_int_div_zero 0
	.end_amdhsa_kernel
	.section	.text._ZL20rocblas_gemvn_kernelILi64ELi4EiPK16rocblas_bfloat16PKfKPfEviiT3_lPKT2_lT1_lSA_lSB_lS7_lPT4_lSB_li,"axG",@progbits,_ZL20rocblas_gemvn_kernelILi64ELi4EiPK16rocblas_bfloat16PKfKPfEviiT3_lPKT2_lT1_lSA_lSB_lS7_lPT4_lSB_li,comdat
.Lfunc_end664:
	.size	_ZL20rocblas_gemvn_kernelILi64ELi4EiPK16rocblas_bfloat16PKfKPfEviiT3_lPKT2_lT1_lSA_lSB_lS7_lPT4_lSB_li, .Lfunc_end664-_ZL20rocblas_gemvn_kernelILi64ELi4EiPK16rocblas_bfloat16PKfKPfEviiT3_lPKT2_lT1_lSA_lSB_lS7_lPT4_lSB_li
                                        ; -- End function
	.set _ZL20rocblas_gemvn_kernelILi64ELi4EiPK16rocblas_bfloat16PKfKPfEviiT3_lPKT2_lT1_lSA_lSB_lS7_lPT4_lSB_li.num_vgpr, 42
	.set _ZL20rocblas_gemvn_kernelILi64ELi4EiPK16rocblas_bfloat16PKfKPfEviiT3_lPKT2_lT1_lSA_lSB_lS7_lPT4_lSB_li.num_agpr, 0
	.set _ZL20rocblas_gemvn_kernelILi64ELi4EiPK16rocblas_bfloat16PKfKPfEviiT3_lPKT2_lT1_lSA_lSB_lS7_lPT4_lSB_li.numbered_sgpr, 28
	.set _ZL20rocblas_gemvn_kernelILi64ELi4EiPK16rocblas_bfloat16PKfKPfEviiT3_lPKT2_lT1_lSA_lSB_lS7_lPT4_lSB_li.num_named_barrier, 0
	.set _ZL20rocblas_gemvn_kernelILi64ELi4EiPK16rocblas_bfloat16PKfKPfEviiT3_lPKT2_lT1_lSA_lSB_lS7_lPT4_lSB_li.private_seg_size, 0
	.set _ZL20rocblas_gemvn_kernelILi64ELi4EiPK16rocblas_bfloat16PKfKPfEviiT3_lPKT2_lT1_lSA_lSB_lS7_lPT4_lSB_li.uses_vcc, 1
	.set _ZL20rocblas_gemvn_kernelILi64ELi4EiPK16rocblas_bfloat16PKfKPfEviiT3_lPKT2_lT1_lSA_lSB_lS7_lPT4_lSB_li.uses_flat_scratch, 1
	.set _ZL20rocblas_gemvn_kernelILi64ELi4EiPK16rocblas_bfloat16PKfKPfEviiT3_lPKT2_lT1_lSA_lSB_lS7_lPT4_lSB_li.has_dyn_sized_stack, 0
	.set _ZL20rocblas_gemvn_kernelILi64ELi4EiPK16rocblas_bfloat16PKfKPfEviiT3_lPKT2_lT1_lSA_lSB_lS7_lPT4_lSB_li.has_recursion, 0
	.set _ZL20rocblas_gemvn_kernelILi64ELi4EiPK16rocblas_bfloat16PKfKPfEviiT3_lPKT2_lT1_lSA_lSB_lS7_lPT4_lSB_li.has_indirect_call, 0
	.section	.AMDGPU.csdata,"",@progbits
; Kernel info:
; codeLenInByte = 2860
; TotalNumSgprs: 30
; NumVgprs: 42
; ScratchSize: 0
; MemoryBound: 0
; FloatMode: 240
; IeeeMode: 1
; LDSByteSize: 4096 bytes/workgroup (compile time only)
; SGPRBlocks: 0
; VGPRBlocks: 5
; NumSGPRsForWavesPerEU: 30
; NumVGPRsForWavesPerEU: 42
; Occupancy: 16
; WaveLimiterHint : 1
; COMPUTE_PGM_RSRC2:SCRATCH_EN: 0
; COMPUTE_PGM_RSRC2:USER_SGPR: 6
; COMPUTE_PGM_RSRC2:TRAP_HANDLER: 0
; COMPUTE_PGM_RSRC2:TGID_X_EN: 1
; COMPUTE_PGM_RSRC2:TGID_Y_EN: 0
; COMPUTE_PGM_RSRC2:TGID_Z_EN: 1
; COMPUTE_PGM_RSRC2:TIDIG_COMP_CNT: 1
	.section	.text._ZL20rocblas_gemvn_kernelILi64ELi4ElPK16rocblas_bfloat16PKfKPfEviiT3_lPKT2_lT1_lSA_lSB_lS7_lPT4_lSB_li,"axG",@progbits,_ZL20rocblas_gemvn_kernelILi64ELi4ElPK16rocblas_bfloat16PKfKPfEviiT3_lPKT2_lT1_lSA_lSB_lS7_lPT4_lSB_li,comdat
	.globl	_ZL20rocblas_gemvn_kernelILi64ELi4ElPK16rocblas_bfloat16PKfKPfEviiT3_lPKT2_lT1_lSA_lSB_lS7_lPT4_lSB_li ; -- Begin function _ZL20rocblas_gemvn_kernelILi64ELi4ElPK16rocblas_bfloat16PKfKPfEviiT3_lPKT2_lT1_lSA_lSB_lS7_lPT4_lSB_li
	.p2align	8
	.type	_ZL20rocblas_gemvn_kernelILi64ELi4ElPK16rocblas_bfloat16PKfKPfEviiT3_lPKT2_lT1_lSA_lSB_lS7_lPT4_lSB_li,@function
_ZL20rocblas_gemvn_kernelILi64ELi4ElPK16rocblas_bfloat16PKfKPfEviiT3_lPKT2_lT1_lSA_lSB_lS7_lPT4_lSB_li: ; @_ZL20rocblas_gemvn_kernelILi64ELi4ElPK16rocblas_bfloat16PKfKPfEviiT3_lPKT2_lT1_lSA_lSB_lS7_lPT4_lSB_li
; %bb.0:
	s_load_dwordx2 s[0:1], s[4:5], 0x9c
	s_waitcnt lgkmcnt(0)
	s_lshr_b32 s2, s0, 16
	s_and_b32 s0, s0, 0xffff
	s_and_b32 s1, s1, 0xffff
	s_mul_i32 s0, s2, s0
	s_mul_i32 s0, s0, s1
	s_cmpk_lg_i32 s0, 0x100
	s_cbranch_scc1 .LBB665_54
; %bb.1:
	s_clause 0x1
	s_load_dwordx8 s[16:23], s[4:5], 0x8
	s_load_dwordx8 s[8:15], s[4:5], 0x58
	s_mov_b32 s26, s7
	s_mov_b32 s27, 0
	s_waitcnt lgkmcnt(0)
	s_mul_i32 s1, s19, s7
	s_mul_hi_u32 s2, s18, s7
	s_mul_i32 s0, s18, s7
	s_add_i32 s1, s2, s1
	s_mul_i32 s2, s11, s7
	s_lshl_b64 s[0:1], s[0:1], 2
	s_mul_hi_u32 s3, s10, s7
	s_add_u32 s0, s16, s0
	s_addc_u32 s1, s17, s1
	s_add_i32 s3, s3, s2
	s_mul_i32 s2, s10, s7
	s_lshl_b64 s[2:3], s[2:3], 2
	s_add_u32 s2, s8, s2
	s_addc_u32 s3, s9, s3
	s_load_dword s29, s[0:1], 0x0
	s_load_dword s28, s[2:3], 0x0
	s_waitcnt lgkmcnt(0)
	v_cmp_eq_f32_e64 s7, s29, 0
	v_cmp_eq_f32_e64 s0, s28, 1.0
	s_and_b32 s0, s7, s0
	s_and_b32 vcc_lo, exec_lo, s0
	s_cbranch_vccnz .LBB665_54
; %bb.2:
	s_clause 0x1
	s_load_dwordx2 s[16:17], s[4:5], 0x28
	s_load_dwordx2 s[8:9], s[4:5], 0x78
	v_cmp_neq_f32_e64 s10, s29, 0
	s_mov_b64 s[24:25], 0
	s_and_b32 vcc_lo, exec_lo, s7
	s_mov_b64 s[18:19], 0
	s_cbranch_vccnz .LBB665_4
; %bb.3:
	s_lshl_b64 s[0:1], s[26:27], 3
	s_add_u32 s0, s20, s0
	s_addc_u32 s1, s21, s1
	s_lshl_b64 s[2:3], s[22:23], 1
	s_load_dwordx2 s[0:1], s[0:1], 0x0
	s_waitcnt lgkmcnt(0)
	s_add_u32 s18, s0, s2
	s_addc_u32 s19, s1, s3
.LBB665_4:
	s_clause 0x1
	s_load_dwordx4 s[0:3], s[4:5], 0x38
	s_load_dwordx2 s[20:21], s[4:5], 0x48
	s_andn2_b32 vcc_lo, exec_lo, s10
	s_cbranch_vccnz .LBB665_6
; %bb.5:
	s_lshl_b64 s[10:11], s[26:27], 3
	s_waitcnt lgkmcnt(0)
	s_add_u32 s0, s0, s10
	s_addc_u32 s1, s1, s11
	s_lshl_b64 s[2:3], s[2:3], 1
	s_load_dwordx2 s[0:1], s[0:1], 0x0
	s_waitcnt lgkmcnt(0)
	s_add_u32 s24, s0, s2
	s_addc_u32 s25, s1, s3
.LBB665_6:
	s_waitcnt lgkmcnt(0)
	s_lshl_b64 s[0:1], s[26:27], 3
	v_lshlrev_b32_e32 v22, 6, v1
	s_add_u32 s0, s12, s0
	s_addc_u32 s1, s13, s1
	s_lshl_b64 s[12:13], s[14:15], 2
	s_load_dwordx2 s[2:3], s[0:1], 0x0
	s_load_dwordx2 s[10:11], s[4:5], 0x0
	v_add_nc_u32_e32 v21, v22, v0
	v_cmp_gt_u32_e64 s0, 0x100, v21
	s_waitcnt lgkmcnt(0)
	s_add_u32 s5, s2, s12
	s_addc_u32 s22, s3, s13
	s_andn2_b32 vcc_lo, exec_lo, s7
	s_cbranch_vccnz .LBB665_13
; %bb.7:
	s_mov_b32 s1, 0
	s_mov_b32 s23, 0
                                        ; implicit-def: $vgpr3
                                        ; implicit-def: $vgpr4_vgpr5
	s_and_saveexec_b32 s2, s0
	s_cbranch_execz .LBB665_14
; %bb.8:
	v_lshl_or_b32 v2, s6, 8, v21
	v_mov_b32_e32 v3, 0
	s_ashr_i32 s13, s10, 31
	s_mov_b32 s12, s10
	s_mov_b32 s3, 0
	s_mov_b32 s0, exec_lo
                                        ; implicit-def: $vgpr4_vgpr5
	v_cmpx_gt_i64_e64 s[12:13], v[2:3]
	s_cbranch_execz .LBB665_12
; %bb.9:
	v_mad_u64_u32 v[4:5], null, s8, v2, 0
	v_cmp_eq_f32_e64 s3, s28, 0
	s_and_b32 vcc_lo, exec_lo, s3
	v_mad_u64_u32 v[5:6], null, s9, v2, v[5:6]
	s_cbranch_vccnz .LBB665_11
; %bb.10:
	v_lshlrev_b64 v[2:3], 2, v[4:5]
	v_add_co_u32 v2, vcc_lo, s5, v2
	v_add_co_ci_u32_e64 v3, null, s22, v3, vcc_lo
	flat_load_dword v2, v[2:3]
	s_waitcnt vmcnt(0) lgkmcnt(0)
	v_mul_f32_e32 v3, s28, v2
.LBB665_11:
	s_mov_b32 s3, exec_lo
.LBB665_12:
	s_or_b32 exec_lo, exec_lo, s0
	s_and_b32 s23, s3, exec_lo
	s_or_b32 exec_lo, exec_lo, s2
	s_and_b32 vcc_lo, exec_lo, s1
	s_cbranch_vccnz .LBB665_15
	s_branch .LBB665_52
.LBB665_13:
	s_mov_b32 s23, 0
                                        ; implicit-def: $vgpr3
                                        ; implicit-def: $vgpr4_vgpr5
	s_cbranch_execnz .LBB665_15
	s_branch .LBB665_52
.LBB665_14:
	s_or_b32 exec_lo, exec_lo, s2
	s_and_b32 vcc_lo, exec_lo, s1
	s_cbranch_vccz .LBB665_52
.LBB665_15:
	s_ashr_i32 s0, s11, 31
	s_lshl_b32 s26, s6, 8
	s_lshr_b32 s0, s0, 28
	v_lshlrev_b32_e32 v27, 2, v1
	v_mov_b32_e32 v23, 0
	v_or_b32_e32 v2, s26, v0
	v_mov_b32_e32 v24, 0
	v_mov_b32_e32 v25, 0
	;; [unrolled: 1-line block ×3, first 2 shown]
	s_add_i32 s0, s11, s0
	s_mov_b32 s30, exec_lo
	s_and_b32 s27, s0, -16
	v_cmpx_gt_i32_e64 s27, v27
	s_cbranch_execz .LBB665_27
; %bb.16:
	v_lshlrev_b32_e32 v25, 2, v1
	v_add_nc_u32_e32 v4, 64, v2
	v_mad_u64_u32 v[7:8], null, s20, v1, 0
	v_mad_u64_u32 v[9:10], null, s16, v1, 0
	v_or_b32_e32 v26, 3, v25
	v_add_nc_u32_e32 v11, 0x80, v2
	v_add_nc_u32_e32 v12, 0xc0, v2
	v_cmp_gt_i32_e64 s0, s10, v4
	v_or_b32_e32 v32, 2, v25
	v_mad_u64_u32 v[5:6], null, s16, v26, 0
	v_cmp_gt_i32_e64 s1, s10, v11
	v_cmp_gt_i32_e64 s2, s10, v12
	v_mad_u64_u32 v[16:17], null, s16, v32, 0
	v_mad_u64_u32 v[18:19], null, s20, v26, 0
	v_mov_b32_e32 v4, v6
	v_mov_b32_e32 v6, v8
	;; [unrolled: 1-line block ×3, first 2 shown]
	v_ashrrev_i32_e32 v3, 31, v2
	s_lshl_b64 s[6:7], s[16:17], 5
	v_mad_u64_u32 v[11:12], null, s17, v26, v[4:5]
	v_mad_u64_u32 v[12:13], null, s21, v1, v[6:7]
	;; [unrolled: 1-line block ×4, first 2 shown]
	v_mov_b32_e32 v6, v11
	v_lshlrev_b64 v[3:4], 1, v[2:3]
	v_mov_b32_e32 v8, v12
	s_lshl_b64 s[12:13], s[20:21], 5
	v_mov_b32_e32 v10, v13
	v_lshlrev_b64 v[11:12], 1, v[5:6]
	s_mov_b32 s31, 0
	v_lshlrev_b64 v[5:6], 3, v[7:8]
	v_mov_b32_e32 v7, v17
	v_mov_b32_e32 v8, v15
	v_lshlrev_b64 v[9:10], 3, v[9:10]
	v_add_co_u32 v28, s3, s18, v11
	v_add_co_ci_u32_e64 v29, null, s19, v12, s3
	v_mad_u64_u32 v[11:12], null, s16, v25, s[16:17]
	v_mad_u64_u32 v[23:24], null, s17, v32, v[7:8]
	v_mov_b32_e32 v7, v19
	v_mad_u64_u32 v[19:20], null, s21, v25, v[8:9]
	v_add_co_u32 v30, s3, s18, v9
	v_mad_u64_u32 v[7:8], null, s21, v26, v[7:8]
	v_mov_b32_e32 v8, v12
	v_mov_b32_e32 v17, v23
	v_mad_u64_u32 v[23:24], null, s20, v32, 0
	v_mov_b32_e32 v15, v19
	v_mad_u64_u32 v[12:13], null, s17, v25, v[8:9]
	v_lshlrev_b64 v[16:17], 1, v[16:17]
	v_mov_b32_e32 v19, v7
	v_add_co_ci_u32_e64 v31, null, s19, v10, s3
	v_mov_b32_e32 v8, v24
	v_mov_b32_e32 v26, 0
	v_lshlrev_b64 v[11:12], 1, v[11:12]
	s_mov_b64 s[14:15], s[24:25]
	v_cmp_gt_i32_e32 vcc_lo, s10, v2
	v_mad_u64_u32 v[24:25], null, s21, v32, v[8:9]
	v_add_co_u32 v32, s3, s18, v16
	v_add_co_ci_u32_e64 v33, null, s19, v17, s3
	v_add_co_u32 v34, s3, s18, v11
	v_lshlrev_b64 v[7:8], 1, v[14:15]
	v_lshlrev_b64 v[9:10], 1, v[18:19]
	v_add_co_ci_u32_e64 v35, null, s19, v12, s3
	v_lshlrev_b64 v[11:12], 1, v[23:24]
	v_mov_b32_e32 v23, 0
	v_mov_b32_e32 v24, 0
	;; [unrolled: 1-line block ×3, first 2 shown]
	s_branch .LBB665_21
.LBB665_17:                             ;   in Loop: Header=BB665_21 Depth=1
	s_or_b32 exec_lo, exec_lo, s34
	s_waitcnt vmcnt(3) lgkmcnt(3)
	v_lshlrev_b32_e32 v13, 16, v51
	s_waitcnt vmcnt(2) lgkmcnt(2)
	v_lshlrev_b32_e32 v14, 16, v50
	v_fmac_f32_e32 v25, v43, v13
	s_waitcnt vmcnt(1) lgkmcnt(1)
	v_lshlrev_b32_e32 v13, 16, v49
	v_fmac_f32_e32 v25, v39, v14
	v_fmac_f32_e32 v25, v41, v13
	s_waitcnt vmcnt(0) lgkmcnt(0)
	v_lshlrev_b32_e32 v13, 16, v48
	v_fmac_f32_e32 v25, v37, v13
.LBB665_18:                             ;   in Loop: Header=BB665_21 Depth=1
	s_or_b32 exec_lo, exec_lo, s33
	s_waitcnt vmcnt(3) lgkmcnt(3)
	v_lshlrev_b32_e32 v13, 16, v47
	s_waitcnt vmcnt(2) lgkmcnt(2)
	v_lshlrev_b32_e32 v14, 16, v46
	v_fmac_f32_e32 v24, v43, v13
	s_waitcnt vmcnt(1) lgkmcnt(1)
	v_lshlrev_b32_e32 v13, 16, v45
	v_fmac_f32_e32 v24, v39, v14
	v_fmac_f32_e32 v24, v41, v13
	s_waitcnt vmcnt(0) lgkmcnt(0)
	v_lshlrev_b32_e32 v13, 16, v44
	v_fmac_f32_e32 v24, v37, v13
.LBB665_19:                             ;   in Loop: Header=BB665_21 Depth=1
	s_or_b32 exec_lo, exec_lo, s3
	s_waitcnt vmcnt(3) lgkmcnt(3)
	v_lshlrev_b32_e32 v13, 16, v42
	s_waitcnt vmcnt(2) lgkmcnt(2)
	v_lshlrev_b32_e32 v14, 16, v40
	v_fmac_f32_e32 v23, v43, v13
	s_waitcnt vmcnt(1) lgkmcnt(1)
	v_lshlrev_b32_e32 v13, 16, v38
	v_fmac_f32_e32 v23, v39, v14
	v_fmac_f32_e32 v23, v41, v13
	s_waitcnt vmcnt(0) lgkmcnt(0)
	v_lshlrev_b32_e32 v13, 16, v36
	v_fmac_f32_e32 v23, v37, v13
.LBB665_20:                             ;   in Loop: Header=BB665_21 Depth=1
	s_or_b32 exec_lo, exec_lo, s4
	v_add_co_u32 v28, s3, v28, s6
	v_add_nc_u32_e32 v27, 16, v27
	v_add_co_ci_u32_e64 v29, null, s7, v29, s3
	v_add_co_u32 v30, s3, v30, s6
	v_add_co_ci_u32_e64 v31, null, s7, v31, s3
	v_add_co_u32 v32, s3, v32, s6
	v_add_co_ci_u32_e64 v33, null, s7, v33, s3
	v_cmp_le_i32_e64 s3, s27, v27
	v_add_co_u32 v34, s4, v34, s6
	v_add_co_ci_u32_e64 v35, null, s7, v35, s4
	s_add_u32 s14, s14, s12
	s_addc_u32 s15, s15, s13
	s_or_b32 s31, s3, s31
	s_andn2_b32 exec_lo, exec_lo, s31
	s_cbranch_execz .LBB665_26
.LBB665_21:                             ; =>This Inner Loop Header: Depth=1
	s_and_saveexec_b32 s4, vcc_lo
	s_cbranch_execz .LBB665_20
; %bb.22:                               ;   in Loop: Header=BB665_21 Depth=1
	v_add_co_u32 v13, s3, s14, v5
	v_add_co_ci_u32_e64 v14, null, s15, v6, s3
	v_add_co_u32 v15, s3, s14, v7
	v_add_co_ci_u32_e64 v16, null, s15, v8, s3
	;; [unrolled: 2-line block ×4, first 2 shown]
	s_clause 0x3
	flat_load_ushort v37, v[13:14]
	flat_load_ushort v39, v[15:16]
	;; [unrolled: 1-line block ×4, first 2 shown]
	v_add_co_u32 v13, s3, v30, v3
	v_add_co_ci_u32_e64 v14, null, v31, v4, s3
	v_add_co_u32 v17, s3, v34, v3
	v_add_co_ci_u32_e64 v18, null, v35, v4, s3
	;; [unrolled: 2-line block ×4, first 2 shown]
	flat_load_ushort v42, v[13:14]
	flat_load_ushort v40, v[17:18]
	;; [unrolled: 1-line block ×4, first 2 shown]
	s_waitcnt vmcnt(7) lgkmcnt(7)
	v_lshlrev_b32_e32 v43, 16, v37
	s_waitcnt vmcnt(6) lgkmcnt(6)
	v_lshlrev_b32_e32 v39, 16, v39
	;; [unrolled: 2-line block ×4, first 2 shown]
	s_and_saveexec_b32 s3, s0
	s_cbranch_execz .LBB665_19
; %bb.23:                               ;   in Loop: Header=BB665_21 Depth=1
	flat_load_ushort v47, v[13:14] offset:128
	flat_load_ushort v46, v[17:18] offset:128
	flat_load_ushort v45, v[15:16] offset:128
	flat_load_ushort v44, v[19:20] offset:128
	s_and_saveexec_b32 s33, s1
	s_cbranch_execz .LBB665_18
; %bb.24:                               ;   in Loop: Header=BB665_21 Depth=1
	flat_load_ushort v51, v[13:14] offset:256
	flat_load_ushort v50, v[17:18] offset:256
	flat_load_ushort v49, v[15:16] offset:256
	flat_load_ushort v48, v[19:20] offset:256
	s_and_saveexec_b32 s34, s2
	s_cbranch_execz .LBB665_17
; %bb.25:                               ;   in Loop: Header=BB665_21 Depth=1
	flat_load_ushort v13, v[13:14] offset:384
	flat_load_ushort v14, v[17:18] offset:384
	flat_load_ushort v15, v[15:16] offset:384
	flat_load_ushort v16, v[19:20] offset:384
	s_waitcnt vmcnt(3) lgkmcnt(3)
	v_lshlrev_b32_e32 v13, 16, v13
	s_waitcnt vmcnt(2) lgkmcnt(2)
	v_lshlrev_b32_e32 v14, 16, v14
	v_fmac_f32_e32 v26, v43, v13
	s_waitcnt vmcnt(1) lgkmcnt(1)
	v_lshlrev_b32_e32 v13, 16, v15
	v_fmac_f32_e32 v26, v39, v14
	;; [unrolled: 3-line block ×3, first 2 shown]
	v_fmac_f32_e32 v26, v37, v14
	s_branch .LBB665_17
.LBB665_26:
	s_or_b32 exec_lo, exec_lo, s31
.LBB665_27:
	s_or_b32 exec_lo, exec_lo, s30
	s_sub_i32 s0, s11, s27
	s_cmp_lt_i32 s0, 1
	s_cbranch_scc1 .LBB665_45
; %bb.28:
	v_cmp_gt_i32_e32 vcc_lo, s11, v27
	v_mov_b32_e32 v12, 0
	v_or_b32_e32 v4, 1, v27
	v_mov_b32_e32 v11, 0
	v_mov_b32_e32 v14, 0
	;; [unrolled: 1-line block ×3, first 2 shown]
	s_and_saveexec_b32 s1, vcc_lo
	s_cbranch_execz .LBB665_36
; %bb.29:
	v_mad_u64_u32 v[5:6], null, s20, v27, 0
	v_mov_b32_e32 v13, 0
	v_mov_b32_e32 v11, 0
	;; [unrolled: 1-line block ×3, first 2 shown]
	s_mov_b32 s2, exec_lo
	v_mov_b32_e32 v3, v6
	v_mad_u64_u32 v[6:7], null, s21, v27, v[3:4]
	v_lshlrev_b64 v[5:6], 1, v[5:6]
	v_add_co_u32 v5, s0, s24, v5
	v_add_co_ci_u32_e64 v6, null, s25, v6, s0
	flat_load_ushort v3, v[5:6]
	v_cmpx_gt_i32_e64 s11, v4
	s_cbranch_execz .LBB665_35
; %bb.30:
	v_mad_u64_u32 v[5:6], null, s20, v4, 0
	v_mov_b32_e32 v11, 0
	v_mov_b32_e32 v12, 0
	s_mov_b32 s3, exec_lo
	v_mad_u64_u32 v[6:7], null, s21, v4, v[6:7]
	v_lshlrev_b64 v[5:6], 1, v[5:6]
	v_add_co_u32 v5, s0, s24, v5
	v_add_co_ci_u32_e64 v6, null, s25, v6, s0
	flat_load_ushort v5, v[5:6]
	v_or_b32_e32 v6, 2, v27
	v_cmpx_gt_i32_e64 s11, v6
	s_cbranch_execz .LBB665_34
; %bb.31:
	v_mad_u64_u32 v[7:8], null, s20, v6, 0
	v_mov_b32_e32 v11, 0
	s_mov_b32 s4, exec_lo
	v_mad_u64_u32 v[8:9], null, s21, v6, v[8:9]
	v_lshlrev_b64 v[6:7], 1, v[7:8]
	v_add_co_u32 v6, s0, s24, v6
	v_add_co_ci_u32_e64 v7, null, s25, v7, s0
	flat_load_ushort v6, v[6:7]
	v_or_b32_e32 v7, 3, v27
	v_cmpx_gt_i32_e64 s11, v7
	s_cbranch_execz .LBB665_33
; %bb.32:
	v_mad_u64_u32 v[8:9], null, s20, v7, 0
	v_mad_u64_u32 v[9:10], null, s21, v7, v[9:10]
	v_lshlrev_b64 v[7:8], 1, v[8:9]
	v_add_co_u32 v7, s0, s24, v7
	v_add_co_ci_u32_e64 v8, null, s25, v8, s0
	flat_load_ushort v7, v[7:8]
	s_waitcnt vmcnt(0) lgkmcnt(0)
	v_lshlrev_b32_e32 v11, 16, v7
.LBB665_33:
	s_or_b32 exec_lo, exec_lo, s4
	s_waitcnt vmcnt(0) lgkmcnt(0)
	v_lshlrev_b32_e32 v12, 16, v6
.LBB665_34:
	s_or_b32 exec_lo, exec_lo, s3
	s_waitcnt vmcnt(0) lgkmcnt(0)
	v_lshlrev_b32_e32 v13, 16, v5
.LBB665_35:
	s_or_b32 exec_lo, exec_lo, s2
	s_waitcnt vmcnt(0) lgkmcnt(0)
	v_lshlrev_b32_e32 v14, 16, v3
.LBB665_36:
	s_or_b32 exec_lo, exec_lo, s1
	s_mov_b32 s1, exec_lo
	v_cmpx_gt_i32_e64 s10, v2
	s_cbranch_execz .LBB665_44
; %bb.37:
	v_mad_u64_u32 v[5:6], null, s16, v27, 0
	v_mad_u64_u32 v[7:8], null, s16, v4, 0
	v_ashrrev_i32_e32 v3, 31, v2
	v_or_b32_e32 v20, 2, v27
	v_or_b32_e32 v29, 3, v27
	v_cndmask_b32_e32 v5, 0, v5, vcc_lo
	v_lshlrev_b64 v[9:10], 1, v[2:3]
	v_mad_u64_u32 v[15:16], null, s17, v27, v[6:7]
	v_mov_b32_e32 v3, v8
	v_mad_u64_u32 v[16:17], null, s16, v20, 0
	v_mad_u64_u32 v[18:19], null, s16, v29, 0
	;; [unrolled: 1-line block ×3, first 2 shown]
	v_cndmask_b32_e32 v6, 0, v15, vcc_lo
	v_cmp_gt_i32_e32 vcc_lo, s11, v4
	v_mov_b32_e32 v3, v17
	v_cmp_gt_i32_e64 s0, s11, v20
	v_mov_b32_e32 v8, v19
	v_cndmask_b32_e32 v4, 0, v7, vcc_lo
	v_lshlrev_b64 v[6:7], 1, v[5:6]
	v_cndmask_b32_e32 v5, 0, v27, vcc_lo
	v_mad_u64_u32 v[19:20], null, s17, v20, v[3:4]
	v_add_co_u32 v3, vcc_lo, s18, v6
	v_add_co_ci_u32_e64 v7, null, s19, v7, vcc_lo
	v_lshlrev_b64 v[5:6], 1, v[4:5]
	v_add_co_u32 v3, vcc_lo, v3, v9
	v_add_co_ci_u32_e64 v4, null, v7, v10, vcc_lo
	v_cndmask_b32_e64 v7, 0, v16, s0
	v_mad_u64_u32 v[15:16], null, s17, v29, v[8:9]
	v_add_co_u32 v5, vcc_lo, s18, v5
	v_add_co_ci_u32_e64 v6, null, s19, v6, vcc_lo
	v_cmp_gt_i32_e32 vcc_lo, s11, v29
	v_cndmask_b32_e64 v8, 0, v19, s0
	v_add_co_u32 v5, s0, v5, v9
	v_add_co_ci_u32_e64 v6, null, v6, v10, s0
	v_cndmask_b32_e32 v16, 0, v18, vcc_lo
	v_cndmask_b32_e32 v17, 0, v15, vcc_lo
	v_lshlrev_b64 v[7:8], 1, v[7:8]
	s_clause 0x1
	flat_load_ushort v18, v[3:4]
	flat_load_ushort v19, v[5:6]
	s_mov_b32 s0, exec_lo
	v_lshlrev_b64 v[15:16], 1, v[16:17]
	v_add_co_u32 v7, vcc_lo, s18, v7
	v_add_co_ci_u32_e64 v8, null, s19, v8, vcc_lo
	v_add_co_u32 v15, vcc_lo, s18, v15
	v_add_co_ci_u32_e64 v16, null, s19, v16, vcc_lo
	;; [unrolled: 2-line block ×4, first 2 shown]
	s_clause 0x1
	flat_load_ushort v15, v[7:8]
	flat_load_ushort v16, v[9:10]
	s_waitcnt vmcnt(3) lgkmcnt(3)
	v_lshlrev_b32_e32 v17, 16, v18
	s_waitcnt vmcnt(2) lgkmcnt(2)
	v_lshlrev_b32_e32 v18, 16, v19
	v_fmac_f32_e32 v23, v14, v17
	v_fmac_f32_e32 v23, v13, v18
	v_add_nc_u32_e32 v18, 64, v2
	s_waitcnt vmcnt(1) lgkmcnt(1)
	v_lshlrev_b32_e32 v17, 16, v15
	s_waitcnt vmcnt(0) lgkmcnt(0)
	v_lshlrev_b32_e32 v15, 16, v16
	v_fmac_f32_e32 v23, v12, v17
	v_cmpx_gt_i32_e64 s10, v18
	s_cbranch_execz .LBB665_43
; %bb.38:
	s_clause 0x3
	flat_load_ushort v16, v[3:4] offset:128
	flat_load_ushort v17, v[5:6] offset:128
	;; [unrolled: 1-line block ×4, first 2 shown]
	s_mov_b32 s2, exec_lo
	s_waitcnt vmcnt(3) lgkmcnt(3)
	v_lshlrev_b32_e32 v16, 16, v16
	s_waitcnt vmcnt(2) lgkmcnt(2)
	v_lshlrev_b32_e32 v17, 16, v17
	;; [unrolled: 2-line block ×3, first 2 shown]
	v_fmac_f32_e32 v24, v14, v16
	s_waitcnt vmcnt(0) lgkmcnt(0)
	v_lshlrev_b32_e32 v16, 16, v19
	v_fmac_f32_e32 v24, v13, v17
	v_add_nc_u32_e32 v17, 0x80, v2
	v_fmac_f32_e32 v24, v12, v18
	v_cmpx_gt_i32_e64 s10, v17
	s_cbranch_execz .LBB665_42
; %bb.39:
	s_clause 0x3
	flat_load_ushort v17, v[3:4] offset:256
	flat_load_ushort v18, v[5:6] offset:256
	;; [unrolled: 1-line block ×4, first 2 shown]
	s_mov_b32 s3, exec_lo
	s_waitcnt vmcnt(3) lgkmcnt(3)
	v_lshlrev_b32_e32 v17, 16, v17
	s_waitcnt vmcnt(2) lgkmcnt(2)
	v_lshlrev_b32_e32 v18, 16, v18
	v_fmac_f32_e32 v25, v14, v17
	s_waitcnt vmcnt(1) lgkmcnt(1)
	v_lshlrev_b32_e32 v17, 16, v19
	v_fmac_f32_e32 v25, v13, v18
	v_add_nc_u32_e32 v18, 0xc0, v2
	s_waitcnt vmcnt(0) lgkmcnt(0)
	v_lshlrev_b32_e32 v2, 16, v20
	v_fmac_f32_e32 v25, v12, v17
	v_cmpx_gt_i32_e64 s10, v18
	s_cbranch_execz .LBB665_41
; %bb.40:
	s_clause 0x3
	flat_load_ushort v3, v[3:4] offset:384
	flat_load_ushort v4, v[5:6] offset:384
	;; [unrolled: 1-line block ×4, first 2 shown]
	s_waitcnt vmcnt(3) lgkmcnt(3)
	v_lshlrev_b32_e32 v3, 16, v3
	s_waitcnt vmcnt(2) lgkmcnt(2)
	v_lshlrev_b32_e32 v4, 16, v4
	v_fmac_f32_e32 v26, v14, v3
	s_waitcnt vmcnt(1) lgkmcnt(1)
	v_lshlrev_b32_e32 v3, 16, v5
	v_fmac_f32_e32 v26, v13, v4
	;; [unrolled: 3-line block ×3, first 2 shown]
	v_fmac_f32_e32 v26, v11, v4
.LBB665_41:
	s_or_b32 exec_lo, exec_lo, s3
	v_fmac_f32_e32 v25, v11, v2
.LBB665_42:
	s_or_b32 exec_lo, exec_lo, s2
	v_fmac_f32_e32 v24, v11, v16
.LBB665_43:
	s_or_b32 exec_lo, exec_lo, s0
	v_fmac_f32_e32 v23, v11, v15
.LBB665_44:
	s_or_b32 exec_lo, exec_lo, s1
.LBB665_45:
	v_lshlrev_b32_e32 v0, 2, v0
	s_mov_b32 s0, exec_lo
                                        ; implicit-def: $vgpr3
                                        ; implicit-def: $vgpr4_vgpr5
	v_lshl_or_b32 v1, v1, 10, v0
	ds_write2st64_b32 v1, v23, v24 offset1:1
	ds_write2st64_b32 v1, v25, v26 offset0:2 offset1:3
	s_waitcnt lgkmcnt(0)
	s_barrier
	buffer_gl0_inv
	v_cmpx_gt_u32_e32 0x100, v21
	s_cbranch_execz .LBB665_51
; %bb.46:
	v_lshl_add_u32 v4, v22, 2, v0
	s_mov_b32 s2, s23
	s_mov_b32 s1, exec_lo
	ds_read2st64_b32 v[0:1], v4 offset1:4
	ds_read2st64_b32 v[2:3], v4 offset0:8 offset1:12
	s_waitcnt lgkmcnt(1)
	v_add_f32_e32 v0, v0, v1
	v_or_b32_e32 v1, s26, v21
	s_waitcnt lgkmcnt(0)
	v_add_f32_e32 v0, v2, v0
	v_add_f32_e32 v0, v3, v0
                                        ; implicit-def: $vgpr3
	ds_write_b32 v4, v0
                                        ; implicit-def: $vgpr4_vgpr5
	v_cmpx_gt_i32_e64 s10, v1
	s_cbranch_execz .LBB665_50
; %bb.47:
	v_ashrrev_i32_e32 v2, 31, v1
	v_mul_lo_u32 v6, s9, v1
	v_mad_u64_u32 v[4:5], null, s8, v1, 0
	v_cmp_eq_f32_e64 s2, s28, 0
	v_mul_lo_u32 v1, s8, v2
	v_mul_f32_e32 v3, s29, v0
	s_and_b32 vcc_lo, exec_lo, s2
	v_add3_u32 v5, v5, v1, v6
	s_cbranch_vccnz .LBB665_49
; %bb.48:
	v_lshlrev_b64 v[0:1], 2, v[4:5]
	v_add_co_u32 v0, vcc_lo, s5, v0
	v_add_co_ci_u32_e64 v1, null, s22, v1, vcc_lo
	flat_load_dword v0, v[0:1]
	s_waitcnt vmcnt(0) lgkmcnt(0)
	v_fmac_f32_e32 v3, s28, v0
.LBB665_49:
	s_or_b32 s2, s23, exec_lo
.LBB665_50:
	s_or_b32 exec_lo, exec_lo, s1
	s_andn2_b32 s1, s23, exec_lo
	s_and_b32 s2, s2, exec_lo
	s_or_b32 s23, s1, s2
.LBB665_51:
	s_or_b32 exec_lo, exec_lo, s0
.LBB665_52:
	s_and_saveexec_b32 s0, s23
	s_cbranch_execz .LBB665_54
; %bb.53:
	v_lshlrev_b64 v[0:1], 2, v[4:5]
	v_add_co_u32 v0, vcc_lo, s5, v0
	v_add_co_ci_u32_e64 v1, null, s22, v1, vcc_lo
	flat_store_dword v[0:1], v3
.LBB665_54:
	s_endpgm
	.section	.rodata,"a",@progbits
	.p2align	6, 0x0
	.amdhsa_kernel _ZL20rocblas_gemvn_kernelILi64ELi4ElPK16rocblas_bfloat16PKfKPfEviiT3_lPKT2_lT1_lSA_lSB_lS7_lPT4_lSB_li
		.amdhsa_group_segment_fixed_size 4096
		.amdhsa_private_segment_fixed_size 0
		.amdhsa_kernarg_size 400
		.amdhsa_user_sgpr_count 6
		.amdhsa_user_sgpr_private_segment_buffer 1
		.amdhsa_user_sgpr_dispatch_ptr 0
		.amdhsa_user_sgpr_queue_ptr 0
		.amdhsa_user_sgpr_kernarg_segment_ptr 1
		.amdhsa_user_sgpr_dispatch_id 0
		.amdhsa_user_sgpr_flat_scratch_init 0
		.amdhsa_user_sgpr_private_segment_size 0
		.amdhsa_wavefront_size32 1
		.amdhsa_uses_dynamic_stack 0
		.amdhsa_system_sgpr_private_segment_wavefront_offset 0
		.amdhsa_system_sgpr_workgroup_id_x 1
		.amdhsa_system_sgpr_workgroup_id_y 0
		.amdhsa_system_sgpr_workgroup_id_z 1
		.amdhsa_system_sgpr_workgroup_info 0
		.amdhsa_system_vgpr_workitem_id 1
		.amdhsa_next_free_vgpr 52
		.amdhsa_next_free_sgpr 35
		.amdhsa_reserve_vcc 1
		.amdhsa_reserve_flat_scratch 1
		.amdhsa_float_round_mode_32 0
		.amdhsa_float_round_mode_16_64 0
		.amdhsa_float_denorm_mode_32 3
		.amdhsa_float_denorm_mode_16_64 3
		.amdhsa_dx10_clamp 1
		.amdhsa_ieee_mode 1
		.amdhsa_fp16_overflow 0
		.amdhsa_workgroup_processor_mode 1
		.amdhsa_memory_ordered 1
		.amdhsa_forward_progress 1
		.amdhsa_shared_vgpr_count 0
		.amdhsa_exception_fp_ieee_invalid_op 0
		.amdhsa_exception_fp_denorm_src 0
		.amdhsa_exception_fp_ieee_div_zero 0
		.amdhsa_exception_fp_ieee_overflow 0
		.amdhsa_exception_fp_ieee_underflow 0
		.amdhsa_exception_fp_ieee_inexact 0
		.amdhsa_exception_int_div_zero 0
	.end_amdhsa_kernel
	.section	.text._ZL20rocblas_gemvn_kernelILi64ELi4ElPK16rocblas_bfloat16PKfKPfEviiT3_lPKT2_lT1_lSA_lSB_lS7_lPT4_lSB_li,"axG",@progbits,_ZL20rocblas_gemvn_kernelILi64ELi4ElPK16rocblas_bfloat16PKfKPfEviiT3_lPKT2_lT1_lSA_lSB_lS7_lPT4_lSB_li,comdat
.Lfunc_end665:
	.size	_ZL20rocblas_gemvn_kernelILi64ELi4ElPK16rocblas_bfloat16PKfKPfEviiT3_lPKT2_lT1_lSA_lSB_lS7_lPT4_lSB_li, .Lfunc_end665-_ZL20rocblas_gemvn_kernelILi64ELi4ElPK16rocblas_bfloat16PKfKPfEviiT3_lPKT2_lT1_lSA_lSB_lS7_lPT4_lSB_li
                                        ; -- End function
	.set _ZL20rocblas_gemvn_kernelILi64ELi4ElPK16rocblas_bfloat16PKfKPfEviiT3_lPKT2_lT1_lSA_lSB_lS7_lPT4_lSB_li.num_vgpr, 52
	.set _ZL20rocblas_gemvn_kernelILi64ELi4ElPK16rocblas_bfloat16PKfKPfEviiT3_lPKT2_lT1_lSA_lSB_lS7_lPT4_lSB_li.num_agpr, 0
	.set _ZL20rocblas_gemvn_kernelILi64ELi4ElPK16rocblas_bfloat16PKfKPfEviiT3_lPKT2_lT1_lSA_lSB_lS7_lPT4_lSB_li.numbered_sgpr, 35
	.set _ZL20rocblas_gemvn_kernelILi64ELi4ElPK16rocblas_bfloat16PKfKPfEviiT3_lPKT2_lT1_lSA_lSB_lS7_lPT4_lSB_li.num_named_barrier, 0
	.set _ZL20rocblas_gemvn_kernelILi64ELi4ElPK16rocblas_bfloat16PKfKPfEviiT3_lPKT2_lT1_lSA_lSB_lS7_lPT4_lSB_li.private_seg_size, 0
	.set _ZL20rocblas_gemvn_kernelILi64ELi4ElPK16rocblas_bfloat16PKfKPfEviiT3_lPKT2_lT1_lSA_lSB_lS7_lPT4_lSB_li.uses_vcc, 1
	.set _ZL20rocblas_gemvn_kernelILi64ELi4ElPK16rocblas_bfloat16PKfKPfEviiT3_lPKT2_lT1_lSA_lSB_lS7_lPT4_lSB_li.uses_flat_scratch, 1
	.set _ZL20rocblas_gemvn_kernelILi64ELi4ElPK16rocblas_bfloat16PKfKPfEviiT3_lPKT2_lT1_lSA_lSB_lS7_lPT4_lSB_li.has_dyn_sized_stack, 0
	.set _ZL20rocblas_gemvn_kernelILi64ELi4ElPK16rocblas_bfloat16PKfKPfEviiT3_lPKT2_lT1_lSA_lSB_lS7_lPT4_lSB_li.has_recursion, 0
	.set _ZL20rocblas_gemvn_kernelILi64ELi4ElPK16rocblas_bfloat16PKfKPfEviiT3_lPKT2_lT1_lSA_lSB_lS7_lPT4_lSB_li.has_indirect_call, 0
	.section	.AMDGPU.csdata,"",@progbits
; Kernel info:
; codeLenInByte = 3160
; TotalNumSgprs: 37
; NumVgprs: 52
; ScratchSize: 0
; MemoryBound: 0
; FloatMode: 240
; IeeeMode: 1
; LDSByteSize: 4096 bytes/workgroup (compile time only)
; SGPRBlocks: 0
; VGPRBlocks: 6
; NumSGPRsForWavesPerEU: 37
; NumVGPRsForWavesPerEU: 52
; Occupancy: 16
; WaveLimiterHint : 1
; COMPUTE_PGM_RSRC2:SCRATCH_EN: 0
; COMPUTE_PGM_RSRC2:USER_SGPR: 6
; COMPUTE_PGM_RSRC2:TRAP_HANDLER: 0
; COMPUTE_PGM_RSRC2:TGID_X_EN: 1
; COMPUTE_PGM_RSRC2:TGID_Y_EN: 0
; COMPUTE_PGM_RSRC2:TGID_Z_EN: 1
; COMPUTE_PGM_RSRC2:TIDIG_COMP_CNT: 1
	.section	.text._ZL20rocblas_gemvn_kernelILi64ELi4EiPK16rocblas_bfloat16fKPfEviiT3_lPKT2_lT1_lS8_lS9_lS5_lPT4_lS9_li,"axG",@progbits,_ZL20rocblas_gemvn_kernelILi64ELi4EiPK16rocblas_bfloat16fKPfEviiT3_lPKT2_lT1_lS8_lS9_lS5_lPT4_lS9_li,comdat
	.globl	_ZL20rocblas_gemvn_kernelILi64ELi4EiPK16rocblas_bfloat16fKPfEviiT3_lPKT2_lT1_lS8_lS9_lS5_lPT4_lS9_li ; -- Begin function _ZL20rocblas_gemvn_kernelILi64ELi4EiPK16rocblas_bfloat16fKPfEviiT3_lPKT2_lT1_lS8_lS9_lS5_lPT4_lS9_li
	.p2align	8
	.type	_ZL20rocblas_gemvn_kernelILi64ELi4EiPK16rocblas_bfloat16fKPfEviiT3_lPKT2_lT1_lS8_lS9_lS5_lPT4_lS9_li,@function
_ZL20rocblas_gemvn_kernelILi64ELi4EiPK16rocblas_bfloat16fKPfEviiT3_lPKT2_lT1_lS8_lS9_lS5_lPT4_lS9_li: ; @_ZL20rocblas_gemvn_kernelILi64ELi4EiPK16rocblas_bfloat16fKPfEviiT3_lPKT2_lT1_lS8_lS9_lS5_lPT4_lS9_li
; %bb.0:
	s_load_dwordx2 s[0:1], s[4:5], 0x9c
	s_waitcnt lgkmcnt(0)
	s_lshr_b32 s3, s0, 16
	s_and_b32 s0, s0, 0xffff
	s_and_b32 s1, s1, 0xffff
	s_mul_i32 s0, s3, s0
	s_mul_i32 s0, s0, s1
	s_cmpk_lg_i32 s0, 0x100
	s_cbranch_scc1 .LBB666_56
; %bb.1:
	s_mov_b32 s2, s7
	s_clause 0x1
	s_load_dwordx4 s[8:11], s[4:5], 0x0
	s_load_dword s7, s[4:5], 0x58
	s_mov_b32 s3, 0
	s_waitcnt lgkmcnt(0)
	v_cmp_eq_f32_e64 s18, s10, 0
	v_cmp_eq_f32_e64 s0, s7, 1.0
	s_and_b32 s0, s18, s0
	s_and_b32 vcc_lo, exec_lo, s0
	s_cbranch_vccnz .LBB666_56
; %bb.2:
	v_cmp_neq_f32_e64 s11, s10, 0
	s_and_b32 vcc_lo, exec_lo, s11
	s_cbranch_vccnz .LBB666_4
; %bb.3:
	s_mov_b32 s1, 0
	s_mov_b32 s0, s2
	;; [unrolled: 1-line block ×3, first 2 shown]
	s_mov_b64 s[14:15], 0
	s_andn2_b32 vcc_lo, exec_lo, s12
	s_mov_b64 s[12:13], 0
	s_cbranch_vccz .LBB666_5
	s_branch .LBB666_6
.LBB666_4:
	s_mov_b64 s[0:1], s[2:3]
	s_mov_b64 s[14:15], 0
	s_mov_b64 s[12:13], 0
.LBB666_5:
	s_load_dwordx4 s[20:23], s[4:5], 0x18
	s_lshl_b64 s[2:3], s[2:3], 3
	s_waitcnt lgkmcnt(0)
	s_add_u32 s2, s20, s2
	s_addc_u32 s3, s21, s3
	s_lshl_b64 s[12:13], s[22:23], 1
	s_load_dwordx2 s[2:3], s[2:3], 0x0
	s_waitcnt lgkmcnt(0)
	s_add_u32 s12, s2, s12
	s_addc_u32 s13, s3, s13
.LBB666_6:
	s_andn2_b32 vcc_lo, exec_lo, s11
	s_cbranch_vccnz .LBB666_8
; %bb.7:
	s_load_dwordx4 s[20:23], s[4:5], 0x38
	s_lshl_b64 s[2:3], s[0:1], 3
	s_waitcnt lgkmcnt(0)
	s_add_u32 s2, s20, s2
	s_addc_u32 s3, s21, s3
	s_lshl_b64 s[14:15], s[22:23], 1
	s_load_dwordx2 s[2:3], s[2:3], 0x0
	s_waitcnt lgkmcnt(0)
	s_add_u32 s14, s2, s14
	s_addc_u32 s15, s3, s15
.LBB666_8:
	s_clause 0x1
	s_load_dwordx4 s[20:23], s[4:5], 0x68
	s_load_dword s17, s[4:5], 0x78
	s_lshl_b64 s[0:1], s[0:1], 3
	v_lshlrev_b32_e32 v14, 6, v1
	v_add_nc_u32_e32 v13, v14, v0
	s_waitcnt lgkmcnt(0)
	s_add_u32 s0, s20, s0
	s_addc_u32 s1, s21, s1
	s_lshl_b64 s[20:21], s[22:23], 2
	s_load_dwordx2 s[2:3], s[0:1], 0x0
	v_cmp_gt_u32_e64 s0, 0x100, v13
	s_waitcnt lgkmcnt(0)
	s_add_u32 s11, s2, s20
	s_addc_u32 s16, s3, s21
	s_andn2_b32 vcc_lo, exec_lo, s18
	s_cbranch_vccnz .LBB666_15
; %bb.9:
	s_mov_b32 s1, 0
	s_mov_b32 s18, 0
                                        ; implicit-def: $vgpr3
                                        ; implicit-def: $vgpr4_vgpr5
	s_and_saveexec_b32 s2, s0
	s_cbranch_execz .LBB666_16
; %bb.10:
	v_lshl_or_b32 v2, s6, 8, v13
	v_mov_b32_e32 v3, 0
	s_ashr_i32 s19, s8, 31
	s_mov_b32 s18, s8
	s_mov_b32 s3, 0
	s_mov_b32 s0, exec_lo
                                        ; implicit-def: $vgpr4_vgpr5
	v_cmpx_gt_i64_e64 s[18:19], v[2:3]
	s_cbranch_execz .LBB666_14
; %bb.11:
	v_mad_u64_u32 v[4:5], null, s17, v2, 0
	s_ashr_i32 s3, s17, 31
	v_mad_u64_u32 v[5:6], null, s3, v2, v[5:6]
	v_cmp_eq_f32_e64 s3, s7, 0
	s_and_b32 vcc_lo, exec_lo, s3
	s_cbranch_vccnz .LBB666_13
; %bb.12:
	v_lshlrev_b64 v[2:3], 2, v[4:5]
	v_add_co_u32 v2, vcc_lo, s11, v2
	v_add_co_ci_u32_e64 v3, null, s16, v3, vcc_lo
	flat_load_dword v2, v[2:3]
	s_waitcnt vmcnt(0) lgkmcnt(0)
	v_mul_f32_e32 v3, s7, v2
.LBB666_13:
	s_mov_b32 s3, exec_lo
.LBB666_14:
	s_or_b32 exec_lo, exec_lo, s0
	s_and_b32 s18, s3, exec_lo
	s_or_b32 exec_lo, exec_lo, s2
	s_and_b32 vcc_lo, exec_lo, s1
	s_cbranch_vccnz .LBB666_17
	s_branch .LBB666_54
.LBB666_15:
	s_mov_b32 s18, 0
                                        ; implicit-def: $vgpr3
                                        ; implicit-def: $vgpr4_vgpr5
	s_cbranch_execnz .LBB666_17
	s_branch .LBB666_54
.LBB666_16:
	s_or_b32 exec_lo, exec_lo, s2
	s_and_b32 vcc_lo, exec_lo, s1
	s_cbranch_vccz .LBB666_54
.LBB666_17:
	s_clause 0x1
	s_load_dword s19, s[4:5], 0x28
	s_load_dword s4, s[4:5], 0x48
	s_ashr_i32 s0, s9, 31
	s_lshl_b32 s5, s6, 8
	s_lshr_b32 s0, s0, 28
	v_lshlrev_b32_e32 v20, 2, v1
	v_or_b32_e32 v19, s5, v0
	v_mov_b32_e32 v15, 0
	v_mov_b32_e32 v16, 0
	v_mov_b32_e32 v17, 0
	v_mov_b32_e32 v18, 0
	s_add_i32 s0, s9, s0
	s_mov_b32 s20, exec_lo
	s_and_b32 s6, s0, -16
	v_cmpx_gt_i32_e64 s6, v20
	s_cbranch_execz .LBB666_29
; %bb.18:
	v_add_nc_u32_e32 v5, 0xc0, v19
	s_waitcnt lgkmcnt(0)
	v_mul_lo_u32 v3, s19, v20
	v_add_nc_u32_e32 v2, 64, v19
	v_add_nc_u32_e32 v6, 2, v20
	;; [unrolled: 1-line block ×3, first 2 shown]
	v_cmp_gt_i32_e64 s2, s8, v5
	v_mul_lo_u32 v5, v1, s19
	v_add_nc_u32_e32 v7, 3, v20
	v_mul_lo_u32 v8, v1, s4
	v_cmp_gt_i32_e64 s0, s8, v2
	v_add3_u32 v21, v3, s19, v0
	v_mad_u64_u32 v[2:3], null, s19, v6, v[0:1]
	v_cmp_gt_i32_e64 s1, s8, v4
	v_mad_u64_u32 v[3:4], null, s19, v7, v[0:1]
	v_lshl_add_u32 v22, v5, 2, v0
	v_mad_u64_u32 v[4:5], null, s4, v20, s[4:5]
	v_mul_lo_u32 v23, s4, v6
	v_mul_lo_u32 v24, s4, v7
	v_lshlrev_b32_e32 v25, 2, v8
	v_mov_b32_e32 v15, 0
	v_mov_b32_e32 v16, 0
	;; [unrolled: 1-line block ×4, first 2 shown]
	s_lshl_b32 s21, s19, 4
	s_lshl_b32 s23, s4, 4
	s_mov_b32 s22, 0
	s_mov_b32 s24, 0
	v_cmp_gt_i32_e32 vcc_lo, s8, v19
	s_branch .LBB666_23
.LBB666_19:                             ;   in Loop: Header=BB666_23 Depth=1
	s_or_b32 exec_lo, exec_lo, s27
	s_waitcnt vmcnt(3) lgkmcnt(3)
	v_lshlrev_b32_e32 v5, 16, v41
	s_waitcnt vmcnt(2) lgkmcnt(2)
	v_lshlrev_b32_e32 v6, 16, v40
	v_fmac_f32_e32 v17, v33, v5
	s_waitcnt vmcnt(1) lgkmcnt(1)
	v_lshlrev_b32_e32 v5, 16, v39
	v_fmac_f32_e32 v17, v29, v6
	v_fmac_f32_e32 v17, v31, v5
	s_waitcnt vmcnt(0) lgkmcnt(0)
	v_lshlrev_b32_e32 v5, 16, v38
	v_fmac_f32_e32 v17, v27, v5
.LBB666_20:                             ;   in Loop: Header=BB666_23 Depth=1
	s_or_b32 exec_lo, exec_lo, s26
	s_waitcnt vmcnt(3) lgkmcnt(3)
	v_lshlrev_b32_e32 v5, 16, v37
	s_waitcnt vmcnt(2) lgkmcnt(2)
	v_lshlrev_b32_e32 v6, 16, v36
	v_fmac_f32_e32 v16, v33, v5
	s_waitcnt vmcnt(1) lgkmcnt(1)
	v_lshlrev_b32_e32 v5, 16, v35
	v_fmac_f32_e32 v16, v29, v6
	v_fmac_f32_e32 v16, v31, v5
	s_waitcnt vmcnt(0) lgkmcnt(0)
	v_lshlrev_b32_e32 v5, 16, v34
	v_fmac_f32_e32 v16, v27, v5
.LBB666_21:                             ;   in Loop: Header=BB666_23 Depth=1
	s_or_b32 exec_lo, exec_lo, s3
	s_waitcnt vmcnt(3) lgkmcnt(3)
	v_lshlrev_b32_e32 v5, 16, v32
	s_waitcnt vmcnt(2) lgkmcnt(2)
	v_lshlrev_b32_e32 v6, 16, v30
	v_fmac_f32_e32 v15, v33, v5
	s_waitcnt vmcnt(1) lgkmcnt(1)
	v_lshlrev_b32_e32 v5, 16, v28
	v_fmac_f32_e32 v15, v29, v6
	v_fmac_f32_e32 v15, v31, v5
	s_waitcnt vmcnt(0) lgkmcnt(0)
	v_lshlrev_b32_e32 v5, 16, v26
	v_fmac_f32_e32 v15, v27, v5
.LBB666_22:                             ;   in Loop: Header=BB666_23 Depth=1
	s_or_b32 exec_lo, exec_lo, s25
	v_add_nc_u32_e32 v20, 16, v20
	v_add_nc_u32_e32 v21, s21, v21
	;; [unrolled: 1-line block ×5, first 2 shown]
	v_cmp_le_i32_e64 s3, s6, v20
	s_add_i32 s24, s24, s23
	s_or_b32 s22, s3, s22
	s_andn2_b32 exec_lo, exec_lo, s22
	s_cbranch_execz .LBB666_28
.LBB666_23:                             ; =>This Inner Loop Header: Depth=1
	s_and_saveexec_b32 s25, vcc_lo
	s_cbranch_execz .LBB666_22
; %bb.24:                               ;   in Loop: Header=BB666_23 Depth=1
	v_add_nc_u32_e32 v5, s24, v25
	v_add_nc_u32_e32 v7, s24, v4
	;; [unrolled: 1-line block ×5, first 2 shown]
	v_ashrrev_i32_e32 v6, 31, v5
	v_ashrrev_i32_e32 v8, 31, v7
	;; [unrolled: 1-line block ×5, first 2 shown]
	v_lshlrev_b64 v[5:6], 1, v[5:6]
	v_lshlrev_b64 v[7:8], 1, v[7:8]
	;; [unrolled: 1-line block ×4, first 2 shown]
	v_add_nc_u32_e32 v28, s5, v21
	v_add_nc_u32_e32 v30, s5, v2
	v_add_co_u32 v5, s3, s14, v5
	v_add_co_ci_u32_e64 v6, null, s15, v6, s3
	v_add_co_u32 v7, s3, s14, v7
	v_add_co_ci_u32_e64 v8, null, s15, v8, s3
	;; [unrolled: 2-line block ×4, first 2 shown]
	v_lshlrev_b64 v[26:27], 1, v[26:27]
	s_clause 0x3
	flat_load_ushort v33, v[5:6]
	flat_load_ushort v34, v[7:8]
	;; [unrolled: 1-line block ×4, first 2 shown]
	v_add_nc_u32_e32 v9, s5, v3
	v_ashrrev_i32_e32 v29, 31, v28
	v_ashrrev_i32_e32 v31, 31, v30
	v_add_co_u32 v5, s3, s12, v26
	v_ashrrev_i32_e32 v10, 31, v9
	v_lshlrev_b64 v[7:8], 1, v[28:29]
	v_add_co_ci_u32_e64 v6, null, s13, v27, s3
	v_lshlrev_b64 v[26:27], 1, v[30:31]
	v_lshlrev_b64 v[9:10], 1, v[9:10]
	v_add_co_u32 v11, s3, s12, v7
	v_add_co_ci_u32_e64 v12, null, s13, v8, s3
	v_add_co_u32 v7, s3, s12, v26
	v_add_co_ci_u32_e64 v8, null, s13, v27, s3
	;; [unrolled: 2-line block ×3, first 2 shown]
	s_clause 0x3
	flat_load_ushort v32, v[5:6]
	flat_load_ushort v30, v[11:12]
	;; [unrolled: 1-line block ×4, first 2 shown]
	s_waitcnt vmcnt(7) lgkmcnt(7)
	v_lshlrev_b32_e32 v33, 16, v33
	s_waitcnt vmcnt(6) lgkmcnt(6)
	v_lshlrev_b32_e32 v29, 16, v34
	;; [unrolled: 2-line block ×4, first 2 shown]
	s_and_saveexec_b32 s3, s0
	s_cbranch_execz .LBB666_21
; %bb.25:                               ;   in Loop: Header=BB666_23 Depth=1
	s_clause 0x3
	flat_load_ushort v37, v[5:6] offset:128
	flat_load_ushort v36, v[11:12] offset:128
	flat_load_ushort v35, v[7:8] offset:128
	flat_load_ushort v34, v[9:10] offset:128
	s_and_saveexec_b32 s26, s1
	s_cbranch_execz .LBB666_20
; %bb.26:                               ;   in Loop: Header=BB666_23 Depth=1
	s_clause 0x3
	flat_load_ushort v41, v[5:6] offset:256
	flat_load_ushort v40, v[11:12] offset:256
	flat_load_ushort v39, v[7:8] offset:256
	flat_load_ushort v38, v[9:10] offset:256
	;; [unrolled: 8-line block ×3, first 2 shown]
	s_waitcnt vmcnt(3) lgkmcnt(3)
	v_lshlrev_b32_e32 v5, 16, v5
	s_waitcnt vmcnt(2) lgkmcnt(2)
	v_lshlrev_b32_e32 v6, 16, v6
	v_fmac_f32_e32 v18, v33, v5
	s_waitcnt vmcnt(1) lgkmcnt(1)
	v_lshlrev_b32_e32 v5, 16, v7
	v_fmac_f32_e32 v18, v29, v6
	;; [unrolled: 3-line block ×3, first 2 shown]
	v_fmac_f32_e32 v18, v27, v6
	s_branch .LBB666_19
.LBB666_28:
	s_or_b32 exec_lo, exec_lo, s22
.LBB666_29:
	s_or_b32 exec_lo, exec_lo, s20
	s_sub_i32 s0, s9, s6
	s_cmp_lt_i32 s0, 1
	s_cbranch_scc1 .LBB666_47
; %bb.30:
	v_cmp_gt_i32_e32 vcc_lo, s9, v20
	v_mov_b32_e32 v11, 0
	v_or_b32_e32 v2, 1, v20
	v_mov_b32_e32 v10, 0
	v_mov_b32_e32 v21, 0
	;; [unrolled: 1-line block ×3, first 2 shown]
	s_and_saveexec_b32 s1, vcc_lo
	s_cbranch_execz .LBB666_38
; %bb.31:
	s_waitcnt lgkmcnt(0)
	v_mul_lo_u32 v3, v20, s4
	v_mov_b32_e32 v12, 0
	v_mov_b32_e32 v10, 0
	;; [unrolled: 1-line block ×3, first 2 shown]
	s_mov_b32 s2, exec_lo
	v_ashrrev_i32_e32 v4, 31, v3
	v_lshlrev_b64 v[3:4], 1, v[3:4]
	v_add_co_u32 v3, s0, s14, v3
	v_add_co_ci_u32_e64 v4, null, s15, v4, s0
	flat_load_ushort v3, v[3:4]
	v_cmpx_gt_i32_e64 s9, v2
	s_cbranch_execz .LBB666_37
; %bb.32:
	v_mul_lo_u32 v4, v2, s4
	v_mov_b32_e32 v10, 0
	v_mov_b32_e32 v11, 0
	s_mov_b32 s3, exec_lo
	v_ashrrev_i32_e32 v5, 31, v4
	v_lshlrev_b64 v[4:5], 1, v[4:5]
	v_add_co_u32 v4, s0, s14, v4
	v_add_co_ci_u32_e64 v5, null, s15, v5, s0
	flat_load_ushort v4, v[4:5]
	v_or_b32_e32 v5, 2, v20
	v_cmpx_gt_i32_e64 s9, v5
	s_cbranch_execz .LBB666_36
; %bb.33:
	v_mul_lo_u32 v5, v5, s4
	v_mov_b32_e32 v10, 0
	s_mov_b32 s6, exec_lo
	v_ashrrev_i32_e32 v6, 31, v5
	v_lshlrev_b64 v[5:6], 1, v[5:6]
	v_add_co_u32 v5, s0, s14, v5
	v_add_co_ci_u32_e64 v6, null, s15, v6, s0
	flat_load_ushort v5, v[5:6]
	v_or_b32_e32 v6, 3, v20
	v_cmpx_gt_i32_e64 s9, v6
	s_cbranch_execz .LBB666_35
; %bb.34:
	v_mul_lo_u32 v6, v6, s4
	v_ashrrev_i32_e32 v7, 31, v6
	v_lshlrev_b64 v[6:7], 1, v[6:7]
	v_add_co_u32 v6, s0, s14, v6
	v_add_co_ci_u32_e64 v7, null, s15, v7, s0
	flat_load_ushort v6, v[6:7]
	s_waitcnt vmcnt(0) lgkmcnt(0)
	v_lshlrev_b32_e32 v10, 16, v6
.LBB666_35:
	s_or_b32 exec_lo, exec_lo, s6
	s_waitcnt vmcnt(0) lgkmcnt(0)
	v_lshlrev_b32_e32 v11, 16, v5
.LBB666_36:
	s_or_b32 exec_lo, exec_lo, s3
	s_waitcnt vmcnt(0) lgkmcnt(0)
	v_lshlrev_b32_e32 v12, 16, v4
.LBB666_37:
	s_or_b32 exec_lo, exec_lo, s2
	s_waitcnt vmcnt(0) lgkmcnt(0)
	v_lshlrev_b32_e32 v21, 16, v3
.LBB666_38:
	s_or_b32 exec_lo, exec_lo, s1
	s_mov_b32 s1, exec_lo
	v_cmpx_gt_i32_e64 s8, v19
	s_cbranch_execz .LBB666_46
; %bb.39:
	s_waitcnt lgkmcnt(0)
	v_mul_lo_u32 v3, v20, s19
	v_mul_lo_u32 v4, v2, s19
	v_or_b32_e32 v5, 2, v20
	v_or_b32_e32 v6, 3, v20
	s_mov_b32 s0, exec_lo
	v_mul_lo_u32 v7, v5, s19
	v_cndmask_b32_e32 v3, 0, v3, vcc_lo
	v_cmp_gt_i32_e32 vcc_lo, s9, v2
	v_mul_lo_u32 v8, v6, s19
	v_add_nc_u32_e32 v2, v3, v19
	v_cndmask_b32_e32 v4, 0, v4, vcc_lo
	v_cmp_gt_i32_e32 vcc_lo, s9, v5
	v_ashrrev_i32_e32 v3, 31, v2
	v_add_nc_u32_e32 v4, v4, v19
	v_cndmask_b32_e32 v7, 0, v7, vcc_lo
	v_cmp_gt_i32_e32 vcc_lo, s9, v6
	v_lshlrev_b64 v[2:3], 1, v[2:3]
	v_ashrrev_i32_e32 v5, 31, v4
	v_add_nc_u32_e32 v6, v7, v19
	v_cndmask_b32_e32 v8, 0, v8, vcc_lo
	v_lshlrev_b64 v[4:5], 1, v[4:5]
	v_ashrrev_i32_e32 v7, 31, v6
	v_add_nc_u32_e32 v8, v8, v19
	v_add_co_u32 v2, vcc_lo, s12, v2
	v_add_co_ci_u32_e64 v3, null, s13, v3, vcc_lo
	v_ashrrev_i32_e32 v9, 31, v8
	v_add_co_u32 v4, vcc_lo, s12, v4
	v_add_co_ci_u32_e64 v5, null, s13, v5, vcc_lo
	v_lshlrev_b64 v[6:7], 1, v[6:7]
	v_lshlrev_b64 v[8:9], 1, v[8:9]
	s_clause 0x1
	flat_load_ushort v20, v[2:3]
	flat_load_ushort v22, v[4:5]
	v_add_co_u32 v6, vcc_lo, s12, v6
	v_add_co_ci_u32_e64 v7, null, s13, v7, vcc_lo
	v_add_co_u32 v8, vcc_lo, s12, v8
	v_add_co_ci_u32_e64 v9, null, s13, v9, vcc_lo
	s_clause 0x1
	flat_load_ushort v23, v[6:7]
	flat_load_ushort v24, v[8:9]
	s_waitcnt vmcnt(3) lgkmcnt(3)
	v_lshlrev_b32_e32 v20, 16, v20
	s_waitcnt vmcnt(2) lgkmcnt(2)
	v_lshlrev_b32_e32 v22, 16, v22
	v_fmac_f32_e32 v15, v21, v20
	v_fmac_f32_e32 v15, v12, v22
	v_add_nc_u32_e32 v22, 64, v19
	s_waitcnt vmcnt(1) lgkmcnt(1)
	v_lshlrev_b32_e32 v23, 16, v23
	s_waitcnt vmcnt(0) lgkmcnt(0)
	v_lshlrev_b32_e32 v20, 16, v24
	v_fmac_f32_e32 v15, v11, v23
	v_cmpx_gt_i32_e64 s8, v22
	s_cbranch_execz .LBB666_45
; %bb.40:
	s_clause 0x3
	flat_load_ushort v22, v[2:3] offset:128
	flat_load_ushort v23, v[4:5] offset:128
	;; [unrolled: 1-line block ×4, first 2 shown]
	s_mov_b32 s2, exec_lo
	s_waitcnt vmcnt(3) lgkmcnt(3)
	v_lshlrev_b32_e32 v22, 16, v22
	s_waitcnt vmcnt(2) lgkmcnt(2)
	v_lshlrev_b32_e32 v23, 16, v23
	;; [unrolled: 2-line block ×3, first 2 shown]
	v_fmac_f32_e32 v16, v21, v22
	s_waitcnt vmcnt(0) lgkmcnt(0)
	v_lshlrev_b32_e32 v22, 16, v25
	v_fmac_f32_e32 v16, v12, v23
	v_add_nc_u32_e32 v23, 0x80, v19
	v_fmac_f32_e32 v16, v11, v24
	v_cmpx_gt_i32_e64 s8, v23
	s_cbranch_execz .LBB666_44
; %bb.41:
	s_clause 0x3
	flat_load_ushort v23, v[2:3] offset:256
	flat_load_ushort v24, v[4:5] offset:256
	;; [unrolled: 1-line block ×4, first 2 shown]
	s_mov_b32 s3, exec_lo
	s_waitcnt vmcnt(3) lgkmcnt(3)
	v_lshlrev_b32_e32 v23, 16, v23
	s_waitcnt vmcnt(2) lgkmcnt(2)
	v_lshlrev_b32_e32 v24, 16, v24
	v_fmac_f32_e32 v17, v21, v23
	s_waitcnt vmcnt(1) lgkmcnt(1)
	v_lshlrev_b32_e32 v23, 16, v25
	v_fmac_f32_e32 v17, v12, v24
	v_add_nc_u32_e32 v24, 0xc0, v19
	s_waitcnt vmcnt(0) lgkmcnt(0)
	v_lshlrev_b32_e32 v19, 16, v26
	v_fmac_f32_e32 v17, v11, v23
	v_cmpx_gt_i32_e64 s8, v24
	s_cbranch_execz .LBB666_43
; %bb.42:
	s_clause 0x3
	flat_load_ushort v2, v[2:3] offset:384
	flat_load_ushort v3, v[4:5] offset:384
	;; [unrolled: 1-line block ×4, first 2 shown]
	s_waitcnt vmcnt(3) lgkmcnt(3)
	v_lshlrev_b32_e32 v2, 16, v2
	s_waitcnt vmcnt(2) lgkmcnt(2)
	v_lshlrev_b32_e32 v3, 16, v3
	v_fmac_f32_e32 v18, v21, v2
	s_waitcnt vmcnt(1) lgkmcnt(1)
	v_lshlrev_b32_e32 v2, 16, v4
	v_fmac_f32_e32 v18, v12, v3
	;; [unrolled: 3-line block ×3, first 2 shown]
	v_fmac_f32_e32 v18, v10, v3
.LBB666_43:
	s_or_b32 exec_lo, exec_lo, s3
	v_fmac_f32_e32 v17, v10, v19
.LBB666_44:
	s_or_b32 exec_lo, exec_lo, s2
	v_fmac_f32_e32 v16, v10, v22
.LBB666_45:
	s_or_b32 exec_lo, exec_lo, s0
	v_fmac_f32_e32 v15, v10, v20
.LBB666_46:
	s_or_b32 exec_lo, exec_lo, s1
.LBB666_47:
	v_lshlrev_b32_e32 v0, 2, v0
	s_mov_b32 s0, exec_lo
                                        ; implicit-def: $vgpr3
                                        ; implicit-def: $vgpr4_vgpr5
	v_lshl_or_b32 v1, v1, 10, v0
	ds_write2st64_b32 v1, v15, v16 offset1:1
	ds_write2st64_b32 v1, v17, v18 offset0:2 offset1:3
	s_waitcnt lgkmcnt(0)
	s_barrier
	buffer_gl0_inv
	v_cmpx_gt_u32_e32 0x100, v13
	s_cbranch_execz .LBB666_53
; %bb.48:
	v_lshl_add_u32 v4, v14, 2, v0
	s_mov_b32 s2, s18
	s_mov_b32 s1, exec_lo
	ds_read2st64_b32 v[0:1], v4 offset1:4
	ds_read2st64_b32 v[2:3], v4 offset0:8 offset1:12
	s_waitcnt lgkmcnt(1)
	v_add_f32_e32 v0, v0, v1
	v_or_b32_e32 v1, s5, v13
	s_waitcnt lgkmcnt(0)
	v_add_f32_e32 v0, v2, v0
	v_add_f32_e32 v0, v3, v0
                                        ; implicit-def: $vgpr3
	ds_write_b32 v4, v0
                                        ; implicit-def: $vgpr4_vgpr5
	v_cmpx_gt_i32_e64 s8, v1
	s_cbranch_execz .LBB666_52
; %bb.49:
	v_mul_lo_u32 v4, s17, v1
	v_cmp_eq_f32_e64 s2, s7, 0
	v_mul_f32_e32 v3, s10, v0
	s_and_b32 vcc_lo, exec_lo, s2
	v_ashrrev_i32_e32 v5, 31, v4
	s_cbranch_vccnz .LBB666_51
; %bb.50:
	v_lshlrev_b64 v[0:1], 2, v[4:5]
	v_add_co_u32 v0, vcc_lo, s11, v0
	v_add_co_ci_u32_e64 v1, null, s16, v1, vcc_lo
	flat_load_dword v0, v[0:1]
	s_waitcnt vmcnt(0) lgkmcnt(0)
	v_fmac_f32_e32 v3, s7, v0
.LBB666_51:
	s_or_b32 s2, s18, exec_lo
.LBB666_52:
	s_or_b32 exec_lo, exec_lo, s1
	s_andn2_b32 s1, s18, exec_lo
	s_and_b32 s2, s2, exec_lo
	s_or_b32 s18, s1, s2
.LBB666_53:
	s_or_b32 exec_lo, exec_lo, s0
.LBB666_54:
	s_and_saveexec_b32 s0, s18
	s_cbranch_execz .LBB666_56
; %bb.55:
	v_lshlrev_b64 v[0:1], 2, v[4:5]
	v_add_co_u32 v0, vcc_lo, s11, v0
	v_add_co_ci_u32_e64 v1, null, s16, v1, vcc_lo
	flat_store_dword v[0:1], v3
.LBB666_56:
	s_endpgm
	.section	.rodata,"a",@progbits
	.p2align	6, 0x0
	.amdhsa_kernel _ZL20rocblas_gemvn_kernelILi64ELi4EiPK16rocblas_bfloat16fKPfEviiT3_lPKT2_lT1_lS8_lS9_lS5_lPT4_lS9_li
		.amdhsa_group_segment_fixed_size 4096
		.amdhsa_private_segment_fixed_size 0
		.amdhsa_kernarg_size 400
		.amdhsa_user_sgpr_count 6
		.amdhsa_user_sgpr_private_segment_buffer 1
		.amdhsa_user_sgpr_dispatch_ptr 0
		.amdhsa_user_sgpr_queue_ptr 0
		.amdhsa_user_sgpr_kernarg_segment_ptr 1
		.amdhsa_user_sgpr_dispatch_id 0
		.amdhsa_user_sgpr_flat_scratch_init 0
		.amdhsa_user_sgpr_private_segment_size 0
		.amdhsa_wavefront_size32 1
		.amdhsa_uses_dynamic_stack 0
		.amdhsa_system_sgpr_private_segment_wavefront_offset 0
		.amdhsa_system_sgpr_workgroup_id_x 1
		.amdhsa_system_sgpr_workgroup_id_y 0
		.amdhsa_system_sgpr_workgroup_id_z 1
		.amdhsa_system_sgpr_workgroup_info 0
		.amdhsa_system_vgpr_workitem_id 1
		.amdhsa_next_free_vgpr 42
		.amdhsa_next_free_sgpr 28
		.amdhsa_reserve_vcc 1
		.amdhsa_reserve_flat_scratch 1
		.amdhsa_float_round_mode_32 0
		.amdhsa_float_round_mode_16_64 0
		.amdhsa_float_denorm_mode_32 3
		.amdhsa_float_denorm_mode_16_64 3
		.amdhsa_dx10_clamp 1
		.amdhsa_ieee_mode 1
		.amdhsa_fp16_overflow 0
		.amdhsa_workgroup_processor_mode 1
		.amdhsa_memory_ordered 1
		.amdhsa_forward_progress 1
		.amdhsa_shared_vgpr_count 0
		.amdhsa_exception_fp_ieee_invalid_op 0
		.amdhsa_exception_fp_denorm_src 0
		.amdhsa_exception_fp_ieee_div_zero 0
		.amdhsa_exception_fp_ieee_overflow 0
		.amdhsa_exception_fp_ieee_underflow 0
		.amdhsa_exception_fp_ieee_inexact 0
		.amdhsa_exception_int_div_zero 0
	.end_amdhsa_kernel
	.section	.text._ZL20rocblas_gemvn_kernelILi64ELi4EiPK16rocblas_bfloat16fKPfEviiT3_lPKT2_lT1_lS8_lS9_lS5_lPT4_lS9_li,"axG",@progbits,_ZL20rocblas_gemvn_kernelILi64ELi4EiPK16rocblas_bfloat16fKPfEviiT3_lPKT2_lT1_lS8_lS9_lS5_lPT4_lS9_li,comdat
.Lfunc_end666:
	.size	_ZL20rocblas_gemvn_kernelILi64ELi4EiPK16rocblas_bfloat16fKPfEviiT3_lPKT2_lT1_lS8_lS9_lS5_lPT4_lS9_li, .Lfunc_end666-_ZL20rocblas_gemvn_kernelILi64ELi4EiPK16rocblas_bfloat16fKPfEviiT3_lPKT2_lT1_lS8_lS9_lS5_lPT4_lS9_li
                                        ; -- End function
	.set _ZL20rocblas_gemvn_kernelILi64ELi4EiPK16rocblas_bfloat16fKPfEviiT3_lPKT2_lT1_lS8_lS9_lS5_lPT4_lS9_li.num_vgpr, 42
	.set _ZL20rocblas_gemvn_kernelILi64ELi4EiPK16rocblas_bfloat16fKPfEviiT3_lPKT2_lT1_lS8_lS9_lS5_lPT4_lS9_li.num_agpr, 0
	.set _ZL20rocblas_gemvn_kernelILi64ELi4EiPK16rocblas_bfloat16fKPfEviiT3_lPKT2_lT1_lS8_lS9_lS5_lPT4_lS9_li.numbered_sgpr, 28
	.set _ZL20rocblas_gemvn_kernelILi64ELi4EiPK16rocblas_bfloat16fKPfEviiT3_lPKT2_lT1_lS8_lS9_lS5_lPT4_lS9_li.num_named_barrier, 0
	.set _ZL20rocblas_gemvn_kernelILi64ELi4EiPK16rocblas_bfloat16fKPfEviiT3_lPKT2_lT1_lS8_lS9_lS5_lPT4_lS9_li.private_seg_size, 0
	.set _ZL20rocblas_gemvn_kernelILi64ELi4EiPK16rocblas_bfloat16fKPfEviiT3_lPKT2_lT1_lS8_lS9_lS5_lPT4_lS9_li.uses_vcc, 1
	.set _ZL20rocblas_gemvn_kernelILi64ELi4EiPK16rocblas_bfloat16fKPfEviiT3_lPKT2_lT1_lS8_lS9_lS5_lPT4_lS9_li.uses_flat_scratch, 1
	.set _ZL20rocblas_gemvn_kernelILi64ELi4EiPK16rocblas_bfloat16fKPfEviiT3_lPKT2_lT1_lS8_lS9_lS5_lPT4_lS9_li.has_dyn_sized_stack, 0
	.set _ZL20rocblas_gemvn_kernelILi64ELi4EiPK16rocblas_bfloat16fKPfEviiT3_lPKT2_lT1_lS8_lS9_lS5_lPT4_lS9_li.has_recursion, 0
	.set _ZL20rocblas_gemvn_kernelILi64ELi4EiPK16rocblas_bfloat16fKPfEviiT3_lPKT2_lT1_lS8_lS9_lS5_lPT4_lS9_li.has_indirect_call, 0
	.section	.AMDGPU.csdata,"",@progbits
; Kernel info:
; codeLenInByte = 2836
; TotalNumSgprs: 30
; NumVgprs: 42
; ScratchSize: 0
; MemoryBound: 0
; FloatMode: 240
; IeeeMode: 1
; LDSByteSize: 4096 bytes/workgroup (compile time only)
; SGPRBlocks: 0
; VGPRBlocks: 5
; NumSGPRsForWavesPerEU: 30
; NumVGPRsForWavesPerEU: 42
; Occupancy: 16
; WaveLimiterHint : 1
; COMPUTE_PGM_RSRC2:SCRATCH_EN: 0
; COMPUTE_PGM_RSRC2:USER_SGPR: 6
; COMPUTE_PGM_RSRC2:TRAP_HANDLER: 0
; COMPUTE_PGM_RSRC2:TGID_X_EN: 1
; COMPUTE_PGM_RSRC2:TGID_Y_EN: 0
; COMPUTE_PGM_RSRC2:TGID_Z_EN: 1
; COMPUTE_PGM_RSRC2:TIDIG_COMP_CNT: 1
	.section	.text._ZL20rocblas_gemvn_kernelILi64ELi4ElPK16rocblas_bfloat16fKPfEviiT3_lPKT2_lT1_lS8_lS9_lS5_lPT4_lS9_li,"axG",@progbits,_ZL20rocblas_gemvn_kernelILi64ELi4ElPK16rocblas_bfloat16fKPfEviiT3_lPKT2_lT1_lS8_lS9_lS5_lPT4_lS9_li,comdat
	.globl	_ZL20rocblas_gemvn_kernelILi64ELi4ElPK16rocblas_bfloat16fKPfEviiT3_lPKT2_lT1_lS8_lS9_lS5_lPT4_lS9_li ; -- Begin function _ZL20rocblas_gemvn_kernelILi64ELi4ElPK16rocblas_bfloat16fKPfEviiT3_lPKT2_lT1_lS8_lS9_lS5_lPT4_lS9_li
	.p2align	8
	.type	_ZL20rocblas_gemvn_kernelILi64ELi4ElPK16rocblas_bfloat16fKPfEviiT3_lPKT2_lT1_lS8_lS9_lS5_lPT4_lS9_li,@function
_ZL20rocblas_gemvn_kernelILi64ELi4ElPK16rocblas_bfloat16fKPfEviiT3_lPKT2_lT1_lS8_lS9_lS5_lPT4_lS9_li: ; @_ZL20rocblas_gemvn_kernelILi64ELi4ElPK16rocblas_bfloat16fKPfEviiT3_lPKT2_lT1_lS8_lS9_lS5_lPT4_lS9_li
; %bb.0:
	s_load_dwordx2 s[0:1], s[4:5], 0x9c
	s_waitcnt lgkmcnt(0)
	s_lshr_b32 s2, s0, 16
	s_and_b32 s0, s0, 0xffff
	s_and_b32 s1, s1, 0xffff
	s_mul_i32 s0, s2, s0
	s_mul_i32 s0, s0, s1
	s_cmpk_lg_i32 s0, 0x100
	s_cbranch_scc1 .LBB667_56
; %bb.1:
	s_load_dwordx4 s[8:11], s[4:5], 0x0
	s_waitcnt lgkmcnt(0)
	s_load_dword s11, s[4:5], 0x58
	s_mov_b32 s20, s7
	s_mov_b32 s21, 0
	v_cmp_eq_f32_e64 s7, s10, 0
	s_waitcnt lgkmcnt(0)
	v_cmp_eq_f32_e64 s0, s11, 1.0
	s_and_b32 s0, s7, s0
	s_and_b32 vcc_lo, exec_lo, s0
	s_cbranch_vccnz .LBB667_56
; %bb.2:
	s_clause 0x1
	s_load_dwordx4 s[0:3], s[4:5], 0x18
	s_load_dwordx2 s[14:15], s[4:5], 0x28
	v_cmp_neq_f32_e64 s22, s10, 0
	s_and_b32 vcc_lo, exec_lo, s22
	s_cbranch_vccnz .LBB667_4
; %bb.3:
	s_mov_b32 s13, 0
	s_mov_b32 s12, s20
	;; [unrolled: 1-line block ×3, first 2 shown]
	s_mov_b64 s[18:19], 0
	s_andn2_b32 vcc_lo, exec_lo, s16
	s_mov_b64 s[16:17], 0
	s_cbranch_vccz .LBB667_5
	s_branch .LBB667_6
.LBB667_4:
	s_mov_b64 s[12:13], s[20:21]
	s_mov_b64 s[18:19], 0
	;; [unrolled: 1-line block ×3, first 2 shown]
.LBB667_5:
	s_lshl_b64 s[16:17], s[20:21], 3
	s_waitcnt lgkmcnt(0)
	s_add_u32 s0, s0, s16
	s_addc_u32 s1, s1, s17
	s_lshl_b64 s[2:3], s[2:3], 1
	s_load_dwordx2 s[0:1], s[0:1], 0x0
	s_waitcnt lgkmcnt(0)
	s_add_u32 s16, s0, s2
	s_addc_u32 s17, s1, s3
.LBB667_6:
	s_waitcnt lgkmcnt(0)
	s_clause 0x1
	s_load_dwordx4 s[0:3], s[4:5], 0x38
	s_load_dwordx2 s[20:21], s[4:5], 0x48
	s_andn2_b32 vcc_lo, exec_lo, s22
	s_cbranch_vccnz .LBB667_8
; %bb.7:
	s_lshl_b64 s[18:19], s[12:13], 3
	s_waitcnt lgkmcnt(0)
	s_add_u32 s0, s0, s18
	s_addc_u32 s1, s1, s19
	s_lshl_b64 s[2:3], s[2:3], 1
	s_load_dwordx2 s[0:1], s[0:1], 0x0
	s_waitcnt lgkmcnt(0)
	s_add_u32 s18, s0, s2
	s_addc_u32 s19, s1, s3
.LBB667_8:
	s_waitcnt lgkmcnt(0)
	s_load_dwordx4 s[0:3], s[4:5], 0x68
	s_lshl_b64 s[22:23], s[12:13], 3
	s_load_dwordx2 s[12:13], s[4:5], 0x78
	v_lshlrev_b32_e32 v22, 6, v1
	v_add_nc_u32_e32 v21, v22, v0
	s_waitcnt lgkmcnt(0)
	s_add_u32 s0, s0, s22
	s_addc_u32 s1, s1, s23
	s_lshl_b64 s[2:3], s[2:3], 2
	s_load_dwordx2 s[22:23], s[0:1], 0x0
	v_cmp_gt_u32_e64 s0, 0x100, v21
	s_waitcnt lgkmcnt(0)
	s_add_u32 s5, s22, s2
	s_addc_u32 s26, s23, s3
	s_andn2_b32 vcc_lo, exec_lo, s7
	s_cbranch_vccnz .LBB667_15
; %bb.9:
	s_mov_b32 s1, 0
	s_mov_b32 s27, 0
                                        ; implicit-def: $vgpr3
                                        ; implicit-def: $vgpr4_vgpr5
	s_and_saveexec_b32 s2, s0
	s_cbranch_execz .LBB667_16
; %bb.10:
	v_lshl_or_b32 v2, s6, 8, v21
	v_mov_b32_e32 v3, 0
	s_ashr_i32 s23, s8, 31
	s_mov_b32 s22, s8
	s_mov_b32 s3, 0
	s_mov_b32 s0, exec_lo
                                        ; implicit-def: $vgpr4_vgpr5
	v_cmpx_gt_i64_e64 s[22:23], v[2:3]
	s_cbranch_execz .LBB667_14
; %bb.11:
	v_mad_u64_u32 v[4:5], null, s12, v2, 0
	v_cmp_eq_f32_e64 s3, s11, 0
	s_and_b32 vcc_lo, exec_lo, s3
	v_mad_u64_u32 v[5:6], null, s13, v2, v[5:6]
	s_cbranch_vccnz .LBB667_13
; %bb.12:
	v_lshlrev_b64 v[2:3], 2, v[4:5]
	v_add_co_u32 v2, vcc_lo, s5, v2
	v_add_co_ci_u32_e64 v3, null, s26, v3, vcc_lo
	flat_load_dword v2, v[2:3]
	s_waitcnt vmcnt(0) lgkmcnt(0)
	v_mul_f32_e32 v3, s11, v2
.LBB667_13:
	s_mov_b32 s3, exec_lo
.LBB667_14:
	s_or_b32 exec_lo, exec_lo, s0
	s_and_b32 s27, s3, exec_lo
	s_or_b32 exec_lo, exec_lo, s2
	s_and_b32 vcc_lo, exec_lo, s1
	s_cbranch_vccnz .LBB667_17
	s_branch .LBB667_54
.LBB667_15:
	s_mov_b32 s27, 0
                                        ; implicit-def: $vgpr3
                                        ; implicit-def: $vgpr4_vgpr5
	s_cbranch_execnz .LBB667_17
	s_branch .LBB667_54
.LBB667_16:
	s_or_b32 exec_lo, exec_lo, s2
	s_and_b32 vcc_lo, exec_lo, s1
	s_cbranch_vccz .LBB667_54
.LBB667_17:
	s_ashr_i32 s0, s9, 31
	s_lshl_b32 s28, s6, 8
	s_lshr_b32 s0, s0, 28
	v_lshlrev_b32_e32 v27, 2, v1
	v_mov_b32_e32 v23, 0
	v_or_b32_e32 v2, s28, v0
	v_mov_b32_e32 v24, 0
	v_mov_b32_e32 v25, 0
	;; [unrolled: 1-line block ×3, first 2 shown]
	s_add_i32 s0, s9, s0
	s_mov_b32 s30, exec_lo
	s_and_b32 s29, s0, -16
	v_cmpx_gt_i32_e64 s29, v27
	s_cbranch_execz .LBB667_29
; %bb.18:
	v_lshlrev_b32_e32 v25, 2, v1
	v_add_nc_u32_e32 v4, 64, v2
	v_mad_u64_u32 v[7:8], null, s20, v1, 0
	v_mad_u64_u32 v[9:10], null, s14, v1, 0
	v_or_b32_e32 v26, 3, v25
	v_add_nc_u32_e32 v11, 0x80, v2
	v_add_nc_u32_e32 v12, 0xc0, v2
	v_cmp_gt_i32_e64 s0, s8, v4
	v_or_b32_e32 v32, 2, v25
	v_mad_u64_u32 v[5:6], null, s14, v26, 0
	v_cmp_gt_i32_e64 s1, s8, v11
	v_cmp_gt_i32_e64 s2, s8, v12
	v_mad_u64_u32 v[16:17], null, s14, v32, 0
	v_mad_u64_u32 v[18:19], null, s20, v26, 0
	v_mov_b32_e32 v4, v6
	v_mov_b32_e32 v6, v8
	;; [unrolled: 1-line block ×3, first 2 shown]
	v_ashrrev_i32_e32 v3, 31, v2
	s_lshl_b64 s[6:7], s[14:15], 5
	v_mad_u64_u32 v[11:12], null, s15, v26, v[4:5]
	v_mad_u64_u32 v[12:13], null, s21, v1, v[6:7]
	;; [unrolled: 1-line block ×4, first 2 shown]
	v_mov_b32_e32 v6, v11
	v_lshlrev_b64 v[3:4], 1, v[2:3]
	v_mov_b32_e32 v8, v12
	s_lshl_b64 s[22:23], s[20:21], 5
	v_mov_b32_e32 v10, v13
	v_lshlrev_b64 v[11:12], 1, v[5:6]
	s_mov_b32 s31, 0
	v_lshlrev_b64 v[5:6], 3, v[7:8]
	v_mov_b32_e32 v7, v17
	v_mov_b32_e32 v8, v15
	v_lshlrev_b64 v[9:10], 3, v[9:10]
	v_add_co_u32 v28, s3, s16, v11
	v_add_co_ci_u32_e64 v29, null, s17, v12, s3
	v_mad_u64_u32 v[11:12], null, s14, v25, s[14:15]
	v_mad_u64_u32 v[23:24], null, s15, v32, v[7:8]
	v_mov_b32_e32 v7, v19
	v_mad_u64_u32 v[19:20], null, s21, v25, v[8:9]
	v_add_co_u32 v30, s3, s16, v9
	v_mad_u64_u32 v[7:8], null, s21, v26, v[7:8]
	v_mov_b32_e32 v8, v12
	v_mov_b32_e32 v17, v23
	v_mad_u64_u32 v[23:24], null, s20, v32, 0
	v_mov_b32_e32 v15, v19
	v_mad_u64_u32 v[12:13], null, s15, v25, v[8:9]
	v_lshlrev_b64 v[16:17], 1, v[16:17]
	v_mov_b32_e32 v19, v7
	v_add_co_ci_u32_e64 v31, null, s17, v10, s3
	v_mov_b32_e32 v8, v24
	v_mov_b32_e32 v26, 0
	v_lshlrev_b64 v[11:12], 1, v[11:12]
	s_mov_b64 s[24:25], s[18:19]
	v_cmp_gt_i32_e32 vcc_lo, s8, v2
	v_mad_u64_u32 v[24:25], null, s21, v32, v[8:9]
	v_add_co_u32 v32, s3, s16, v16
	v_add_co_ci_u32_e64 v33, null, s17, v17, s3
	v_add_co_u32 v34, s3, s16, v11
	v_lshlrev_b64 v[7:8], 1, v[14:15]
	v_lshlrev_b64 v[9:10], 1, v[18:19]
	v_add_co_ci_u32_e64 v35, null, s17, v12, s3
	v_lshlrev_b64 v[11:12], 1, v[23:24]
	v_mov_b32_e32 v23, 0
	v_mov_b32_e32 v24, 0
	;; [unrolled: 1-line block ×3, first 2 shown]
	s_branch .LBB667_23
.LBB667_19:                             ;   in Loop: Header=BB667_23 Depth=1
	s_or_b32 exec_lo, exec_lo, s34
	s_waitcnt vmcnt(3) lgkmcnt(3)
	v_lshlrev_b32_e32 v13, 16, v51
	s_waitcnt vmcnt(2) lgkmcnt(2)
	v_lshlrev_b32_e32 v14, 16, v50
	v_fmac_f32_e32 v25, v43, v13
	s_waitcnt vmcnt(1) lgkmcnt(1)
	v_lshlrev_b32_e32 v13, 16, v49
	v_fmac_f32_e32 v25, v39, v14
	v_fmac_f32_e32 v25, v41, v13
	s_waitcnt vmcnt(0) lgkmcnt(0)
	v_lshlrev_b32_e32 v13, 16, v48
	v_fmac_f32_e32 v25, v37, v13
.LBB667_20:                             ;   in Loop: Header=BB667_23 Depth=1
	s_or_b32 exec_lo, exec_lo, s33
	s_waitcnt vmcnt(3) lgkmcnt(3)
	v_lshlrev_b32_e32 v13, 16, v47
	s_waitcnt vmcnt(2) lgkmcnt(2)
	v_lshlrev_b32_e32 v14, 16, v46
	v_fmac_f32_e32 v24, v43, v13
	s_waitcnt vmcnt(1) lgkmcnt(1)
	v_lshlrev_b32_e32 v13, 16, v45
	v_fmac_f32_e32 v24, v39, v14
	v_fmac_f32_e32 v24, v41, v13
	s_waitcnt vmcnt(0) lgkmcnt(0)
	v_lshlrev_b32_e32 v13, 16, v44
	v_fmac_f32_e32 v24, v37, v13
.LBB667_21:                             ;   in Loop: Header=BB667_23 Depth=1
	s_or_b32 exec_lo, exec_lo, s3
	s_waitcnt vmcnt(3) lgkmcnt(3)
	v_lshlrev_b32_e32 v13, 16, v42
	s_waitcnt vmcnt(2) lgkmcnt(2)
	v_lshlrev_b32_e32 v14, 16, v40
	v_fmac_f32_e32 v23, v43, v13
	s_waitcnt vmcnt(1) lgkmcnt(1)
	v_lshlrev_b32_e32 v13, 16, v38
	v_fmac_f32_e32 v23, v39, v14
	v_fmac_f32_e32 v23, v41, v13
	s_waitcnt vmcnt(0) lgkmcnt(0)
	v_lshlrev_b32_e32 v13, 16, v36
	v_fmac_f32_e32 v23, v37, v13
.LBB667_22:                             ;   in Loop: Header=BB667_23 Depth=1
	s_or_b32 exec_lo, exec_lo, s4
	v_add_co_u32 v28, s3, v28, s6
	v_add_nc_u32_e32 v27, 16, v27
	v_add_co_ci_u32_e64 v29, null, s7, v29, s3
	v_add_co_u32 v30, s3, v30, s6
	v_add_co_ci_u32_e64 v31, null, s7, v31, s3
	v_add_co_u32 v32, s3, v32, s6
	v_add_co_ci_u32_e64 v33, null, s7, v33, s3
	v_cmp_le_i32_e64 s3, s29, v27
	v_add_co_u32 v34, s4, v34, s6
	v_add_co_ci_u32_e64 v35, null, s7, v35, s4
	s_add_u32 s24, s24, s22
	s_addc_u32 s25, s25, s23
	s_or_b32 s31, s3, s31
	s_andn2_b32 exec_lo, exec_lo, s31
	s_cbranch_execz .LBB667_28
.LBB667_23:                             ; =>This Inner Loop Header: Depth=1
	s_and_saveexec_b32 s4, vcc_lo
	s_cbranch_execz .LBB667_22
; %bb.24:                               ;   in Loop: Header=BB667_23 Depth=1
	v_add_co_u32 v13, s3, s24, v5
	v_add_co_ci_u32_e64 v14, null, s25, v6, s3
	v_add_co_u32 v15, s3, s24, v7
	v_add_co_ci_u32_e64 v16, null, s25, v8, s3
	;; [unrolled: 2-line block ×4, first 2 shown]
	s_clause 0x3
	flat_load_ushort v37, v[13:14]
	flat_load_ushort v39, v[15:16]
	;; [unrolled: 1-line block ×4, first 2 shown]
	v_add_co_u32 v13, s3, v30, v3
	v_add_co_ci_u32_e64 v14, null, v31, v4, s3
	v_add_co_u32 v17, s3, v34, v3
	v_add_co_ci_u32_e64 v18, null, v35, v4, s3
	;; [unrolled: 2-line block ×4, first 2 shown]
	flat_load_ushort v42, v[13:14]
	flat_load_ushort v40, v[17:18]
	;; [unrolled: 1-line block ×4, first 2 shown]
	s_waitcnt vmcnt(7) lgkmcnt(7)
	v_lshlrev_b32_e32 v43, 16, v37
	s_waitcnt vmcnt(6) lgkmcnt(6)
	v_lshlrev_b32_e32 v39, 16, v39
	;; [unrolled: 2-line block ×4, first 2 shown]
	s_and_saveexec_b32 s3, s0
	s_cbranch_execz .LBB667_21
; %bb.25:                               ;   in Loop: Header=BB667_23 Depth=1
	flat_load_ushort v47, v[13:14] offset:128
	flat_load_ushort v46, v[17:18] offset:128
	flat_load_ushort v45, v[15:16] offset:128
	flat_load_ushort v44, v[19:20] offset:128
	s_and_saveexec_b32 s33, s1
	s_cbranch_execz .LBB667_20
; %bb.26:                               ;   in Loop: Header=BB667_23 Depth=1
	flat_load_ushort v51, v[13:14] offset:256
	flat_load_ushort v50, v[17:18] offset:256
	flat_load_ushort v49, v[15:16] offset:256
	flat_load_ushort v48, v[19:20] offset:256
	;; [unrolled: 7-line block ×3, first 2 shown]
	s_waitcnt vmcnt(3) lgkmcnt(3)
	v_lshlrev_b32_e32 v13, 16, v13
	s_waitcnt vmcnt(2) lgkmcnt(2)
	v_lshlrev_b32_e32 v14, 16, v14
	v_fmac_f32_e32 v26, v43, v13
	s_waitcnt vmcnt(1) lgkmcnt(1)
	v_lshlrev_b32_e32 v13, 16, v15
	v_fmac_f32_e32 v26, v39, v14
	;; [unrolled: 3-line block ×3, first 2 shown]
	v_fmac_f32_e32 v26, v37, v14
	s_branch .LBB667_19
.LBB667_28:
	s_or_b32 exec_lo, exec_lo, s31
.LBB667_29:
	s_or_b32 exec_lo, exec_lo, s30
	s_sub_i32 s0, s9, s29
	s_cmp_lt_i32 s0, 1
	s_cbranch_scc1 .LBB667_47
; %bb.30:
	v_cmp_gt_i32_e32 vcc_lo, s9, v27
	v_mov_b32_e32 v12, 0
	v_or_b32_e32 v4, 1, v27
	v_mov_b32_e32 v11, 0
	v_mov_b32_e32 v14, 0
	;; [unrolled: 1-line block ×3, first 2 shown]
	s_and_saveexec_b32 s1, vcc_lo
	s_cbranch_execz .LBB667_38
; %bb.31:
	v_mad_u64_u32 v[5:6], null, s20, v27, 0
	v_mov_b32_e32 v13, 0
	v_mov_b32_e32 v11, 0
	;; [unrolled: 1-line block ×3, first 2 shown]
	s_mov_b32 s2, exec_lo
	v_mov_b32_e32 v3, v6
	v_mad_u64_u32 v[6:7], null, s21, v27, v[3:4]
	v_lshlrev_b64 v[5:6], 1, v[5:6]
	v_add_co_u32 v5, s0, s18, v5
	v_add_co_ci_u32_e64 v6, null, s19, v6, s0
	flat_load_ushort v3, v[5:6]
	v_cmpx_gt_i32_e64 s9, v4
	s_cbranch_execz .LBB667_37
; %bb.32:
	v_mad_u64_u32 v[5:6], null, s20, v4, 0
	v_mov_b32_e32 v11, 0
	v_mov_b32_e32 v12, 0
	s_mov_b32 s3, exec_lo
	v_mad_u64_u32 v[6:7], null, s21, v4, v[6:7]
	v_lshlrev_b64 v[5:6], 1, v[5:6]
	v_add_co_u32 v5, s0, s18, v5
	v_add_co_ci_u32_e64 v6, null, s19, v6, s0
	flat_load_ushort v5, v[5:6]
	v_or_b32_e32 v6, 2, v27
	v_cmpx_gt_i32_e64 s9, v6
	s_cbranch_execz .LBB667_36
; %bb.33:
	v_mad_u64_u32 v[7:8], null, s20, v6, 0
	v_mov_b32_e32 v11, 0
	s_mov_b32 s4, exec_lo
	v_mad_u64_u32 v[8:9], null, s21, v6, v[8:9]
	v_lshlrev_b64 v[6:7], 1, v[7:8]
	v_add_co_u32 v6, s0, s18, v6
	v_add_co_ci_u32_e64 v7, null, s19, v7, s0
	flat_load_ushort v6, v[6:7]
	v_or_b32_e32 v7, 3, v27
	v_cmpx_gt_i32_e64 s9, v7
	s_cbranch_execz .LBB667_35
; %bb.34:
	v_mad_u64_u32 v[8:9], null, s20, v7, 0
	v_mad_u64_u32 v[9:10], null, s21, v7, v[9:10]
	v_lshlrev_b64 v[7:8], 1, v[8:9]
	v_add_co_u32 v7, s0, s18, v7
	v_add_co_ci_u32_e64 v8, null, s19, v8, s0
	flat_load_ushort v7, v[7:8]
	s_waitcnt vmcnt(0) lgkmcnt(0)
	v_lshlrev_b32_e32 v11, 16, v7
.LBB667_35:
	s_or_b32 exec_lo, exec_lo, s4
	s_waitcnt vmcnt(0) lgkmcnt(0)
	v_lshlrev_b32_e32 v12, 16, v6
.LBB667_36:
	s_or_b32 exec_lo, exec_lo, s3
	s_waitcnt vmcnt(0) lgkmcnt(0)
	v_lshlrev_b32_e32 v13, 16, v5
.LBB667_37:
	s_or_b32 exec_lo, exec_lo, s2
	s_waitcnt vmcnt(0) lgkmcnt(0)
	v_lshlrev_b32_e32 v14, 16, v3
.LBB667_38:
	s_or_b32 exec_lo, exec_lo, s1
	s_mov_b32 s1, exec_lo
	v_cmpx_gt_i32_e64 s8, v2
	s_cbranch_execz .LBB667_46
; %bb.39:
	v_mad_u64_u32 v[5:6], null, s14, v27, 0
	v_mad_u64_u32 v[7:8], null, s14, v4, 0
	v_ashrrev_i32_e32 v3, 31, v2
	v_or_b32_e32 v20, 2, v27
	v_or_b32_e32 v29, 3, v27
	v_cndmask_b32_e32 v5, 0, v5, vcc_lo
	v_lshlrev_b64 v[9:10], 1, v[2:3]
	v_mad_u64_u32 v[15:16], null, s15, v27, v[6:7]
	v_mov_b32_e32 v3, v8
	v_mad_u64_u32 v[16:17], null, s14, v20, 0
	v_mad_u64_u32 v[18:19], null, s14, v29, 0
	;; [unrolled: 1-line block ×3, first 2 shown]
	v_cndmask_b32_e32 v6, 0, v15, vcc_lo
	v_cmp_gt_i32_e32 vcc_lo, s9, v4
	v_mov_b32_e32 v3, v17
	v_cmp_gt_i32_e64 s0, s9, v20
	v_mov_b32_e32 v8, v19
	v_cndmask_b32_e32 v4, 0, v7, vcc_lo
	v_lshlrev_b64 v[6:7], 1, v[5:6]
	v_cndmask_b32_e32 v5, 0, v27, vcc_lo
	v_mad_u64_u32 v[19:20], null, s15, v20, v[3:4]
	v_add_co_u32 v3, vcc_lo, s16, v6
	v_add_co_ci_u32_e64 v7, null, s17, v7, vcc_lo
	v_lshlrev_b64 v[5:6], 1, v[4:5]
	v_add_co_u32 v3, vcc_lo, v3, v9
	v_add_co_ci_u32_e64 v4, null, v7, v10, vcc_lo
	v_cndmask_b32_e64 v7, 0, v16, s0
	v_mad_u64_u32 v[15:16], null, s15, v29, v[8:9]
	v_add_co_u32 v5, vcc_lo, s16, v5
	v_add_co_ci_u32_e64 v6, null, s17, v6, vcc_lo
	v_cmp_gt_i32_e32 vcc_lo, s9, v29
	v_cndmask_b32_e64 v8, 0, v19, s0
	v_add_co_u32 v5, s0, v5, v9
	v_add_co_ci_u32_e64 v6, null, v6, v10, s0
	v_cndmask_b32_e32 v16, 0, v18, vcc_lo
	v_cndmask_b32_e32 v17, 0, v15, vcc_lo
	v_lshlrev_b64 v[7:8], 1, v[7:8]
	s_clause 0x1
	flat_load_ushort v18, v[3:4]
	flat_load_ushort v19, v[5:6]
	s_mov_b32 s0, exec_lo
	v_lshlrev_b64 v[15:16], 1, v[16:17]
	v_add_co_u32 v7, vcc_lo, s16, v7
	v_add_co_ci_u32_e64 v8, null, s17, v8, vcc_lo
	v_add_co_u32 v15, vcc_lo, s16, v15
	v_add_co_ci_u32_e64 v16, null, s17, v16, vcc_lo
	;; [unrolled: 2-line block ×4, first 2 shown]
	s_clause 0x1
	flat_load_ushort v15, v[7:8]
	flat_load_ushort v16, v[9:10]
	s_waitcnt vmcnt(3) lgkmcnt(3)
	v_lshlrev_b32_e32 v17, 16, v18
	s_waitcnt vmcnt(2) lgkmcnt(2)
	v_lshlrev_b32_e32 v18, 16, v19
	v_fmac_f32_e32 v23, v14, v17
	v_fmac_f32_e32 v23, v13, v18
	v_add_nc_u32_e32 v18, 64, v2
	s_waitcnt vmcnt(1) lgkmcnt(1)
	v_lshlrev_b32_e32 v17, 16, v15
	s_waitcnt vmcnt(0) lgkmcnt(0)
	v_lshlrev_b32_e32 v15, 16, v16
	v_fmac_f32_e32 v23, v12, v17
	v_cmpx_gt_i32_e64 s8, v18
	s_cbranch_execz .LBB667_45
; %bb.40:
	s_clause 0x3
	flat_load_ushort v16, v[3:4] offset:128
	flat_load_ushort v17, v[5:6] offset:128
	;; [unrolled: 1-line block ×4, first 2 shown]
	s_mov_b32 s2, exec_lo
	s_waitcnt vmcnt(3) lgkmcnt(3)
	v_lshlrev_b32_e32 v16, 16, v16
	s_waitcnt vmcnt(2) lgkmcnt(2)
	v_lshlrev_b32_e32 v17, 16, v17
	;; [unrolled: 2-line block ×3, first 2 shown]
	v_fmac_f32_e32 v24, v14, v16
	s_waitcnt vmcnt(0) lgkmcnt(0)
	v_lshlrev_b32_e32 v16, 16, v19
	v_fmac_f32_e32 v24, v13, v17
	v_add_nc_u32_e32 v17, 0x80, v2
	v_fmac_f32_e32 v24, v12, v18
	v_cmpx_gt_i32_e64 s8, v17
	s_cbranch_execz .LBB667_44
; %bb.41:
	s_clause 0x3
	flat_load_ushort v17, v[3:4] offset:256
	flat_load_ushort v18, v[5:6] offset:256
	;; [unrolled: 1-line block ×4, first 2 shown]
	s_mov_b32 s3, exec_lo
	s_waitcnt vmcnt(3) lgkmcnt(3)
	v_lshlrev_b32_e32 v17, 16, v17
	s_waitcnt vmcnt(2) lgkmcnt(2)
	v_lshlrev_b32_e32 v18, 16, v18
	v_fmac_f32_e32 v25, v14, v17
	s_waitcnt vmcnt(1) lgkmcnt(1)
	v_lshlrev_b32_e32 v17, 16, v19
	v_fmac_f32_e32 v25, v13, v18
	v_add_nc_u32_e32 v18, 0xc0, v2
	s_waitcnt vmcnt(0) lgkmcnt(0)
	v_lshlrev_b32_e32 v2, 16, v20
	v_fmac_f32_e32 v25, v12, v17
	v_cmpx_gt_i32_e64 s8, v18
	s_cbranch_execz .LBB667_43
; %bb.42:
	s_clause 0x3
	flat_load_ushort v3, v[3:4] offset:384
	flat_load_ushort v4, v[5:6] offset:384
	;; [unrolled: 1-line block ×4, first 2 shown]
	s_waitcnt vmcnt(3) lgkmcnt(3)
	v_lshlrev_b32_e32 v3, 16, v3
	s_waitcnt vmcnt(2) lgkmcnt(2)
	v_lshlrev_b32_e32 v4, 16, v4
	v_fmac_f32_e32 v26, v14, v3
	s_waitcnt vmcnt(1) lgkmcnt(1)
	v_lshlrev_b32_e32 v3, 16, v5
	v_fmac_f32_e32 v26, v13, v4
	;; [unrolled: 3-line block ×3, first 2 shown]
	v_fmac_f32_e32 v26, v11, v4
.LBB667_43:
	s_or_b32 exec_lo, exec_lo, s3
	v_fmac_f32_e32 v25, v11, v2
.LBB667_44:
	s_or_b32 exec_lo, exec_lo, s2
	v_fmac_f32_e32 v24, v11, v16
.LBB667_45:
	s_or_b32 exec_lo, exec_lo, s0
	v_fmac_f32_e32 v23, v11, v15
.LBB667_46:
	s_or_b32 exec_lo, exec_lo, s1
.LBB667_47:
	v_lshlrev_b32_e32 v0, 2, v0
	s_mov_b32 s0, exec_lo
                                        ; implicit-def: $vgpr3
                                        ; implicit-def: $vgpr4_vgpr5
	v_lshl_or_b32 v1, v1, 10, v0
	ds_write2st64_b32 v1, v23, v24 offset1:1
	ds_write2st64_b32 v1, v25, v26 offset0:2 offset1:3
	s_waitcnt lgkmcnt(0)
	s_barrier
	buffer_gl0_inv
	v_cmpx_gt_u32_e32 0x100, v21
	s_cbranch_execz .LBB667_53
; %bb.48:
	v_lshl_add_u32 v4, v22, 2, v0
	s_mov_b32 s2, s27
	s_mov_b32 s1, exec_lo
	ds_read2st64_b32 v[0:1], v4 offset1:4
	ds_read2st64_b32 v[2:3], v4 offset0:8 offset1:12
	s_waitcnt lgkmcnt(1)
	v_add_f32_e32 v0, v0, v1
	v_or_b32_e32 v1, s28, v21
	s_waitcnt lgkmcnt(0)
	v_add_f32_e32 v0, v2, v0
	v_add_f32_e32 v0, v3, v0
                                        ; implicit-def: $vgpr3
	ds_write_b32 v4, v0
                                        ; implicit-def: $vgpr4_vgpr5
	v_cmpx_gt_i32_e64 s8, v1
	s_cbranch_execz .LBB667_52
; %bb.49:
	v_ashrrev_i32_e32 v2, 31, v1
	v_mul_lo_u32 v6, s13, v1
	v_mad_u64_u32 v[4:5], null, s12, v1, 0
	v_cmp_eq_f32_e64 s2, s11, 0
	v_mul_lo_u32 v1, s12, v2
	v_mul_f32_e32 v3, s10, v0
	s_and_b32 vcc_lo, exec_lo, s2
	v_add3_u32 v5, v5, v1, v6
	s_cbranch_vccnz .LBB667_51
; %bb.50:
	v_lshlrev_b64 v[0:1], 2, v[4:5]
	v_add_co_u32 v0, vcc_lo, s5, v0
	v_add_co_ci_u32_e64 v1, null, s26, v1, vcc_lo
	flat_load_dword v0, v[0:1]
	s_waitcnt vmcnt(0) lgkmcnt(0)
	v_fmac_f32_e32 v3, s11, v0
.LBB667_51:
	s_or_b32 s2, s27, exec_lo
.LBB667_52:
	s_or_b32 exec_lo, exec_lo, s1
	s_andn2_b32 s1, s27, exec_lo
	s_and_b32 s2, s2, exec_lo
	s_or_b32 s27, s1, s2
.LBB667_53:
	s_or_b32 exec_lo, exec_lo, s0
.LBB667_54:
	s_and_saveexec_b32 s0, s27
	s_cbranch_execz .LBB667_56
; %bb.55:
	v_lshlrev_b64 v[0:1], 2, v[4:5]
	v_add_co_u32 v0, vcc_lo, s5, v0
	v_add_co_ci_u32_e64 v1, null, s26, v1, vcc_lo
	flat_store_dword v[0:1], v3
.LBB667_56:
	s_endpgm
	.section	.rodata,"a",@progbits
	.p2align	6, 0x0
	.amdhsa_kernel _ZL20rocblas_gemvn_kernelILi64ELi4ElPK16rocblas_bfloat16fKPfEviiT3_lPKT2_lT1_lS8_lS9_lS5_lPT4_lS9_li
		.amdhsa_group_segment_fixed_size 4096
		.amdhsa_private_segment_fixed_size 0
		.amdhsa_kernarg_size 400
		.amdhsa_user_sgpr_count 6
		.amdhsa_user_sgpr_private_segment_buffer 1
		.amdhsa_user_sgpr_dispatch_ptr 0
		.amdhsa_user_sgpr_queue_ptr 0
		.amdhsa_user_sgpr_kernarg_segment_ptr 1
		.amdhsa_user_sgpr_dispatch_id 0
		.amdhsa_user_sgpr_flat_scratch_init 0
		.amdhsa_user_sgpr_private_segment_size 0
		.amdhsa_wavefront_size32 1
		.amdhsa_uses_dynamic_stack 0
		.amdhsa_system_sgpr_private_segment_wavefront_offset 0
		.amdhsa_system_sgpr_workgroup_id_x 1
		.amdhsa_system_sgpr_workgroup_id_y 0
		.amdhsa_system_sgpr_workgroup_id_z 1
		.amdhsa_system_sgpr_workgroup_info 0
		.amdhsa_system_vgpr_workitem_id 1
		.amdhsa_next_free_vgpr 52
		.amdhsa_next_free_sgpr 35
		.amdhsa_reserve_vcc 1
		.amdhsa_reserve_flat_scratch 1
		.amdhsa_float_round_mode_32 0
		.amdhsa_float_round_mode_16_64 0
		.amdhsa_float_denorm_mode_32 3
		.amdhsa_float_denorm_mode_16_64 3
		.amdhsa_dx10_clamp 1
		.amdhsa_ieee_mode 1
		.amdhsa_fp16_overflow 0
		.amdhsa_workgroup_processor_mode 1
		.amdhsa_memory_ordered 1
		.amdhsa_forward_progress 1
		.amdhsa_shared_vgpr_count 0
		.amdhsa_exception_fp_ieee_invalid_op 0
		.amdhsa_exception_fp_denorm_src 0
		.amdhsa_exception_fp_ieee_div_zero 0
		.amdhsa_exception_fp_ieee_overflow 0
		.amdhsa_exception_fp_ieee_underflow 0
		.amdhsa_exception_fp_ieee_inexact 0
		.amdhsa_exception_int_div_zero 0
	.end_amdhsa_kernel
	.section	.text._ZL20rocblas_gemvn_kernelILi64ELi4ElPK16rocblas_bfloat16fKPfEviiT3_lPKT2_lT1_lS8_lS9_lS5_lPT4_lS9_li,"axG",@progbits,_ZL20rocblas_gemvn_kernelILi64ELi4ElPK16rocblas_bfloat16fKPfEviiT3_lPKT2_lT1_lS8_lS9_lS5_lPT4_lS9_li,comdat
.Lfunc_end667:
	.size	_ZL20rocblas_gemvn_kernelILi64ELi4ElPK16rocblas_bfloat16fKPfEviiT3_lPKT2_lT1_lS8_lS9_lS5_lPT4_lS9_li, .Lfunc_end667-_ZL20rocblas_gemvn_kernelILi64ELi4ElPK16rocblas_bfloat16fKPfEviiT3_lPKT2_lT1_lS8_lS9_lS5_lPT4_lS9_li
                                        ; -- End function
	.set _ZL20rocblas_gemvn_kernelILi64ELi4ElPK16rocblas_bfloat16fKPfEviiT3_lPKT2_lT1_lS8_lS9_lS5_lPT4_lS9_li.num_vgpr, 52
	.set _ZL20rocblas_gemvn_kernelILi64ELi4ElPK16rocblas_bfloat16fKPfEviiT3_lPKT2_lT1_lS8_lS9_lS5_lPT4_lS9_li.num_agpr, 0
	.set _ZL20rocblas_gemvn_kernelILi64ELi4ElPK16rocblas_bfloat16fKPfEviiT3_lPKT2_lT1_lS8_lS9_lS5_lPT4_lS9_li.numbered_sgpr, 35
	.set _ZL20rocblas_gemvn_kernelILi64ELi4ElPK16rocblas_bfloat16fKPfEviiT3_lPKT2_lT1_lS8_lS9_lS5_lPT4_lS9_li.num_named_barrier, 0
	.set _ZL20rocblas_gemvn_kernelILi64ELi4ElPK16rocblas_bfloat16fKPfEviiT3_lPKT2_lT1_lS8_lS9_lS5_lPT4_lS9_li.private_seg_size, 0
	.set _ZL20rocblas_gemvn_kernelILi64ELi4ElPK16rocblas_bfloat16fKPfEviiT3_lPKT2_lT1_lS8_lS9_lS5_lPT4_lS9_li.uses_vcc, 1
	.set _ZL20rocblas_gemvn_kernelILi64ELi4ElPK16rocblas_bfloat16fKPfEviiT3_lPKT2_lT1_lS8_lS9_lS5_lPT4_lS9_li.uses_flat_scratch, 1
	.set _ZL20rocblas_gemvn_kernelILi64ELi4ElPK16rocblas_bfloat16fKPfEviiT3_lPKT2_lT1_lS8_lS9_lS5_lPT4_lS9_li.has_dyn_sized_stack, 0
	.set _ZL20rocblas_gemvn_kernelILi64ELi4ElPK16rocblas_bfloat16fKPfEviiT3_lPKT2_lT1_lS8_lS9_lS5_lPT4_lS9_li.has_recursion, 0
	.set _ZL20rocblas_gemvn_kernelILi64ELi4ElPK16rocblas_bfloat16fKPfEviiT3_lPKT2_lT1_lS8_lS9_lS5_lPT4_lS9_li.has_indirect_call, 0
	.section	.AMDGPU.csdata,"",@progbits
; Kernel info:
; codeLenInByte = 3140
; TotalNumSgprs: 37
; NumVgprs: 52
; ScratchSize: 0
; MemoryBound: 0
; FloatMode: 240
; IeeeMode: 1
; LDSByteSize: 4096 bytes/workgroup (compile time only)
; SGPRBlocks: 0
; VGPRBlocks: 6
; NumSGPRsForWavesPerEU: 37
; NumVGPRsForWavesPerEU: 52
; Occupancy: 16
; WaveLimiterHint : 1
; COMPUTE_PGM_RSRC2:SCRATCH_EN: 0
; COMPUTE_PGM_RSRC2:USER_SGPR: 6
; COMPUTE_PGM_RSRC2:TRAP_HANDLER: 0
; COMPUTE_PGM_RSRC2:TGID_X_EN: 1
; COMPUTE_PGM_RSRC2:TGID_Y_EN: 0
; COMPUTE_PGM_RSRC2:TGID_Z_EN: 1
; COMPUTE_PGM_RSRC2:TIDIG_COMP_CNT: 1
	.section	.text._ZL20rocblas_gemvn_kernelILi32ELi16EiPK16rocblas_bfloat16PKfKPfEviiT3_lPKT2_lT1_lSA_lSB_lS7_lPT4_lSB_li,"axG",@progbits,_ZL20rocblas_gemvn_kernelILi32ELi16EiPK16rocblas_bfloat16PKfKPfEviiT3_lPKT2_lT1_lSA_lSB_lS7_lPT4_lSB_li,comdat
	.globl	_ZL20rocblas_gemvn_kernelILi32ELi16EiPK16rocblas_bfloat16PKfKPfEviiT3_lPKT2_lT1_lSA_lSB_lS7_lPT4_lSB_li ; -- Begin function _ZL20rocblas_gemvn_kernelILi32ELi16EiPK16rocblas_bfloat16PKfKPfEviiT3_lPKT2_lT1_lSA_lSB_lS7_lPT4_lSB_li
	.p2align	8
	.type	_ZL20rocblas_gemvn_kernelILi32ELi16EiPK16rocblas_bfloat16PKfKPfEviiT3_lPKT2_lT1_lSA_lSB_lS7_lPT4_lSB_li,@function
_ZL20rocblas_gemvn_kernelILi32ELi16EiPK16rocblas_bfloat16PKfKPfEviiT3_lPKT2_lT1_lSA_lSB_lS7_lPT4_lSB_li: ; @_ZL20rocblas_gemvn_kernelILi32ELi16EiPK16rocblas_bfloat16PKfKPfEviiT3_lPKT2_lT1_lSA_lSB_lS7_lPT4_lSB_li
; %bb.0:
	s_load_dwordx2 s[2:3], s[4:5], 0x9c
	s_waitcnt lgkmcnt(0)
	s_lshr_b32 s1, s2, 16
	s_and_b32 s2, s2, 0xffff
	s_and_b32 s3, s3, 0xffff
	s_mul_i32 s1, s1, s2
	s_mul_i32 s1, s1, s3
	s_cmpk_lg_i32 s1, 0x200
	s_cbranch_scc1 .LBB668_54
; %bb.1:
	s_clause 0x1
	s_load_dwordx8 s[16:23], s[4:5], 0x8
	s_load_dwordx8 s[8:15], s[4:5], 0x58
	s_mov_b32 s0, s7
	s_waitcnt lgkmcnt(0)
	s_mul_i32 s1, s19, s7
	s_mul_hi_u32 s3, s18, s7
	s_mul_i32 s2, s18, s7
	s_add_i32 s3, s3, s1
	s_mul_i32 s1, s11, s7
	s_lshl_b64 s[2:3], s[2:3], 2
	s_mul_hi_u32 s7, s10, s7
	s_add_u32 s2, s16, s2
	s_addc_u32 s3, s17, s3
	s_add_i32 s11, s7, s1
	s_mul_i32 s10, s10, s0
	s_lshl_b64 s[10:11], s[10:11], 2
	s_add_u32 s8, s8, s10
	s_addc_u32 s9, s9, s11
	s_load_dword s18, s[2:3], 0x0
	s_load_dword s7, s[8:9], 0x0
	s_waitcnt lgkmcnt(0)
	v_cmp_eq_f32_e64 s2, s18, 0
	v_cmp_eq_f32_e64 s1, s7, 1.0
	s_and_b32 s1, s2, s1
	s_and_b32 vcc_lo, exec_lo, s1
	s_mov_b32 s1, 0
	s_cbranch_vccnz .LBB668_54
; %bb.2:
	v_cmp_neq_f32_e64 s3, s18, 0
	s_mov_b64 s[16:17], 0
	s_and_b32 vcc_lo, exec_lo, s2
	s_mov_b64 s[10:11], 0
	s_cbranch_vccnz .LBB668_4
; %bb.3:
	s_lshl_b64 s[8:9], s[0:1], 3
	s_add_u32 s8, s20, s8
	s_addc_u32 s9, s21, s9
	s_lshl_b64 s[10:11], s[22:23], 1
	s_load_dwordx2 s[8:9], s[8:9], 0x0
	s_waitcnt lgkmcnt(0)
	s_add_u32 s10, s8, s10
	s_addc_u32 s11, s9, s11
.LBB668_4:
	s_andn2_b32 vcc_lo, exec_lo, s3
	s_cbranch_vccnz .LBB668_6
; %bb.5:
	s_load_dwordx4 s[20:23], s[4:5], 0x38
	s_lshl_b64 s[8:9], s[0:1], 3
	s_waitcnt lgkmcnt(0)
	s_add_u32 s8, s20, s8
	s_addc_u32 s9, s21, s9
	s_lshl_b64 s[16:17], s[22:23], 1
	s_load_dwordx2 s[8:9], s[8:9], 0x0
	s_waitcnt lgkmcnt(0)
	s_add_u32 s16, s8, s16
	s_addc_u32 s17, s9, s17
.LBB668_6:
	s_lshl_b64 s[0:1], s[0:1], 3
	v_lshlrev_b32_e32 v14, 5, v1
	s_add_u32 s0, s12, s0
	s_addc_u32 s1, s13, s1
	s_lshl_b64 s[14:15], s[14:15], 2
	s_load_dwordx2 s[12:13], s[0:1], 0x0
	s_clause 0x1
	s_load_dwordx2 s[8:9], s[4:5], 0x0
	s_load_dword s19, s[4:5], 0x78
	v_add_nc_u32_e32 v13, v14, v0
	v_cmp_gt_u32_e64 s0, 0x80, v13
	s_waitcnt lgkmcnt(0)
	s_add_u32 s12, s12, s14
	s_addc_u32 s13, s13, s15
	s_andn2_b32 vcc_lo, exec_lo, s2
	s_cbranch_vccnz .LBB668_13
; %bb.7:
	s_mov_b32 s1, 0
	s_mov_b32 s14, 0
                                        ; implicit-def: $vgpr3
                                        ; implicit-def: $vgpr4_vgpr5
	s_and_saveexec_b32 s2, s0
	s_cbranch_execz .LBB668_14
; %bb.8:
	v_lshl_or_b32 v2, s6, 7, v13
	v_mov_b32_e32 v3, 0
	s_ashr_i32 s15, s8, 31
	s_mov_b32 s14, s8
	s_mov_b32 s3, 0
	s_mov_b32 s0, exec_lo
                                        ; implicit-def: $vgpr4_vgpr5
	v_cmpx_gt_i64_e64 s[14:15], v[2:3]
	s_cbranch_execz .LBB668_12
; %bb.9:
	v_mad_u64_u32 v[4:5], null, s19, v2, 0
	s_ashr_i32 s3, s19, 31
	v_mad_u64_u32 v[5:6], null, s3, v2, v[5:6]
	v_cmp_eq_f32_e64 s3, s7, 0
	s_and_b32 vcc_lo, exec_lo, s3
	s_cbranch_vccnz .LBB668_11
; %bb.10:
	v_lshlrev_b64 v[2:3], 2, v[4:5]
	v_add_co_u32 v2, vcc_lo, s12, v2
	v_add_co_ci_u32_e64 v3, null, s13, v3, vcc_lo
	flat_load_dword v2, v[2:3]
	s_waitcnt vmcnt(0) lgkmcnt(0)
	v_mul_f32_e32 v3, s7, v2
.LBB668_11:
	s_mov_b32 s3, exec_lo
.LBB668_12:
	s_or_b32 exec_lo, exec_lo, s0
	s_and_b32 s14, s3, exec_lo
	s_or_b32 exec_lo, exec_lo, s2
	s_and_b32 vcc_lo, exec_lo, s1
	s_cbranch_vccnz .LBB668_15
	s_branch .LBB668_52
.LBB668_13:
	s_mov_b32 s14, 0
                                        ; implicit-def: $vgpr3
                                        ; implicit-def: $vgpr4_vgpr5
	s_cbranch_execnz .LBB668_15
	s_branch .LBB668_52
.LBB668_14:
	s_or_b32 exec_lo, exec_lo, s2
	s_and_b32 vcc_lo, exec_lo, s1
	s_cbranch_vccz .LBB668_52
.LBB668_15:
	s_clause 0x1
	s_load_dword s15, s[4:5], 0x28
	s_load_dword s4, s[4:5], 0x48
	s_ashr_i32 s0, s9, 31
	s_lshl_b32 s5, s6, 7
	s_lshr_b32 s0, s0, 26
	v_lshlrev_b32_e32 v20, 2, v1
	v_add_nc_u32_e32 v19, s5, v0
	v_mov_b32_e32 v15, 0
	v_mov_b32_e32 v16, 0
	;; [unrolled: 1-line block ×4, first 2 shown]
	s_add_i32 s0, s9, s0
	s_mov_b32 s20, exec_lo
	s_and_b32 s6, s0, 0xffffffc0
	v_cmpx_gt_i32_e64 s6, v20
	s_cbranch_execz .LBB668_27
; %bb.16:
	v_add_nc_u32_e32 v5, 0x60, v19
	s_waitcnt lgkmcnt(0)
	v_mul_lo_u32 v3, s15, v20
	v_add_nc_u32_e32 v2, 32, v19
	v_add_nc_u32_e32 v6, 2, v20
	v_add_nc_u32_e32 v4, 64, v19
	v_cmp_gt_i32_e64 s2, s8, v5
	v_mul_lo_u32 v5, v1, s15
	v_add_nc_u32_e32 v7, 3, v20
	v_mul_lo_u32 v8, v1, s4
	v_cmp_gt_i32_e64 s0, s8, v2
	v_add3_u32 v21, v3, s15, v0
	v_mad_u64_u32 v[2:3], null, s15, v6, v[0:1]
	v_cmp_gt_i32_e64 s1, s8, v4
	v_mad_u64_u32 v[3:4], null, s15, v7, v[0:1]
	v_lshl_add_u32 v22, v5, 2, v0
	v_mad_u64_u32 v[4:5], null, s4, v20, s[4:5]
	v_mul_lo_u32 v23, s4, v6
	v_mul_lo_u32 v24, s4, v7
	v_lshlrev_b32_e32 v25, 2, v8
	v_mov_b32_e32 v15, 0
	v_mov_b32_e32 v16, 0
	;; [unrolled: 1-line block ×4, first 2 shown]
	s_lshl_b32 s21, s15, 6
	s_lshl_b32 s23, s4, 6
	s_mov_b32 s22, 0
	s_mov_b32 s24, 0
	v_cmp_gt_i32_e32 vcc_lo, s8, v19
	s_branch .LBB668_21
.LBB668_17:                             ;   in Loop: Header=BB668_21 Depth=1
	s_or_b32 exec_lo, exec_lo, s27
	s_waitcnt vmcnt(3) lgkmcnt(3)
	v_lshlrev_b32_e32 v5, 16, v41
	s_waitcnt vmcnt(2) lgkmcnt(2)
	v_lshlrev_b32_e32 v6, 16, v40
	v_fmac_f32_e32 v17, v33, v5
	s_waitcnt vmcnt(1) lgkmcnt(1)
	v_lshlrev_b32_e32 v5, 16, v39
	v_fmac_f32_e32 v17, v29, v6
	v_fmac_f32_e32 v17, v31, v5
	s_waitcnt vmcnt(0) lgkmcnt(0)
	v_lshlrev_b32_e32 v5, 16, v38
	v_fmac_f32_e32 v17, v27, v5
.LBB668_18:                             ;   in Loop: Header=BB668_21 Depth=1
	s_or_b32 exec_lo, exec_lo, s26
	s_waitcnt vmcnt(3) lgkmcnt(3)
	v_lshlrev_b32_e32 v5, 16, v37
	s_waitcnt vmcnt(2) lgkmcnt(2)
	v_lshlrev_b32_e32 v6, 16, v36
	v_fmac_f32_e32 v16, v33, v5
	s_waitcnt vmcnt(1) lgkmcnt(1)
	v_lshlrev_b32_e32 v5, 16, v35
	v_fmac_f32_e32 v16, v29, v6
	v_fmac_f32_e32 v16, v31, v5
	s_waitcnt vmcnt(0) lgkmcnt(0)
	v_lshlrev_b32_e32 v5, 16, v34
	v_fmac_f32_e32 v16, v27, v5
.LBB668_19:                             ;   in Loop: Header=BB668_21 Depth=1
	s_or_b32 exec_lo, exec_lo, s3
	s_waitcnt vmcnt(3) lgkmcnt(3)
	v_lshlrev_b32_e32 v5, 16, v32
	s_waitcnt vmcnt(2) lgkmcnt(2)
	v_lshlrev_b32_e32 v6, 16, v30
	v_fmac_f32_e32 v15, v33, v5
	s_waitcnt vmcnt(1) lgkmcnt(1)
	v_lshlrev_b32_e32 v5, 16, v28
	v_fmac_f32_e32 v15, v29, v6
	v_fmac_f32_e32 v15, v31, v5
	s_waitcnt vmcnt(0) lgkmcnt(0)
	v_lshlrev_b32_e32 v5, 16, v26
	v_fmac_f32_e32 v15, v27, v5
.LBB668_20:                             ;   in Loop: Header=BB668_21 Depth=1
	s_or_b32 exec_lo, exec_lo, s25
	v_add_nc_u32_e32 v20, 64, v20
	v_add_nc_u32_e32 v21, s21, v21
	;; [unrolled: 1-line block ×5, first 2 shown]
	v_cmp_le_i32_e64 s3, s6, v20
	s_add_i32 s24, s24, s23
	s_or_b32 s22, s3, s22
	s_andn2_b32 exec_lo, exec_lo, s22
	s_cbranch_execz .LBB668_26
.LBB668_21:                             ; =>This Inner Loop Header: Depth=1
	s_and_saveexec_b32 s25, vcc_lo
	s_cbranch_execz .LBB668_20
; %bb.22:                               ;   in Loop: Header=BB668_21 Depth=1
	v_add_nc_u32_e32 v5, s24, v25
	v_add_nc_u32_e32 v7, s24, v4
	;; [unrolled: 1-line block ×5, first 2 shown]
	v_ashrrev_i32_e32 v6, 31, v5
	v_ashrrev_i32_e32 v8, 31, v7
	;; [unrolled: 1-line block ×5, first 2 shown]
	v_lshlrev_b64 v[5:6], 1, v[5:6]
	v_lshlrev_b64 v[7:8], 1, v[7:8]
	;; [unrolled: 1-line block ×4, first 2 shown]
	v_add_nc_u32_e32 v28, s5, v21
	v_add_nc_u32_e32 v30, s5, v2
	v_add_co_u32 v5, s3, s16, v5
	v_add_co_ci_u32_e64 v6, null, s17, v6, s3
	v_add_co_u32 v7, s3, s16, v7
	v_add_co_ci_u32_e64 v8, null, s17, v8, s3
	;; [unrolled: 2-line block ×4, first 2 shown]
	v_lshlrev_b64 v[26:27], 1, v[26:27]
	s_clause 0x3
	flat_load_ushort v33, v[5:6]
	flat_load_ushort v34, v[7:8]
	;; [unrolled: 1-line block ×4, first 2 shown]
	v_add_nc_u32_e32 v9, s5, v3
	v_ashrrev_i32_e32 v29, 31, v28
	v_ashrrev_i32_e32 v31, 31, v30
	v_add_co_u32 v5, s3, s10, v26
	v_ashrrev_i32_e32 v10, 31, v9
	v_lshlrev_b64 v[7:8], 1, v[28:29]
	v_add_co_ci_u32_e64 v6, null, s11, v27, s3
	v_lshlrev_b64 v[26:27], 1, v[30:31]
	v_lshlrev_b64 v[9:10], 1, v[9:10]
	v_add_co_u32 v11, s3, s10, v7
	v_add_co_ci_u32_e64 v12, null, s11, v8, s3
	v_add_co_u32 v7, s3, s10, v26
	v_add_co_ci_u32_e64 v8, null, s11, v27, s3
	;; [unrolled: 2-line block ×3, first 2 shown]
	s_clause 0x3
	flat_load_ushort v32, v[5:6]
	flat_load_ushort v30, v[11:12]
	;; [unrolled: 1-line block ×4, first 2 shown]
	s_waitcnt vmcnt(7) lgkmcnt(7)
	v_lshlrev_b32_e32 v33, 16, v33
	s_waitcnt vmcnt(6) lgkmcnt(6)
	v_lshlrev_b32_e32 v29, 16, v34
	;; [unrolled: 2-line block ×4, first 2 shown]
	s_and_saveexec_b32 s3, s0
	s_cbranch_execz .LBB668_19
; %bb.23:                               ;   in Loop: Header=BB668_21 Depth=1
	s_clause 0x3
	flat_load_ushort v37, v[5:6] offset:64
	flat_load_ushort v36, v[11:12] offset:64
	flat_load_ushort v35, v[7:8] offset:64
	flat_load_ushort v34, v[9:10] offset:64
	s_and_saveexec_b32 s26, s1
	s_cbranch_execz .LBB668_18
; %bb.24:                               ;   in Loop: Header=BB668_21 Depth=1
	s_clause 0x3
	flat_load_ushort v41, v[5:6] offset:128
	flat_load_ushort v40, v[11:12] offset:128
	flat_load_ushort v39, v[7:8] offset:128
	flat_load_ushort v38, v[9:10] offset:128
	;; [unrolled: 8-line block ×3, first 2 shown]
	s_waitcnt vmcnt(3) lgkmcnt(3)
	v_lshlrev_b32_e32 v5, 16, v5
	s_waitcnt vmcnt(2) lgkmcnt(2)
	v_lshlrev_b32_e32 v6, 16, v6
	v_fmac_f32_e32 v18, v33, v5
	s_waitcnt vmcnt(1) lgkmcnt(1)
	v_lshlrev_b32_e32 v5, 16, v7
	v_fmac_f32_e32 v18, v29, v6
	;; [unrolled: 3-line block ×3, first 2 shown]
	v_fmac_f32_e32 v18, v27, v6
	s_branch .LBB668_17
.LBB668_26:
	s_or_b32 exec_lo, exec_lo, s22
.LBB668_27:
	s_or_b32 exec_lo, exec_lo, s20
	s_sub_i32 s0, s9, s6
	s_cmp_lt_i32 s0, 1
	s_cbranch_scc1 .LBB668_45
; %bb.28:
	v_cmp_gt_i32_e32 vcc_lo, s9, v20
	v_mov_b32_e32 v11, 0
	v_or_b32_e32 v2, 1, v20
	v_mov_b32_e32 v10, 0
	v_mov_b32_e32 v21, 0
	;; [unrolled: 1-line block ×3, first 2 shown]
	s_and_saveexec_b32 s1, vcc_lo
	s_cbranch_execz .LBB668_36
; %bb.29:
	s_waitcnt lgkmcnt(0)
	v_mul_lo_u32 v3, v20, s4
	v_mov_b32_e32 v12, 0
	v_mov_b32_e32 v10, 0
	;; [unrolled: 1-line block ×3, first 2 shown]
	s_mov_b32 s2, exec_lo
	v_ashrrev_i32_e32 v4, 31, v3
	v_lshlrev_b64 v[3:4], 1, v[3:4]
	v_add_co_u32 v3, s0, s16, v3
	v_add_co_ci_u32_e64 v4, null, s17, v4, s0
	flat_load_ushort v3, v[3:4]
	v_cmpx_gt_i32_e64 s9, v2
	s_cbranch_execz .LBB668_35
; %bb.30:
	v_mul_lo_u32 v4, v2, s4
	v_mov_b32_e32 v10, 0
	v_mov_b32_e32 v11, 0
	s_mov_b32 s3, exec_lo
	v_ashrrev_i32_e32 v5, 31, v4
	v_lshlrev_b64 v[4:5], 1, v[4:5]
	v_add_co_u32 v4, s0, s16, v4
	v_add_co_ci_u32_e64 v5, null, s17, v5, s0
	flat_load_ushort v4, v[4:5]
	v_or_b32_e32 v5, 2, v20
	v_cmpx_gt_i32_e64 s9, v5
	s_cbranch_execz .LBB668_34
; %bb.31:
	v_mul_lo_u32 v5, v5, s4
	v_mov_b32_e32 v10, 0
	s_mov_b32 s6, exec_lo
	v_ashrrev_i32_e32 v6, 31, v5
	v_lshlrev_b64 v[5:6], 1, v[5:6]
	v_add_co_u32 v5, s0, s16, v5
	v_add_co_ci_u32_e64 v6, null, s17, v6, s0
	flat_load_ushort v5, v[5:6]
	v_or_b32_e32 v6, 3, v20
	v_cmpx_gt_i32_e64 s9, v6
	s_cbranch_execz .LBB668_33
; %bb.32:
	v_mul_lo_u32 v6, v6, s4
	v_ashrrev_i32_e32 v7, 31, v6
	v_lshlrev_b64 v[6:7], 1, v[6:7]
	v_add_co_u32 v6, s0, s16, v6
	v_add_co_ci_u32_e64 v7, null, s17, v7, s0
	flat_load_ushort v6, v[6:7]
	s_waitcnt vmcnt(0) lgkmcnt(0)
	v_lshlrev_b32_e32 v10, 16, v6
.LBB668_33:
	s_or_b32 exec_lo, exec_lo, s6
	s_waitcnt vmcnt(0) lgkmcnt(0)
	v_lshlrev_b32_e32 v11, 16, v5
.LBB668_34:
	s_or_b32 exec_lo, exec_lo, s3
	s_waitcnt vmcnt(0) lgkmcnt(0)
	v_lshlrev_b32_e32 v12, 16, v4
.LBB668_35:
	s_or_b32 exec_lo, exec_lo, s2
	s_waitcnt vmcnt(0) lgkmcnt(0)
	v_lshlrev_b32_e32 v21, 16, v3
.LBB668_36:
	s_or_b32 exec_lo, exec_lo, s1
	s_mov_b32 s1, exec_lo
	v_cmpx_gt_i32_e64 s8, v19
	s_cbranch_execz .LBB668_44
; %bb.37:
	s_waitcnt lgkmcnt(0)
	v_mul_lo_u32 v3, v20, s15
	v_mul_lo_u32 v4, v2, s15
	v_or_b32_e32 v5, 2, v20
	v_or_b32_e32 v6, 3, v20
	s_mov_b32 s0, exec_lo
	v_mul_lo_u32 v7, v5, s15
	v_cndmask_b32_e32 v3, 0, v3, vcc_lo
	v_cmp_gt_i32_e32 vcc_lo, s9, v2
	v_mul_lo_u32 v8, v6, s15
	v_add_nc_u32_e32 v2, v3, v19
	v_cndmask_b32_e32 v4, 0, v4, vcc_lo
	v_cmp_gt_i32_e32 vcc_lo, s9, v5
	v_ashrrev_i32_e32 v3, 31, v2
	v_add_nc_u32_e32 v4, v4, v19
	v_cndmask_b32_e32 v7, 0, v7, vcc_lo
	v_cmp_gt_i32_e32 vcc_lo, s9, v6
	v_lshlrev_b64 v[2:3], 1, v[2:3]
	v_ashrrev_i32_e32 v5, 31, v4
	v_add_nc_u32_e32 v6, v7, v19
	v_cndmask_b32_e32 v8, 0, v8, vcc_lo
	v_lshlrev_b64 v[4:5], 1, v[4:5]
	v_ashrrev_i32_e32 v7, 31, v6
	v_add_nc_u32_e32 v8, v8, v19
	v_add_co_u32 v2, vcc_lo, s10, v2
	v_add_co_ci_u32_e64 v3, null, s11, v3, vcc_lo
	v_ashrrev_i32_e32 v9, 31, v8
	v_add_co_u32 v4, vcc_lo, s10, v4
	v_add_co_ci_u32_e64 v5, null, s11, v5, vcc_lo
	v_lshlrev_b64 v[6:7], 1, v[6:7]
	v_lshlrev_b64 v[8:9], 1, v[8:9]
	s_clause 0x1
	flat_load_ushort v20, v[2:3]
	flat_load_ushort v22, v[4:5]
	v_add_co_u32 v6, vcc_lo, s10, v6
	v_add_co_ci_u32_e64 v7, null, s11, v7, vcc_lo
	v_add_co_u32 v8, vcc_lo, s10, v8
	v_add_co_ci_u32_e64 v9, null, s11, v9, vcc_lo
	s_clause 0x1
	flat_load_ushort v23, v[6:7]
	flat_load_ushort v24, v[8:9]
	s_waitcnt vmcnt(3) lgkmcnt(3)
	v_lshlrev_b32_e32 v20, 16, v20
	s_waitcnt vmcnt(2) lgkmcnt(2)
	v_lshlrev_b32_e32 v22, 16, v22
	v_fmac_f32_e32 v15, v21, v20
	v_fmac_f32_e32 v15, v12, v22
	v_add_nc_u32_e32 v22, 32, v19
	s_waitcnt vmcnt(1) lgkmcnt(1)
	v_lshlrev_b32_e32 v23, 16, v23
	s_waitcnt vmcnt(0) lgkmcnt(0)
	v_lshlrev_b32_e32 v20, 16, v24
	v_fmac_f32_e32 v15, v11, v23
	v_cmpx_gt_i32_e64 s8, v22
	s_cbranch_execz .LBB668_43
; %bb.38:
	s_clause 0x3
	flat_load_ushort v22, v[2:3] offset:64
	flat_load_ushort v23, v[4:5] offset:64
	;; [unrolled: 1-line block ×4, first 2 shown]
	s_mov_b32 s2, exec_lo
	s_waitcnt vmcnt(3) lgkmcnt(3)
	v_lshlrev_b32_e32 v22, 16, v22
	s_waitcnt vmcnt(2) lgkmcnt(2)
	v_lshlrev_b32_e32 v23, 16, v23
	;; [unrolled: 2-line block ×3, first 2 shown]
	v_fmac_f32_e32 v16, v21, v22
	s_waitcnt vmcnt(0) lgkmcnt(0)
	v_lshlrev_b32_e32 v22, 16, v25
	v_fmac_f32_e32 v16, v12, v23
	v_add_nc_u32_e32 v23, 64, v19
	v_fmac_f32_e32 v16, v11, v24
	v_cmpx_gt_i32_e64 s8, v23
	s_cbranch_execz .LBB668_42
; %bb.39:
	s_clause 0x3
	flat_load_ushort v23, v[2:3] offset:128
	flat_load_ushort v24, v[4:5] offset:128
	;; [unrolled: 1-line block ×4, first 2 shown]
	s_mov_b32 s3, exec_lo
	s_waitcnt vmcnt(3) lgkmcnt(3)
	v_lshlrev_b32_e32 v23, 16, v23
	s_waitcnt vmcnt(2) lgkmcnt(2)
	v_lshlrev_b32_e32 v24, 16, v24
	v_fmac_f32_e32 v17, v21, v23
	s_waitcnt vmcnt(1) lgkmcnt(1)
	v_lshlrev_b32_e32 v23, 16, v25
	v_fmac_f32_e32 v17, v12, v24
	v_add_nc_u32_e32 v24, 0x60, v19
	s_waitcnt vmcnt(0) lgkmcnt(0)
	v_lshlrev_b32_e32 v19, 16, v26
	v_fmac_f32_e32 v17, v11, v23
	v_cmpx_gt_i32_e64 s8, v24
	s_cbranch_execz .LBB668_41
; %bb.40:
	s_clause 0x3
	flat_load_ushort v2, v[2:3] offset:192
	flat_load_ushort v3, v[4:5] offset:192
	;; [unrolled: 1-line block ×4, first 2 shown]
	s_waitcnt vmcnt(3) lgkmcnt(3)
	v_lshlrev_b32_e32 v2, 16, v2
	s_waitcnt vmcnt(2) lgkmcnt(2)
	v_lshlrev_b32_e32 v3, 16, v3
	v_fmac_f32_e32 v18, v21, v2
	s_waitcnt vmcnt(1) lgkmcnt(1)
	v_lshlrev_b32_e32 v2, 16, v4
	v_fmac_f32_e32 v18, v12, v3
	;; [unrolled: 3-line block ×3, first 2 shown]
	v_fmac_f32_e32 v18, v10, v3
.LBB668_41:
	s_or_b32 exec_lo, exec_lo, s3
	v_fmac_f32_e32 v17, v10, v19
.LBB668_42:
	s_or_b32 exec_lo, exec_lo, s2
	v_fmac_f32_e32 v16, v10, v22
.LBB668_43:
	s_or_b32 exec_lo, exec_lo, s0
	v_fmac_f32_e32 v15, v10, v20
.LBB668_44:
	s_or_b32 exec_lo, exec_lo, s1
.LBB668_45:
	v_lshlrev_b32_e32 v0, 2, v0
	s_mov_b32 s0, exec_lo
                                        ; implicit-def: $vgpr3
                                        ; implicit-def: $vgpr4_vgpr5
	v_lshl_add_u32 v1, v1, 9, v0
	ds_write2_b32 v1, v15, v16 offset1:32
	ds_write2_b32 v1, v17, v18 offset0:64 offset1:96
	s_waitcnt lgkmcnt(0)
	s_barrier
	buffer_gl0_inv
	v_cmpx_gt_u32_e32 0x80, v13
	s_cbranch_execz .LBB668_51
; %bb.46:
	v_lshl_add_u32 v6, v14, 2, v0
	s_mov_b32 s2, s14
	s_mov_b32 s1, exec_lo
	ds_read2st64_b32 v[0:1], v6 offset1:2
	ds_read2st64_b32 v[2:3], v6 offset0:4 offset1:6
	ds_read2st64_b32 v[4:5], v6 offset0:8 offset1:10
	s_waitcnt lgkmcnt(2)
	v_add_f32_e32 v7, v0, v1
	ds_read2st64_b32 v[0:1], v6 offset0:12 offset1:14
	s_waitcnt lgkmcnt(2)
	v_add_f32_e32 v2, v2, v7
	v_add_f32_e32 v7, v3, v2
	ds_read2st64_b32 v[2:3], v6 offset0:16 offset1:18
	s_waitcnt lgkmcnt(2)
	v_add_f32_e32 v4, v4, v7
	;; [unrolled: 4-line block ×3, first 2 shown]
	v_add_f32_e32 v0, v1, v0
	s_waitcnt lgkmcnt(1)
	v_add_f32_e32 v2, v2, v0
	ds_read2st64_b32 v[0:1], v6 offset0:24 offset1:26
	v_add_f32_e32 v2, v3, v2
	s_waitcnt lgkmcnt(1)
	v_add_f32_e32 v4, v4, v2
	ds_read2st64_b32 v[2:3], v6 offset0:28 offset1:30
	v_add_f32_e32 v4, v5, v4
	s_waitcnt lgkmcnt(1)
	v_add_f32_e32 v0, v0, v4
                                        ; implicit-def: $vgpr4_vgpr5
	v_add_f32_e32 v0, v1, v0
	v_or_b32_e32 v1, s5, v13
	s_waitcnt lgkmcnt(0)
	v_add_f32_e32 v0, v2, v0
	v_add_f32_e32 v0, v3, v0
                                        ; implicit-def: $vgpr3
	ds_write_b32 v6, v0
	v_cmpx_gt_i32_e64 s8, v1
	s_cbranch_execz .LBB668_50
; %bb.47:
	v_mul_lo_u32 v4, s19, v1
	v_cmp_eq_f32_e64 s2, s7, 0
	v_mul_f32_e32 v3, s18, v0
	s_and_b32 vcc_lo, exec_lo, s2
	v_ashrrev_i32_e32 v5, 31, v4
	s_cbranch_vccnz .LBB668_49
; %bb.48:
	v_lshlrev_b64 v[0:1], 2, v[4:5]
	v_add_co_u32 v0, vcc_lo, s12, v0
	v_add_co_ci_u32_e64 v1, null, s13, v1, vcc_lo
	flat_load_dword v0, v[0:1]
	s_waitcnt vmcnt(0) lgkmcnt(0)
	v_fmac_f32_e32 v3, s7, v0
.LBB668_49:
	s_or_b32 s2, s14, exec_lo
.LBB668_50:
	s_or_b32 exec_lo, exec_lo, s1
	s_andn2_b32 s1, s14, exec_lo
	s_and_b32 s2, s2, exec_lo
	s_or_b32 s14, s1, s2
.LBB668_51:
	s_or_b32 exec_lo, exec_lo, s0
.LBB668_52:
	s_and_saveexec_b32 s0, s14
	s_cbranch_execz .LBB668_54
; %bb.53:
	v_lshlrev_b64 v[0:1], 2, v[4:5]
	v_add_co_u32 v0, vcc_lo, s12, v0
	v_add_co_ci_u32_e64 v1, null, s13, v1, vcc_lo
	flat_store_dword v[0:1], v3
.LBB668_54:
	s_endpgm
	.section	.rodata,"a",@progbits
	.p2align	6, 0x0
	.amdhsa_kernel _ZL20rocblas_gemvn_kernelILi32ELi16EiPK16rocblas_bfloat16PKfKPfEviiT3_lPKT2_lT1_lSA_lSB_lS7_lPT4_lSB_li
		.amdhsa_group_segment_fixed_size 8192
		.amdhsa_private_segment_fixed_size 0
		.amdhsa_kernarg_size 400
		.amdhsa_user_sgpr_count 6
		.amdhsa_user_sgpr_private_segment_buffer 1
		.amdhsa_user_sgpr_dispatch_ptr 0
		.amdhsa_user_sgpr_queue_ptr 0
		.amdhsa_user_sgpr_kernarg_segment_ptr 1
		.amdhsa_user_sgpr_dispatch_id 0
		.amdhsa_user_sgpr_flat_scratch_init 0
		.amdhsa_user_sgpr_private_segment_size 0
		.amdhsa_wavefront_size32 1
		.amdhsa_uses_dynamic_stack 0
		.amdhsa_system_sgpr_private_segment_wavefront_offset 0
		.amdhsa_system_sgpr_workgroup_id_x 1
		.amdhsa_system_sgpr_workgroup_id_y 0
		.amdhsa_system_sgpr_workgroup_id_z 1
		.amdhsa_system_sgpr_workgroup_info 0
		.amdhsa_system_vgpr_workitem_id 1
		.amdhsa_next_free_vgpr 42
		.amdhsa_next_free_sgpr 28
		.amdhsa_reserve_vcc 1
		.amdhsa_reserve_flat_scratch 1
		.amdhsa_float_round_mode_32 0
		.amdhsa_float_round_mode_16_64 0
		.amdhsa_float_denorm_mode_32 3
		.amdhsa_float_denorm_mode_16_64 3
		.amdhsa_dx10_clamp 1
		.amdhsa_ieee_mode 1
		.amdhsa_fp16_overflow 0
		.amdhsa_workgroup_processor_mode 1
		.amdhsa_memory_ordered 1
		.amdhsa_forward_progress 1
		.amdhsa_shared_vgpr_count 0
		.amdhsa_exception_fp_ieee_invalid_op 0
		.amdhsa_exception_fp_denorm_src 0
		.amdhsa_exception_fp_ieee_div_zero 0
		.amdhsa_exception_fp_ieee_overflow 0
		.amdhsa_exception_fp_ieee_underflow 0
		.amdhsa_exception_fp_ieee_inexact 0
		.amdhsa_exception_int_div_zero 0
	.end_amdhsa_kernel
	.section	.text._ZL20rocblas_gemvn_kernelILi32ELi16EiPK16rocblas_bfloat16PKfKPfEviiT3_lPKT2_lT1_lSA_lSB_lS7_lPT4_lSB_li,"axG",@progbits,_ZL20rocblas_gemvn_kernelILi32ELi16EiPK16rocblas_bfloat16PKfKPfEviiT3_lPKT2_lT1_lSA_lSB_lS7_lPT4_lSB_li,comdat
.Lfunc_end668:
	.size	_ZL20rocblas_gemvn_kernelILi32ELi16EiPK16rocblas_bfloat16PKfKPfEviiT3_lPKT2_lT1_lSA_lSB_lS7_lPT4_lSB_li, .Lfunc_end668-_ZL20rocblas_gemvn_kernelILi32ELi16EiPK16rocblas_bfloat16PKfKPfEviiT3_lPKT2_lT1_lSA_lSB_lS7_lPT4_lSB_li
                                        ; -- End function
	.set _ZL20rocblas_gemvn_kernelILi32ELi16EiPK16rocblas_bfloat16PKfKPfEviiT3_lPKT2_lT1_lSA_lSB_lS7_lPT4_lSB_li.num_vgpr, 42
	.set _ZL20rocblas_gemvn_kernelILi32ELi16EiPK16rocblas_bfloat16PKfKPfEviiT3_lPKT2_lT1_lSA_lSB_lS7_lPT4_lSB_li.num_agpr, 0
	.set _ZL20rocblas_gemvn_kernelILi32ELi16EiPK16rocblas_bfloat16PKfKPfEviiT3_lPKT2_lT1_lSA_lSB_lS7_lPT4_lSB_li.numbered_sgpr, 28
	.set _ZL20rocblas_gemvn_kernelILi32ELi16EiPK16rocblas_bfloat16PKfKPfEviiT3_lPKT2_lT1_lSA_lSB_lS7_lPT4_lSB_li.num_named_barrier, 0
	.set _ZL20rocblas_gemvn_kernelILi32ELi16EiPK16rocblas_bfloat16PKfKPfEviiT3_lPKT2_lT1_lSA_lSB_lS7_lPT4_lSB_li.private_seg_size, 0
	.set _ZL20rocblas_gemvn_kernelILi32ELi16EiPK16rocblas_bfloat16PKfKPfEviiT3_lPKT2_lT1_lSA_lSB_lS7_lPT4_lSB_li.uses_vcc, 1
	.set _ZL20rocblas_gemvn_kernelILi32ELi16EiPK16rocblas_bfloat16PKfKPfEviiT3_lPKT2_lT1_lSA_lSB_lS7_lPT4_lSB_li.uses_flat_scratch, 1
	.set _ZL20rocblas_gemvn_kernelILi32ELi16EiPK16rocblas_bfloat16PKfKPfEviiT3_lPKT2_lT1_lSA_lSB_lS7_lPT4_lSB_li.has_dyn_sized_stack, 0
	.set _ZL20rocblas_gemvn_kernelILi32ELi16EiPK16rocblas_bfloat16PKfKPfEviiT3_lPKT2_lT1_lSA_lSB_lS7_lPT4_lSB_li.has_recursion, 0
	.set _ZL20rocblas_gemvn_kernelILi32ELi16EiPK16rocblas_bfloat16PKfKPfEviiT3_lPKT2_lT1_lSA_lSB_lS7_lPT4_lSB_li.has_indirect_call, 0
	.section	.AMDGPU.csdata,"",@progbits
; Kernel info:
; codeLenInByte = 2976
; TotalNumSgprs: 30
; NumVgprs: 42
; ScratchSize: 0
; MemoryBound: 0
; FloatMode: 240
; IeeeMode: 1
; LDSByteSize: 8192 bytes/workgroup (compile time only)
; SGPRBlocks: 0
; VGPRBlocks: 5
; NumSGPRsForWavesPerEU: 30
; NumVGPRsForWavesPerEU: 42
; Occupancy: 16
; WaveLimiterHint : 1
; COMPUTE_PGM_RSRC2:SCRATCH_EN: 0
; COMPUTE_PGM_RSRC2:USER_SGPR: 6
; COMPUTE_PGM_RSRC2:TRAP_HANDLER: 0
; COMPUTE_PGM_RSRC2:TGID_X_EN: 1
; COMPUTE_PGM_RSRC2:TGID_Y_EN: 0
; COMPUTE_PGM_RSRC2:TGID_Z_EN: 1
; COMPUTE_PGM_RSRC2:TIDIG_COMP_CNT: 1
	.section	.text._ZL20rocblas_gemvn_kernelILi32ELi16ElPK16rocblas_bfloat16PKfKPfEviiT3_lPKT2_lT1_lSA_lSB_lS7_lPT4_lSB_li,"axG",@progbits,_ZL20rocblas_gemvn_kernelILi32ELi16ElPK16rocblas_bfloat16PKfKPfEviiT3_lPKT2_lT1_lSA_lSB_lS7_lPT4_lSB_li,comdat
	.globl	_ZL20rocblas_gemvn_kernelILi32ELi16ElPK16rocblas_bfloat16PKfKPfEviiT3_lPKT2_lT1_lSA_lSB_lS7_lPT4_lSB_li ; -- Begin function _ZL20rocblas_gemvn_kernelILi32ELi16ElPK16rocblas_bfloat16PKfKPfEviiT3_lPKT2_lT1_lSA_lSB_lS7_lPT4_lSB_li
	.p2align	8
	.type	_ZL20rocblas_gemvn_kernelILi32ELi16ElPK16rocblas_bfloat16PKfKPfEviiT3_lPKT2_lT1_lSA_lSB_lS7_lPT4_lSB_li,@function
_ZL20rocblas_gemvn_kernelILi32ELi16ElPK16rocblas_bfloat16PKfKPfEviiT3_lPKT2_lT1_lSA_lSB_lS7_lPT4_lSB_li: ; @_ZL20rocblas_gemvn_kernelILi32ELi16ElPK16rocblas_bfloat16PKfKPfEviiT3_lPKT2_lT1_lSA_lSB_lS7_lPT4_lSB_li
; %bb.0:
	s_load_dwordx2 s[0:1], s[4:5], 0x9c
	s_waitcnt lgkmcnt(0)
	s_lshr_b32 s2, s0, 16
	s_and_b32 s0, s0, 0xffff
	s_and_b32 s1, s1, 0xffff
	s_mul_i32 s0, s2, s0
	s_mul_i32 s0, s0, s1
	s_cmpk_lg_i32 s0, 0x200
	s_cbranch_scc1 .LBB669_54
; %bb.1:
	s_clause 0x1
	s_load_dwordx8 s[16:23], s[4:5], 0x8
	s_load_dwordx8 s[8:15], s[4:5], 0x58
	s_mov_b32 s26, s7
	s_mov_b32 s27, 0
	s_waitcnt lgkmcnt(0)
	s_mul_i32 s1, s19, s7
	s_mul_hi_u32 s2, s18, s7
	s_mul_i32 s0, s18, s7
	s_add_i32 s1, s2, s1
	s_mul_i32 s2, s11, s7
	s_lshl_b64 s[0:1], s[0:1], 2
	s_mul_hi_u32 s3, s10, s7
	s_add_u32 s0, s16, s0
	s_addc_u32 s1, s17, s1
	s_add_i32 s3, s3, s2
	s_mul_i32 s2, s10, s7
	s_lshl_b64 s[2:3], s[2:3], 2
	s_add_u32 s2, s8, s2
	s_addc_u32 s3, s9, s3
	s_load_dword s29, s[0:1], 0x0
	s_load_dword s28, s[2:3], 0x0
	s_waitcnt lgkmcnt(0)
	v_cmp_eq_f32_e64 s7, s29, 0
	v_cmp_eq_f32_e64 s0, s28, 1.0
	s_and_b32 s0, s7, s0
	s_and_b32 vcc_lo, exec_lo, s0
	s_cbranch_vccnz .LBB669_54
; %bb.2:
	s_clause 0x1
	s_load_dwordx2 s[16:17], s[4:5], 0x28
	s_load_dwordx2 s[8:9], s[4:5], 0x78
	v_cmp_neq_f32_e64 s10, s29, 0
	s_mov_b64 s[24:25], 0
	s_and_b32 vcc_lo, exec_lo, s7
	s_mov_b64 s[18:19], 0
	s_cbranch_vccnz .LBB669_4
; %bb.3:
	s_lshl_b64 s[0:1], s[26:27], 3
	s_add_u32 s0, s20, s0
	s_addc_u32 s1, s21, s1
	s_lshl_b64 s[2:3], s[22:23], 1
	s_load_dwordx2 s[0:1], s[0:1], 0x0
	s_waitcnt lgkmcnt(0)
	s_add_u32 s18, s0, s2
	s_addc_u32 s19, s1, s3
.LBB669_4:
	s_clause 0x1
	s_load_dwordx4 s[0:3], s[4:5], 0x38
	s_load_dwordx2 s[20:21], s[4:5], 0x48
	s_andn2_b32 vcc_lo, exec_lo, s10
	s_cbranch_vccnz .LBB669_6
; %bb.5:
	s_lshl_b64 s[10:11], s[26:27], 3
	s_waitcnt lgkmcnt(0)
	s_add_u32 s0, s0, s10
	s_addc_u32 s1, s1, s11
	s_lshl_b64 s[2:3], s[2:3], 1
	s_load_dwordx2 s[0:1], s[0:1], 0x0
	s_waitcnt lgkmcnt(0)
	s_add_u32 s24, s0, s2
	s_addc_u32 s25, s1, s3
.LBB669_6:
	s_waitcnt lgkmcnt(0)
	s_lshl_b64 s[0:1], s[26:27], 3
	v_lshlrev_b32_e32 v22, 5, v1
	s_add_u32 s0, s12, s0
	s_addc_u32 s1, s13, s1
	s_lshl_b64 s[12:13], s[14:15], 2
	s_load_dwordx2 s[2:3], s[0:1], 0x0
	s_load_dwordx2 s[10:11], s[4:5], 0x0
	v_add_nc_u32_e32 v21, v22, v0
	v_cmp_gt_u32_e64 s0, 0x80, v21
	s_waitcnt lgkmcnt(0)
	s_add_u32 s5, s2, s12
	s_addc_u32 s22, s3, s13
	s_andn2_b32 vcc_lo, exec_lo, s7
	s_cbranch_vccnz .LBB669_13
; %bb.7:
	s_mov_b32 s1, 0
	s_mov_b32 s23, 0
                                        ; implicit-def: $vgpr3
                                        ; implicit-def: $vgpr4_vgpr5
	s_and_saveexec_b32 s2, s0
	s_cbranch_execz .LBB669_14
; %bb.8:
	v_lshl_or_b32 v2, s6, 7, v21
	v_mov_b32_e32 v3, 0
	s_ashr_i32 s13, s10, 31
	s_mov_b32 s12, s10
	s_mov_b32 s3, 0
	s_mov_b32 s0, exec_lo
                                        ; implicit-def: $vgpr4_vgpr5
	v_cmpx_gt_i64_e64 s[12:13], v[2:3]
	s_cbranch_execz .LBB669_12
; %bb.9:
	v_mad_u64_u32 v[4:5], null, s8, v2, 0
	v_cmp_eq_f32_e64 s3, s28, 0
	s_and_b32 vcc_lo, exec_lo, s3
	v_mad_u64_u32 v[5:6], null, s9, v2, v[5:6]
	s_cbranch_vccnz .LBB669_11
; %bb.10:
	v_lshlrev_b64 v[2:3], 2, v[4:5]
	v_add_co_u32 v2, vcc_lo, s5, v2
	v_add_co_ci_u32_e64 v3, null, s22, v3, vcc_lo
	flat_load_dword v2, v[2:3]
	s_waitcnt vmcnt(0) lgkmcnt(0)
	v_mul_f32_e32 v3, s28, v2
.LBB669_11:
	s_mov_b32 s3, exec_lo
.LBB669_12:
	s_or_b32 exec_lo, exec_lo, s0
	s_and_b32 s23, s3, exec_lo
	s_or_b32 exec_lo, exec_lo, s2
	s_and_b32 vcc_lo, exec_lo, s1
	s_cbranch_vccnz .LBB669_15
	s_branch .LBB669_52
.LBB669_13:
	s_mov_b32 s23, 0
                                        ; implicit-def: $vgpr3
                                        ; implicit-def: $vgpr4_vgpr5
	s_cbranch_execnz .LBB669_15
	s_branch .LBB669_52
.LBB669_14:
	s_or_b32 exec_lo, exec_lo, s2
	s_and_b32 vcc_lo, exec_lo, s1
	s_cbranch_vccz .LBB669_52
.LBB669_15:
	s_ashr_i32 s0, s11, 31
	s_lshl_b32 s26, s6, 7
	s_lshr_b32 s0, s0, 26
	v_lshlrev_b32_e32 v27, 2, v1
	v_mov_b32_e32 v23, 0
	v_add_nc_u32_e32 v2, s26, v0
	v_mov_b32_e32 v24, 0
	v_mov_b32_e32 v25, 0
	;; [unrolled: 1-line block ×3, first 2 shown]
	s_add_i32 s27, s11, s0
	s_mov_b32 s30, exec_lo
	s_andn2_b32 s27, s27, 63
	v_cmpx_gt_i32_e64 s27, v27
	s_cbranch_execz .LBB669_27
; %bb.16:
	v_lshlrev_b32_e32 v25, 2, v1
	v_add_nc_u32_e32 v4, 32, v2
	v_mad_u64_u32 v[7:8], null, s20, v1, 0
	v_mad_u64_u32 v[9:10], null, s16, v1, 0
	v_or_b32_e32 v26, 3, v25
	v_add_nc_u32_e32 v11, 64, v2
	v_add_nc_u32_e32 v12, 0x60, v2
	v_cmp_gt_i32_e64 s0, s10, v4
	v_or_b32_e32 v32, 2, v25
	v_mad_u64_u32 v[5:6], null, s16, v26, 0
	v_cmp_gt_i32_e64 s1, s10, v11
	v_cmp_gt_i32_e64 s2, s10, v12
	v_mad_u64_u32 v[16:17], null, s16, v32, 0
	v_mad_u64_u32 v[18:19], null, s20, v26, 0
	v_mov_b32_e32 v4, v6
	v_mov_b32_e32 v6, v8
	;; [unrolled: 1-line block ×3, first 2 shown]
	v_ashrrev_i32_e32 v3, 31, v2
	s_lshl_b64 s[6:7], s[16:17], 7
	v_mad_u64_u32 v[11:12], null, s17, v26, v[4:5]
	v_mad_u64_u32 v[12:13], null, s21, v1, v[6:7]
	;; [unrolled: 1-line block ×4, first 2 shown]
	v_mov_b32_e32 v6, v11
	v_lshlrev_b64 v[3:4], 1, v[2:3]
	v_mov_b32_e32 v8, v12
	s_lshl_b64 s[12:13], s[20:21], 7
	v_mov_b32_e32 v10, v13
	v_lshlrev_b64 v[11:12], 1, v[5:6]
	s_mov_b32 s31, 0
	v_lshlrev_b64 v[5:6], 3, v[7:8]
	v_mov_b32_e32 v7, v17
	v_mov_b32_e32 v8, v15
	v_lshlrev_b64 v[9:10], 3, v[9:10]
	v_add_co_u32 v28, s3, s18, v11
	v_add_co_ci_u32_e64 v29, null, s19, v12, s3
	v_mad_u64_u32 v[11:12], null, s16, v25, s[16:17]
	v_mad_u64_u32 v[23:24], null, s17, v32, v[7:8]
	v_mov_b32_e32 v7, v19
	v_mad_u64_u32 v[19:20], null, s21, v25, v[8:9]
	v_add_co_u32 v30, s3, s18, v9
	v_mad_u64_u32 v[7:8], null, s21, v26, v[7:8]
	v_mov_b32_e32 v8, v12
	v_mov_b32_e32 v17, v23
	v_mad_u64_u32 v[23:24], null, s20, v32, 0
	v_mov_b32_e32 v15, v19
	v_mad_u64_u32 v[12:13], null, s17, v25, v[8:9]
	v_lshlrev_b64 v[16:17], 1, v[16:17]
	v_mov_b32_e32 v19, v7
	v_add_co_ci_u32_e64 v31, null, s19, v10, s3
	v_mov_b32_e32 v8, v24
	v_mov_b32_e32 v26, 0
	v_lshlrev_b64 v[11:12], 1, v[11:12]
	s_mov_b64 s[14:15], s[24:25]
	v_cmp_gt_i32_e32 vcc_lo, s10, v2
	v_mad_u64_u32 v[24:25], null, s21, v32, v[8:9]
	v_add_co_u32 v32, s3, s18, v16
	v_add_co_ci_u32_e64 v33, null, s19, v17, s3
	v_add_co_u32 v34, s3, s18, v11
	v_lshlrev_b64 v[7:8], 1, v[14:15]
	v_lshlrev_b64 v[9:10], 1, v[18:19]
	v_add_co_ci_u32_e64 v35, null, s19, v12, s3
	v_lshlrev_b64 v[11:12], 1, v[23:24]
	v_mov_b32_e32 v23, 0
	v_mov_b32_e32 v24, 0
	;; [unrolled: 1-line block ×3, first 2 shown]
	s_branch .LBB669_21
.LBB669_17:                             ;   in Loop: Header=BB669_21 Depth=1
	s_or_b32 exec_lo, exec_lo, s34
	s_waitcnt vmcnt(3) lgkmcnt(3)
	v_lshlrev_b32_e32 v13, 16, v51
	s_waitcnt vmcnt(2) lgkmcnt(2)
	v_lshlrev_b32_e32 v14, 16, v50
	v_fmac_f32_e32 v25, v43, v13
	s_waitcnt vmcnt(1) lgkmcnt(1)
	v_lshlrev_b32_e32 v13, 16, v49
	v_fmac_f32_e32 v25, v39, v14
	v_fmac_f32_e32 v25, v41, v13
	s_waitcnt vmcnt(0) lgkmcnt(0)
	v_lshlrev_b32_e32 v13, 16, v48
	v_fmac_f32_e32 v25, v37, v13
.LBB669_18:                             ;   in Loop: Header=BB669_21 Depth=1
	s_or_b32 exec_lo, exec_lo, s33
	s_waitcnt vmcnt(3) lgkmcnt(3)
	v_lshlrev_b32_e32 v13, 16, v47
	s_waitcnt vmcnt(2) lgkmcnt(2)
	v_lshlrev_b32_e32 v14, 16, v46
	v_fmac_f32_e32 v24, v43, v13
	s_waitcnt vmcnt(1) lgkmcnt(1)
	v_lshlrev_b32_e32 v13, 16, v45
	v_fmac_f32_e32 v24, v39, v14
	v_fmac_f32_e32 v24, v41, v13
	s_waitcnt vmcnt(0) lgkmcnt(0)
	v_lshlrev_b32_e32 v13, 16, v44
	v_fmac_f32_e32 v24, v37, v13
.LBB669_19:                             ;   in Loop: Header=BB669_21 Depth=1
	s_or_b32 exec_lo, exec_lo, s3
	s_waitcnt vmcnt(3) lgkmcnt(3)
	v_lshlrev_b32_e32 v13, 16, v42
	s_waitcnt vmcnt(2) lgkmcnt(2)
	v_lshlrev_b32_e32 v14, 16, v40
	v_fmac_f32_e32 v23, v43, v13
	s_waitcnt vmcnt(1) lgkmcnt(1)
	v_lshlrev_b32_e32 v13, 16, v38
	v_fmac_f32_e32 v23, v39, v14
	v_fmac_f32_e32 v23, v41, v13
	s_waitcnt vmcnt(0) lgkmcnt(0)
	v_lshlrev_b32_e32 v13, 16, v36
	v_fmac_f32_e32 v23, v37, v13
.LBB669_20:                             ;   in Loop: Header=BB669_21 Depth=1
	s_or_b32 exec_lo, exec_lo, s4
	v_add_co_u32 v28, s3, v28, s6
	v_add_nc_u32_e32 v27, 64, v27
	v_add_co_ci_u32_e64 v29, null, s7, v29, s3
	v_add_co_u32 v30, s3, v30, s6
	v_add_co_ci_u32_e64 v31, null, s7, v31, s3
	v_add_co_u32 v32, s3, v32, s6
	v_add_co_ci_u32_e64 v33, null, s7, v33, s3
	v_cmp_le_i32_e64 s3, s27, v27
	v_add_co_u32 v34, s4, v34, s6
	v_add_co_ci_u32_e64 v35, null, s7, v35, s4
	s_add_u32 s14, s14, s12
	s_addc_u32 s15, s15, s13
	s_or_b32 s31, s3, s31
	s_andn2_b32 exec_lo, exec_lo, s31
	s_cbranch_execz .LBB669_26
.LBB669_21:                             ; =>This Inner Loop Header: Depth=1
	s_and_saveexec_b32 s4, vcc_lo
	s_cbranch_execz .LBB669_20
; %bb.22:                               ;   in Loop: Header=BB669_21 Depth=1
	v_add_co_u32 v13, s3, s14, v5
	v_add_co_ci_u32_e64 v14, null, s15, v6, s3
	v_add_co_u32 v15, s3, s14, v7
	v_add_co_ci_u32_e64 v16, null, s15, v8, s3
	;; [unrolled: 2-line block ×4, first 2 shown]
	s_clause 0x3
	flat_load_ushort v37, v[13:14]
	flat_load_ushort v39, v[15:16]
	;; [unrolled: 1-line block ×4, first 2 shown]
	v_add_co_u32 v13, s3, v30, v3
	v_add_co_ci_u32_e64 v14, null, v31, v4, s3
	v_add_co_u32 v17, s3, v34, v3
	v_add_co_ci_u32_e64 v18, null, v35, v4, s3
	;; [unrolled: 2-line block ×4, first 2 shown]
	flat_load_ushort v42, v[13:14]
	flat_load_ushort v40, v[17:18]
	;; [unrolled: 1-line block ×4, first 2 shown]
	s_waitcnt vmcnt(7) lgkmcnt(7)
	v_lshlrev_b32_e32 v43, 16, v37
	s_waitcnt vmcnt(6) lgkmcnt(6)
	v_lshlrev_b32_e32 v39, 16, v39
	;; [unrolled: 2-line block ×4, first 2 shown]
	s_and_saveexec_b32 s3, s0
	s_cbranch_execz .LBB669_19
; %bb.23:                               ;   in Loop: Header=BB669_21 Depth=1
	flat_load_ushort v47, v[13:14] offset:64
	flat_load_ushort v46, v[17:18] offset:64
	flat_load_ushort v45, v[15:16] offset:64
	flat_load_ushort v44, v[19:20] offset:64
	s_and_saveexec_b32 s33, s1
	s_cbranch_execz .LBB669_18
; %bb.24:                               ;   in Loop: Header=BB669_21 Depth=1
	flat_load_ushort v51, v[13:14] offset:128
	flat_load_ushort v50, v[17:18] offset:128
	flat_load_ushort v49, v[15:16] offset:128
	flat_load_ushort v48, v[19:20] offset:128
	;; [unrolled: 7-line block ×3, first 2 shown]
	s_waitcnt vmcnt(3) lgkmcnt(3)
	v_lshlrev_b32_e32 v13, 16, v13
	s_waitcnt vmcnt(2) lgkmcnt(2)
	v_lshlrev_b32_e32 v14, 16, v14
	v_fmac_f32_e32 v26, v43, v13
	s_waitcnt vmcnt(1) lgkmcnt(1)
	v_lshlrev_b32_e32 v13, 16, v15
	v_fmac_f32_e32 v26, v39, v14
	;; [unrolled: 3-line block ×3, first 2 shown]
	v_fmac_f32_e32 v26, v37, v14
	s_branch .LBB669_17
.LBB669_26:
	s_or_b32 exec_lo, exec_lo, s31
.LBB669_27:
	s_or_b32 exec_lo, exec_lo, s30
	s_sub_i32 s0, s11, s27
	s_cmp_lt_i32 s0, 1
	s_cbranch_scc1 .LBB669_45
; %bb.28:
	v_cmp_gt_i32_e32 vcc_lo, s11, v27
	v_mov_b32_e32 v12, 0
	v_or_b32_e32 v4, 1, v27
	v_mov_b32_e32 v11, 0
	v_mov_b32_e32 v14, 0
	;; [unrolled: 1-line block ×3, first 2 shown]
	s_and_saveexec_b32 s1, vcc_lo
	s_cbranch_execz .LBB669_36
; %bb.29:
	v_mad_u64_u32 v[5:6], null, s20, v27, 0
	v_mov_b32_e32 v13, 0
	v_mov_b32_e32 v11, 0
	;; [unrolled: 1-line block ×3, first 2 shown]
	s_mov_b32 s2, exec_lo
	v_mov_b32_e32 v3, v6
	v_mad_u64_u32 v[6:7], null, s21, v27, v[3:4]
	v_lshlrev_b64 v[5:6], 1, v[5:6]
	v_add_co_u32 v5, s0, s24, v5
	v_add_co_ci_u32_e64 v6, null, s25, v6, s0
	flat_load_ushort v3, v[5:6]
	v_cmpx_gt_i32_e64 s11, v4
	s_cbranch_execz .LBB669_35
; %bb.30:
	v_mad_u64_u32 v[5:6], null, s20, v4, 0
	v_mov_b32_e32 v11, 0
	v_mov_b32_e32 v12, 0
	s_mov_b32 s3, exec_lo
	v_mad_u64_u32 v[6:7], null, s21, v4, v[6:7]
	v_lshlrev_b64 v[5:6], 1, v[5:6]
	v_add_co_u32 v5, s0, s24, v5
	v_add_co_ci_u32_e64 v6, null, s25, v6, s0
	flat_load_ushort v5, v[5:6]
	v_or_b32_e32 v6, 2, v27
	v_cmpx_gt_i32_e64 s11, v6
	s_cbranch_execz .LBB669_34
; %bb.31:
	v_mad_u64_u32 v[7:8], null, s20, v6, 0
	v_mov_b32_e32 v11, 0
	s_mov_b32 s4, exec_lo
	v_mad_u64_u32 v[8:9], null, s21, v6, v[8:9]
	v_lshlrev_b64 v[6:7], 1, v[7:8]
	v_add_co_u32 v6, s0, s24, v6
	v_add_co_ci_u32_e64 v7, null, s25, v7, s0
	flat_load_ushort v6, v[6:7]
	v_or_b32_e32 v7, 3, v27
	v_cmpx_gt_i32_e64 s11, v7
	s_cbranch_execz .LBB669_33
; %bb.32:
	v_mad_u64_u32 v[8:9], null, s20, v7, 0
	v_mad_u64_u32 v[9:10], null, s21, v7, v[9:10]
	v_lshlrev_b64 v[7:8], 1, v[8:9]
	v_add_co_u32 v7, s0, s24, v7
	v_add_co_ci_u32_e64 v8, null, s25, v8, s0
	flat_load_ushort v7, v[7:8]
	s_waitcnt vmcnt(0) lgkmcnt(0)
	v_lshlrev_b32_e32 v11, 16, v7
.LBB669_33:
	s_or_b32 exec_lo, exec_lo, s4
	s_waitcnt vmcnt(0) lgkmcnt(0)
	v_lshlrev_b32_e32 v12, 16, v6
.LBB669_34:
	s_or_b32 exec_lo, exec_lo, s3
	s_waitcnt vmcnt(0) lgkmcnt(0)
	v_lshlrev_b32_e32 v13, 16, v5
.LBB669_35:
	s_or_b32 exec_lo, exec_lo, s2
	s_waitcnt vmcnt(0) lgkmcnt(0)
	v_lshlrev_b32_e32 v14, 16, v3
.LBB669_36:
	s_or_b32 exec_lo, exec_lo, s1
	s_mov_b32 s1, exec_lo
	v_cmpx_gt_i32_e64 s10, v2
	s_cbranch_execz .LBB669_44
; %bb.37:
	v_mad_u64_u32 v[5:6], null, s16, v27, 0
	v_mad_u64_u32 v[7:8], null, s16, v4, 0
	v_ashrrev_i32_e32 v3, 31, v2
	v_or_b32_e32 v20, 2, v27
	v_or_b32_e32 v29, 3, v27
	v_cndmask_b32_e32 v5, 0, v5, vcc_lo
	v_lshlrev_b64 v[9:10], 1, v[2:3]
	v_mad_u64_u32 v[15:16], null, s17, v27, v[6:7]
	v_mov_b32_e32 v3, v8
	v_mad_u64_u32 v[16:17], null, s16, v20, 0
	v_mad_u64_u32 v[18:19], null, s16, v29, 0
	v_mad_u64_u32 v[27:28], null, s17, v4, v[3:4]
	v_cndmask_b32_e32 v6, 0, v15, vcc_lo
	v_cmp_gt_i32_e32 vcc_lo, s11, v4
	v_mov_b32_e32 v3, v17
	v_cmp_gt_i32_e64 s0, s11, v20
	v_mov_b32_e32 v8, v19
	v_cndmask_b32_e32 v4, 0, v7, vcc_lo
	v_lshlrev_b64 v[6:7], 1, v[5:6]
	v_cndmask_b32_e32 v5, 0, v27, vcc_lo
	v_mad_u64_u32 v[19:20], null, s17, v20, v[3:4]
	v_add_co_u32 v3, vcc_lo, s18, v6
	v_add_co_ci_u32_e64 v7, null, s19, v7, vcc_lo
	v_lshlrev_b64 v[5:6], 1, v[4:5]
	v_add_co_u32 v3, vcc_lo, v3, v9
	v_add_co_ci_u32_e64 v4, null, v7, v10, vcc_lo
	v_cndmask_b32_e64 v7, 0, v16, s0
	v_mad_u64_u32 v[15:16], null, s17, v29, v[8:9]
	v_add_co_u32 v5, vcc_lo, s18, v5
	v_add_co_ci_u32_e64 v6, null, s19, v6, vcc_lo
	v_cmp_gt_i32_e32 vcc_lo, s11, v29
	v_cndmask_b32_e64 v8, 0, v19, s0
	v_add_co_u32 v5, s0, v5, v9
	v_add_co_ci_u32_e64 v6, null, v6, v10, s0
	v_cndmask_b32_e32 v16, 0, v18, vcc_lo
	v_cndmask_b32_e32 v17, 0, v15, vcc_lo
	v_lshlrev_b64 v[7:8], 1, v[7:8]
	s_clause 0x1
	flat_load_ushort v18, v[3:4]
	flat_load_ushort v19, v[5:6]
	s_mov_b32 s0, exec_lo
	v_lshlrev_b64 v[15:16], 1, v[16:17]
	v_add_co_u32 v7, vcc_lo, s18, v7
	v_add_co_ci_u32_e64 v8, null, s19, v8, vcc_lo
	v_add_co_u32 v15, vcc_lo, s18, v15
	v_add_co_ci_u32_e64 v16, null, s19, v16, vcc_lo
	v_add_co_u32 v7, vcc_lo, v7, v9
	v_add_co_ci_u32_e64 v8, null, v8, v10, vcc_lo
	v_add_co_u32 v9, vcc_lo, v15, v9
	v_add_co_ci_u32_e64 v10, null, v16, v10, vcc_lo
	s_clause 0x1
	flat_load_ushort v15, v[7:8]
	flat_load_ushort v16, v[9:10]
	s_waitcnt vmcnt(3) lgkmcnt(3)
	v_lshlrev_b32_e32 v17, 16, v18
	s_waitcnt vmcnt(2) lgkmcnt(2)
	v_lshlrev_b32_e32 v18, 16, v19
	v_fmac_f32_e32 v23, v14, v17
	v_fmac_f32_e32 v23, v13, v18
	v_add_nc_u32_e32 v18, 32, v2
	s_waitcnt vmcnt(1) lgkmcnt(1)
	v_lshlrev_b32_e32 v17, 16, v15
	s_waitcnt vmcnt(0) lgkmcnt(0)
	v_lshlrev_b32_e32 v15, 16, v16
	v_fmac_f32_e32 v23, v12, v17
	v_cmpx_gt_i32_e64 s10, v18
	s_cbranch_execz .LBB669_43
; %bb.38:
	s_clause 0x3
	flat_load_ushort v16, v[3:4] offset:64
	flat_load_ushort v17, v[5:6] offset:64
	;; [unrolled: 1-line block ×4, first 2 shown]
	s_mov_b32 s2, exec_lo
	s_waitcnt vmcnt(3) lgkmcnt(3)
	v_lshlrev_b32_e32 v16, 16, v16
	s_waitcnt vmcnt(2) lgkmcnt(2)
	v_lshlrev_b32_e32 v17, 16, v17
	;; [unrolled: 2-line block ×3, first 2 shown]
	v_fmac_f32_e32 v24, v14, v16
	s_waitcnt vmcnt(0) lgkmcnt(0)
	v_lshlrev_b32_e32 v16, 16, v19
	v_fmac_f32_e32 v24, v13, v17
	v_add_nc_u32_e32 v17, 64, v2
	v_fmac_f32_e32 v24, v12, v18
	v_cmpx_gt_i32_e64 s10, v17
	s_cbranch_execz .LBB669_42
; %bb.39:
	s_clause 0x3
	flat_load_ushort v17, v[3:4] offset:128
	flat_load_ushort v18, v[5:6] offset:128
	flat_load_ushort v19, v[7:8] offset:128
	flat_load_ushort v20, v[9:10] offset:128
	s_mov_b32 s3, exec_lo
	s_waitcnt vmcnt(3) lgkmcnt(3)
	v_lshlrev_b32_e32 v17, 16, v17
	s_waitcnt vmcnt(2) lgkmcnt(2)
	v_lshlrev_b32_e32 v18, 16, v18
	v_fmac_f32_e32 v25, v14, v17
	s_waitcnt vmcnt(1) lgkmcnt(1)
	v_lshlrev_b32_e32 v17, 16, v19
	v_fmac_f32_e32 v25, v13, v18
	v_add_nc_u32_e32 v18, 0x60, v2
	s_waitcnt vmcnt(0) lgkmcnt(0)
	v_lshlrev_b32_e32 v2, 16, v20
	v_fmac_f32_e32 v25, v12, v17
	v_cmpx_gt_i32_e64 s10, v18
	s_cbranch_execz .LBB669_41
; %bb.40:
	s_clause 0x3
	flat_load_ushort v3, v[3:4] offset:192
	flat_load_ushort v4, v[5:6] offset:192
	;; [unrolled: 1-line block ×4, first 2 shown]
	s_waitcnt vmcnt(3) lgkmcnt(3)
	v_lshlrev_b32_e32 v3, 16, v3
	s_waitcnt vmcnt(2) lgkmcnt(2)
	v_lshlrev_b32_e32 v4, 16, v4
	v_fmac_f32_e32 v26, v14, v3
	s_waitcnt vmcnt(1) lgkmcnt(1)
	v_lshlrev_b32_e32 v3, 16, v5
	v_fmac_f32_e32 v26, v13, v4
	;; [unrolled: 3-line block ×3, first 2 shown]
	v_fmac_f32_e32 v26, v11, v4
.LBB669_41:
	s_or_b32 exec_lo, exec_lo, s3
	v_fmac_f32_e32 v25, v11, v2
.LBB669_42:
	s_or_b32 exec_lo, exec_lo, s2
	v_fmac_f32_e32 v24, v11, v16
.LBB669_43:
	s_or_b32 exec_lo, exec_lo, s0
	v_fmac_f32_e32 v23, v11, v15
.LBB669_44:
	s_or_b32 exec_lo, exec_lo, s1
.LBB669_45:
	v_lshlrev_b32_e32 v0, 2, v0
	s_mov_b32 s0, exec_lo
                                        ; implicit-def: $vgpr3
                                        ; implicit-def: $vgpr4_vgpr5
	v_lshl_add_u32 v1, v1, 9, v0
	ds_write2_b32 v1, v23, v24 offset1:32
	ds_write2_b32 v1, v25, v26 offset0:64 offset1:96
	s_waitcnt lgkmcnt(0)
	s_barrier
	buffer_gl0_inv
	v_cmpx_gt_u32_e32 0x80, v21
	s_cbranch_execz .LBB669_51
; %bb.46:
	v_lshl_add_u32 v6, v22, 2, v0
	s_mov_b32 s2, s23
	s_mov_b32 s1, exec_lo
	ds_read2st64_b32 v[0:1], v6 offset1:2
	ds_read2st64_b32 v[2:3], v6 offset0:4 offset1:6
	ds_read2st64_b32 v[4:5], v6 offset0:8 offset1:10
	s_waitcnt lgkmcnt(2)
	v_add_f32_e32 v7, v0, v1
	ds_read2st64_b32 v[0:1], v6 offset0:12 offset1:14
	s_waitcnt lgkmcnt(2)
	v_add_f32_e32 v2, v2, v7
	v_add_f32_e32 v7, v3, v2
	ds_read2st64_b32 v[2:3], v6 offset0:16 offset1:18
	s_waitcnt lgkmcnt(2)
	v_add_f32_e32 v4, v4, v7
	;; [unrolled: 4-line block ×3, first 2 shown]
	v_add_f32_e32 v0, v1, v0
	s_waitcnt lgkmcnt(1)
	v_add_f32_e32 v2, v2, v0
	ds_read2st64_b32 v[0:1], v6 offset0:24 offset1:26
	v_add_f32_e32 v2, v3, v2
	s_waitcnt lgkmcnt(1)
	v_add_f32_e32 v4, v4, v2
	ds_read2st64_b32 v[2:3], v6 offset0:28 offset1:30
	v_add_f32_e32 v4, v5, v4
	s_waitcnt lgkmcnt(1)
	v_add_f32_e32 v0, v0, v4
                                        ; implicit-def: $vgpr4_vgpr5
	v_add_f32_e32 v0, v1, v0
	v_or_b32_e32 v1, s26, v21
	s_waitcnt lgkmcnt(0)
	v_add_f32_e32 v0, v2, v0
	v_add_f32_e32 v0, v3, v0
                                        ; implicit-def: $vgpr3
	ds_write_b32 v6, v0
	v_cmpx_gt_i32_e64 s10, v1
	s_cbranch_execz .LBB669_50
; %bb.47:
	v_ashrrev_i32_e32 v2, 31, v1
	v_mul_lo_u32 v6, s9, v1
	v_mad_u64_u32 v[4:5], null, s8, v1, 0
	v_cmp_eq_f32_e64 s2, s28, 0
	v_mul_lo_u32 v1, s8, v2
	v_mul_f32_e32 v3, s29, v0
	s_and_b32 vcc_lo, exec_lo, s2
	v_add3_u32 v5, v5, v1, v6
	s_cbranch_vccnz .LBB669_49
; %bb.48:
	v_lshlrev_b64 v[0:1], 2, v[4:5]
	v_add_co_u32 v0, vcc_lo, s5, v0
	v_add_co_ci_u32_e64 v1, null, s22, v1, vcc_lo
	flat_load_dword v0, v[0:1]
	s_waitcnt vmcnt(0) lgkmcnt(0)
	v_fmac_f32_e32 v3, s28, v0
.LBB669_49:
	s_or_b32 s2, s23, exec_lo
.LBB669_50:
	s_or_b32 exec_lo, exec_lo, s1
	s_andn2_b32 s1, s23, exec_lo
	s_and_b32 s2, s2, exec_lo
	s_or_b32 s23, s1, s2
.LBB669_51:
	s_or_b32 exec_lo, exec_lo, s0
.LBB669_52:
	s_and_saveexec_b32 s0, s23
	s_cbranch_execz .LBB669_54
; %bb.53:
	v_lshlrev_b64 v[0:1], 2, v[4:5]
	v_add_co_u32 v0, vcc_lo, s5, v0
	v_add_co_ci_u32_e64 v1, null, s22, v1, vcc_lo
	flat_store_dword v[0:1], v3
.LBB669_54:
	s_endpgm
	.section	.rodata,"a",@progbits
	.p2align	6, 0x0
	.amdhsa_kernel _ZL20rocblas_gemvn_kernelILi32ELi16ElPK16rocblas_bfloat16PKfKPfEviiT3_lPKT2_lT1_lSA_lSB_lS7_lPT4_lSB_li
		.amdhsa_group_segment_fixed_size 8192
		.amdhsa_private_segment_fixed_size 0
		.amdhsa_kernarg_size 400
		.amdhsa_user_sgpr_count 6
		.amdhsa_user_sgpr_private_segment_buffer 1
		.amdhsa_user_sgpr_dispatch_ptr 0
		.amdhsa_user_sgpr_queue_ptr 0
		.amdhsa_user_sgpr_kernarg_segment_ptr 1
		.amdhsa_user_sgpr_dispatch_id 0
		.amdhsa_user_sgpr_flat_scratch_init 0
		.amdhsa_user_sgpr_private_segment_size 0
		.amdhsa_wavefront_size32 1
		.amdhsa_uses_dynamic_stack 0
		.amdhsa_system_sgpr_private_segment_wavefront_offset 0
		.amdhsa_system_sgpr_workgroup_id_x 1
		.amdhsa_system_sgpr_workgroup_id_y 0
		.amdhsa_system_sgpr_workgroup_id_z 1
		.amdhsa_system_sgpr_workgroup_info 0
		.amdhsa_system_vgpr_workitem_id 1
		.amdhsa_next_free_vgpr 52
		.amdhsa_next_free_sgpr 35
		.amdhsa_reserve_vcc 1
		.amdhsa_reserve_flat_scratch 1
		.amdhsa_float_round_mode_32 0
		.amdhsa_float_round_mode_16_64 0
		.amdhsa_float_denorm_mode_32 3
		.amdhsa_float_denorm_mode_16_64 3
		.amdhsa_dx10_clamp 1
		.amdhsa_ieee_mode 1
		.amdhsa_fp16_overflow 0
		.amdhsa_workgroup_processor_mode 1
		.amdhsa_memory_ordered 1
		.amdhsa_forward_progress 1
		.amdhsa_shared_vgpr_count 0
		.amdhsa_exception_fp_ieee_invalid_op 0
		.amdhsa_exception_fp_denorm_src 0
		.amdhsa_exception_fp_ieee_div_zero 0
		.amdhsa_exception_fp_ieee_overflow 0
		.amdhsa_exception_fp_ieee_underflow 0
		.amdhsa_exception_fp_ieee_inexact 0
		.amdhsa_exception_int_div_zero 0
	.end_amdhsa_kernel
	.section	.text._ZL20rocblas_gemvn_kernelILi32ELi16ElPK16rocblas_bfloat16PKfKPfEviiT3_lPKT2_lT1_lSA_lSB_lS7_lPT4_lSB_li,"axG",@progbits,_ZL20rocblas_gemvn_kernelILi32ELi16ElPK16rocblas_bfloat16PKfKPfEviiT3_lPKT2_lT1_lSA_lSB_lS7_lPT4_lSB_li,comdat
.Lfunc_end669:
	.size	_ZL20rocblas_gemvn_kernelILi32ELi16ElPK16rocblas_bfloat16PKfKPfEviiT3_lPKT2_lT1_lSA_lSB_lS7_lPT4_lSB_li, .Lfunc_end669-_ZL20rocblas_gemvn_kernelILi32ELi16ElPK16rocblas_bfloat16PKfKPfEviiT3_lPKT2_lT1_lSA_lSB_lS7_lPT4_lSB_li
                                        ; -- End function
	.set _ZL20rocblas_gemvn_kernelILi32ELi16ElPK16rocblas_bfloat16PKfKPfEviiT3_lPKT2_lT1_lSA_lSB_lS7_lPT4_lSB_li.num_vgpr, 52
	.set _ZL20rocblas_gemvn_kernelILi32ELi16ElPK16rocblas_bfloat16PKfKPfEviiT3_lPKT2_lT1_lSA_lSB_lS7_lPT4_lSB_li.num_agpr, 0
	.set _ZL20rocblas_gemvn_kernelILi32ELi16ElPK16rocblas_bfloat16PKfKPfEviiT3_lPKT2_lT1_lSA_lSB_lS7_lPT4_lSB_li.numbered_sgpr, 35
	.set _ZL20rocblas_gemvn_kernelILi32ELi16ElPK16rocblas_bfloat16PKfKPfEviiT3_lPKT2_lT1_lSA_lSB_lS7_lPT4_lSB_li.num_named_barrier, 0
	.set _ZL20rocblas_gemvn_kernelILi32ELi16ElPK16rocblas_bfloat16PKfKPfEviiT3_lPKT2_lT1_lSA_lSB_lS7_lPT4_lSB_li.private_seg_size, 0
	.set _ZL20rocblas_gemvn_kernelILi32ELi16ElPK16rocblas_bfloat16PKfKPfEviiT3_lPKT2_lT1_lSA_lSB_lS7_lPT4_lSB_li.uses_vcc, 1
	.set _ZL20rocblas_gemvn_kernelILi32ELi16ElPK16rocblas_bfloat16PKfKPfEviiT3_lPKT2_lT1_lSA_lSB_lS7_lPT4_lSB_li.uses_flat_scratch, 1
	.set _ZL20rocblas_gemvn_kernelILi32ELi16ElPK16rocblas_bfloat16PKfKPfEviiT3_lPKT2_lT1_lSA_lSB_lS7_lPT4_lSB_li.has_dyn_sized_stack, 0
	.set _ZL20rocblas_gemvn_kernelILi32ELi16ElPK16rocblas_bfloat16PKfKPfEviiT3_lPKT2_lT1_lSA_lSB_lS7_lPT4_lSB_li.has_recursion, 0
	.set _ZL20rocblas_gemvn_kernelILi32ELi16ElPK16rocblas_bfloat16PKfKPfEviiT3_lPKT2_lT1_lSA_lSB_lS7_lPT4_lSB_li.has_indirect_call, 0
	.section	.AMDGPU.csdata,"",@progbits
; Kernel info:
; codeLenInByte = 3272
; TotalNumSgprs: 37
; NumVgprs: 52
; ScratchSize: 0
; MemoryBound: 0
; FloatMode: 240
; IeeeMode: 1
; LDSByteSize: 8192 bytes/workgroup (compile time only)
; SGPRBlocks: 0
; VGPRBlocks: 6
; NumSGPRsForWavesPerEU: 37
; NumVGPRsForWavesPerEU: 52
; Occupancy: 16
; WaveLimiterHint : 1
; COMPUTE_PGM_RSRC2:SCRATCH_EN: 0
; COMPUTE_PGM_RSRC2:USER_SGPR: 6
; COMPUTE_PGM_RSRC2:TRAP_HANDLER: 0
; COMPUTE_PGM_RSRC2:TGID_X_EN: 1
; COMPUTE_PGM_RSRC2:TGID_Y_EN: 0
; COMPUTE_PGM_RSRC2:TGID_Z_EN: 1
; COMPUTE_PGM_RSRC2:TIDIG_COMP_CNT: 1
	.section	.text._ZL20rocblas_gemvn_kernelILi32ELi16EiPK16rocblas_bfloat16fKPfEviiT3_lPKT2_lT1_lS8_lS9_lS5_lPT4_lS9_li,"axG",@progbits,_ZL20rocblas_gemvn_kernelILi32ELi16EiPK16rocblas_bfloat16fKPfEviiT3_lPKT2_lT1_lS8_lS9_lS5_lPT4_lS9_li,comdat
	.globl	_ZL20rocblas_gemvn_kernelILi32ELi16EiPK16rocblas_bfloat16fKPfEviiT3_lPKT2_lT1_lS8_lS9_lS5_lPT4_lS9_li ; -- Begin function _ZL20rocblas_gemvn_kernelILi32ELi16EiPK16rocblas_bfloat16fKPfEviiT3_lPKT2_lT1_lS8_lS9_lS5_lPT4_lS9_li
	.p2align	8
	.type	_ZL20rocblas_gemvn_kernelILi32ELi16EiPK16rocblas_bfloat16fKPfEviiT3_lPKT2_lT1_lS8_lS9_lS5_lPT4_lS9_li,@function
_ZL20rocblas_gemvn_kernelILi32ELi16EiPK16rocblas_bfloat16fKPfEviiT3_lPKT2_lT1_lS8_lS9_lS5_lPT4_lS9_li: ; @_ZL20rocblas_gemvn_kernelILi32ELi16EiPK16rocblas_bfloat16fKPfEviiT3_lPKT2_lT1_lS8_lS9_lS5_lPT4_lS9_li
; %bb.0:
	s_load_dwordx2 s[0:1], s[4:5], 0x9c
	s_waitcnt lgkmcnt(0)
	s_lshr_b32 s3, s0, 16
	s_and_b32 s0, s0, 0xffff
	s_and_b32 s1, s1, 0xffff
	s_mul_i32 s0, s3, s0
	s_mul_i32 s0, s0, s1
	s_cmpk_lg_i32 s0, 0x200
	s_cbranch_scc1 .LBB670_56
; %bb.1:
	s_mov_b32 s2, s7
	s_clause 0x1
	s_load_dwordx4 s[8:11], s[4:5], 0x0
	s_load_dword s7, s[4:5], 0x58
	s_mov_b32 s3, 0
	s_waitcnt lgkmcnt(0)
	v_cmp_eq_f32_e64 s18, s10, 0
	v_cmp_eq_f32_e64 s0, s7, 1.0
	s_and_b32 s0, s18, s0
	s_and_b32 vcc_lo, exec_lo, s0
	s_cbranch_vccnz .LBB670_56
; %bb.2:
	v_cmp_neq_f32_e64 s11, s10, 0
	s_and_b32 vcc_lo, exec_lo, s11
	s_cbranch_vccnz .LBB670_4
; %bb.3:
	s_mov_b32 s1, 0
	s_mov_b32 s0, s2
	;; [unrolled: 1-line block ×3, first 2 shown]
	s_mov_b64 s[14:15], 0
	s_andn2_b32 vcc_lo, exec_lo, s12
	s_mov_b64 s[12:13], 0
	s_cbranch_vccz .LBB670_5
	s_branch .LBB670_6
.LBB670_4:
	s_mov_b64 s[0:1], s[2:3]
	s_mov_b64 s[14:15], 0
	;; [unrolled: 1-line block ×3, first 2 shown]
.LBB670_5:
	s_load_dwordx4 s[20:23], s[4:5], 0x18
	s_lshl_b64 s[2:3], s[2:3], 3
	s_waitcnt lgkmcnt(0)
	s_add_u32 s2, s20, s2
	s_addc_u32 s3, s21, s3
	s_lshl_b64 s[12:13], s[22:23], 1
	s_load_dwordx2 s[2:3], s[2:3], 0x0
	s_waitcnt lgkmcnt(0)
	s_add_u32 s12, s2, s12
	s_addc_u32 s13, s3, s13
.LBB670_6:
	s_andn2_b32 vcc_lo, exec_lo, s11
	s_cbranch_vccnz .LBB670_8
; %bb.7:
	s_load_dwordx4 s[20:23], s[4:5], 0x38
	s_lshl_b64 s[2:3], s[0:1], 3
	s_waitcnt lgkmcnt(0)
	s_add_u32 s2, s20, s2
	s_addc_u32 s3, s21, s3
	s_lshl_b64 s[14:15], s[22:23], 1
	s_load_dwordx2 s[2:3], s[2:3], 0x0
	s_waitcnt lgkmcnt(0)
	s_add_u32 s14, s2, s14
	s_addc_u32 s15, s3, s15
.LBB670_8:
	s_clause 0x1
	s_load_dwordx4 s[20:23], s[4:5], 0x68
	s_load_dword s17, s[4:5], 0x78
	s_lshl_b64 s[0:1], s[0:1], 3
	v_lshlrev_b32_e32 v14, 5, v1
	v_add_nc_u32_e32 v13, v14, v0
	s_waitcnt lgkmcnt(0)
	s_add_u32 s0, s20, s0
	s_addc_u32 s1, s21, s1
	s_lshl_b64 s[20:21], s[22:23], 2
	s_load_dwordx2 s[2:3], s[0:1], 0x0
	v_cmp_gt_u32_e64 s0, 0x80, v13
	s_waitcnt lgkmcnt(0)
	s_add_u32 s11, s2, s20
	s_addc_u32 s16, s3, s21
	s_andn2_b32 vcc_lo, exec_lo, s18
	s_cbranch_vccnz .LBB670_15
; %bb.9:
	s_mov_b32 s1, 0
	s_mov_b32 s18, 0
                                        ; implicit-def: $vgpr3
                                        ; implicit-def: $vgpr4_vgpr5
	s_and_saveexec_b32 s2, s0
	s_cbranch_execz .LBB670_16
; %bb.10:
	v_lshl_or_b32 v2, s6, 7, v13
	v_mov_b32_e32 v3, 0
	s_ashr_i32 s19, s8, 31
	s_mov_b32 s18, s8
	s_mov_b32 s3, 0
	s_mov_b32 s0, exec_lo
                                        ; implicit-def: $vgpr4_vgpr5
	v_cmpx_gt_i64_e64 s[18:19], v[2:3]
	s_cbranch_execz .LBB670_14
; %bb.11:
	v_mad_u64_u32 v[4:5], null, s17, v2, 0
	s_ashr_i32 s3, s17, 31
	v_mad_u64_u32 v[5:6], null, s3, v2, v[5:6]
	v_cmp_eq_f32_e64 s3, s7, 0
	s_and_b32 vcc_lo, exec_lo, s3
	s_cbranch_vccnz .LBB670_13
; %bb.12:
	v_lshlrev_b64 v[2:3], 2, v[4:5]
	v_add_co_u32 v2, vcc_lo, s11, v2
	v_add_co_ci_u32_e64 v3, null, s16, v3, vcc_lo
	flat_load_dword v2, v[2:3]
	s_waitcnt vmcnt(0) lgkmcnt(0)
	v_mul_f32_e32 v3, s7, v2
.LBB670_13:
	s_mov_b32 s3, exec_lo
.LBB670_14:
	s_or_b32 exec_lo, exec_lo, s0
	s_and_b32 s18, s3, exec_lo
	s_or_b32 exec_lo, exec_lo, s2
	s_and_b32 vcc_lo, exec_lo, s1
	s_cbranch_vccnz .LBB670_17
	s_branch .LBB670_54
.LBB670_15:
	s_mov_b32 s18, 0
                                        ; implicit-def: $vgpr3
                                        ; implicit-def: $vgpr4_vgpr5
	s_cbranch_execnz .LBB670_17
	s_branch .LBB670_54
.LBB670_16:
	s_or_b32 exec_lo, exec_lo, s2
	s_and_b32 vcc_lo, exec_lo, s1
	s_cbranch_vccz .LBB670_54
.LBB670_17:
	s_clause 0x1
	s_load_dword s19, s[4:5], 0x28
	s_load_dword s4, s[4:5], 0x48
	s_ashr_i32 s0, s9, 31
	s_lshl_b32 s5, s6, 7
	s_lshr_b32 s0, s0, 26
	v_lshlrev_b32_e32 v20, 2, v1
	v_add_nc_u32_e32 v19, s5, v0
	v_mov_b32_e32 v15, 0
	v_mov_b32_e32 v16, 0
	;; [unrolled: 1-line block ×4, first 2 shown]
	s_add_i32 s0, s9, s0
	s_mov_b32 s20, exec_lo
	s_and_b32 s6, s0, 0xffffffc0
	v_cmpx_gt_i32_e64 s6, v20
	s_cbranch_execz .LBB670_29
; %bb.18:
	v_add_nc_u32_e32 v5, 0x60, v19
	s_waitcnt lgkmcnt(0)
	v_mul_lo_u32 v3, s19, v20
	v_add_nc_u32_e32 v2, 32, v19
	v_add_nc_u32_e32 v6, 2, v20
	;; [unrolled: 1-line block ×3, first 2 shown]
	v_cmp_gt_i32_e64 s2, s8, v5
	v_mul_lo_u32 v5, v1, s19
	v_add_nc_u32_e32 v7, 3, v20
	v_mul_lo_u32 v8, v1, s4
	v_cmp_gt_i32_e64 s0, s8, v2
	v_add3_u32 v21, v3, s19, v0
	v_mad_u64_u32 v[2:3], null, s19, v6, v[0:1]
	v_cmp_gt_i32_e64 s1, s8, v4
	v_mad_u64_u32 v[3:4], null, s19, v7, v[0:1]
	v_lshl_add_u32 v22, v5, 2, v0
	v_mad_u64_u32 v[4:5], null, s4, v20, s[4:5]
	v_mul_lo_u32 v23, s4, v6
	v_mul_lo_u32 v24, s4, v7
	v_lshlrev_b32_e32 v25, 2, v8
	v_mov_b32_e32 v15, 0
	v_mov_b32_e32 v16, 0
	;; [unrolled: 1-line block ×4, first 2 shown]
	s_lshl_b32 s21, s19, 6
	s_lshl_b32 s23, s4, 6
	s_mov_b32 s22, 0
	s_mov_b32 s24, 0
	v_cmp_gt_i32_e32 vcc_lo, s8, v19
	s_branch .LBB670_23
.LBB670_19:                             ;   in Loop: Header=BB670_23 Depth=1
	s_or_b32 exec_lo, exec_lo, s27
	s_waitcnt vmcnt(3) lgkmcnt(3)
	v_lshlrev_b32_e32 v5, 16, v41
	s_waitcnt vmcnt(2) lgkmcnt(2)
	v_lshlrev_b32_e32 v6, 16, v40
	v_fmac_f32_e32 v17, v33, v5
	s_waitcnt vmcnt(1) lgkmcnt(1)
	v_lshlrev_b32_e32 v5, 16, v39
	v_fmac_f32_e32 v17, v29, v6
	v_fmac_f32_e32 v17, v31, v5
	s_waitcnt vmcnt(0) lgkmcnt(0)
	v_lshlrev_b32_e32 v5, 16, v38
	v_fmac_f32_e32 v17, v27, v5
.LBB670_20:                             ;   in Loop: Header=BB670_23 Depth=1
	s_or_b32 exec_lo, exec_lo, s26
	s_waitcnt vmcnt(3) lgkmcnt(3)
	v_lshlrev_b32_e32 v5, 16, v37
	s_waitcnt vmcnt(2) lgkmcnt(2)
	v_lshlrev_b32_e32 v6, 16, v36
	v_fmac_f32_e32 v16, v33, v5
	s_waitcnt vmcnt(1) lgkmcnt(1)
	v_lshlrev_b32_e32 v5, 16, v35
	v_fmac_f32_e32 v16, v29, v6
	v_fmac_f32_e32 v16, v31, v5
	s_waitcnt vmcnt(0) lgkmcnt(0)
	v_lshlrev_b32_e32 v5, 16, v34
	v_fmac_f32_e32 v16, v27, v5
.LBB670_21:                             ;   in Loop: Header=BB670_23 Depth=1
	s_or_b32 exec_lo, exec_lo, s3
	s_waitcnt vmcnt(3) lgkmcnt(3)
	v_lshlrev_b32_e32 v5, 16, v32
	s_waitcnt vmcnt(2) lgkmcnt(2)
	v_lshlrev_b32_e32 v6, 16, v30
	v_fmac_f32_e32 v15, v33, v5
	s_waitcnt vmcnt(1) lgkmcnt(1)
	v_lshlrev_b32_e32 v5, 16, v28
	v_fmac_f32_e32 v15, v29, v6
	v_fmac_f32_e32 v15, v31, v5
	s_waitcnt vmcnt(0) lgkmcnt(0)
	v_lshlrev_b32_e32 v5, 16, v26
	v_fmac_f32_e32 v15, v27, v5
.LBB670_22:                             ;   in Loop: Header=BB670_23 Depth=1
	s_or_b32 exec_lo, exec_lo, s25
	v_add_nc_u32_e32 v20, 64, v20
	v_add_nc_u32_e32 v21, s21, v21
	;; [unrolled: 1-line block ×5, first 2 shown]
	v_cmp_le_i32_e64 s3, s6, v20
	s_add_i32 s24, s24, s23
	s_or_b32 s22, s3, s22
	s_andn2_b32 exec_lo, exec_lo, s22
	s_cbranch_execz .LBB670_28
.LBB670_23:                             ; =>This Inner Loop Header: Depth=1
	s_and_saveexec_b32 s25, vcc_lo
	s_cbranch_execz .LBB670_22
; %bb.24:                               ;   in Loop: Header=BB670_23 Depth=1
	v_add_nc_u32_e32 v5, s24, v25
	v_add_nc_u32_e32 v7, s24, v4
	;; [unrolled: 1-line block ×5, first 2 shown]
	v_ashrrev_i32_e32 v6, 31, v5
	v_ashrrev_i32_e32 v8, 31, v7
	v_ashrrev_i32_e32 v10, 31, v9
	v_ashrrev_i32_e32 v12, 31, v11
	v_ashrrev_i32_e32 v27, 31, v26
	v_lshlrev_b64 v[5:6], 1, v[5:6]
	v_lshlrev_b64 v[7:8], 1, v[7:8]
	;; [unrolled: 1-line block ×4, first 2 shown]
	v_add_nc_u32_e32 v28, s5, v21
	v_add_nc_u32_e32 v30, s5, v2
	v_add_co_u32 v5, s3, s14, v5
	v_add_co_ci_u32_e64 v6, null, s15, v6, s3
	v_add_co_u32 v7, s3, s14, v7
	v_add_co_ci_u32_e64 v8, null, s15, v8, s3
	;; [unrolled: 2-line block ×4, first 2 shown]
	v_lshlrev_b64 v[26:27], 1, v[26:27]
	s_clause 0x3
	flat_load_ushort v33, v[5:6]
	flat_load_ushort v34, v[7:8]
	;; [unrolled: 1-line block ×4, first 2 shown]
	v_add_nc_u32_e32 v9, s5, v3
	v_ashrrev_i32_e32 v29, 31, v28
	v_ashrrev_i32_e32 v31, 31, v30
	v_add_co_u32 v5, s3, s12, v26
	v_ashrrev_i32_e32 v10, 31, v9
	v_lshlrev_b64 v[7:8], 1, v[28:29]
	v_add_co_ci_u32_e64 v6, null, s13, v27, s3
	v_lshlrev_b64 v[26:27], 1, v[30:31]
	v_lshlrev_b64 v[9:10], 1, v[9:10]
	v_add_co_u32 v11, s3, s12, v7
	v_add_co_ci_u32_e64 v12, null, s13, v8, s3
	v_add_co_u32 v7, s3, s12, v26
	v_add_co_ci_u32_e64 v8, null, s13, v27, s3
	v_add_co_u32 v9, s3, s12, v9
	v_add_co_ci_u32_e64 v10, null, s13, v10, s3
	s_clause 0x3
	flat_load_ushort v32, v[5:6]
	flat_load_ushort v30, v[11:12]
	;; [unrolled: 1-line block ×4, first 2 shown]
	s_waitcnt vmcnt(7) lgkmcnt(7)
	v_lshlrev_b32_e32 v33, 16, v33
	s_waitcnt vmcnt(6) lgkmcnt(6)
	v_lshlrev_b32_e32 v29, 16, v34
	;; [unrolled: 2-line block ×4, first 2 shown]
	s_and_saveexec_b32 s3, s0
	s_cbranch_execz .LBB670_21
; %bb.25:                               ;   in Loop: Header=BB670_23 Depth=1
	s_clause 0x3
	flat_load_ushort v37, v[5:6] offset:64
	flat_load_ushort v36, v[11:12] offset:64
	flat_load_ushort v35, v[7:8] offset:64
	flat_load_ushort v34, v[9:10] offset:64
	s_and_saveexec_b32 s26, s1
	s_cbranch_execz .LBB670_20
; %bb.26:                               ;   in Loop: Header=BB670_23 Depth=1
	s_clause 0x3
	flat_load_ushort v41, v[5:6] offset:128
	flat_load_ushort v40, v[11:12] offset:128
	flat_load_ushort v39, v[7:8] offset:128
	flat_load_ushort v38, v[9:10] offset:128
	s_and_saveexec_b32 s27, s2
	s_cbranch_execz .LBB670_19
; %bb.27:                               ;   in Loop: Header=BB670_23 Depth=1
	s_clause 0x3
	flat_load_ushort v5, v[5:6] offset:192
	flat_load_ushort v6, v[11:12] offset:192
	flat_load_ushort v7, v[7:8] offset:192
	flat_load_ushort v8, v[9:10] offset:192
	s_waitcnt vmcnt(3) lgkmcnt(3)
	v_lshlrev_b32_e32 v5, 16, v5
	s_waitcnt vmcnt(2) lgkmcnt(2)
	v_lshlrev_b32_e32 v6, 16, v6
	v_fmac_f32_e32 v18, v33, v5
	s_waitcnt vmcnt(1) lgkmcnt(1)
	v_lshlrev_b32_e32 v5, 16, v7
	v_fmac_f32_e32 v18, v29, v6
	;; [unrolled: 3-line block ×3, first 2 shown]
	v_fmac_f32_e32 v18, v27, v6
	s_branch .LBB670_19
.LBB670_28:
	s_or_b32 exec_lo, exec_lo, s22
.LBB670_29:
	s_or_b32 exec_lo, exec_lo, s20
	s_sub_i32 s0, s9, s6
	s_cmp_lt_i32 s0, 1
	s_cbranch_scc1 .LBB670_47
; %bb.30:
	v_cmp_gt_i32_e32 vcc_lo, s9, v20
	v_mov_b32_e32 v11, 0
	v_or_b32_e32 v2, 1, v20
	v_mov_b32_e32 v10, 0
	v_mov_b32_e32 v21, 0
	;; [unrolled: 1-line block ×3, first 2 shown]
	s_and_saveexec_b32 s1, vcc_lo
	s_cbranch_execz .LBB670_38
; %bb.31:
	s_waitcnt lgkmcnt(0)
	v_mul_lo_u32 v3, v20, s4
	v_mov_b32_e32 v12, 0
	v_mov_b32_e32 v10, 0
	;; [unrolled: 1-line block ×3, first 2 shown]
	s_mov_b32 s2, exec_lo
	v_ashrrev_i32_e32 v4, 31, v3
	v_lshlrev_b64 v[3:4], 1, v[3:4]
	v_add_co_u32 v3, s0, s14, v3
	v_add_co_ci_u32_e64 v4, null, s15, v4, s0
	flat_load_ushort v3, v[3:4]
	v_cmpx_gt_i32_e64 s9, v2
	s_cbranch_execz .LBB670_37
; %bb.32:
	v_mul_lo_u32 v4, v2, s4
	v_mov_b32_e32 v10, 0
	v_mov_b32_e32 v11, 0
	s_mov_b32 s3, exec_lo
	v_ashrrev_i32_e32 v5, 31, v4
	v_lshlrev_b64 v[4:5], 1, v[4:5]
	v_add_co_u32 v4, s0, s14, v4
	v_add_co_ci_u32_e64 v5, null, s15, v5, s0
	flat_load_ushort v4, v[4:5]
	v_or_b32_e32 v5, 2, v20
	v_cmpx_gt_i32_e64 s9, v5
	s_cbranch_execz .LBB670_36
; %bb.33:
	v_mul_lo_u32 v5, v5, s4
	v_mov_b32_e32 v10, 0
	s_mov_b32 s6, exec_lo
	v_ashrrev_i32_e32 v6, 31, v5
	v_lshlrev_b64 v[5:6], 1, v[5:6]
	v_add_co_u32 v5, s0, s14, v5
	v_add_co_ci_u32_e64 v6, null, s15, v6, s0
	flat_load_ushort v5, v[5:6]
	v_or_b32_e32 v6, 3, v20
	v_cmpx_gt_i32_e64 s9, v6
	s_cbranch_execz .LBB670_35
; %bb.34:
	v_mul_lo_u32 v6, v6, s4
	v_ashrrev_i32_e32 v7, 31, v6
	v_lshlrev_b64 v[6:7], 1, v[6:7]
	v_add_co_u32 v6, s0, s14, v6
	v_add_co_ci_u32_e64 v7, null, s15, v7, s0
	flat_load_ushort v6, v[6:7]
	s_waitcnt vmcnt(0) lgkmcnt(0)
	v_lshlrev_b32_e32 v10, 16, v6
.LBB670_35:
	s_or_b32 exec_lo, exec_lo, s6
	s_waitcnt vmcnt(0) lgkmcnt(0)
	v_lshlrev_b32_e32 v11, 16, v5
.LBB670_36:
	s_or_b32 exec_lo, exec_lo, s3
	s_waitcnt vmcnt(0) lgkmcnt(0)
	v_lshlrev_b32_e32 v12, 16, v4
.LBB670_37:
	s_or_b32 exec_lo, exec_lo, s2
	s_waitcnt vmcnt(0) lgkmcnt(0)
	v_lshlrev_b32_e32 v21, 16, v3
.LBB670_38:
	s_or_b32 exec_lo, exec_lo, s1
	s_mov_b32 s1, exec_lo
	v_cmpx_gt_i32_e64 s8, v19
	s_cbranch_execz .LBB670_46
; %bb.39:
	s_waitcnt lgkmcnt(0)
	v_mul_lo_u32 v3, v20, s19
	v_mul_lo_u32 v4, v2, s19
	v_or_b32_e32 v5, 2, v20
	v_or_b32_e32 v6, 3, v20
	s_mov_b32 s0, exec_lo
	v_mul_lo_u32 v7, v5, s19
	v_cndmask_b32_e32 v3, 0, v3, vcc_lo
	v_cmp_gt_i32_e32 vcc_lo, s9, v2
	v_mul_lo_u32 v8, v6, s19
	v_add_nc_u32_e32 v2, v3, v19
	v_cndmask_b32_e32 v4, 0, v4, vcc_lo
	v_cmp_gt_i32_e32 vcc_lo, s9, v5
	v_ashrrev_i32_e32 v3, 31, v2
	v_add_nc_u32_e32 v4, v4, v19
	v_cndmask_b32_e32 v7, 0, v7, vcc_lo
	v_cmp_gt_i32_e32 vcc_lo, s9, v6
	v_lshlrev_b64 v[2:3], 1, v[2:3]
	v_ashrrev_i32_e32 v5, 31, v4
	v_add_nc_u32_e32 v6, v7, v19
	v_cndmask_b32_e32 v8, 0, v8, vcc_lo
	v_lshlrev_b64 v[4:5], 1, v[4:5]
	v_ashrrev_i32_e32 v7, 31, v6
	v_add_nc_u32_e32 v8, v8, v19
	v_add_co_u32 v2, vcc_lo, s12, v2
	v_add_co_ci_u32_e64 v3, null, s13, v3, vcc_lo
	v_ashrrev_i32_e32 v9, 31, v8
	v_add_co_u32 v4, vcc_lo, s12, v4
	v_add_co_ci_u32_e64 v5, null, s13, v5, vcc_lo
	v_lshlrev_b64 v[6:7], 1, v[6:7]
	v_lshlrev_b64 v[8:9], 1, v[8:9]
	s_clause 0x1
	flat_load_ushort v20, v[2:3]
	flat_load_ushort v22, v[4:5]
	v_add_co_u32 v6, vcc_lo, s12, v6
	v_add_co_ci_u32_e64 v7, null, s13, v7, vcc_lo
	v_add_co_u32 v8, vcc_lo, s12, v8
	v_add_co_ci_u32_e64 v9, null, s13, v9, vcc_lo
	s_clause 0x1
	flat_load_ushort v23, v[6:7]
	flat_load_ushort v24, v[8:9]
	s_waitcnt vmcnt(3) lgkmcnt(3)
	v_lshlrev_b32_e32 v20, 16, v20
	s_waitcnt vmcnt(2) lgkmcnt(2)
	v_lshlrev_b32_e32 v22, 16, v22
	v_fmac_f32_e32 v15, v21, v20
	v_fmac_f32_e32 v15, v12, v22
	v_add_nc_u32_e32 v22, 32, v19
	s_waitcnt vmcnt(1) lgkmcnt(1)
	v_lshlrev_b32_e32 v23, 16, v23
	s_waitcnt vmcnt(0) lgkmcnt(0)
	v_lshlrev_b32_e32 v20, 16, v24
	v_fmac_f32_e32 v15, v11, v23
	v_cmpx_gt_i32_e64 s8, v22
	s_cbranch_execz .LBB670_45
; %bb.40:
	s_clause 0x3
	flat_load_ushort v22, v[2:3] offset:64
	flat_load_ushort v23, v[4:5] offset:64
	;; [unrolled: 1-line block ×4, first 2 shown]
	s_mov_b32 s2, exec_lo
	s_waitcnt vmcnt(3) lgkmcnt(3)
	v_lshlrev_b32_e32 v22, 16, v22
	s_waitcnt vmcnt(2) lgkmcnt(2)
	v_lshlrev_b32_e32 v23, 16, v23
	;; [unrolled: 2-line block ×3, first 2 shown]
	v_fmac_f32_e32 v16, v21, v22
	s_waitcnt vmcnt(0) lgkmcnt(0)
	v_lshlrev_b32_e32 v22, 16, v25
	v_fmac_f32_e32 v16, v12, v23
	v_add_nc_u32_e32 v23, 64, v19
	v_fmac_f32_e32 v16, v11, v24
	v_cmpx_gt_i32_e64 s8, v23
	s_cbranch_execz .LBB670_44
; %bb.41:
	s_clause 0x3
	flat_load_ushort v23, v[2:3] offset:128
	flat_load_ushort v24, v[4:5] offset:128
	;; [unrolled: 1-line block ×4, first 2 shown]
	s_mov_b32 s3, exec_lo
	s_waitcnt vmcnt(3) lgkmcnt(3)
	v_lshlrev_b32_e32 v23, 16, v23
	s_waitcnt vmcnt(2) lgkmcnt(2)
	v_lshlrev_b32_e32 v24, 16, v24
	v_fmac_f32_e32 v17, v21, v23
	s_waitcnt vmcnt(1) lgkmcnt(1)
	v_lshlrev_b32_e32 v23, 16, v25
	v_fmac_f32_e32 v17, v12, v24
	v_add_nc_u32_e32 v24, 0x60, v19
	s_waitcnt vmcnt(0) lgkmcnt(0)
	v_lshlrev_b32_e32 v19, 16, v26
	v_fmac_f32_e32 v17, v11, v23
	v_cmpx_gt_i32_e64 s8, v24
	s_cbranch_execz .LBB670_43
; %bb.42:
	s_clause 0x3
	flat_load_ushort v2, v[2:3] offset:192
	flat_load_ushort v3, v[4:5] offset:192
	;; [unrolled: 1-line block ×4, first 2 shown]
	s_waitcnt vmcnt(3) lgkmcnt(3)
	v_lshlrev_b32_e32 v2, 16, v2
	s_waitcnt vmcnt(2) lgkmcnt(2)
	v_lshlrev_b32_e32 v3, 16, v3
	v_fmac_f32_e32 v18, v21, v2
	s_waitcnt vmcnt(1) lgkmcnt(1)
	v_lshlrev_b32_e32 v2, 16, v4
	v_fmac_f32_e32 v18, v12, v3
	;; [unrolled: 3-line block ×3, first 2 shown]
	v_fmac_f32_e32 v18, v10, v3
.LBB670_43:
	s_or_b32 exec_lo, exec_lo, s3
	v_fmac_f32_e32 v17, v10, v19
.LBB670_44:
	s_or_b32 exec_lo, exec_lo, s2
	v_fmac_f32_e32 v16, v10, v22
.LBB670_45:
	s_or_b32 exec_lo, exec_lo, s0
	v_fmac_f32_e32 v15, v10, v20
.LBB670_46:
	s_or_b32 exec_lo, exec_lo, s1
.LBB670_47:
	v_lshlrev_b32_e32 v0, 2, v0
	s_mov_b32 s0, exec_lo
                                        ; implicit-def: $vgpr3
                                        ; implicit-def: $vgpr4_vgpr5
	v_lshl_add_u32 v1, v1, 9, v0
	ds_write2_b32 v1, v15, v16 offset1:32
	ds_write2_b32 v1, v17, v18 offset0:64 offset1:96
	s_waitcnt lgkmcnt(0)
	s_barrier
	buffer_gl0_inv
	v_cmpx_gt_u32_e32 0x80, v13
	s_cbranch_execz .LBB670_53
; %bb.48:
	v_lshl_add_u32 v6, v14, 2, v0
	s_mov_b32 s2, s18
	s_mov_b32 s1, exec_lo
	ds_read2st64_b32 v[0:1], v6 offset1:2
	ds_read2st64_b32 v[2:3], v6 offset0:4 offset1:6
	ds_read2st64_b32 v[4:5], v6 offset0:8 offset1:10
	s_waitcnt lgkmcnt(2)
	v_add_f32_e32 v7, v0, v1
	ds_read2st64_b32 v[0:1], v6 offset0:12 offset1:14
	s_waitcnt lgkmcnt(2)
	v_add_f32_e32 v2, v2, v7
	v_add_f32_e32 v7, v3, v2
	ds_read2st64_b32 v[2:3], v6 offset0:16 offset1:18
	s_waitcnt lgkmcnt(2)
	v_add_f32_e32 v4, v4, v7
	;; [unrolled: 4-line block ×3, first 2 shown]
	v_add_f32_e32 v0, v1, v0
	s_waitcnt lgkmcnt(1)
	v_add_f32_e32 v2, v2, v0
	ds_read2st64_b32 v[0:1], v6 offset0:24 offset1:26
	v_add_f32_e32 v2, v3, v2
	s_waitcnt lgkmcnt(1)
	v_add_f32_e32 v4, v4, v2
	ds_read2st64_b32 v[2:3], v6 offset0:28 offset1:30
	v_add_f32_e32 v4, v5, v4
	s_waitcnt lgkmcnt(1)
	v_add_f32_e32 v0, v0, v4
                                        ; implicit-def: $vgpr4_vgpr5
	v_add_f32_e32 v0, v1, v0
	v_or_b32_e32 v1, s5, v13
	s_waitcnt lgkmcnt(0)
	v_add_f32_e32 v0, v2, v0
	v_add_f32_e32 v0, v3, v0
                                        ; implicit-def: $vgpr3
	ds_write_b32 v6, v0
	v_cmpx_gt_i32_e64 s8, v1
	s_cbranch_execz .LBB670_52
; %bb.49:
	v_mul_lo_u32 v4, s17, v1
	v_cmp_eq_f32_e64 s2, s7, 0
	v_mul_f32_e32 v3, s10, v0
	s_and_b32 vcc_lo, exec_lo, s2
	v_ashrrev_i32_e32 v5, 31, v4
	s_cbranch_vccnz .LBB670_51
; %bb.50:
	v_lshlrev_b64 v[0:1], 2, v[4:5]
	v_add_co_u32 v0, vcc_lo, s11, v0
	v_add_co_ci_u32_e64 v1, null, s16, v1, vcc_lo
	flat_load_dword v0, v[0:1]
	s_waitcnt vmcnt(0) lgkmcnt(0)
	v_fmac_f32_e32 v3, s7, v0
.LBB670_51:
	s_or_b32 s2, s18, exec_lo
.LBB670_52:
	s_or_b32 exec_lo, exec_lo, s1
	s_andn2_b32 s1, s18, exec_lo
	s_and_b32 s2, s2, exec_lo
	s_or_b32 s18, s1, s2
.LBB670_53:
	s_or_b32 exec_lo, exec_lo, s0
.LBB670_54:
	s_and_saveexec_b32 s0, s18
	s_cbranch_execz .LBB670_56
; %bb.55:
	v_lshlrev_b64 v[0:1], 2, v[4:5]
	v_add_co_u32 v0, vcc_lo, s11, v0
	v_add_co_ci_u32_e64 v1, null, s16, v1, vcc_lo
	flat_store_dword v[0:1], v3
.LBB670_56:
	s_endpgm
	.section	.rodata,"a",@progbits
	.p2align	6, 0x0
	.amdhsa_kernel _ZL20rocblas_gemvn_kernelILi32ELi16EiPK16rocblas_bfloat16fKPfEviiT3_lPKT2_lT1_lS8_lS9_lS5_lPT4_lS9_li
		.amdhsa_group_segment_fixed_size 8192
		.amdhsa_private_segment_fixed_size 0
		.amdhsa_kernarg_size 400
		.amdhsa_user_sgpr_count 6
		.amdhsa_user_sgpr_private_segment_buffer 1
		.amdhsa_user_sgpr_dispatch_ptr 0
		.amdhsa_user_sgpr_queue_ptr 0
		.amdhsa_user_sgpr_kernarg_segment_ptr 1
		.amdhsa_user_sgpr_dispatch_id 0
		.amdhsa_user_sgpr_flat_scratch_init 0
		.amdhsa_user_sgpr_private_segment_size 0
		.amdhsa_wavefront_size32 1
		.amdhsa_uses_dynamic_stack 0
		.amdhsa_system_sgpr_private_segment_wavefront_offset 0
		.amdhsa_system_sgpr_workgroup_id_x 1
		.amdhsa_system_sgpr_workgroup_id_y 0
		.amdhsa_system_sgpr_workgroup_id_z 1
		.amdhsa_system_sgpr_workgroup_info 0
		.amdhsa_system_vgpr_workitem_id 1
		.amdhsa_next_free_vgpr 42
		.amdhsa_next_free_sgpr 28
		.amdhsa_reserve_vcc 1
		.amdhsa_reserve_flat_scratch 1
		.amdhsa_float_round_mode_32 0
		.amdhsa_float_round_mode_16_64 0
		.amdhsa_float_denorm_mode_32 3
		.amdhsa_float_denorm_mode_16_64 3
		.amdhsa_dx10_clamp 1
		.amdhsa_ieee_mode 1
		.amdhsa_fp16_overflow 0
		.amdhsa_workgroup_processor_mode 1
		.amdhsa_memory_ordered 1
		.amdhsa_forward_progress 1
		.amdhsa_shared_vgpr_count 0
		.amdhsa_exception_fp_ieee_invalid_op 0
		.amdhsa_exception_fp_denorm_src 0
		.amdhsa_exception_fp_ieee_div_zero 0
		.amdhsa_exception_fp_ieee_overflow 0
		.amdhsa_exception_fp_ieee_underflow 0
		.amdhsa_exception_fp_ieee_inexact 0
		.amdhsa_exception_int_div_zero 0
	.end_amdhsa_kernel
	.section	.text._ZL20rocblas_gemvn_kernelILi32ELi16EiPK16rocblas_bfloat16fKPfEviiT3_lPKT2_lT1_lS8_lS9_lS5_lPT4_lS9_li,"axG",@progbits,_ZL20rocblas_gemvn_kernelILi32ELi16EiPK16rocblas_bfloat16fKPfEviiT3_lPKT2_lT1_lS8_lS9_lS5_lPT4_lS9_li,comdat
.Lfunc_end670:
	.size	_ZL20rocblas_gemvn_kernelILi32ELi16EiPK16rocblas_bfloat16fKPfEviiT3_lPKT2_lT1_lS8_lS9_lS5_lPT4_lS9_li, .Lfunc_end670-_ZL20rocblas_gemvn_kernelILi32ELi16EiPK16rocblas_bfloat16fKPfEviiT3_lPKT2_lT1_lS8_lS9_lS5_lPT4_lS9_li
                                        ; -- End function
	.set _ZL20rocblas_gemvn_kernelILi32ELi16EiPK16rocblas_bfloat16fKPfEviiT3_lPKT2_lT1_lS8_lS9_lS5_lPT4_lS9_li.num_vgpr, 42
	.set _ZL20rocblas_gemvn_kernelILi32ELi16EiPK16rocblas_bfloat16fKPfEviiT3_lPKT2_lT1_lS8_lS9_lS5_lPT4_lS9_li.num_agpr, 0
	.set _ZL20rocblas_gemvn_kernelILi32ELi16EiPK16rocblas_bfloat16fKPfEviiT3_lPKT2_lT1_lS8_lS9_lS5_lPT4_lS9_li.numbered_sgpr, 28
	.set _ZL20rocblas_gemvn_kernelILi32ELi16EiPK16rocblas_bfloat16fKPfEviiT3_lPKT2_lT1_lS8_lS9_lS5_lPT4_lS9_li.num_named_barrier, 0
	.set _ZL20rocblas_gemvn_kernelILi32ELi16EiPK16rocblas_bfloat16fKPfEviiT3_lPKT2_lT1_lS8_lS9_lS5_lPT4_lS9_li.private_seg_size, 0
	.set _ZL20rocblas_gemvn_kernelILi32ELi16EiPK16rocblas_bfloat16fKPfEviiT3_lPKT2_lT1_lS8_lS9_lS5_lPT4_lS9_li.uses_vcc, 1
	.set _ZL20rocblas_gemvn_kernelILi32ELi16EiPK16rocblas_bfloat16fKPfEviiT3_lPKT2_lT1_lS8_lS9_lS5_lPT4_lS9_li.uses_flat_scratch, 1
	.set _ZL20rocblas_gemvn_kernelILi32ELi16EiPK16rocblas_bfloat16fKPfEviiT3_lPKT2_lT1_lS8_lS9_lS5_lPT4_lS9_li.has_dyn_sized_stack, 0
	.set _ZL20rocblas_gemvn_kernelILi32ELi16EiPK16rocblas_bfloat16fKPfEviiT3_lPKT2_lT1_lS8_lS9_lS5_lPT4_lS9_li.has_recursion, 0
	.set _ZL20rocblas_gemvn_kernelILi32ELi16EiPK16rocblas_bfloat16fKPfEviiT3_lPKT2_lT1_lS8_lS9_lS5_lPT4_lS9_li.has_indirect_call, 0
	.section	.AMDGPU.csdata,"",@progbits
; Kernel info:
; codeLenInByte = 2952
; TotalNumSgprs: 30
; NumVgprs: 42
; ScratchSize: 0
; MemoryBound: 0
; FloatMode: 240
; IeeeMode: 1
; LDSByteSize: 8192 bytes/workgroup (compile time only)
; SGPRBlocks: 0
; VGPRBlocks: 5
; NumSGPRsForWavesPerEU: 30
; NumVGPRsForWavesPerEU: 42
; Occupancy: 16
; WaveLimiterHint : 1
; COMPUTE_PGM_RSRC2:SCRATCH_EN: 0
; COMPUTE_PGM_RSRC2:USER_SGPR: 6
; COMPUTE_PGM_RSRC2:TRAP_HANDLER: 0
; COMPUTE_PGM_RSRC2:TGID_X_EN: 1
; COMPUTE_PGM_RSRC2:TGID_Y_EN: 0
; COMPUTE_PGM_RSRC2:TGID_Z_EN: 1
; COMPUTE_PGM_RSRC2:TIDIG_COMP_CNT: 1
	.section	.text._ZL20rocblas_gemvn_kernelILi32ELi16ElPK16rocblas_bfloat16fKPfEviiT3_lPKT2_lT1_lS8_lS9_lS5_lPT4_lS9_li,"axG",@progbits,_ZL20rocblas_gemvn_kernelILi32ELi16ElPK16rocblas_bfloat16fKPfEviiT3_lPKT2_lT1_lS8_lS9_lS5_lPT4_lS9_li,comdat
	.globl	_ZL20rocblas_gemvn_kernelILi32ELi16ElPK16rocblas_bfloat16fKPfEviiT3_lPKT2_lT1_lS8_lS9_lS5_lPT4_lS9_li ; -- Begin function _ZL20rocblas_gemvn_kernelILi32ELi16ElPK16rocblas_bfloat16fKPfEviiT3_lPKT2_lT1_lS8_lS9_lS5_lPT4_lS9_li
	.p2align	8
	.type	_ZL20rocblas_gemvn_kernelILi32ELi16ElPK16rocblas_bfloat16fKPfEviiT3_lPKT2_lT1_lS8_lS9_lS5_lPT4_lS9_li,@function
_ZL20rocblas_gemvn_kernelILi32ELi16ElPK16rocblas_bfloat16fKPfEviiT3_lPKT2_lT1_lS8_lS9_lS5_lPT4_lS9_li: ; @_ZL20rocblas_gemvn_kernelILi32ELi16ElPK16rocblas_bfloat16fKPfEviiT3_lPKT2_lT1_lS8_lS9_lS5_lPT4_lS9_li
; %bb.0:
	s_load_dwordx2 s[0:1], s[4:5], 0x9c
	s_waitcnt lgkmcnt(0)
	s_lshr_b32 s2, s0, 16
	s_and_b32 s0, s0, 0xffff
	s_and_b32 s1, s1, 0xffff
	s_mul_i32 s0, s2, s0
	s_mul_i32 s0, s0, s1
	s_cmpk_lg_i32 s0, 0x200
	s_cbranch_scc1 .LBB671_56
; %bb.1:
	s_load_dwordx4 s[8:11], s[4:5], 0x0
	s_waitcnt lgkmcnt(0)
	s_load_dword s11, s[4:5], 0x58
	s_mov_b32 s20, s7
	s_mov_b32 s21, 0
	v_cmp_eq_f32_e64 s7, s10, 0
	s_waitcnt lgkmcnt(0)
	v_cmp_eq_f32_e64 s0, s11, 1.0
	s_and_b32 s0, s7, s0
	s_and_b32 vcc_lo, exec_lo, s0
	s_cbranch_vccnz .LBB671_56
; %bb.2:
	s_clause 0x1
	s_load_dwordx4 s[0:3], s[4:5], 0x18
	s_load_dwordx2 s[14:15], s[4:5], 0x28
	v_cmp_neq_f32_e64 s22, s10, 0
	s_and_b32 vcc_lo, exec_lo, s22
	s_cbranch_vccnz .LBB671_4
; %bb.3:
	s_mov_b32 s13, 0
	s_mov_b32 s12, s20
	;; [unrolled: 1-line block ×3, first 2 shown]
	s_mov_b64 s[18:19], 0
	s_andn2_b32 vcc_lo, exec_lo, s16
	s_mov_b64 s[16:17], 0
	s_cbranch_vccz .LBB671_5
	s_branch .LBB671_6
.LBB671_4:
	s_mov_b64 s[12:13], s[20:21]
	s_mov_b64 s[18:19], 0
	;; [unrolled: 1-line block ×3, first 2 shown]
.LBB671_5:
	s_lshl_b64 s[16:17], s[20:21], 3
	s_waitcnt lgkmcnt(0)
	s_add_u32 s0, s0, s16
	s_addc_u32 s1, s1, s17
	s_lshl_b64 s[2:3], s[2:3], 1
	s_load_dwordx2 s[0:1], s[0:1], 0x0
	s_waitcnt lgkmcnt(0)
	s_add_u32 s16, s0, s2
	s_addc_u32 s17, s1, s3
.LBB671_6:
	s_waitcnt lgkmcnt(0)
	s_clause 0x1
	s_load_dwordx4 s[0:3], s[4:5], 0x38
	s_load_dwordx2 s[20:21], s[4:5], 0x48
	s_andn2_b32 vcc_lo, exec_lo, s22
	s_cbranch_vccnz .LBB671_8
; %bb.7:
	s_lshl_b64 s[18:19], s[12:13], 3
	s_waitcnt lgkmcnt(0)
	s_add_u32 s0, s0, s18
	s_addc_u32 s1, s1, s19
	s_lshl_b64 s[2:3], s[2:3], 1
	s_load_dwordx2 s[0:1], s[0:1], 0x0
	s_waitcnt lgkmcnt(0)
	s_add_u32 s18, s0, s2
	s_addc_u32 s19, s1, s3
.LBB671_8:
	s_waitcnt lgkmcnt(0)
	s_load_dwordx4 s[0:3], s[4:5], 0x68
	s_lshl_b64 s[22:23], s[12:13], 3
	s_load_dwordx2 s[12:13], s[4:5], 0x78
	v_lshlrev_b32_e32 v22, 5, v1
	v_add_nc_u32_e32 v21, v22, v0
	s_waitcnt lgkmcnt(0)
	s_add_u32 s0, s0, s22
	s_addc_u32 s1, s1, s23
	s_lshl_b64 s[2:3], s[2:3], 2
	s_load_dwordx2 s[22:23], s[0:1], 0x0
	v_cmp_gt_u32_e64 s0, 0x80, v21
	s_waitcnt lgkmcnt(0)
	s_add_u32 s5, s22, s2
	s_addc_u32 s26, s23, s3
	s_andn2_b32 vcc_lo, exec_lo, s7
	s_cbranch_vccnz .LBB671_15
; %bb.9:
	s_mov_b32 s1, 0
	s_mov_b32 s27, 0
                                        ; implicit-def: $vgpr3
                                        ; implicit-def: $vgpr4_vgpr5
	s_and_saveexec_b32 s2, s0
	s_cbranch_execz .LBB671_16
; %bb.10:
	v_lshl_or_b32 v2, s6, 7, v21
	v_mov_b32_e32 v3, 0
	s_ashr_i32 s23, s8, 31
	s_mov_b32 s22, s8
	s_mov_b32 s3, 0
	s_mov_b32 s0, exec_lo
                                        ; implicit-def: $vgpr4_vgpr5
	v_cmpx_gt_i64_e64 s[22:23], v[2:3]
	s_cbranch_execz .LBB671_14
; %bb.11:
	v_mad_u64_u32 v[4:5], null, s12, v2, 0
	v_cmp_eq_f32_e64 s3, s11, 0
	s_and_b32 vcc_lo, exec_lo, s3
	v_mad_u64_u32 v[5:6], null, s13, v2, v[5:6]
	s_cbranch_vccnz .LBB671_13
; %bb.12:
	v_lshlrev_b64 v[2:3], 2, v[4:5]
	v_add_co_u32 v2, vcc_lo, s5, v2
	v_add_co_ci_u32_e64 v3, null, s26, v3, vcc_lo
	flat_load_dword v2, v[2:3]
	s_waitcnt vmcnt(0) lgkmcnt(0)
	v_mul_f32_e32 v3, s11, v2
.LBB671_13:
	s_mov_b32 s3, exec_lo
.LBB671_14:
	s_or_b32 exec_lo, exec_lo, s0
	s_and_b32 s27, s3, exec_lo
	s_or_b32 exec_lo, exec_lo, s2
	s_and_b32 vcc_lo, exec_lo, s1
	s_cbranch_vccnz .LBB671_17
	s_branch .LBB671_54
.LBB671_15:
	s_mov_b32 s27, 0
                                        ; implicit-def: $vgpr3
                                        ; implicit-def: $vgpr4_vgpr5
	s_cbranch_execnz .LBB671_17
	s_branch .LBB671_54
.LBB671_16:
	s_or_b32 exec_lo, exec_lo, s2
	s_and_b32 vcc_lo, exec_lo, s1
	s_cbranch_vccz .LBB671_54
.LBB671_17:
	s_ashr_i32 s0, s9, 31
	s_lshl_b32 s28, s6, 7
	s_lshr_b32 s0, s0, 26
	v_lshlrev_b32_e32 v27, 2, v1
	v_mov_b32_e32 v23, 0
	v_add_nc_u32_e32 v2, s28, v0
	v_mov_b32_e32 v24, 0
	v_mov_b32_e32 v25, 0
	;; [unrolled: 1-line block ×3, first 2 shown]
	s_add_i32 s29, s9, s0
	s_mov_b32 s30, exec_lo
	s_andn2_b32 s29, s29, 63
	v_cmpx_gt_i32_e64 s29, v27
	s_cbranch_execz .LBB671_29
; %bb.18:
	v_lshlrev_b32_e32 v25, 2, v1
	v_add_nc_u32_e32 v4, 32, v2
	v_mad_u64_u32 v[7:8], null, s20, v1, 0
	v_mad_u64_u32 v[9:10], null, s14, v1, 0
	v_or_b32_e32 v26, 3, v25
	v_add_nc_u32_e32 v11, 64, v2
	v_add_nc_u32_e32 v12, 0x60, v2
	v_cmp_gt_i32_e64 s0, s8, v4
	v_or_b32_e32 v32, 2, v25
	v_mad_u64_u32 v[5:6], null, s14, v26, 0
	v_cmp_gt_i32_e64 s1, s8, v11
	v_cmp_gt_i32_e64 s2, s8, v12
	v_mad_u64_u32 v[16:17], null, s14, v32, 0
	v_mad_u64_u32 v[18:19], null, s20, v26, 0
	v_mov_b32_e32 v4, v6
	v_mov_b32_e32 v6, v8
	;; [unrolled: 1-line block ×3, first 2 shown]
	v_ashrrev_i32_e32 v3, 31, v2
	s_lshl_b64 s[6:7], s[14:15], 7
	v_mad_u64_u32 v[11:12], null, s15, v26, v[4:5]
	v_mad_u64_u32 v[12:13], null, s21, v1, v[6:7]
	;; [unrolled: 1-line block ×4, first 2 shown]
	v_mov_b32_e32 v6, v11
	v_lshlrev_b64 v[3:4], 1, v[2:3]
	v_mov_b32_e32 v8, v12
	s_lshl_b64 s[22:23], s[20:21], 7
	v_mov_b32_e32 v10, v13
	v_lshlrev_b64 v[11:12], 1, v[5:6]
	s_mov_b32 s31, 0
	v_lshlrev_b64 v[5:6], 3, v[7:8]
	v_mov_b32_e32 v7, v17
	v_mov_b32_e32 v8, v15
	v_lshlrev_b64 v[9:10], 3, v[9:10]
	v_add_co_u32 v28, s3, s16, v11
	v_add_co_ci_u32_e64 v29, null, s17, v12, s3
	v_mad_u64_u32 v[11:12], null, s14, v25, s[14:15]
	v_mad_u64_u32 v[23:24], null, s15, v32, v[7:8]
	v_mov_b32_e32 v7, v19
	v_mad_u64_u32 v[19:20], null, s21, v25, v[8:9]
	v_add_co_u32 v30, s3, s16, v9
	v_mad_u64_u32 v[7:8], null, s21, v26, v[7:8]
	v_mov_b32_e32 v8, v12
	v_mov_b32_e32 v17, v23
	v_mad_u64_u32 v[23:24], null, s20, v32, 0
	v_mov_b32_e32 v15, v19
	v_mad_u64_u32 v[12:13], null, s15, v25, v[8:9]
	v_lshlrev_b64 v[16:17], 1, v[16:17]
	v_mov_b32_e32 v19, v7
	v_add_co_ci_u32_e64 v31, null, s17, v10, s3
	v_mov_b32_e32 v8, v24
	v_mov_b32_e32 v26, 0
	v_lshlrev_b64 v[11:12], 1, v[11:12]
	s_mov_b64 s[24:25], s[18:19]
	v_cmp_gt_i32_e32 vcc_lo, s8, v2
	v_mad_u64_u32 v[24:25], null, s21, v32, v[8:9]
	v_add_co_u32 v32, s3, s16, v16
	v_add_co_ci_u32_e64 v33, null, s17, v17, s3
	v_add_co_u32 v34, s3, s16, v11
	v_lshlrev_b64 v[7:8], 1, v[14:15]
	v_lshlrev_b64 v[9:10], 1, v[18:19]
	v_add_co_ci_u32_e64 v35, null, s17, v12, s3
	v_lshlrev_b64 v[11:12], 1, v[23:24]
	v_mov_b32_e32 v23, 0
	v_mov_b32_e32 v24, 0
	;; [unrolled: 1-line block ×3, first 2 shown]
	s_branch .LBB671_23
.LBB671_19:                             ;   in Loop: Header=BB671_23 Depth=1
	s_or_b32 exec_lo, exec_lo, s34
	s_waitcnt vmcnt(3) lgkmcnt(3)
	v_lshlrev_b32_e32 v13, 16, v51
	s_waitcnt vmcnt(2) lgkmcnt(2)
	v_lshlrev_b32_e32 v14, 16, v50
	v_fmac_f32_e32 v25, v43, v13
	s_waitcnt vmcnt(1) lgkmcnt(1)
	v_lshlrev_b32_e32 v13, 16, v49
	v_fmac_f32_e32 v25, v39, v14
	v_fmac_f32_e32 v25, v41, v13
	s_waitcnt vmcnt(0) lgkmcnt(0)
	v_lshlrev_b32_e32 v13, 16, v48
	v_fmac_f32_e32 v25, v37, v13
.LBB671_20:                             ;   in Loop: Header=BB671_23 Depth=1
	s_or_b32 exec_lo, exec_lo, s33
	s_waitcnt vmcnt(3) lgkmcnt(3)
	v_lshlrev_b32_e32 v13, 16, v47
	s_waitcnt vmcnt(2) lgkmcnt(2)
	v_lshlrev_b32_e32 v14, 16, v46
	v_fmac_f32_e32 v24, v43, v13
	s_waitcnt vmcnt(1) lgkmcnt(1)
	v_lshlrev_b32_e32 v13, 16, v45
	v_fmac_f32_e32 v24, v39, v14
	v_fmac_f32_e32 v24, v41, v13
	s_waitcnt vmcnt(0) lgkmcnt(0)
	v_lshlrev_b32_e32 v13, 16, v44
	v_fmac_f32_e32 v24, v37, v13
.LBB671_21:                             ;   in Loop: Header=BB671_23 Depth=1
	s_or_b32 exec_lo, exec_lo, s3
	s_waitcnt vmcnt(3) lgkmcnt(3)
	v_lshlrev_b32_e32 v13, 16, v42
	s_waitcnt vmcnt(2) lgkmcnt(2)
	v_lshlrev_b32_e32 v14, 16, v40
	v_fmac_f32_e32 v23, v43, v13
	s_waitcnt vmcnt(1) lgkmcnt(1)
	v_lshlrev_b32_e32 v13, 16, v38
	v_fmac_f32_e32 v23, v39, v14
	v_fmac_f32_e32 v23, v41, v13
	s_waitcnt vmcnt(0) lgkmcnt(0)
	v_lshlrev_b32_e32 v13, 16, v36
	v_fmac_f32_e32 v23, v37, v13
.LBB671_22:                             ;   in Loop: Header=BB671_23 Depth=1
	s_or_b32 exec_lo, exec_lo, s4
	v_add_co_u32 v28, s3, v28, s6
	v_add_nc_u32_e32 v27, 64, v27
	v_add_co_ci_u32_e64 v29, null, s7, v29, s3
	v_add_co_u32 v30, s3, v30, s6
	v_add_co_ci_u32_e64 v31, null, s7, v31, s3
	v_add_co_u32 v32, s3, v32, s6
	v_add_co_ci_u32_e64 v33, null, s7, v33, s3
	v_cmp_le_i32_e64 s3, s29, v27
	v_add_co_u32 v34, s4, v34, s6
	v_add_co_ci_u32_e64 v35, null, s7, v35, s4
	s_add_u32 s24, s24, s22
	s_addc_u32 s25, s25, s23
	s_or_b32 s31, s3, s31
	s_andn2_b32 exec_lo, exec_lo, s31
	s_cbranch_execz .LBB671_28
.LBB671_23:                             ; =>This Inner Loop Header: Depth=1
	s_and_saveexec_b32 s4, vcc_lo
	s_cbranch_execz .LBB671_22
; %bb.24:                               ;   in Loop: Header=BB671_23 Depth=1
	v_add_co_u32 v13, s3, s24, v5
	v_add_co_ci_u32_e64 v14, null, s25, v6, s3
	v_add_co_u32 v15, s3, s24, v7
	v_add_co_ci_u32_e64 v16, null, s25, v8, s3
	;; [unrolled: 2-line block ×4, first 2 shown]
	s_clause 0x3
	flat_load_ushort v37, v[13:14]
	flat_load_ushort v39, v[15:16]
	;; [unrolled: 1-line block ×4, first 2 shown]
	v_add_co_u32 v13, s3, v30, v3
	v_add_co_ci_u32_e64 v14, null, v31, v4, s3
	v_add_co_u32 v17, s3, v34, v3
	v_add_co_ci_u32_e64 v18, null, v35, v4, s3
	;; [unrolled: 2-line block ×4, first 2 shown]
	flat_load_ushort v42, v[13:14]
	flat_load_ushort v40, v[17:18]
	;; [unrolled: 1-line block ×4, first 2 shown]
	s_waitcnt vmcnt(7) lgkmcnt(7)
	v_lshlrev_b32_e32 v43, 16, v37
	s_waitcnt vmcnt(6) lgkmcnt(6)
	v_lshlrev_b32_e32 v39, 16, v39
	;; [unrolled: 2-line block ×4, first 2 shown]
	s_and_saveexec_b32 s3, s0
	s_cbranch_execz .LBB671_21
; %bb.25:                               ;   in Loop: Header=BB671_23 Depth=1
	flat_load_ushort v47, v[13:14] offset:64
	flat_load_ushort v46, v[17:18] offset:64
	flat_load_ushort v45, v[15:16] offset:64
	flat_load_ushort v44, v[19:20] offset:64
	s_and_saveexec_b32 s33, s1
	s_cbranch_execz .LBB671_20
; %bb.26:                               ;   in Loop: Header=BB671_23 Depth=1
	flat_load_ushort v51, v[13:14] offset:128
	flat_load_ushort v50, v[17:18] offset:128
	flat_load_ushort v49, v[15:16] offset:128
	flat_load_ushort v48, v[19:20] offset:128
	;; [unrolled: 7-line block ×3, first 2 shown]
	s_waitcnt vmcnt(3) lgkmcnt(3)
	v_lshlrev_b32_e32 v13, 16, v13
	s_waitcnt vmcnt(2) lgkmcnt(2)
	v_lshlrev_b32_e32 v14, 16, v14
	v_fmac_f32_e32 v26, v43, v13
	s_waitcnt vmcnt(1) lgkmcnt(1)
	v_lshlrev_b32_e32 v13, 16, v15
	v_fmac_f32_e32 v26, v39, v14
	;; [unrolled: 3-line block ×3, first 2 shown]
	v_fmac_f32_e32 v26, v37, v14
	s_branch .LBB671_19
.LBB671_28:
	s_or_b32 exec_lo, exec_lo, s31
.LBB671_29:
	s_or_b32 exec_lo, exec_lo, s30
	s_sub_i32 s0, s9, s29
	s_cmp_lt_i32 s0, 1
	s_cbranch_scc1 .LBB671_47
; %bb.30:
	v_cmp_gt_i32_e32 vcc_lo, s9, v27
	v_mov_b32_e32 v12, 0
	v_or_b32_e32 v4, 1, v27
	v_mov_b32_e32 v11, 0
	v_mov_b32_e32 v14, 0
	;; [unrolled: 1-line block ×3, first 2 shown]
	s_and_saveexec_b32 s1, vcc_lo
	s_cbranch_execz .LBB671_38
; %bb.31:
	v_mad_u64_u32 v[5:6], null, s20, v27, 0
	v_mov_b32_e32 v13, 0
	v_mov_b32_e32 v11, 0
	;; [unrolled: 1-line block ×3, first 2 shown]
	s_mov_b32 s2, exec_lo
	v_mov_b32_e32 v3, v6
	v_mad_u64_u32 v[6:7], null, s21, v27, v[3:4]
	v_lshlrev_b64 v[5:6], 1, v[5:6]
	v_add_co_u32 v5, s0, s18, v5
	v_add_co_ci_u32_e64 v6, null, s19, v6, s0
	flat_load_ushort v3, v[5:6]
	v_cmpx_gt_i32_e64 s9, v4
	s_cbranch_execz .LBB671_37
; %bb.32:
	v_mad_u64_u32 v[5:6], null, s20, v4, 0
	v_mov_b32_e32 v11, 0
	v_mov_b32_e32 v12, 0
	s_mov_b32 s3, exec_lo
	v_mad_u64_u32 v[6:7], null, s21, v4, v[6:7]
	v_lshlrev_b64 v[5:6], 1, v[5:6]
	v_add_co_u32 v5, s0, s18, v5
	v_add_co_ci_u32_e64 v6, null, s19, v6, s0
	flat_load_ushort v5, v[5:6]
	v_or_b32_e32 v6, 2, v27
	v_cmpx_gt_i32_e64 s9, v6
	s_cbranch_execz .LBB671_36
; %bb.33:
	v_mad_u64_u32 v[7:8], null, s20, v6, 0
	v_mov_b32_e32 v11, 0
	s_mov_b32 s4, exec_lo
	v_mad_u64_u32 v[8:9], null, s21, v6, v[8:9]
	v_lshlrev_b64 v[6:7], 1, v[7:8]
	v_add_co_u32 v6, s0, s18, v6
	v_add_co_ci_u32_e64 v7, null, s19, v7, s0
	flat_load_ushort v6, v[6:7]
	v_or_b32_e32 v7, 3, v27
	v_cmpx_gt_i32_e64 s9, v7
	s_cbranch_execz .LBB671_35
; %bb.34:
	v_mad_u64_u32 v[8:9], null, s20, v7, 0
	v_mad_u64_u32 v[9:10], null, s21, v7, v[9:10]
	v_lshlrev_b64 v[7:8], 1, v[8:9]
	v_add_co_u32 v7, s0, s18, v7
	v_add_co_ci_u32_e64 v8, null, s19, v8, s0
	flat_load_ushort v7, v[7:8]
	s_waitcnt vmcnt(0) lgkmcnt(0)
	v_lshlrev_b32_e32 v11, 16, v7
.LBB671_35:
	s_or_b32 exec_lo, exec_lo, s4
	s_waitcnt vmcnt(0) lgkmcnt(0)
	v_lshlrev_b32_e32 v12, 16, v6
.LBB671_36:
	s_or_b32 exec_lo, exec_lo, s3
	s_waitcnt vmcnt(0) lgkmcnt(0)
	v_lshlrev_b32_e32 v13, 16, v5
.LBB671_37:
	s_or_b32 exec_lo, exec_lo, s2
	s_waitcnt vmcnt(0) lgkmcnt(0)
	v_lshlrev_b32_e32 v14, 16, v3
.LBB671_38:
	s_or_b32 exec_lo, exec_lo, s1
	s_mov_b32 s1, exec_lo
	v_cmpx_gt_i32_e64 s8, v2
	s_cbranch_execz .LBB671_46
; %bb.39:
	v_mad_u64_u32 v[5:6], null, s14, v27, 0
	v_mad_u64_u32 v[7:8], null, s14, v4, 0
	v_ashrrev_i32_e32 v3, 31, v2
	v_or_b32_e32 v20, 2, v27
	v_or_b32_e32 v29, 3, v27
	v_cndmask_b32_e32 v5, 0, v5, vcc_lo
	v_lshlrev_b64 v[9:10], 1, v[2:3]
	v_mad_u64_u32 v[15:16], null, s15, v27, v[6:7]
	v_mov_b32_e32 v3, v8
	v_mad_u64_u32 v[16:17], null, s14, v20, 0
	v_mad_u64_u32 v[18:19], null, s14, v29, 0
	;; [unrolled: 1-line block ×3, first 2 shown]
	v_cndmask_b32_e32 v6, 0, v15, vcc_lo
	v_cmp_gt_i32_e32 vcc_lo, s9, v4
	v_mov_b32_e32 v3, v17
	v_cmp_gt_i32_e64 s0, s9, v20
	v_mov_b32_e32 v8, v19
	v_cndmask_b32_e32 v4, 0, v7, vcc_lo
	v_lshlrev_b64 v[6:7], 1, v[5:6]
	v_cndmask_b32_e32 v5, 0, v27, vcc_lo
	v_mad_u64_u32 v[19:20], null, s15, v20, v[3:4]
	v_add_co_u32 v3, vcc_lo, s16, v6
	v_add_co_ci_u32_e64 v7, null, s17, v7, vcc_lo
	v_lshlrev_b64 v[5:6], 1, v[4:5]
	v_add_co_u32 v3, vcc_lo, v3, v9
	v_add_co_ci_u32_e64 v4, null, v7, v10, vcc_lo
	v_cndmask_b32_e64 v7, 0, v16, s0
	v_mad_u64_u32 v[15:16], null, s15, v29, v[8:9]
	v_add_co_u32 v5, vcc_lo, s16, v5
	v_add_co_ci_u32_e64 v6, null, s17, v6, vcc_lo
	v_cmp_gt_i32_e32 vcc_lo, s9, v29
	v_cndmask_b32_e64 v8, 0, v19, s0
	v_add_co_u32 v5, s0, v5, v9
	v_add_co_ci_u32_e64 v6, null, v6, v10, s0
	v_cndmask_b32_e32 v16, 0, v18, vcc_lo
	v_cndmask_b32_e32 v17, 0, v15, vcc_lo
	v_lshlrev_b64 v[7:8], 1, v[7:8]
	s_clause 0x1
	flat_load_ushort v18, v[3:4]
	flat_load_ushort v19, v[5:6]
	s_mov_b32 s0, exec_lo
	v_lshlrev_b64 v[15:16], 1, v[16:17]
	v_add_co_u32 v7, vcc_lo, s16, v7
	v_add_co_ci_u32_e64 v8, null, s17, v8, vcc_lo
	v_add_co_u32 v15, vcc_lo, s16, v15
	v_add_co_ci_u32_e64 v16, null, s17, v16, vcc_lo
	;; [unrolled: 2-line block ×4, first 2 shown]
	s_clause 0x1
	flat_load_ushort v15, v[7:8]
	flat_load_ushort v16, v[9:10]
	s_waitcnt vmcnt(3) lgkmcnt(3)
	v_lshlrev_b32_e32 v17, 16, v18
	s_waitcnt vmcnt(2) lgkmcnt(2)
	v_lshlrev_b32_e32 v18, 16, v19
	v_fmac_f32_e32 v23, v14, v17
	v_fmac_f32_e32 v23, v13, v18
	v_add_nc_u32_e32 v18, 32, v2
	s_waitcnt vmcnt(1) lgkmcnt(1)
	v_lshlrev_b32_e32 v17, 16, v15
	s_waitcnt vmcnt(0) lgkmcnt(0)
	v_lshlrev_b32_e32 v15, 16, v16
	v_fmac_f32_e32 v23, v12, v17
	v_cmpx_gt_i32_e64 s8, v18
	s_cbranch_execz .LBB671_45
; %bb.40:
	s_clause 0x3
	flat_load_ushort v16, v[3:4] offset:64
	flat_load_ushort v17, v[5:6] offset:64
	;; [unrolled: 1-line block ×4, first 2 shown]
	s_mov_b32 s2, exec_lo
	s_waitcnt vmcnt(3) lgkmcnt(3)
	v_lshlrev_b32_e32 v16, 16, v16
	s_waitcnt vmcnt(2) lgkmcnt(2)
	v_lshlrev_b32_e32 v17, 16, v17
	;; [unrolled: 2-line block ×3, first 2 shown]
	v_fmac_f32_e32 v24, v14, v16
	s_waitcnt vmcnt(0) lgkmcnt(0)
	v_lshlrev_b32_e32 v16, 16, v19
	v_fmac_f32_e32 v24, v13, v17
	v_add_nc_u32_e32 v17, 64, v2
	v_fmac_f32_e32 v24, v12, v18
	v_cmpx_gt_i32_e64 s8, v17
	s_cbranch_execz .LBB671_44
; %bb.41:
	s_clause 0x3
	flat_load_ushort v17, v[3:4] offset:128
	flat_load_ushort v18, v[5:6] offset:128
	;; [unrolled: 1-line block ×4, first 2 shown]
	s_mov_b32 s3, exec_lo
	s_waitcnt vmcnt(3) lgkmcnt(3)
	v_lshlrev_b32_e32 v17, 16, v17
	s_waitcnt vmcnt(2) lgkmcnt(2)
	v_lshlrev_b32_e32 v18, 16, v18
	v_fmac_f32_e32 v25, v14, v17
	s_waitcnt vmcnt(1) lgkmcnt(1)
	v_lshlrev_b32_e32 v17, 16, v19
	v_fmac_f32_e32 v25, v13, v18
	v_add_nc_u32_e32 v18, 0x60, v2
	s_waitcnt vmcnt(0) lgkmcnt(0)
	v_lshlrev_b32_e32 v2, 16, v20
	v_fmac_f32_e32 v25, v12, v17
	v_cmpx_gt_i32_e64 s8, v18
	s_cbranch_execz .LBB671_43
; %bb.42:
	s_clause 0x3
	flat_load_ushort v3, v[3:4] offset:192
	flat_load_ushort v4, v[5:6] offset:192
	;; [unrolled: 1-line block ×4, first 2 shown]
	s_waitcnt vmcnt(3) lgkmcnt(3)
	v_lshlrev_b32_e32 v3, 16, v3
	s_waitcnt vmcnt(2) lgkmcnt(2)
	v_lshlrev_b32_e32 v4, 16, v4
	v_fmac_f32_e32 v26, v14, v3
	s_waitcnt vmcnt(1) lgkmcnt(1)
	v_lshlrev_b32_e32 v3, 16, v5
	v_fmac_f32_e32 v26, v13, v4
	;; [unrolled: 3-line block ×3, first 2 shown]
	v_fmac_f32_e32 v26, v11, v4
.LBB671_43:
	s_or_b32 exec_lo, exec_lo, s3
	v_fmac_f32_e32 v25, v11, v2
.LBB671_44:
	s_or_b32 exec_lo, exec_lo, s2
	v_fmac_f32_e32 v24, v11, v16
.LBB671_45:
	s_or_b32 exec_lo, exec_lo, s0
	v_fmac_f32_e32 v23, v11, v15
.LBB671_46:
	s_or_b32 exec_lo, exec_lo, s1
.LBB671_47:
	v_lshlrev_b32_e32 v0, 2, v0
	s_mov_b32 s0, exec_lo
                                        ; implicit-def: $vgpr3
                                        ; implicit-def: $vgpr4_vgpr5
	v_lshl_add_u32 v1, v1, 9, v0
	ds_write2_b32 v1, v23, v24 offset1:32
	ds_write2_b32 v1, v25, v26 offset0:64 offset1:96
	s_waitcnt lgkmcnt(0)
	s_barrier
	buffer_gl0_inv
	v_cmpx_gt_u32_e32 0x80, v21
	s_cbranch_execz .LBB671_53
; %bb.48:
	v_lshl_add_u32 v6, v22, 2, v0
	s_mov_b32 s2, s27
	s_mov_b32 s1, exec_lo
	ds_read2st64_b32 v[0:1], v6 offset1:2
	ds_read2st64_b32 v[2:3], v6 offset0:4 offset1:6
	ds_read2st64_b32 v[4:5], v6 offset0:8 offset1:10
	s_waitcnt lgkmcnt(2)
	v_add_f32_e32 v7, v0, v1
	ds_read2st64_b32 v[0:1], v6 offset0:12 offset1:14
	s_waitcnt lgkmcnt(2)
	v_add_f32_e32 v2, v2, v7
	v_add_f32_e32 v7, v3, v2
	ds_read2st64_b32 v[2:3], v6 offset0:16 offset1:18
	s_waitcnt lgkmcnt(2)
	v_add_f32_e32 v4, v4, v7
	;; [unrolled: 4-line block ×3, first 2 shown]
	v_add_f32_e32 v0, v1, v0
	s_waitcnt lgkmcnt(1)
	v_add_f32_e32 v2, v2, v0
	ds_read2st64_b32 v[0:1], v6 offset0:24 offset1:26
	v_add_f32_e32 v2, v3, v2
	s_waitcnt lgkmcnt(1)
	v_add_f32_e32 v4, v4, v2
	ds_read2st64_b32 v[2:3], v6 offset0:28 offset1:30
	v_add_f32_e32 v4, v5, v4
	s_waitcnt lgkmcnt(1)
	v_add_f32_e32 v0, v0, v4
                                        ; implicit-def: $vgpr4_vgpr5
	v_add_f32_e32 v0, v1, v0
	v_or_b32_e32 v1, s28, v21
	s_waitcnt lgkmcnt(0)
	v_add_f32_e32 v0, v2, v0
	v_add_f32_e32 v0, v3, v0
                                        ; implicit-def: $vgpr3
	ds_write_b32 v6, v0
	v_cmpx_gt_i32_e64 s8, v1
	s_cbranch_execz .LBB671_52
; %bb.49:
	v_ashrrev_i32_e32 v2, 31, v1
	v_mul_lo_u32 v6, s13, v1
	v_mad_u64_u32 v[4:5], null, s12, v1, 0
	v_cmp_eq_f32_e64 s2, s11, 0
	v_mul_lo_u32 v1, s12, v2
	v_mul_f32_e32 v3, s10, v0
	s_and_b32 vcc_lo, exec_lo, s2
	v_add3_u32 v5, v5, v1, v6
	s_cbranch_vccnz .LBB671_51
; %bb.50:
	v_lshlrev_b64 v[0:1], 2, v[4:5]
	v_add_co_u32 v0, vcc_lo, s5, v0
	v_add_co_ci_u32_e64 v1, null, s26, v1, vcc_lo
	flat_load_dword v0, v[0:1]
	s_waitcnt vmcnt(0) lgkmcnt(0)
	v_fmac_f32_e32 v3, s11, v0
.LBB671_51:
	s_or_b32 s2, s27, exec_lo
.LBB671_52:
	s_or_b32 exec_lo, exec_lo, s1
	s_andn2_b32 s1, s27, exec_lo
	s_and_b32 s2, s2, exec_lo
	s_or_b32 s27, s1, s2
.LBB671_53:
	s_or_b32 exec_lo, exec_lo, s0
.LBB671_54:
	s_and_saveexec_b32 s0, s27
	s_cbranch_execz .LBB671_56
; %bb.55:
	v_lshlrev_b64 v[0:1], 2, v[4:5]
	v_add_co_u32 v0, vcc_lo, s5, v0
	v_add_co_ci_u32_e64 v1, null, s26, v1, vcc_lo
	flat_store_dword v[0:1], v3
.LBB671_56:
	s_endpgm
	.section	.rodata,"a",@progbits
	.p2align	6, 0x0
	.amdhsa_kernel _ZL20rocblas_gemvn_kernelILi32ELi16ElPK16rocblas_bfloat16fKPfEviiT3_lPKT2_lT1_lS8_lS9_lS5_lPT4_lS9_li
		.amdhsa_group_segment_fixed_size 8192
		.amdhsa_private_segment_fixed_size 0
		.amdhsa_kernarg_size 400
		.amdhsa_user_sgpr_count 6
		.amdhsa_user_sgpr_private_segment_buffer 1
		.amdhsa_user_sgpr_dispatch_ptr 0
		.amdhsa_user_sgpr_queue_ptr 0
		.amdhsa_user_sgpr_kernarg_segment_ptr 1
		.amdhsa_user_sgpr_dispatch_id 0
		.amdhsa_user_sgpr_flat_scratch_init 0
		.amdhsa_user_sgpr_private_segment_size 0
		.amdhsa_wavefront_size32 1
		.amdhsa_uses_dynamic_stack 0
		.amdhsa_system_sgpr_private_segment_wavefront_offset 0
		.amdhsa_system_sgpr_workgroup_id_x 1
		.amdhsa_system_sgpr_workgroup_id_y 0
		.amdhsa_system_sgpr_workgroup_id_z 1
		.amdhsa_system_sgpr_workgroup_info 0
		.amdhsa_system_vgpr_workitem_id 1
		.amdhsa_next_free_vgpr 52
		.amdhsa_next_free_sgpr 35
		.amdhsa_reserve_vcc 1
		.amdhsa_reserve_flat_scratch 1
		.amdhsa_float_round_mode_32 0
		.amdhsa_float_round_mode_16_64 0
		.amdhsa_float_denorm_mode_32 3
		.amdhsa_float_denorm_mode_16_64 3
		.amdhsa_dx10_clamp 1
		.amdhsa_ieee_mode 1
		.amdhsa_fp16_overflow 0
		.amdhsa_workgroup_processor_mode 1
		.amdhsa_memory_ordered 1
		.amdhsa_forward_progress 1
		.amdhsa_shared_vgpr_count 0
		.amdhsa_exception_fp_ieee_invalid_op 0
		.amdhsa_exception_fp_denorm_src 0
		.amdhsa_exception_fp_ieee_div_zero 0
		.amdhsa_exception_fp_ieee_overflow 0
		.amdhsa_exception_fp_ieee_underflow 0
		.amdhsa_exception_fp_ieee_inexact 0
		.amdhsa_exception_int_div_zero 0
	.end_amdhsa_kernel
	.section	.text._ZL20rocblas_gemvn_kernelILi32ELi16ElPK16rocblas_bfloat16fKPfEviiT3_lPKT2_lT1_lS8_lS9_lS5_lPT4_lS9_li,"axG",@progbits,_ZL20rocblas_gemvn_kernelILi32ELi16ElPK16rocblas_bfloat16fKPfEviiT3_lPKT2_lT1_lS8_lS9_lS5_lPT4_lS9_li,comdat
.Lfunc_end671:
	.size	_ZL20rocblas_gemvn_kernelILi32ELi16ElPK16rocblas_bfloat16fKPfEviiT3_lPKT2_lT1_lS8_lS9_lS5_lPT4_lS9_li, .Lfunc_end671-_ZL20rocblas_gemvn_kernelILi32ELi16ElPK16rocblas_bfloat16fKPfEviiT3_lPKT2_lT1_lS8_lS9_lS5_lPT4_lS9_li
                                        ; -- End function
	.set _ZL20rocblas_gemvn_kernelILi32ELi16ElPK16rocblas_bfloat16fKPfEviiT3_lPKT2_lT1_lS8_lS9_lS5_lPT4_lS9_li.num_vgpr, 52
	.set _ZL20rocblas_gemvn_kernelILi32ELi16ElPK16rocblas_bfloat16fKPfEviiT3_lPKT2_lT1_lS8_lS9_lS5_lPT4_lS9_li.num_agpr, 0
	.set _ZL20rocblas_gemvn_kernelILi32ELi16ElPK16rocblas_bfloat16fKPfEviiT3_lPKT2_lT1_lS8_lS9_lS5_lPT4_lS9_li.numbered_sgpr, 35
	.set _ZL20rocblas_gemvn_kernelILi32ELi16ElPK16rocblas_bfloat16fKPfEviiT3_lPKT2_lT1_lS8_lS9_lS5_lPT4_lS9_li.num_named_barrier, 0
	.set _ZL20rocblas_gemvn_kernelILi32ELi16ElPK16rocblas_bfloat16fKPfEviiT3_lPKT2_lT1_lS8_lS9_lS5_lPT4_lS9_li.private_seg_size, 0
	.set _ZL20rocblas_gemvn_kernelILi32ELi16ElPK16rocblas_bfloat16fKPfEviiT3_lPKT2_lT1_lS8_lS9_lS5_lPT4_lS9_li.uses_vcc, 1
	.set _ZL20rocblas_gemvn_kernelILi32ELi16ElPK16rocblas_bfloat16fKPfEviiT3_lPKT2_lT1_lS8_lS9_lS5_lPT4_lS9_li.uses_flat_scratch, 1
	.set _ZL20rocblas_gemvn_kernelILi32ELi16ElPK16rocblas_bfloat16fKPfEviiT3_lPKT2_lT1_lS8_lS9_lS5_lPT4_lS9_li.has_dyn_sized_stack, 0
	.set _ZL20rocblas_gemvn_kernelILi32ELi16ElPK16rocblas_bfloat16fKPfEviiT3_lPKT2_lT1_lS8_lS9_lS5_lPT4_lS9_li.has_recursion, 0
	.set _ZL20rocblas_gemvn_kernelILi32ELi16ElPK16rocblas_bfloat16fKPfEviiT3_lPKT2_lT1_lS8_lS9_lS5_lPT4_lS9_li.has_indirect_call, 0
	.section	.AMDGPU.csdata,"",@progbits
; Kernel info:
; codeLenInByte = 3252
; TotalNumSgprs: 37
; NumVgprs: 52
; ScratchSize: 0
; MemoryBound: 0
; FloatMode: 240
; IeeeMode: 1
; LDSByteSize: 8192 bytes/workgroup (compile time only)
; SGPRBlocks: 0
; VGPRBlocks: 6
; NumSGPRsForWavesPerEU: 37
; NumVGPRsForWavesPerEU: 52
; Occupancy: 16
; WaveLimiterHint : 1
; COMPUTE_PGM_RSRC2:SCRATCH_EN: 0
; COMPUTE_PGM_RSRC2:USER_SGPR: 6
; COMPUTE_PGM_RSRC2:TRAP_HANDLER: 0
; COMPUTE_PGM_RSRC2:TGID_X_EN: 1
; COMPUTE_PGM_RSRC2:TGID_Y_EN: 0
; COMPUTE_PGM_RSRC2:TGID_Z_EN: 1
; COMPUTE_PGM_RSRC2:TIDIG_COMP_CNT: 1
	.section	.text._ZL20rocblas_gemvn_kernelILi64ELi16EiPK16rocblas_bfloat16PKfKPfEviiT3_lPKT2_lT1_lSA_lSB_lS7_lPT4_lSB_li,"axG",@progbits,_ZL20rocblas_gemvn_kernelILi64ELi16EiPK16rocblas_bfloat16PKfKPfEviiT3_lPKT2_lT1_lSA_lSB_lS7_lPT4_lSB_li,comdat
	.globl	_ZL20rocblas_gemvn_kernelILi64ELi16EiPK16rocblas_bfloat16PKfKPfEviiT3_lPKT2_lT1_lSA_lSB_lS7_lPT4_lSB_li ; -- Begin function _ZL20rocblas_gemvn_kernelILi64ELi16EiPK16rocblas_bfloat16PKfKPfEviiT3_lPKT2_lT1_lSA_lSB_lS7_lPT4_lSB_li
	.p2align	8
	.type	_ZL20rocblas_gemvn_kernelILi64ELi16EiPK16rocblas_bfloat16PKfKPfEviiT3_lPKT2_lT1_lSA_lSB_lS7_lPT4_lSB_li,@function
_ZL20rocblas_gemvn_kernelILi64ELi16EiPK16rocblas_bfloat16PKfKPfEviiT3_lPKT2_lT1_lSA_lSB_lS7_lPT4_lSB_li: ; @_ZL20rocblas_gemvn_kernelILi64ELi16EiPK16rocblas_bfloat16PKfKPfEviiT3_lPKT2_lT1_lSA_lSB_lS7_lPT4_lSB_li
; %bb.0:
	s_load_dwordx2 s[2:3], s[4:5], 0x9c
	s_waitcnt lgkmcnt(0)
	s_lshr_b32 s1, s2, 16
	s_and_b32 s2, s2, 0xffff
	s_and_b32 s3, s3, 0xffff
	s_mul_i32 s1, s1, s2
	s_mul_i32 s1, s1, s3
	s_cmpk_lg_i32 s1, 0x400
	s_cbranch_scc1 .LBB672_54
; %bb.1:
	s_clause 0x1
	s_load_dwordx8 s[16:23], s[4:5], 0x8
	s_load_dwordx8 s[8:15], s[4:5], 0x58
	s_mov_b32 s0, s7
	s_waitcnt lgkmcnt(0)
	s_mul_i32 s1, s19, s7
	s_mul_hi_u32 s3, s18, s7
	s_mul_i32 s2, s18, s7
	s_add_i32 s3, s3, s1
	s_mul_i32 s1, s11, s7
	s_lshl_b64 s[2:3], s[2:3], 2
	s_mul_hi_u32 s7, s10, s7
	s_add_u32 s2, s16, s2
	s_addc_u32 s3, s17, s3
	s_add_i32 s11, s7, s1
	s_mul_i32 s10, s10, s0
	s_lshl_b64 s[10:11], s[10:11], 2
	s_add_u32 s8, s8, s10
	s_addc_u32 s9, s9, s11
	s_load_dword s18, s[2:3], 0x0
	s_load_dword s7, s[8:9], 0x0
	s_waitcnt lgkmcnt(0)
	v_cmp_eq_f32_e64 s2, s18, 0
	v_cmp_eq_f32_e64 s1, s7, 1.0
	s_and_b32 s1, s2, s1
	s_and_b32 vcc_lo, exec_lo, s1
	s_mov_b32 s1, 0
	s_cbranch_vccnz .LBB672_54
; %bb.2:
	v_cmp_neq_f32_e64 s3, s18, 0
	s_mov_b64 s[16:17], 0
	s_and_b32 vcc_lo, exec_lo, s2
	s_mov_b64 s[10:11], 0
	s_cbranch_vccnz .LBB672_4
; %bb.3:
	s_lshl_b64 s[8:9], s[0:1], 3
	s_add_u32 s8, s20, s8
	s_addc_u32 s9, s21, s9
	s_lshl_b64 s[10:11], s[22:23], 1
	s_load_dwordx2 s[8:9], s[8:9], 0x0
	s_waitcnt lgkmcnt(0)
	s_add_u32 s10, s8, s10
	s_addc_u32 s11, s9, s11
.LBB672_4:
	s_andn2_b32 vcc_lo, exec_lo, s3
	s_cbranch_vccnz .LBB672_6
; %bb.5:
	s_load_dwordx4 s[20:23], s[4:5], 0x38
	s_lshl_b64 s[8:9], s[0:1], 3
	s_waitcnt lgkmcnt(0)
	s_add_u32 s8, s20, s8
	s_addc_u32 s9, s21, s9
	s_lshl_b64 s[16:17], s[22:23], 1
	s_load_dwordx2 s[8:9], s[8:9], 0x0
	s_waitcnt lgkmcnt(0)
	s_add_u32 s16, s8, s16
	s_addc_u32 s17, s9, s17
.LBB672_6:
	s_lshl_b64 s[0:1], s[0:1], 3
	v_lshlrev_b32_e32 v14, 6, v1
	s_add_u32 s0, s12, s0
	s_addc_u32 s1, s13, s1
	s_lshl_b64 s[14:15], s[14:15], 2
	s_load_dwordx2 s[12:13], s[0:1], 0x0
	s_clause 0x1
	s_load_dwordx2 s[8:9], s[4:5], 0x0
	s_load_dword s19, s[4:5], 0x78
	v_add_nc_u32_e32 v13, v14, v0
	v_cmp_gt_u32_e64 s0, 0x100, v13
	s_waitcnt lgkmcnt(0)
	s_add_u32 s12, s12, s14
	s_addc_u32 s13, s13, s15
	s_andn2_b32 vcc_lo, exec_lo, s2
	s_cbranch_vccnz .LBB672_13
; %bb.7:
	s_mov_b32 s1, 0
	s_mov_b32 s14, 0
                                        ; implicit-def: $vgpr3
                                        ; implicit-def: $vgpr4_vgpr5
	s_and_saveexec_b32 s2, s0
	s_cbranch_execz .LBB672_14
; %bb.8:
	v_lshl_or_b32 v2, s6, 8, v13
	v_mov_b32_e32 v3, 0
	s_ashr_i32 s15, s8, 31
	s_mov_b32 s14, s8
	s_mov_b32 s3, 0
	s_mov_b32 s0, exec_lo
                                        ; implicit-def: $vgpr4_vgpr5
	v_cmpx_gt_i64_e64 s[14:15], v[2:3]
	s_cbranch_execz .LBB672_12
; %bb.9:
	v_mad_u64_u32 v[4:5], null, s19, v2, 0
	s_ashr_i32 s3, s19, 31
	v_mad_u64_u32 v[5:6], null, s3, v2, v[5:6]
	v_cmp_eq_f32_e64 s3, s7, 0
	s_and_b32 vcc_lo, exec_lo, s3
	s_cbranch_vccnz .LBB672_11
; %bb.10:
	v_lshlrev_b64 v[2:3], 2, v[4:5]
	v_add_co_u32 v2, vcc_lo, s12, v2
	v_add_co_ci_u32_e64 v3, null, s13, v3, vcc_lo
	flat_load_dword v2, v[2:3]
	s_waitcnt vmcnt(0) lgkmcnt(0)
	v_mul_f32_e32 v3, s7, v2
.LBB672_11:
	s_mov_b32 s3, exec_lo
.LBB672_12:
	s_or_b32 exec_lo, exec_lo, s0
	s_and_b32 s14, s3, exec_lo
	s_or_b32 exec_lo, exec_lo, s2
	s_and_b32 vcc_lo, exec_lo, s1
	s_cbranch_vccnz .LBB672_15
	s_branch .LBB672_52
.LBB672_13:
	s_mov_b32 s14, 0
                                        ; implicit-def: $vgpr3
                                        ; implicit-def: $vgpr4_vgpr5
	s_cbranch_execnz .LBB672_15
	s_branch .LBB672_52
.LBB672_14:
	s_or_b32 exec_lo, exec_lo, s2
	s_and_b32 vcc_lo, exec_lo, s1
	s_cbranch_vccz .LBB672_52
.LBB672_15:
	s_clause 0x1
	s_load_dword s15, s[4:5], 0x28
	s_load_dword s4, s[4:5], 0x48
	s_ashr_i32 s0, s9, 31
	s_lshl_b32 s5, s6, 8
	s_lshr_b32 s0, s0, 26
	v_lshlrev_b32_e32 v20, 2, v1
	v_add_nc_u32_e32 v19, s5, v0
	v_mov_b32_e32 v15, 0
	v_mov_b32_e32 v16, 0
	;; [unrolled: 1-line block ×4, first 2 shown]
	s_add_i32 s0, s9, s0
	s_mov_b32 s20, exec_lo
	s_and_b32 s6, s0, 0xffffffc0
	v_cmpx_gt_i32_e64 s6, v20
	s_cbranch_execz .LBB672_27
; %bb.16:
	v_add_nc_u32_e32 v5, 0xc0, v19
	s_waitcnt lgkmcnt(0)
	v_mul_lo_u32 v3, s15, v20
	v_add_nc_u32_e32 v2, 64, v19
	v_add_nc_u32_e32 v6, 2, v20
	;; [unrolled: 1-line block ×3, first 2 shown]
	v_cmp_gt_i32_e64 s2, s8, v5
	v_mul_lo_u32 v5, v1, s15
	v_add_nc_u32_e32 v7, 3, v20
	v_mul_lo_u32 v8, v1, s4
	v_cmp_gt_i32_e64 s0, s8, v2
	v_add3_u32 v21, v3, s15, v0
	v_mad_u64_u32 v[2:3], null, s15, v6, v[0:1]
	v_cmp_gt_i32_e64 s1, s8, v4
	v_mad_u64_u32 v[3:4], null, s15, v7, v[0:1]
	v_lshl_add_u32 v22, v5, 2, v0
	v_mad_u64_u32 v[4:5], null, s4, v20, s[4:5]
	v_mul_lo_u32 v23, s4, v6
	v_mul_lo_u32 v24, s4, v7
	v_lshlrev_b32_e32 v25, 2, v8
	v_mov_b32_e32 v15, 0
	v_mov_b32_e32 v16, 0
	;; [unrolled: 1-line block ×4, first 2 shown]
	s_lshl_b32 s21, s15, 6
	s_lshl_b32 s23, s4, 6
	s_mov_b32 s22, 0
	s_mov_b32 s24, 0
	v_cmp_gt_i32_e32 vcc_lo, s8, v19
	s_branch .LBB672_21
.LBB672_17:                             ;   in Loop: Header=BB672_21 Depth=1
	s_or_b32 exec_lo, exec_lo, s27
	s_waitcnt vmcnt(3) lgkmcnt(3)
	v_lshlrev_b32_e32 v5, 16, v41
	s_waitcnt vmcnt(2) lgkmcnt(2)
	v_lshlrev_b32_e32 v6, 16, v40
	v_fmac_f32_e32 v17, v33, v5
	s_waitcnt vmcnt(1) lgkmcnt(1)
	v_lshlrev_b32_e32 v5, 16, v39
	v_fmac_f32_e32 v17, v29, v6
	v_fmac_f32_e32 v17, v31, v5
	s_waitcnt vmcnt(0) lgkmcnt(0)
	v_lshlrev_b32_e32 v5, 16, v38
	v_fmac_f32_e32 v17, v27, v5
.LBB672_18:                             ;   in Loop: Header=BB672_21 Depth=1
	s_or_b32 exec_lo, exec_lo, s26
	s_waitcnt vmcnt(3) lgkmcnt(3)
	v_lshlrev_b32_e32 v5, 16, v37
	s_waitcnt vmcnt(2) lgkmcnt(2)
	v_lshlrev_b32_e32 v6, 16, v36
	v_fmac_f32_e32 v16, v33, v5
	s_waitcnt vmcnt(1) lgkmcnt(1)
	v_lshlrev_b32_e32 v5, 16, v35
	v_fmac_f32_e32 v16, v29, v6
	v_fmac_f32_e32 v16, v31, v5
	s_waitcnt vmcnt(0) lgkmcnt(0)
	v_lshlrev_b32_e32 v5, 16, v34
	v_fmac_f32_e32 v16, v27, v5
.LBB672_19:                             ;   in Loop: Header=BB672_21 Depth=1
	s_or_b32 exec_lo, exec_lo, s3
	s_waitcnt vmcnt(3) lgkmcnt(3)
	v_lshlrev_b32_e32 v5, 16, v32
	s_waitcnt vmcnt(2) lgkmcnt(2)
	v_lshlrev_b32_e32 v6, 16, v30
	v_fmac_f32_e32 v15, v33, v5
	s_waitcnt vmcnt(1) lgkmcnt(1)
	v_lshlrev_b32_e32 v5, 16, v28
	v_fmac_f32_e32 v15, v29, v6
	v_fmac_f32_e32 v15, v31, v5
	s_waitcnt vmcnt(0) lgkmcnt(0)
	v_lshlrev_b32_e32 v5, 16, v26
	v_fmac_f32_e32 v15, v27, v5
.LBB672_20:                             ;   in Loop: Header=BB672_21 Depth=1
	s_or_b32 exec_lo, exec_lo, s25
	v_add_nc_u32_e32 v20, 64, v20
	v_add_nc_u32_e32 v21, s21, v21
	v_add_nc_u32_e32 v2, s21, v2
	v_add_nc_u32_e32 v3, s21, v3
	v_add_nc_u32_e32 v22, s21, v22
	v_cmp_le_i32_e64 s3, s6, v20
	s_add_i32 s24, s24, s23
	s_or_b32 s22, s3, s22
	s_andn2_b32 exec_lo, exec_lo, s22
	s_cbranch_execz .LBB672_26
.LBB672_21:                             ; =>This Inner Loop Header: Depth=1
	s_and_saveexec_b32 s25, vcc_lo
	s_cbranch_execz .LBB672_20
; %bb.22:                               ;   in Loop: Header=BB672_21 Depth=1
	v_add_nc_u32_e32 v5, s24, v25
	v_add_nc_u32_e32 v7, s24, v4
	v_add_nc_u32_e32 v9, s24, v23
	v_add_nc_u32_e32 v11, s24, v24
	v_add_nc_u32_e32 v26, s5, v22
	v_ashrrev_i32_e32 v6, 31, v5
	v_ashrrev_i32_e32 v8, 31, v7
	;; [unrolled: 1-line block ×5, first 2 shown]
	v_lshlrev_b64 v[5:6], 1, v[5:6]
	v_lshlrev_b64 v[7:8], 1, v[7:8]
	;; [unrolled: 1-line block ×4, first 2 shown]
	v_add_nc_u32_e32 v28, s5, v21
	v_add_nc_u32_e32 v30, s5, v2
	v_add_co_u32 v5, s3, s16, v5
	v_add_co_ci_u32_e64 v6, null, s17, v6, s3
	v_add_co_u32 v7, s3, s16, v7
	v_add_co_ci_u32_e64 v8, null, s17, v8, s3
	;; [unrolled: 2-line block ×4, first 2 shown]
	v_lshlrev_b64 v[26:27], 1, v[26:27]
	s_clause 0x3
	flat_load_ushort v33, v[5:6]
	flat_load_ushort v34, v[7:8]
	;; [unrolled: 1-line block ×4, first 2 shown]
	v_add_nc_u32_e32 v9, s5, v3
	v_ashrrev_i32_e32 v29, 31, v28
	v_ashrrev_i32_e32 v31, 31, v30
	v_add_co_u32 v5, s3, s10, v26
	v_ashrrev_i32_e32 v10, 31, v9
	v_lshlrev_b64 v[7:8], 1, v[28:29]
	v_add_co_ci_u32_e64 v6, null, s11, v27, s3
	v_lshlrev_b64 v[26:27], 1, v[30:31]
	v_lshlrev_b64 v[9:10], 1, v[9:10]
	v_add_co_u32 v11, s3, s10, v7
	v_add_co_ci_u32_e64 v12, null, s11, v8, s3
	v_add_co_u32 v7, s3, s10, v26
	v_add_co_ci_u32_e64 v8, null, s11, v27, s3
	;; [unrolled: 2-line block ×3, first 2 shown]
	s_clause 0x3
	flat_load_ushort v32, v[5:6]
	flat_load_ushort v30, v[11:12]
	flat_load_ushort v28, v[7:8]
	flat_load_ushort v26, v[9:10]
	s_waitcnt vmcnt(7) lgkmcnt(7)
	v_lshlrev_b32_e32 v33, 16, v33
	s_waitcnt vmcnt(6) lgkmcnt(6)
	v_lshlrev_b32_e32 v29, 16, v34
	;; [unrolled: 2-line block ×4, first 2 shown]
	s_and_saveexec_b32 s3, s0
	s_cbranch_execz .LBB672_19
; %bb.23:                               ;   in Loop: Header=BB672_21 Depth=1
	s_clause 0x3
	flat_load_ushort v37, v[5:6] offset:128
	flat_load_ushort v36, v[11:12] offset:128
	flat_load_ushort v35, v[7:8] offset:128
	flat_load_ushort v34, v[9:10] offset:128
	s_and_saveexec_b32 s26, s1
	s_cbranch_execz .LBB672_18
; %bb.24:                               ;   in Loop: Header=BB672_21 Depth=1
	s_clause 0x3
	flat_load_ushort v41, v[5:6] offset:256
	flat_load_ushort v40, v[11:12] offset:256
	flat_load_ushort v39, v[7:8] offset:256
	flat_load_ushort v38, v[9:10] offset:256
	;; [unrolled: 8-line block ×3, first 2 shown]
	s_waitcnt vmcnt(3) lgkmcnt(3)
	v_lshlrev_b32_e32 v5, 16, v5
	s_waitcnt vmcnt(2) lgkmcnt(2)
	v_lshlrev_b32_e32 v6, 16, v6
	v_fmac_f32_e32 v18, v33, v5
	s_waitcnt vmcnt(1) lgkmcnt(1)
	v_lshlrev_b32_e32 v5, 16, v7
	v_fmac_f32_e32 v18, v29, v6
	;; [unrolled: 3-line block ×3, first 2 shown]
	v_fmac_f32_e32 v18, v27, v6
	s_branch .LBB672_17
.LBB672_26:
	s_or_b32 exec_lo, exec_lo, s22
.LBB672_27:
	s_or_b32 exec_lo, exec_lo, s20
	s_sub_i32 s0, s9, s6
	s_cmp_lt_i32 s0, 1
	s_cbranch_scc1 .LBB672_45
; %bb.28:
	v_cmp_gt_i32_e32 vcc_lo, s9, v20
	v_mov_b32_e32 v11, 0
	v_or_b32_e32 v2, 1, v20
	v_mov_b32_e32 v10, 0
	v_mov_b32_e32 v21, 0
	v_mov_b32_e32 v12, 0
	s_and_saveexec_b32 s1, vcc_lo
	s_cbranch_execz .LBB672_36
; %bb.29:
	s_waitcnt lgkmcnt(0)
	v_mul_lo_u32 v3, v20, s4
	v_mov_b32_e32 v12, 0
	v_mov_b32_e32 v10, 0
	;; [unrolled: 1-line block ×3, first 2 shown]
	s_mov_b32 s2, exec_lo
	v_ashrrev_i32_e32 v4, 31, v3
	v_lshlrev_b64 v[3:4], 1, v[3:4]
	v_add_co_u32 v3, s0, s16, v3
	v_add_co_ci_u32_e64 v4, null, s17, v4, s0
	flat_load_ushort v3, v[3:4]
	v_cmpx_gt_i32_e64 s9, v2
	s_cbranch_execz .LBB672_35
; %bb.30:
	v_mul_lo_u32 v4, v2, s4
	v_mov_b32_e32 v10, 0
	v_mov_b32_e32 v11, 0
	s_mov_b32 s3, exec_lo
	v_ashrrev_i32_e32 v5, 31, v4
	v_lshlrev_b64 v[4:5], 1, v[4:5]
	v_add_co_u32 v4, s0, s16, v4
	v_add_co_ci_u32_e64 v5, null, s17, v5, s0
	flat_load_ushort v4, v[4:5]
	v_or_b32_e32 v5, 2, v20
	v_cmpx_gt_i32_e64 s9, v5
	s_cbranch_execz .LBB672_34
; %bb.31:
	v_mul_lo_u32 v5, v5, s4
	v_mov_b32_e32 v10, 0
	s_mov_b32 s6, exec_lo
	v_ashrrev_i32_e32 v6, 31, v5
	v_lshlrev_b64 v[5:6], 1, v[5:6]
	v_add_co_u32 v5, s0, s16, v5
	v_add_co_ci_u32_e64 v6, null, s17, v6, s0
	flat_load_ushort v5, v[5:6]
	v_or_b32_e32 v6, 3, v20
	v_cmpx_gt_i32_e64 s9, v6
	s_cbranch_execz .LBB672_33
; %bb.32:
	v_mul_lo_u32 v6, v6, s4
	v_ashrrev_i32_e32 v7, 31, v6
	v_lshlrev_b64 v[6:7], 1, v[6:7]
	v_add_co_u32 v6, s0, s16, v6
	v_add_co_ci_u32_e64 v7, null, s17, v7, s0
	flat_load_ushort v6, v[6:7]
	s_waitcnt vmcnt(0) lgkmcnt(0)
	v_lshlrev_b32_e32 v10, 16, v6
.LBB672_33:
	s_or_b32 exec_lo, exec_lo, s6
	s_waitcnt vmcnt(0) lgkmcnt(0)
	v_lshlrev_b32_e32 v11, 16, v5
.LBB672_34:
	s_or_b32 exec_lo, exec_lo, s3
	s_waitcnt vmcnt(0) lgkmcnt(0)
	v_lshlrev_b32_e32 v12, 16, v4
.LBB672_35:
	s_or_b32 exec_lo, exec_lo, s2
	s_waitcnt vmcnt(0) lgkmcnt(0)
	v_lshlrev_b32_e32 v21, 16, v3
.LBB672_36:
	s_or_b32 exec_lo, exec_lo, s1
	s_mov_b32 s1, exec_lo
	v_cmpx_gt_i32_e64 s8, v19
	s_cbranch_execz .LBB672_44
; %bb.37:
	s_waitcnt lgkmcnt(0)
	v_mul_lo_u32 v3, v20, s15
	v_mul_lo_u32 v4, v2, s15
	v_or_b32_e32 v5, 2, v20
	v_or_b32_e32 v6, 3, v20
	s_mov_b32 s0, exec_lo
	v_mul_lo_u32 v7, v5, s15
	v_cndmask_b32_e32 v3, 0, v3, vcc_lo
	v_cmp_gt_i32_e32 vcc_lo, s9, v2
	v_mul_lo_u32 v8, v6, s15
	v_add_nc_u32_e32 v2, v3, v19
	v_cndmask_b32_e32 v4, 0, v4, vcc_lo
	v_cmp_gt_i32_e32 vcc_lo, s9, v5
	v_ashrrev_i32_e32 v3, 31, v2
	v_add_nc_u32_e32 v4, v4, v19
	v_cndmask_b32_e32 v7, 0, v7, vcc_lo
	v_cmp_gt_i32_e32 vcc_lo, s9, v6
	v_lshlrev_b64 v[2:3], 1, v[2:3]
	v_ashrrev_i32_e32 v5, 31, v4
	v_add_nc_u32_e32 v6, v7, v19
	v_cndmask_b32_e32 v8, 0, v8, vcc_lo
	v_lshlrev_b64 v[4:5], 1, v[4:5]
	v_ashrrev_i32_e32 v7, 31, v6
	v_add_nc_u32_e32 v8, v8, v19
	v_add_co_u32 v2, vcc_lo, s10, v2
	v_add_co_ci_u32_e64 v3, null, s11, v3, vcc_lo
	v_ashrrev_i32_e32 v9, 31, v8
	v_add_co_u32 v4, vcc_lo, s10, v4
	v_add_co_ci_u32_e64 v5, null, s11, v5, vcc_lo
	v_lshlrev_b64 v[6:7], 1, v[6:7]
	v_lshlrev_b64 v[8:9], 1, v[8:9]
	s_clause 0x1
	flat_load_ushort v20, v[2:3]
	flat_load_ushort v22, v[4:5]
	v_add_co_u32 v6, vcc_lo, s10, v6
	v_add_co_ci_u32_e64 v7, null, s11, v7, vcc_lo
	v_add_co_u32 v8, vcc_lo, s10, v8
	v_add_co_ci_u32_e64 v9, null, s11, v9, vcc_lo
	s_clause 0x1
	flat_load_ushort v23, v[6:7]
	flat_load_ushort v24, v[8:9]
	s_waitcnt vmcnt(3) lgkmcnt(3)
	v_lshlrev_b32_e32 v20, 16, v20
	s_waitcnt vmcnt(2) lgkmcnt(2)
	v_lshlrev_b32_e32 v22, 16, v22
	v_fmac_f32_e32 v15, v21, v20
	v_fmac_f32_e32 v15, v12, v22
	v_add_nc_u32_e32 v22, 64, v19
	s_waitcnt vmcnt(1) lgkmcnt(1)
	v_lshlrev_b32_e32 v23, 16, v23
	s_waitcnt vmcnt(0) lgkmcnt(0)
	v_lshlrev_b32_e32 v20, 16, v24
	v_fmac_f32_e32 v15, v11, v23
	v_cmpx_gt_i32_e64 s8, v22
	s_cbranch_execz .LBB672_43
; %bb.38:
	s_clause 0x3
	flat_load_ushort v22, v[2:3] offset:128
	flat_load_ushort v23, v[4:5] offset:128
	;; [unrolled: 1-line block ×4, first 2 shown]
	s_mov_b32 s2, exec_lo
	s_waitcnt vmcnt(3) lgkmcnt(3)
	v_lshlrev_b32_e32 v22, 16, v22
	s_waitcnt vmcnt(2) lgkmcnt(2)
	v_lshlrev_b32_e32 v23, 16, v23
	;; [unrolled: 2-line block ×3, first 2 shown]
	v_fmac_f32_e32 v16, v21, v22
	s_waitcnt vmcnt(0) lgkmcnt(0)
	v_lshlrev_b32_e32 v22, 16, v25
	v_fmac_f32_e32 v16, v12, v23
	v_add_nc_u32_e32 v23, 0x80, v19
	v_fmac_f32_e32 v16, v11, v24
	v_cmpx_gt_i32_e64 s8, v23
	s_cbranch_execz .LBB672_42
; %bb.39:
	s_clause 0x3
	flat_load_ushort v23, v[2:3] offset:256
	flat_load_ushort v24, v[4:5] offset:256
	;; [unrolled: 1-line block ×4, first 2 shown]
	s_mov_b32 s3, exec_lo
	s_waitcnt vmcnt(3) lgkmcnt(3)
	v_lshlrev_b32_e32 v23, 16, v23
	s_waitcnt vmcnt(2) lgkmcnt(2)
	v_lshlrev_b32_e32 v24, 16, v24
	v_fmac_f32_e32 v17, v21, v23
	s_waitcnt vmcnt(1) lgkmcnt(1)
	v_lshlrev_b32_e32 v23, 16, v25
	v_fmac_f32_e32 v17, v12, v24
	v_add_nc_u32_e32 v24, 0xc0, v19
	s_waitcnt vmcnt(0) lgkmcnt(0)
	v_lshlrev_b32_e32 v19, 16, v26
	v_fmac_f32_e32 v17, v11, v23
	v_cmpx_gt_i32_e64 s8, v24
	s_cbranch_execz .LBB672_41
; %bb.40:
	s_clause 0x3
	flat_load_ushort v2, v[2:3] offset:384
	flat_load_ushort v3, v[4:5] offset:384
	;; [unrolled: 1-line block ×4, first 2 shown]
	s_waitcnt vmcnt(3) lgkmcnt(3)
	v_lshlrev_b32_e32 v2, 16, v2
	s_waitcnt vmcnt(2) lgkmcnt(2)
	v_lshlrev_b32_e32 v3, 16, v3
	v_fmac_f32_e32 v18, v21, v2
	s_waitcnt vmcnt(1) lgkmcnt(1)
	v_lshlrev_b32_e32 v2, 16, v4
	v_fmac_f32_e32 v18, v12, v3
	;; [unrolled: 3-line block ×3, first 2 shown]
	v_fmac_f32_e32 v18, v10, v3
.LBB672_41:
	s_or_b32 exec_lo, exec_lo, s3
	v_fmac_f32_e32 v17, v10, v19
.LBB672_42:
	s_or_b32 exec_lo, exec_lo, s2
	v_fmac_f32_e32 v16, v10, v22
.LBB672_43:
	s_or_b32 exec_lo, exec_lo, s0
	v_fmac_f32_e32 v15, v10, v20
.LBB672_44:
	s_or_b32 exec_lo, exec_lo, s1
.LBB672_45:
	v_lshlrev_b32_e32 v0, 2, v0
	s_mov_b32 s0, exec_lo
                                        ; implicit-def: $vgpr3
                                        ; implicit-def: $vgpr4_vgpr5
	v_lshl_add_u32 v1, v1, 10, v0
	ds_write2st64_b32 v1, v15, v16 offset1:1
	ds_write2st64_b32 v1, v17, v18 offset0:2 offset1:3
	s_waitcnt lgkmcnt(0)
	s_barrier
	buffer_gl0_inv
	v_cmpx_gt_u32_e32 0x100, v13
	s_cbranch_execz .LBB672_51
; %bb.46:
	v_lshl_add_u32 v6, v14, 2, v0
	s_mov_b32 s2, s14
	s_mov_b32 s1, exec_lo
	ds_read2st64_b32 v[0:1], v6 offset1:4
	ds_read2st64_b32 v[2:3], v6 offset0:8 offset1:12
	ds_read2st64_b32 v[4:5], v6 offset0:16 offset1:20
	s_waitcnt lgkmcnt(2)
	v_add_f32_e32 v7, v0, v1
	ds_read2st64_b32 v[0:1], v6 offset0:24 offset1:28
	s_waitcnt lgkmcnt(2)
	v_add_f32_e32 v2, v2, v7
	v_add_f32_e32 v7, v3, v2
	ds_read2st64_b32 v[2:3], v6 offset0:32 offset1:36
	s_waitcnt lgkmcnt(2)
	v_add_f32_e32 v4, v4, v7
	;; [unrolled: 4-line block ×3, first 2 shown]
	v_add_f32_e32 v0, v1, v0
	s_waitcnt lgkmcnt(1)
	v_add_f32_e32 v2, v2, v0
	ds_read2st64_b32 v[0:1], v6 offset0:48 offset1:52
	v_add_f32_e32 v2, v3, v2
	s_waitcnt lgkmcnt(1)
	v_add_f32_e32 v4, v4, v2
	ds_read2st64_b32 v[2:3], v6 offset0:56 offset1:60
	v_add_f32_e32 v4, v5, v4
	s_waitcnt lgkmcnt(1)
	v_add_f32_e32 v0, v0, v4
                                        ; implicit-def: $vgpr4_vgpr5
	v_add_f32_e32 v0, v1, v0
	v_or_b32_e32 v1, s5, v13
	s_waitcnt lgkmcnt(0)
	v_add_f32_e32 v0, v2, v0
	v_add_f32_e32 v0, v3, v0
                                        ; implicit-def: $vgpr3
	ds_write_b32 v6, v0
	v_cmpx_gt_i32_e64 s8, v1
	s_cbranch_execz .LBB672_50
; %bb.47:
	v_mul_lo_u32 v4, s19, v1
	v_cmp_eq_f32_e64 s2, s7, 0
	v_mul_f32_e32 v3, s18, v0
	s_and_b32 vcc_lo, exec_lo, s2
	v_ashrrev_i32_e32 v5, 31, v4
	s_cbranch_vccnz .LBB672_49
; %bb.48:
	v_lshlrev_b64 v[0:1], 2, v[4:5]
	v_add_co_u32 v0, vcc_lo, s12, v0
	v_add_co_ci_u32_e64 v1, null, s13, v1, vcc_lo
	flat_load_dword v0, v[0:1]
	s_waitcnt vmcnt(0) lgkmcnt(0)
	v_fmac_f32_e32 v3, s7, v0
.LBB672_49:
	s_or_b32 s2, s14, exec_lo
.LBB672_50:
	s_or_b32 exec_lo, exec_lo, s1
	s_andn2_b32 s1, s14, exec_lo
	s_and_b32 s2, s2, exec_lo
	s_or_b32 s14, s1, s2
.LBB672_51:
	s_or_b32 exec_lo, exec_lo, s0
.LBB672_52:
	s_and_saveexec_b32 s0, s14
	s_cbranch_execz .LBB672_54
; %bb.53:
	v_lshlrev_b64 v[0:1], 2, v[4:5]
	v_add_co_u32 v0, vcc_lo, s12, v0
	v_add_co_ci_u32_e64 v1, null, s13, v1, vcc_lo
	flat_store_dword v[0:1], v3
.LBB672_54:
	s_endpgm
	.section	.rodata,"a",@progbits
	.p2align	6, 0x0
	.amdhsa_kernel _ZL20rocblas_gemvn_kernelILi64ELi16EiPK16rocblas_bfloat16PKfKPfEviiT3_lPKT2_lT1_lSA_lSB_lS7_lPT4_lSB_li
		.amdhsa_group_segment_fixed_size 16384
		.amdhsa_private_segment_fixed_size 0
		.amdhsa_kernarg_size 400
		.amdhsa_user_sgpr_count 6
		.amdhsa_user_sgpr_private_segment_buffer 1
		.amdhsa_user_sgpr_dispatch_ptr 0
		.amdhsa_user_sgpr_queue_ptr 0
		.amdhsa_user_sgpr_kernarg_segment_ptr 1
		.amdhsa_user_sgpr_dispatch_id 0
		.amdhsa_user_sgpr_flat_scratch_init 0
		.amdhsa_user_sgpr_private_segment_size 0
		.amdhsa_wavefront_size32 1
		.amdhsa_uses_dynamic_stack 0
		.amdhsa_system_sgpr_private_segment_wavefront_offset 0
		.amdhsa_system_sgpr_workgroup_id_x 1
		.amdhsa_system_sgpr_workgroup_id_y 0
		.amdhsa_system_sgpr_workgroup_id_z 1
		.amdhsa_system_sgpr_workgroup_info 0
		.amdhsa_system_vgpr_workitem_id 1
		.amdhsa_next_free_vgpr 42
		.amdhsa_next_free_sgpr 28
		.amdhsa_reserve_vcc 1
		.amdhsa_reserve_flat_scratch 1
		.amdhsa_float_round_mode_32 0
		.amdhsa_float_round_mode_16_64 0
		.amdhsa_float_denorm_mode_32 3
		.amdhsa_float_denorm_mode_16_64 3
		.amdhsa_dx10_clamp 1
		.amdhsa_ieee_mode 1
		.amdhsa_fp16_overflow 0
		.amdhsa_workgroup_processor_mode 1
		.amdhsa_memory_ordered 1
		.amdhsa_forward_progress 1
		.amdhsa_shared_vgpr_count 0
		.amdhsa_exception_fp_ieee_invalid_op 0
		.amdhsa_exception_fp_denorm_src 0
		.amdhsa_exception_fp_ieee_div_zero 0
		.amdhsa_exception_fp_ieee_overflow 0
		.amdhsa_exception_fp_ieee_underflow 0
		.amdhsa_exception_fp_ieee_inexact 0
		.amdhsa_exception_int_div_zero 0
	.end_amdhsa_kernel
	.section	.text._ZL20rocblas_gemvn_kernelILi64ELi16EiPK16rocblas_bfloat16PKfKPfEviiT3_lPKT2_lT1_lSA_lSB_lS7_lPT4_lSB_li,"axG",@progbits,_ZL20rocblas_gemvn_kernelILi64ELi16EiPK16rocblas_bfloat16PKfKPfEviiT3_lPKT2_lT1_lSA_lSB_lS7_lPT4_lSB_li,comdat
.Lfunc_end672:
	.size	_ZL20rocblas_gemvn_kernelILi64ELi16EiPK16rocblas_bfloat16PKfKPfEviiT3_lPKT2_lT1_lSA_lSB_lS7_lPT4_lSB_li, .Lfunc_end672-_ZL20rocblas_gemvn_kernelILi64ELi16EiPK16rocblas_bfloat16PKfKPfEviiT3_lPKT2_lT1_lSA_lSB_lS7_lPT4_lSB_li
                                        ; -- End function
	.set _ZL20rocblas_gemvn_kernelILi64ELi16EiPK16rocblas_bfloat16PKfKPfEviiT3_lPKT2_lT1_lSA_lSB_lS7_lPT4_lSB_li.num_vgpr, 42
	.set _ZL20rocblas_gemvn_kernelILi64ELi16EiPK16rocblas_bfloat16PKfKPfEviiT3_lPKT2_lT1_lSA_lSB_lS7_lPT4_lSB_li.num_agpr, 0
	.set _ZL20rocblas_gemvn_kernelILi64ELi16EiPK16rocblas_bfloat16PKfKPfEviiT3_lPKT2_lT1_lSA_lSB_lS7_lPT4_lSB_li.numbered_sgpr, 28
	.set _ZL20rocblas_gemvn_kernelILi64ELi16EiPK16rocblas_bfloat16PKfKPfEviiT3_lPKT2_lT1_lSA_lSB_lS7_lPT4_lSB_li.num_named_barrier, 0
	.set _ZL20rocblas_gemvn_kernelILi64ELi16EiPK16rocblas_bfloat16PKfKPfEviiT3_lPKT2_lT1_lSA_lSB_lS7_lPT4_lSB_li.private_seg_size, 0
	.set _ZL20rocblas_gemvn_kernelILi64ELi16EiPK16rocblas_bfloat16PKfKPfEviiT3_lPKT2_lT1_lSA_lSB_lS7_lPT4_lSB_li.uses_vcc, 1
	.set _ZL20rocblas_gemvn_kernelILi64ELi16EiPK16rocblas_bfloat16PKfKPfEviiT3_lPKT2_lT1_lSA_lSB_lS7_lPT4_lSB_li.uses_flat_scratch, 1
	.set _ZL20rocblas_gemvn_kernelILi64ELi16EiPK16rocblas_bfloat16PKfKPfEviiT3_lPKT2_lT1_lSA_lSB_lS7_lPT4_lSB_li.has_dyn_sized_stack, 0
	.set _ZL20rocblas_gemvn_kernelILi64ELi16EiPK16rocblas_bfloat16PKfKPfEviiT3_lPKT2_lT1_lSA_lSB_lS7_lPT4_lSB_li.has_recursion, 0
	.set _ZL20rocblas_gemvn_kernelILi64ELi16EiPK16rocblas_bfloat16PKfKPfEviiT3_lPKT2_lT1_lSA_lSB_lS7_lPT4_lSB_li.has_indirect_call, 0
	.section	.AMDGPU.csdata,"",@progbits
; Kernel info:
; codeLenInByte = 2984
; TotalNumSgprs: 30
; NumVgprs: 42
; ScratchSize: 0
; MemoryBound: 0
; FloatMode: 240
; IeeeMode: 1
; LDSByteSize: 16384 bytes/workgroup (compile time only)
; SGPRBlocks: 0
; VGPRBlocks: 5
; NumSGPRsForWavesPerEU: 30
; NumVGPRsForWavesPerEU: 42
; Occupancy: 16
; WaveLimiterHint : 1
; COMPUTE_PGM_RSRC2:SCRATCH_EN: 0
; COMPUTE_PGM_RSRC2:USER_SGPR: 6
; COMPUTE_PGM_RSRC2:TRAP_HANDLER: 0
; COMPUTE_PGM_RSRC2:TGID_X_EN: 1
; COMPUTE_PGM_RSRC2:TGID_Y_EN: 0
; COMPUTE_PGM_RSRC2:TGID_Z_EN: 1
; COMPUTE_PGM_RSRC2:TIDIG_COMP_CNT: 1
	.section	.text._ZL20rocblas_gemvn_kernelILi64ELi16ElPK16rocblas_bfloat16PKfKPfEviiT3_lPKT2_lT1_lSA_lSB_lS7_lPT4_lSB_li,"axG",@progbits,_ZL20rocblas_gemvn_kernelILi64ELi16ElPK16rocblas_bfloat16PKfKPfEviiT3_lPKT2_lT1_lSA_lSB_lS7_lPT4_lSB_li,comdat
	.globl	_ZL20rocblas_gemvn_kernelILi64ELi16ElPK16rocblas_bfloat16PKfKPfEviiT3_lPKT2_lT1_lSA_lSB_lS7_lPT4_lSB_li ; -- Begin function _ZL20rocblas_gemvn_kernelILi64ELi16ElPK16rocblas_bfloat16PKfKPfEviiT3_lPKT2_lT1_lSA_lSB_lS7_lPT4_lSB_li
	.p2align	8
	.type	_ZL20rocblas_gemvn_kernelILi64ELi16ElPK16rocblas_bfloat16PKfKPfEviiT3_lPKT2_lT1_lSA_lSB_lS7_lPT4_lSB_li,@function
_ZL20rocblas_gemvn_kernelILi64ELi16ElPK16rocblas_bfloat16PKfKPfEviiT3_lPKT2_lT1_lSA_lSB_lS7_lPT4_lSB_li: ; @_ZL20rocblas_gemvn_kernelILi64ELi16ElPK16rocblas_bfloat16PKfKPfEviiT3_lPKT2_lT1_lSA_lSB_lS7_lPT4_lSB_li
; %bb.0:
	s_load_dwordx2 s[0:1], s[4:5], 0x9c
	s_waitcnt lgkmcnt(0)
	s_lshr_b32 s2, s0, 16
	s_and_b32 s0, s0, 0xffff
	s_and_b32 s1, s1, 0xffff
	s_mul_i32 s0, s2, s0
	s_mul_i32 s0, s0, s1
	s_cmpk_lg_i32 s0, 0x400
	s_cbranch_scc1 .LBB673_54
; %bb.1:
	s_clause 0x1
	s_load_dwordx8 s[16:23], s[4:5], 0x8
	s_load_dwordx8 s[8:15], s[4:5], 0x58
	s_mov_b32 s26, s7
	s_mov_b32 s27, 0
	s_waitcnt lgkmcnt(0)
	s_mul_i32 s1, s19, s7
	s_mul_hi_u32 s2, s18, s7
	s_mul_i32 s0, s18, s7
	s_add_i32 s1, s2, s1
	s_mul_i32 s2, s11, s7
	s_lshl_b64 s[0:1], s[0:1], 2
	s_mul_hi_u32 s3, s10, s7
	s_add_u32 s0, s16, s0
	s_addc_u32 s1, s17, s1
	s_add_i32 s3, s3, s2
	s_mul_i32 s2, s10, s7
	s_lshl_b64 s[2:3], s[2:3], 2
	s_add_u32 s2, s8, s2
	s_addc_u32 s3, s9, s3
	s_load_dword s29, s[0:1], 0x0
	s_load_dword s28, s[2:3], 0x0
	s_waitcnt lgkmcnt(0)
	v_cmp_eq_f32_e64 s7, s29, 0
	v_cmp_eq_f32_e64 s0, s28, 1.0
	s_and_b32 s0, s7, s0
	s_and_b32 vcc_lo, exec_lo, s0
	s_cbranch_vccnz .LBB673_54
; %bb.2:
	s_clause 0x1
	s_load_dwordx2 s[16:17], s[4:5], 0x28
	s_load_dwordx2 s[8:9], s[4:5], 0x78
	v_cmp_neq_f32_e64 s10, s29, 0
	s_mov_b64 s[24:25], 0
	s_and_b32 vcc_lo, exec_lo, s7
	s_mov_b64 s[18:19], 0
	s_cbranch_vccnz .LBB673_4
; %bb.3:
	s_lshl_b64 s[0:1], s[26:27], 3
	s_add_u32 s0, s20, s0
	s_addc_u32 s1, s21, s1
	s_lshl_b64 s[2:3], s[22:23], 1
	s_load_dwordx2 s[0:1], s[0:1], 0x0
	s_waitcnt lgkmcnt(0)
	s_add_u32 s18, s0, s2
	s_addc_u32 s19, s1, s3
.LBB673_4:
	s_clause 0x1
	s_load_dwordx4 s[0:3], s[4:5], 0x38
	s_load_dwordx2 s[20:21], s[4:5], 0x48
	s_andn2_b32 vcc_lo, exec_lo, s10
	s_cbranch_vccnz .LBB673_6
; %bb.5:
	s_lshl_b64 s[10:11], s[26:27], 3
	s_waitcnt lgkmcnt(0)
	s_add_u32 s0, s0, s10
	s_addc_u32 s1, s1, s11
	s_lshl_b64 s[2:3], s[2:3], 1
	s_load_dwordx2 s[0:1], s[0:1], 0x0
	s_waitcnt lgkmcnt(0)
	s_add_u32 s24, s0, s2
	s_addc_u32 s25, s1, s3
.LBB673_6:
	s_waitcnt lgkmcnt(0)
	s_lshl_b64 s[0:1], s[26:27], 3
	v_lshlrev_b32_e32 v22, 6, v1
	s_add_u32 s0, s12, s0
	s_addc_u32 s1, s13, s1
	s_lshl_b64 s[12:13], s[14:15], 2
	s_load_dwordx2 s[2:3], s[0:1], 0x0
	s_load_dwordx2 s[10:11], s[4:5], 0x0
	v_add_nc_u32_e32 v21, v22, v0
	v_cmp_gt_u32_e64 s0, 0x100, v21
	s_waitcnt lgkmcnt(0)
	s_add_u32 s5, s2, s12
	s_addc_u32 s22, s3, s13
	s_andn2_b32 vcc_lo, exec_lo, s7
	s_cbranch_vccnz .LBB673_13
; %bb.7:
	s_mov_b32 s1, 0
	s_mov_b32 s23, 0
                                        ; implicit-def: $vgpr3
                                        ; implicit-def: $vgpr4_vgpr5
	s_and_saveexec_b32 s2, s0
	s_cbranch_execz .LBB673_14
; %bb.8:
	v_lshl_or_b32 v2, s6, 8, v21
	v_mov_b32_e32 v3, 0
	s_ashr_i32 s13, s10, 31
	s_mov_b32 s12, s10
	s_mov_b32 s3, 0
	s_mov_b32 s0, exec_lo
                                        ; implicit-def: $vgpr4_vgpr5
	v_cmpx_gt_i64_e64 s[12:13], v[2:3]
	s_cbranch_execz .LBB673_12
; %bb.9:
	v_mad_u64_u32 v[4:5], null, s8, v2, 0
	v_cmp_eq_f32_e64 s3, s28, 0
	s_and_b32 vcc_lo, exec_lo, s3
	v_mad_u64_u32 v[5:6], null, s9, v2, v[5:6]
	s_cbranch_vccnz .LBB673_11
; %bb.10:
	v_lshlrev_b64 v[2:3], 2, v[4:5]
	v_add_co_u32 v2, vcc_lo, s5, v2
	v_add_co_ci_u32_e64 v3, null, s22, v3, vcc_lo
	flat_load_dword v2, v[2:3]
	s_waitcnt vmcnt(0) lgkmcnt(0)
	v_mul_f32_e32 v3, s28, v2
.LBB673_11:
	s_mov_b32 s3, exec_lo
.LBB673_12:
	s_or_b32 exec_lo, exec_lo, s0
	s_and_b32 s23, s3, exec_lo
	s_or_b32 exec_lo, exec_lo, s2
	s_and_b32 vcc_lo, exec_lo, s1
	s_cbranch_vccnz .LBB673_15
	s_branch .LBB673_52
.LBB673_13:
	s_mov_b32 s23, 0
                                        ; implicit-def: $vgpr3
                                        ; implicit-def: $vgpr4_vgpr5
	s_cbranch_execnz .LBB673_15
	s_branch .LBB673_52
.LBB673_14:
	s_or_b32 exec_lo, exec_lo, s2
	s_and_b32 vcc_lo, exec_lo, s1
	s_cbranch_vccz .LBB673_52
.LBB673_15:
	s_ashr_i32 s0, s11, 31
	s_lshl_b32 s26, s6, 8
	s_lshr_b32 s0, s0, 26
	v_lshlrev_b32_e32 v27, 2, v1
	v_mov_b32_e32 v23, 0
	v_add_nc_u32_e32 v2, s26, v0
	v_mov_b32_e32 v24, 0
	v_mov_b32_e32 v25, 0
	;; [unrolled: 1-line block ×3, first 2 shown]
	s_add_i32 s27, s11, s0
	s_mov_b32 s30, exec_lo
	s_andn2_b32 s27, s27, 63
	v_cmpx_gt_i32_e64 s27, v27
	s_cbranch_execz .LBB673_27
; %bb.16:
	v_lshlrev_b32_e32 v25, 2, v1
	v_add_nc_u32_e32 v4, 64, v2
	v_mad_u64_u32 v[7:8], null, s20, v1, 0
	v_mad_u64_u32 v[9:10], null, s16, v1, 0
	v_or_b32_e32 v26, 3, v25
	v_add_nc_u32_e32 v11, 0x80, v2
	v_add_nc_u32_e32 v12, 0xc0, v2
	v_cmp_gt_i32_e64 s0, s10, v4
	v_or_b32_e32 v32, 2, v25
	v_mad_u64_u32 v[5:6], null, s16, v26, 0
	v_cmp_gt_i32_e64 s1, s10, v11
	v_cmp_gt_i32_e64 s2, s10, v12
	v_mad_u64_u32 v[16:17], null, s16, v32, 0
	v_mad_u64_u32 v[18:19], null, s20, v26, 0
	v_mov_b32_e32 v4, v6
	v_mov_b32_e32 v6, v8
	v_mov_b32_e32 v8, v10
	v_ashrrev_i32_e32 v3, 31, v2
	s_lshl_b64 s[6:7], s[16:17], 7
	v_mad_u64_u32 v[11:12], null, s17, v26, v[4:5]
	v_mad_u64_u32 v[12:13], null, s21, v1, v[6:7]
	;; [unrolled: 1-line block ×4, first 2 shown]
	v_mov_b32_e32 v6, v11
	v_lshlrev_b64 v[3:4], 1, v[2:3]
	v_mov_b32_e32 v8, v12
	s_lshl_b64 s[12:13], s[20:21], 7
	v_mov_b32_e32 v10, v13
	v_lshlrev_b64 v[11:12], 1, v[5:6]
	s_mov_b32 s31, 0
	v_lshlrev_b64 v[5:6], 3, v[7:8]
	v_mov_b32_e32 v7, v17
	v_mov_b32_e32 v8, v15
	v_lshlrev_b64 v[9:10], 3, v[9:10]
	v_add_co_u32 v28, s3, s18, v11
	v_add_co_ci_u32_e64 v29, null, s19, v12, s3
	v_mad_u64_u32 v[11:12], null, s16, v25, s[16:17]
	v_mad_u64_u32 v[23:24], null, s17, v32, v[7:8]
	v_mov_b32_e32 v7, v19
	v_mad_u64_u32 v[19:20], null, s21, v25, v[8:9]
	v_add_co_u32 v30, s3, s18, v9
	v_mad_u64_u32 v[7:8], null, s21, v26, v[7:8]
	v_mov_b32_e32 v8, v12
	v_mov_b32_e32 v17, v23
	v_mad_u64_u32 v[23:24], null, s20, v32, 0
	v_mov_b32_e32 v15, v19
	v_mad_u64_u32 v[12:13], null, s17, v25, v[8:9]
	v_lshlrev_b64 v[16:17], 1, v[16:17]
	v_mov_b32_e32 v19, v7
	v_add_co_ci_u32_e64 v31, null, s19, v10, s3
	v_mov_b32_e32 v8, v24
	v_mov_b32_e32 v26, 0
	v_lshlrev_b64 v[11:12], 1, v[11:12]
	s_mov_b64 s[14:15], s[24:25]
	v_cmp_gt_i32_e32 vcc_lo, s10, v2
	v_mad_u64_u32 v[24:25], null, s21, v32, v[8:9]
	v_add_co_u32 v32, s3, s18, v16
	v_add_co_ci_u32_e64 v33, null, s19, v17, s3
	v_add_co_u32 v34, s3, s18, v11
	v_lshlrev_b64 v[7:8], 1, v[14:15]
	v_lshlrev_b64 v[9:10], 1, v[18:19]
	v_add_co_ci_u32_e64 v35, null, s19, v12, s3
	v_lshlrev_b64 v[11:12], 1, v[23:24]
	v_mov_b32_e32 v23, 0
	v_mov_b32_e32 v24, 0
	v_mov_b32_e32 v25, 0
	s_branch .LBB673_21
.LBB673_17:                             ;   in Loop: Header=BB673_21 Depth=1
	s_or_b32 exec_lo, exec_lo, s34
	s_waitcnt vmcnt(3) lgkmcnt(3)
	v_lshlrev_b32_e32 v13, 16, v51
	s_waitcnt vmcnt(2) lgkmcnt(2)
	v_lshlrev_b32_e32 v14, 16, v50
	v_fmac_f32_e32 v25, v43, v13
	s_waitcnt vmcnt(1) lgkmcnt(1)
	v_lshlrev_b32_e32 v13, 16, v49
	v_fmac_f32_e32 v25, v39, v14
	v_fmac_f32_e32 v25, v41, v13
	s_waitcnt vmcnt(0) lgkmcnt(0)
	v_lshlrev_b32_e32 v13, 16, v48
	v_fmac_f32_e32 v25, v37, v13
.LBB673_18:                             ;   in Loop: Header=BB673_21 Depth=1
	s_or_b32 exec_lo, exec_lo, s33
	s_waitcnt vmcnt(3) lgkmcnt(3)
	v_lshlrev_b32_e32 v13, 16, v47
	s_waitcnt vmcnt(2) lgkmcnt(2)
	v_lshlrev_b32_e32 v14, 16, v46
	v_fmac_f32_e32 v24, v43, v13
	s_waitcnt vmcnt(1) lgkmcnt(1)
	v_lshlrev_b32_e32 v13, 16, v45
	v_fmac_f32_e32 v24, v39, v14
	v_fmac_f32_e32 v24, v41, v13
	s_waitcnt vmcnt(0) lgkmcnt(0)
	v_lshlrev_b32_e32 v13, 16, v44
	v_fmac_f32_e32 v24, v37, v13
.LBB673_19:                             ;   in Loop: Header=BB673_21 Depth=1
	s_or_b32 exec_lo, exec_lo, s3
	s_waitcnt vmcnt(3) lgkmcnt(3)
	v_lshlrev_b32_e32 v13, 16, v42
	s_waitcnt vmcnt(2) lgkmcnt(2)
	v_lshlrev_b32_e32 v14, 16, v40
	v_fmac_f32_e32 v23, v43, v13
	s_waitcnt vmcnt(1) lgkmcnt(1)
	v_lshlrev_b32_e32 v13, 16, v38
	v_fmac_f32_e32 v23, v39, v14
	v_fmac_f32_e32 v23, v41, v13
	s_waitcnt vmcnt(0) lgkmcnt(0)
	v_lshlrev_b32_e32 v13, 16, v36
	v_fmac_f32_e32 v23, v37, v13
.LBB673_20:                             ;   in Loop: Header=BB673_21 Depth=1
	s_or_b32 exec_lo, exec_lo, s4
	v_add_co_u32 v28, s3, v28, s6
	v_add_nc_u32_e32 v27, 64, v27
	v_add_co_ci_u32_e64 v29, null, s7, v29, s3
	v_add_co_u32 v30, s3, v30, s6
	v_add_co_ci_u32_e64 v31, null, s7, v31, s3
	v_add_co_u32 v32, s3, v32, s6
	v_add_co_ci_u32_e64 v33, null, s7, v33, s3
	v_cmp_le_i32_e64 s3, s27, v27
	v_add_co_u32 v34, s4, v34, s6
	v_add_co_ci_u32_e64 v35, null, s7, v35, s4
	s_add_u32 s14, s14, s12
	s_addc_u32 s15, s15, s13
	s_or_b32 s31, s3, s31
	s_andn2_b32 exec_lo, exec_lo, s31
	s_cbranch_execz .LBB673_26
.LBB673_21:                             ; =>This Inner Loop Header: Depth=1
	s_and_saveexec_b32 s4, vcc_lo
	s_cbranch_execz .LBB673_20
; %bb.22:                               ;   in Loop: Header=BB673_21 Depth=1
	v_add_co_u32 v13, s3, s14, v5
	v_add_co_ci_u32_e64 v14, null, s15, v6, s3
	v_add_co_u32 v15, s3, s14, v7
	v_add_co_ci_u32_e64 v16, null, s15, v8, s3
	;; [unrolled: 2-line block ×4, first 2 shown]
	s_clause 0x3
	flat_load_ushort v37, v[13:14]
	flat_load_ushort v39, v[15:16]
	flat_load_ushort v41, v[17:18]
	flat_load_ushort v44, v[19:20]
	v_add_co_u32 v13, s3, v30, v3
	v_add_co_ci_u32_e64 v14, null, v31, v4, s3
	v_add_co_u32 v17, s3, v34, v3
	v_add_co_ci_u32_e64 v18, null, v35, v4, s3
	;; [unrolled: 2-line block ×4, first 2 shown]
	flat_load_ushort v42, v[13:14]
	flat_load_ushort v40, v[17:18]
	;; [unrolled: 1-line block ×4, first 2 shown]
	s_waitcnt vmcnt(7) lgkmcnt(7)
	v_lshlrev_b32_e32 v43, 16, v37
	s_waitcnt vmcnt(6) lgkmcnt(6)
	v_lshlrev_b32_e32 v39, 16, v39
	s_waitcnt vmcnt(5) lgkmcnt(5)
	v_lshlrev_b32_e32 v41, 16, v41
	s_waitcnt vmcnt(4) lgkmcnt(4)
	v_lshlrev_b32_e32 v37, 16, v44
	s_and_saveexec_b32 s3, s0
	s_cbranch_execz .LBB673_19
; %bb.23:                               ;   in Loop: Header=BB673_21 Depth=1
	flat_load_ushort v47, v[13:14] offset:128
	flat_load_ushort v46, v[17:18] offset:128
	flat_load_ushort v45, v[15:16] offset:128
	flat_load_ushort v44, v[19:20] offset:128
	s_and_saveexec_b32 s33, s1
	s_cbranch_execz .LBB673_18
; %bb.24:                               ;   in Loop: Header=BB673_21 Depth=1
	flat_load_ushort v51, v[13:14] offset:256
	flat_load_ushort v50, v[17:18] offset:256
	flat_load_ushort v49, v[15:16] offset:256
	flat_load_ushort v48, v[19:20] offset:256
	;; [unrolled: 7-line block ×3, first 2 shown]
	s_waitcnt vmcnt(3) lgkmcnt(3)
	v_lshlrev_b32_e32 v13, 16, v13
	s_waitcnt vmcnt(2) lgkmcnt(2)
	v_lshlrev_b32_e32 v14, 16, v14
	v_fmac_f32_e32 v26, v43, v13
	s_waitcnt vmcnt(1) lgkmcnt(1)
	v_lshlrev_b32_e32 v13, 16, v15
	v_fmac_f32_e32 v26, v39, v14
	;; [unrolled: 3-line block ×3, first 2 shown]
	v_fmac_f32_e32 v26, v37, v14
	s_branch .LBB673_17
.LBB673_26:
	s_or_b32 exec_lo, exec_lo, s31
.LBB673_27:
	s_or_b32 exec_lo, exec_lo, s30
	s_sub_i32 s0, s11, s27
	s_cmp_lt_i32 s0, 1
	s_cbranch_scc1 .LBB673_45
; %bb.28:
	v_cmp_gt_i32_e32 vcc_lo, s11, v27
	v_mov_b32_e32 v12, 0
	v_or_b32_e32 v4, 1, v27
	v_mov_b32_e32 v11, 0
	v_mov_b32_e32 v14, 0
	;; [unrolled: 1-line block ×3, first 2 shown]
	s_and_saveexec_b32 s1, vcc_lo
	s_cbranch_execz .LBB673_36
; %bb.29:
	v_mad_u64_u32 v[5:6], null, s20, v27, 0
	v_mov_b32_e32 v13, 0
	v_mov_b32_e32 v11, 0
	;; [unrolled: 1-line block ×3, first 2 shown]
	s_mov_b32 s2, exec_lo
	v_mov_b32_e32 v3, v6
	v_mad_u64_u32 v[6:7], null, s21, v27, v[3:4]
	v_lshlrev_b64 v[5:6], 1, v[5:6]
	v_add_co_u32 v5, s0, s24, v5
	v_add_co_ci_u32_e64 v6, null, s25, v6, s0
	flat_load_ushort v3, v[5:6]
	v_cmpx_gt_i32_e64 s11, v4
	s_cbranch_execz .LBB673_35
; %bb.30:
	v_mad_u64_u32 v[5:6], null, s20, v4, 0
	v_mov_b32_e32 v11, 0
	v_mov_b32_e32 v12, 0
	s_mov_b32 s3, exec_lo
	v_mad_u64_u32 v[6:7], null, s21, v4, v[6:7]
	v_lshlrev_b64 v[5:6], 1, v[5:6]
	v_add_co_u32 v5, s0, s24, v5
	v_add_co_ci_u32_e64 v6, null, s25, v6, s0
	flat_load_ushort v5, v[5:6]
	v_or_b32_e32 v6, 2, v27
	v_cmpx_gt_i32_e64 s11, v6
	s_cbranch_execz .LBB673_34
; %bb.31:
	v_mad_u64_u32 v[7:8], null, s20, v6, 0
	v_mov_b32_e32 v11, 0
	s_mov_b32 s4, exec_lo
	v_mad_u64_u32 v[8:9], null, s21, v6, v[8:9]
	v_lshlrev_b64 v[6:7], 1, v[7:8]
	v_add_co_u32 v6, s0, s24, v6
	v_add_co_ci_u32_e64 v7, null, s25, v7, s0
	flat_load_ushort v6, v[6:7]
	v_or_b32_e32 v7, 3, v27
	v_cmpx_gt_i32_e64 s11, v7
	s_cbranch_execz .LBB673_33
; %bb.32:
	v_mad_u64_u32 v[8:9], null, s20, v7, 0
	v_mad_u64_u32 v[9:10], null, s21, v7, v[9:10]
	v_lshlrev_b64 v[7:8], 1, v[8:9]
	v_add_co_u32 v7, s0, s24, v7
	v_add_co_ci_u32_e64 v8, null, s25, v8, s0
	flat_load_ushort v7, v[7:8]
	s_waitcnt vmcnt(0) lgkmcnt(0)
	v_lshlrev_b32_e32 v11, 16, v7
.LBB673_33:
	s_or_b32 exec_lo, exec_lo, s4
	s_waitcnt vmcnt(0) lgkmcnt(0)
	v_lshlrev_b32_e32 v12, 16, v6
.LBB673_34:
	s_or_b32 exec_lo, exec_lo, s3
	s_waitcnt vmcnt(0) lgkmcnt(0)
	v_lshlrev_b32_e32 v13, 16, v5
.LBB673_35:
	s_or_b32 exec_lo, exec_lo, s2
	s_waitcnt vmcnt(0) lgkmcnt(0)
	v_lshlrev_b32_e32 v14, 16, v3
.LBB673_36:
	s_or_b32 exec_lo, exec_lo, s1
	s_mov_b32 s1, exec_lo
	v_cmpx_gt_i32_e64 s10, v2
	s_cbranch_execz .LBB673_44
; %bb.37:
	v_mad_u64_u32 v[5:6], null, s16, v27, 0
	v_mad_u64_u32 v[7:8], null, s16, v4, 0
	v_ashrrev_i32_e32 v3, 31, v2
	v_or_b32_e32 v20, 2, v27
	v_or_b32_e32 v29, 3, v27
	v_cndmask_b32_e32 v5, 0, v5, vcc_lo
	v_lshlrev_b64 v[9:10], 1, v[2:3]
	v_mad_u64_u32 v[15:16], null, s17, v27, v[6:7]
	v_mov_b32_e32 v3, v8
	v_mad_u64_u32 v[16:17], null, s16, v20, 0
	v_mad_u64_u32 v[18:19], null, s16, v29, 0
	;; [unrolled: 1-line block ×3, first 2 shown]
	v_cndmask_b32_e32 v6, 0, v15, vcc_lo
	v_cmp_gt_i32_e32 vcc_lo, s11, v4
	v_mov_b32_e32 v3, v17
	v_cmp_gt_i32_e64 s0, s11, v20
	v_mov_b32_e32 v8, v19
	v_cndmask_b32_e32 v4, 0, v7, vcc_lo
	v_lshlrev_b64 v[6:7], 1, v[5:6]
	v_cndmask_b32_e32 v5, 0, v27, vcc_lo
	v_mad_u64_u32 v[19:20], null, s17, v20, v[3:4]
	v_add_co_u32 v3, vcc_lo, s18, v6
	v_add_co_ci_u32_e64 v7, null, s19, v7, vcc_lo
	v_lshlrev_b64 v[5:6], 1, v[4:5]
	v_add_co_u32 v3, vcc_lo, v3, v9
	v_add_co_ci_u32_e64 v4, null, v7, v10, vcc_lo
	v_cndmask_b32_e64 v7, 0, v16, s0
	v_mad_u64_u32 v[15:16], null, s17, v29, v[8:9]
	v_add_co_u32 v5, vcc_lo, s18, v5
	v_add_co_ci_u32_e64 v6, null, s19, v6, vcc_lo
	v_cmp_gt_i32_e32 vcc_lo, s11, v29
	v_cndmask_b32_e64 v8, 0, v19, s0
	v_add_co_u32 v5, s0, v5, v9
	v_add_co_ci_u32_e64 v6, null, v6, v10, s0
	v_cndmask_b32_e32 v16, 0, v18, vcc_lo
	v_cndmask_b32_e32 v17, 0, v15, vcc_lo
	v_lshlrev_b64 v[7:8], 1, v[7:8]
	s_clause 0x1
	flat_load_ushort v18, v[3:4]
	flat_load_ushort v19, v[5:6]
	s_mov_b32 s0, exec_lo
	v_lshlrev_b64 v[15:16], 1, v[16:17]
	v_add_co_u32 v7, vcc_lo, s18, v7
	v_add_co_ci_u32_e64 v8, null, s19, v8, vcc_lo
	v_add_co_u32 v15, vcc_lo, s18, v15
	v_add_co_ci_u32_e64 v16, null, s19, v16, vcc_lo
	;; [unrolled: 2-line block ×4, first 2 shown]
	s_clause 0x1
	flat_load_ushort v15, v[7:8]
	flat_load_ushort v16, v[9:10]
	s_waitcnt vmcnt(3) lgkmcnt(3)
	v_lshlrev_b32_e32 v17, 16, v18
	s_waitcnt vmcnt(2) lgkmcnt(2)
	v_lshlrev_b32_e32 v18, 16, v19
	v_fmac_f32_e32 v23, v14, v17
	v_fmac_f32_e32 v23, v13, v18
	v_add_nc_u32_e32 v18, 64, v2
	s_waitcnt vmcnt(1) lgkmcnt(1)
	v_lshlrev_b32_e32 v17, 16, v15
	s_waitcnt vmcnt(0) lgkmcnt(0)
	v_lshlrev_b32_e32 v15, 16, v16
	v_fmac_f32_e32 v23, v12, v17
	v_cmpx_gt_i32_e64 s10, v18
	s_cbranch_execz .LBB673_43
; %bb.38:
	s_clause 0x3
	flat_load_ushort v16, v[3:4] offset:128
	flat_load_ushort v17, v[5:6] offset:128
	;; [unrolled: 1-line block ×4, first 2 shown]
	s_mov_b32 s2, exec_lo
	s_waitcnt vmcnt(3) lgkmcnt(3)
	v_lshlrev_b32_e32 v16, 16, v16
	s_waitcnt vmcnt(2) lgkmcnt(2)
	v_lshlrev_b32_e32 v17, 16, v17
	;; [unrolled: 2-line block ×3, first 2 shown]
	v_fmac_f32_e32 v24, v14, v16
	s_waitcnt vmcnt(0) lgkmcnt(0)
	v_lshlrev_b32_e32 v16, 16, v19
	v_fmac_f32_e32 v24, v13, v17
	v_add_nc_u32_e32 v17, 0x80, v2
	v_fmac_f32_e32 v24, v12, v18
	v_cmpx_gt_i32_e64 s10, v17
	s_cbranch_execz .LBB673_42
; %bb.39:
	s_clause 0x3
	flat_load_ushort v17, v[3:4] offset:256
	flat_load_ushort v18, v[5:6] offset:256
	;; [unrolled: 1-line block ×4, first 2 shown]
	s_mov_b32 s3, exec_lo
	s_waitcnt vmcnt(3) lgkmcnt(3)
	v_lshlrev_b32_e32 v17, 16, v17
	s_waitcnt vmcnt(2) lgkmcnt(2)
	v_lshlrev_b32_e32 v18, 16, v18
	v_fmac_f32_e32 v25, v14, v17
	s_waitcnt vmcnt(1) lgkmcnt(1)
	v_lshlrev_b32_e32 v17, 16, v19
	v_fmac_f32_e32 v25, v13, v18
	v_add_nc_u32_e32 v18, 0xc0, v2
	s_waitcnt vmcnt(0) lgkmcnt(0)
	v_lshlrev_b32_e32 v2, 16, v20
	v_fmac_f32_e32 v25, v12, v17
	v_cmpx_gt_i32_e64 s10, v18
	s_cbranch_execz .LBB673_41
; %bb.40:
	s_clause 0x3
	flat_load_ushort v3, v[3:4] offset:384
	flat_load_ushort v4, v[5:6] offset:384
	;; [unrolled: 1-line block ×4, first 2 shown]
	s_waitcnt vmcnt(3) lgkmcnt(3)
	v_lshlrev_b32_e32 v3, 16, v3
	s_waitcnt vmcnt(2) lgkmcnt(2)
	v_lshlrev_b32_e32 v4, 16, v4
	v_fmac_f32_e32 v26, v14, v3
	s_waitcnt vmcnt(1) lgkmcnt(1)
	v_lshlrev_b32_e32 v3, 16, v5
	v_fmac_f32_e32 v26, v13, v4
	;; [unrolled: 3-line block ×3, first 2 shown]
	v_fmac_f32_e32 v26, v11, v4
.LBB673_41:
	s_or_b32 exec_lo, exec_lo, s3
	v_fmac_f32_e32 v25, v11, v2
.LBB673_42:
	s_or_b32 exec_lo, exec_lo, s2
	v_fmac_f32_e32 v24, v11, v16
.LBB673_43:
	s_or_b32 exec_lo, exec_lo, s0
	v_fmac_f32_e32 v23, v11, v15
.LBB673_44:
	s_or_b32 exec_lo, exec_lo, s1
.LBB673_45:
	v_lshlrev_b32_e32 v0, 2, v0
	s_mov_b32 s0, exec_lo
                                        ; implicit-def: $vgpr3
                                        ; implicit-def: $vgpr4_vgpr5
	v_lshl_add_u32 v1, v1, 10, v0
	ds_write2st64_b32 v1, v23, v24 offset1:1
	ds_write2st64_b32 v1, v25, v26 offset0:2 offset1:3
	s_waitcnt lgkmcnt(0)
	s_barrier
	buffer_gl0_inv
	v_cmpx_gt_u32_e32 0x100, v21
	s_cbranch_execz .LBB673_51
; %bb.46:
	v_lshl_add_u32 v6, v22, 2, v0
	s_mov_b32 s2, s23
	s_mov_b32 s1, exec_lo
	ds_read2st64_b32 v[0:1], v6 offset1:4
	ds_read2st64_b32 v[2:3], v6 offset0:8 offset1:12
	ds_read2st64_b32 v[4:5], v6 offset0:16 offset1:20
	s_waitcnt lgkmcnt(2)
	v_add_f32_e32 v7, v0, v1
	ds_read2st64_b32 v[0:1], v6 offset0:24 offset1:28
	s_waitcnt lgkmcnt(2)
	v_add_f32_e32 v2, v2, v7
	v_add_f32_e32 v7, v3, v2
	ds_read2st64_b32 v[2:3], v6 offset0:32 offset1:36
	s_waitcnt lgkmcnt(2)
	v_add_f32_e32 v4, v4, v7
	;; [unrolled: 4-line block ×3, first 2 shown]
	v_add_f32_e32 v0, v1, v0
	s_waitcnt lgkmcnt(1)
	v_add_f32_e32 v2, v2, v0
	ds_read2st64_b32 v[0:1], v6 offset0:48 offset1:52
	v_add_f32_e32 v2, v3, v2
	s_waitcnt lgkmcnt(1)
	v_add_f32_e32 v4, v4, v2
	ds_read2st64_b32 v[2:3], v6 offset0:56 offset1:60
	v_add_f32_e32 v4, v5, v4
	s_waitcnt lgkmcnt(1)
	v_add_f32_e32 v0, v0, v4
                                        ; implicit-def: $vgpr4_vgpr5
	v_add_f32_e32 v0, v1, v0
	v_or_b32_e32 v1, s26, v21
	s_waitcnt lgkmcnt(0)
	v_add_f32_e32 v0, v2, v0
	v_add_f32_e32 v0, v3, v0
                                        ; implicit-def: $vgpr3
	ds_write_b32 v6, v0
	v_cmpx_gt_i32_e64 s10, v1
	s_cbranch_execz .LBB673_50
; %bb.47:
	v_ashrrev_i32_e32 v2, 31, v1
	v_mul_lo_u32 v6, s9, v1
	v_mad_u64_u32 v[4:5], null, s8, v1, 0
	v_cmp_eq_f32_e64 s2, s28, 0
	v_mul_lo_u32 v1, s8, v2
	v_mul_f32_e32 v3, s29, v0
	s_and_b32 vcc_lo, exec_lo, s2
	v_add3_u32 v5, v5, v1, v6
	s_cbranch_vccnz .LBB673_49
; %bb.48:
	v_lshlrev_b64 v[0:1], 2, v[4:5]
	v_add_co_u32 v0, vcc_lo, s5, v0
	v_add_co_ci_u32_e64 v1, null, s22, v1, vcc_lo
	flat_load_dword v0, v[0:1]
	s_waitcnt vmcnt(0) lgkmcnt(0)
	v_fmac_f32_e32 v3, s28, v0
.LBB673_49:
	s_or_b32 s2, s23, exec_lo
.LBB673_50:
	s_or_b32 exec_lo, exec_lo, s1
	s_andn2_b32 s1, s23, exec_lo
	s_and_b32 s2, s2, exec_lo
	s_or_b32 s23, s1, s2
.LBB673_51:
	s_or_b32 exec_lo, exec_lo, s0
.LBB673_52:
	s_and_saveexec_b32 s0, s23
	s_cbranch_execz .LBB673_54
; %bb.53:
	v_lshlrev_b64 v[0:1], 2, v[4:5]
	v_add_co_u32 v0, vcc_lo, s5, v0
	v_add_co_ci_u32_e64 v1, null, s22, v1, vcc_lo
	flat_store_dword v[0:1], v3
.LBB673_54:
	s_endpgm
	.section	.rodata,"a",@progbits
	.p2align	6, 0x0
	.amdhsa_kernel _ZL20rocblas_gemvn_kernelILi64ELi16ElPK16rocblas_bfloat16PKfKPfEviiT3_lPKT2_lT1_lSA_lSB_lS7_lPT4_lSB_li
		.amdhsa_group_segment_fixed_size 16384
		.amdhsa_private_segment_fixed_size 0
		.amdhsa_kernarg_size 400
		.amdhsa_user_sgpr_count 6
		.amdhsa_user_sgpr_private_segment_buffer 1
		.amdhsa_user_sgpr_dispatch_ptr 0
		.amdhsa_user_sgpr_queue_ptr 0
		.amdhsa_user_sgpr_kernarg_segment_ptr 1
		.amdhsa_user_sgpr_dispatch_id 0
		.amdhsa_user_sgpr_flat_scratch_init 0
		.amdhsa_user_sgpr_private_segment_size 0
		.amdhsa_wavefront_size32 1
		.amdhsa_uses_dynamic_stack 0
		.amdhsa_system_sgpr_private_segment_wavefront_offset 0
		.amdhsa_system_sgpr_workgroup_id_x 1
		.amdhsa_system_sgpr_workgroup_id_y 0
		.amdhsa_system_sgpr_workgroup_id_z 1
		.amdhsa_system_sgpr_workgroup_info 0
		.amdhsa_system_vgpr_workitem_id 1
		.amdhsa_next_free_vgpr 52
		.amdhsa_next_free_sgpr 35
		.amdhsa_reserve_vcc 1
		.amdhsa_reserve_flat_scratch 1
		.amdhsa_float_round_mode_32 0
		.amdhsa_float_round_mode_16_64 0
		.amdhsa_float_denorm_mode_32 3
		.amdhsa_float_denorm_mode_16_64 3
		.amdhsa_dx10_clamp 1
		.amdhsa_ieee_mode 1
		.amdhsa_fp16_overflow 0
		.amdhsa_workgroup_processor_mode 1
		.amdhsa_memory_ordered 1
		.amdhsa_forward_progress 1
		.amdhsa_shared_vgpr_count 0
		.amdhsa_exception_fp_ieee_invalid_op 0
		.amdhsa_exception_fp_denorm_src 0
		.amdhsa_exception_fp_ieee_div_zero 0
		.amdhsa_exception_fp_ieee_overflow 0
		.amdhsa_exception_fp_ieee_underflow 0
		.amdhsa_exception_fp_ieee_inexact 0
		.amdhsa_exception_int_div_zero 0
	.end_amdhsa_kernel
	.section	.text._ZL20rocblas_gemvn_kernelILi64ELi16ElPK16rocblas_bfloat16PKfKPfEviiT3_lPKT2_lT1_lSA_lSB_lS7_lPT4_lSB_li,"axG",@progbits,_ZL20rocblas_gemvn_kernelILi64ELi16ElPK16rocblas_bfloat16PKfKPfEviiT3_lPKT2_lT1_lSA_lSB_lS7_lPT4_lSB_li,comdat
.Lfunc_end673:
	.size	_ZL20rocblas_gemvn_kernelILi64ELi16ElPK16rocblas_bfloat16PKfKPfEviiT3_lPKT2_lT1_lSA_lSB_lS7_lPT4_lSB_li, .Lfunc_end673-_ZL20rocblas_gemvn_kernelILi64ELi16ElPK16rocblas_bfloat16PKfKPfEviiT3_lPKT2_lT1_lSA_lSB_lS7_lPT4_lSB_li
                                        ; -- End function
	.set _ZL20rocblas_gemvn_kernelILi64ELi16ElPK16rocblas_bfloat16PKfKPfEviiT3_lPKT2_lT1_lSA_lSB_lS7_lPT4_lSB_li.num_vgpr, 52
	.set _ZL20rocblas_gemvn_kernelILi64ELi16ElPK16rocblas_bfloat16PKfKPfEviiT3_lPKT2_lT1_lSA_lSB_lS7_lPT4_lSB_li.num_agpr, 0
	.set _ZL20rocblas_gemvn_kernelILi64ELi16ElPK16rocblas_bfloat16PKfKPfEviiT3_lPKT2_lT1_lSA_lSB_lS7_lPT4_lSB_li.numbered_sgpr, 35
	.set _ZL20rocblas_gemvn_kernelILi64ELi16ElPK16rocblas_bfloat16PKfKPfEviiT3_lPKT2_lT1_lSA_lSB_lS7_lPT4_lSB_li.num_named_barrier, 0
	.set _ZL20rocblas_gemvn_kernelILi64ELi16ElPK16rocblas_bfloat16PKfKPfEviiT3_lPKT2_lT1_lSA_lSB_lS7_lPT4_lSB_li.private_seg_size, 0
	.set _ZL20rocblas_gemvn_kernelILi64ELi16ElPK16rocblas_bfloat16PKfKPfEviiT3_lPKT2_lT1_lSA_lSB_lS7_lPT4_lSB_li.uses_vcc, 1
	.set _ZL20rocblas_gemvn_kernelILi64ELi16ElPK16rocblas_bfloat16PKfKPfEviiT3_lPKT2_lT1_lSA_lSB_lS7_lPT4_lSB_li.uses_flat_scratch, 1
	.set _ZL20rocblas_gemvn_kernelILi64ELi16ElPK16rocblas_bfloat16PKfKPfEviiT3_lPKT2_lT1_lSA_lSB_lS7_lPT4_lSB_li.has_dyn_sized_stack, 0
	.set _ZL20rocblas_gemvn_kernelILi64ELi16ElPK16rocblas_bfloat16PKfKPfEviiT3_lPKT2_lT1_lSA_lSB_lS7_lPT4_lSB_li.has_recursion, 0
	.set _ZL20rocblas_gemvn_kernelILi64ELi16ElPK16rocblas_bfloat16PKfKPfEviiT3_lPKT2_lT1_lSA_lSB_lS7_lPT4_lSB_li.has_indirect_call, 0
	.section	.AMDGPU.csdata,"",@progbits
; Kernel info:
; codeLenInByte = 3280
; TotalNumSgprs: 37
; NumVgprs: 52
; ScratchSize: 0
; MemoryBound: 0
; FloatMode: 240
; IeeeMode: 1
; LDSByteSize: 16384 bytes/workgroup (compile time only)
; SGPRBlocks: 0
; VGPRBlocks: 6
; NumSGPRsForWavesPerEU: 37
; NumVGPRsForWavesPerEU: 52
; Occupancy: 16
; WaveLimiterHint : 1
; COMPUTE_PGM_RSRC2:SCRATCH_EN: 0
; COMPUTE_PGM_RSRC2:USER_SGPR: 6
; COMPUTE_PGM_RSRC2:TRAP_HANDLER: 0
; COMPUTE_PGM_RSRC2:TGID_X_EN: 1
; COMPUTE_PGM_RSRC2:TGID_Y_EN: 0
; COMPUTE_PGM_RSRC2:TGID_Z_EN: 1
; COMPUTE_PGM_RSRC2:TIDIG_COMP_CNT: 1
	.section	.text._ZL20rocblas_gemvn_kernelILi64ELi16EiPK16rocblas_bfloat16fKPfEviiT3_lPKT2_lT1_lS8_lS9_lS5_lPT4_lS9_li,"axG",@progbits,_ZL20rocblas_gemvn_kernelILi64ELi16EiPK16rocblas_bfloat16fKPfEviiT3_lPKT2_lT1_lS8_lS9_lS5_lPT4_lS9_li,comdat
	.globl	_ZL20rocblas_gemvn_kernelILi64ELi16EiPK16rocblas_bfloat16fKPfEviiT3_lPKT2_lT1_lS8_lS9_lS5_lPT4_lS9_li ; -- Begin function _ZL20rocblas_gemvn_kernelILi64ELi16EiPK16rocblas_bfloat16fKPfEviiT3_lPKT2_lT1_lS8_lS9_lS5_lPT4_lS9_li
	.p2align	8
	.type	_ZL20rocblas_gemvn_kernelILi64ELi16EiPK16rocblas_bfloat16fKPfEviiT3_lPKT2_lT1_lS8_lS9_lS5_lPT4_lS9_li,@function
_ZL20rocblas_gemvn_kernelILi64ELi16EiPK16rocblas_bfloat16fKPfEviiT3_lPKT2_lT1_lS8_lS9_lS5_lPT4_lS9_li: ; @_ZL20rocblas_gemvn_kernelILi64ELi16EiPK16rocblas_bfloat16fKPfEviiT3_lPKT2_lT1_lS8_lS9_lS5_lPT4_lS9_li
; %bb.0:
	s_load_dwordx2 s[0:1], s[4:5], 0x9c
	s_waitcnt lgkmcnt(0)
	s_lshr_b32 s3, s0, 16
	s_and_b32 s0, s0, 0xffff
	s_and_b32 s1, s1, 0xffff
	s_mul_i32 s0, s3, s0
	s_mul_i32 s0, s0, s1
	s_cmpk_lg_i32 s0, 0x400
	s_cbranch_scc1 .LBB674_56
; %bb.1:
	s_mov_b32 s2, s7
	s_clause 0x1
	s_load_dwordx4 s[8:11], s[4:5], 0x0
	s_load_dword s7, s[4:5], 0x58
	s_mov_b32 s3, 0
	s_waitcnt lgkmcnt(0)
	v_cmp_eq_f32_e64 s18, s10, 0
	v_cmp_eq_f32_e64 s0, s7, 1.0
	s_and_b32 s0, s18, s0
	s_and_b32 vcc_lo, exec_lo, s0
	s_cbranch_vccnz .LBB674_56
; %bb.2:
	v_cmp_neq_f32_e64 s11, s10, 0
	s_and_b32 vcc_lo, exec_lo, s11
	s_cbranch_vccnz .LBB674_4
; %bb.3:
	s_mov_b32 s1, 0
	s_mov_b32 s0, s2
	;; [unrolled: 1-line block ×3, first 2 shown]
	s_mov_b64 s[14:15], 0
	s_andn2_b32 vcc_lo, exec_lo, s12
	s_mov_b64 s[12:13], 0
	s_cbranch_vccz .LBB674_5
	s_branch .LBB674_6
.LBB674_4:
	s_mov_b64 s[0:1], s[2:3]
	s_mov_b64 s[14:15], 0
	;; [unrolled: 1-line block ×3, first 2 shown]
.LBB674_5:
	s_load_dwordx4 s[20:23], s[4:5], 0x18
	s_lshl_b64 s[2:3], s[2:3], 3
	s_waitcnt lgkmcnt(0)
	s_add_u32 s2, s20, s2
	s_addc_u32 s3, s21, s3
	s_lshl_b64 s[12:13], s[22:23], 1
	s_load_dwordx2 s[2:3], s[2:3], 0x0
	s_waitcnt lgkmcnt(0)
	s_add_u32 s12, s2, s12
	s_addc_u32 s13, s3, s13
.LBB674_6:
	s_andn2_b32 vcc_lo, exec_lo, s11
	s_cbranch_vccnz .LBB674_8
; %bb.7:
	s_load_dwordx4 s[20:23], s[4:5], 0x38
	s_lshl_b64 s[2:3], s[0:1], 3
	s_waitcnt lgkmcnt(0)
	s_add_u32 s2, s20, s2
	s_addc_u32 s3, s21, s3
	s_lshl_b64 s[14:15], s[22:23], 1
	s_load_dwordx2 s[2:3], s[2:3], 0x0
	s_waitcnt lgkmcnt(0)
	s_add_u32 s14, s2, s14
	s_addc_u32 s15, s3, s15
.LBB674_8:
	s_clause 0x1
	s_load_dwordx4 s[20:23], s[4:5], 0x68
	s_load_dword s17, s[4:5], 0x78
	s_lshl_b64 s[0:1], s[0:1], 3
	v_lshlrev_b32_e32 v14, 6, v1
	v_add_nc_u32_e32 v13, v14, v0
	s_waitcnt lgkmcnt(0)
	s_add_u32 s0, s20, s0
	s_addc_u32 s1, s21, s1
	s_lshl_b64 s[20:21], s[22:23], 2
	s_load_dwordx2 s[2:3], s[0:1], 0x0
	v_cmp_gt_u32_e64 s0, 0x100, v13
	s_waitcnt lgkmcnt(0)
	s_add_u32 s11, s2, s20
	s_addc_u32 s16, s3, s21
	s_andn2_b32 vcc_lo, exec_lo, s18
	s_cbranch_vccnz .LBB674_15
; %bb.9:
	s_mov_b32 s1, 0
	s_mov_b32 s18, 0
                                        ; implicit-def: $vgpr3
                                        ; implicit-def: $vgpr4_vgpr5
	s_and_saveexec_b32 s2, s0
	s_cbranch_execz .LBB674_16
; %bb.10:
	v_lshl_or_b32 v2, s6, 8, v13
	v_mov_b32_e32 v3, 0
	s_ashr_i32 s19, s8, 31
	s_mov_b32 s18, s8
	s_mov_b32 s3, 0
	s_mov_b32 s0, exec_lo
                                        ; implicit-def: $vgpr4_vgpr5
	v_cmpx_gt_i64_e64 s[18:19], v[2:3]
	s_cbranch_execz .LBB674_14
; %bb.11:
	v_mad_u64_u32 v[4:5], null, s17, v2, 0
	s_ashr_i32 s3, s17, 31
	v_mad_u64_u32 v[5:6], null, s3, v2, v[5:6]
	v_cmp_eq_f32_e64 s3, s7, 0
	s_and_b32 vcc_lo, exec_lo, s3
	s_cbranch_vccnz .LBB674_13
; %bb.12:
	v_lshlrev_b64 v[2:3], 2, v[4:5]
	v_add_co_u32 v2, vcc_lo, s11, v2
	v_add_co_ci_u32_e64 v3, null, s16, v3, vcc_lo
	flat_load_dword v2, v[2:3]
	s_waitcnt vmcnt(0) lgkmcnt(0)
	v_mul_f32_e32 v3, s7, v2
.LBB674_13:
	s_mov_b32 s3, exec_lo
.LBB674_14:
	s_or_b32 exec_lo, exec_lo, s0
	s_and_b32 s18, s3, exec_lo
	s_or_b32 exec_lo, exec_lo, s2
	s_and_b32 vcc_lo, exec_lo, s1
	s_cbranch_vccnz .LBB674_17
	s_branch .LBB674_54
.LBB674_15:
	s_mov_b32 s18, 0
                                        ; implicit-def: $vgpr3
                                        ; implicit-def: $vgpr4_vgpr5
	s_cbranch_execnz .LBB674_17
	s_branch .LBB674_54
.LBB674_16:
	s_or_b32 exec_lo, exec_lo, s2
	s_and_b32 vcc_lo, exec_lo, s1
	s_cbranch_vccz .LBB674_54
.LBB674_17:
	s_clause 0x1
	s_load_dword s19, s[4:5], 0x28
	s_load_dword s4, s[4:5], 0x48
	s_ashr_i32 s0, s9, 31
	s_lshl_b32 s5, s6, 8
	s_lshr_b32 s0, s0, 26
	v_lshlrev_b32_e32 v20, 2, v1
	v_add_nc_u32_e32 v19, s5, v0
	v_mov_b32_e32 v15, 0
	v_mov_b32_e32 v16, 0
	;; [unrolled: 1-line block ×4, first 2 shown]
	s_add_i32 s0, s9, s0
	s_mov_b32 s20, exec_lo
	s_and_b32 s6, s0, 0xffffffc0
	v_cmpx_gt_i32_e64 s6, v20
	s_cbranch_execz .LBB674_29
; %bb.18:
	v_add_nc_u32_e32 v5, 0xc0, v19
	s_waitcnt lgkmcnt(0)
	v_mul_lo_u32 v3, s19, v20
	v_add_nc_u32_e32 v2, 64, v19
	v_add_nc_u32_e32 v6, 2, v20
	;; [unrolled: 1-line block ×3, first 2 shown]
	v_cmp_gt_i32_e64 s2, s8, v5
	v_mul_lo_u32 v5, v1, s19
	v_add_nc_u32_e32 v7, 3, v20
	v_mul_lo_u32 v8, v1, s4
	v_cmp_gt_i32_e64 s0, s8, v2
	v_add3_u32 v21, v3, s19, v0
	v_mad_u64_u32 v[2:3], null, s19, v6, v[0:1]
	v_cmp_gt_i32_e64 s1, s8, v4
	v_mad_u64_u32 v[3:4], null, s19, v7, v[0:1]
	v_lshl_add_u32 v22, v5, 2, v0
	v_mad_u64_u32 v[4:5], null, s4, v20, s[4:5]
	v_mul_lo_u32 v23, s4, v6
	v_mul_lo_u32 v24, s4, v7
	v_lshlrev_b32_e32 v25, 2, v8
	v_mov_b32_e32 v15, 0
	v_mov_b32_e32 v16, 0
	;; [unrolled: 1-line block ×4, first 2 shown]
	s_lshl_b32 s21, s19, 6
	s_lshl_b32 s23, s4, 6
	s_mov_b32 s22, 0
	s_mov_b32 s24, 0
	v_cmp_gt_i32_e32 vcc_lo, s8, v19
	s_branch .LBB674_23
.LBB674_19:                             ;   in Loop: Header=BB674_23 Depth=1
	s_or_b32 exec_lo, exec_lo, s27
	s_waitcnt vmcnt(3) lgkmcnt(3)
	v_lshlrev_b32_e32 v5, 16, v41
	s_waitcnt vmcnt(2) lgkmcnt(2)
	v_lshlrev_b32_e32 v6, 16, v40
	v_fmac_f32_e32 v17, v33, v5
	s_waitcnt vmcnt(1) lgkmcnt(1)
	v_lshlrev_b32_e32 v5, 16, v39
	v_fmac_f32_e32 v17, v29, v6
	v_fmac_f32_e32 v17, v31, v5
	s_waitcnt vmcnt(0) lgkmcnt(0)
	v_lshlrev_b32_e32 v5, 16, v38
	v_fmac_f32_e32 v17, v27, v5
.LBB674_20:                             ;   in Loop: Header=BB674_23 Depth=1
	s_or_b32 exec_lo, exec_lo, s26
	s_waitcnt vmcnt(3) lgkmcnt(3)
	v_lshlrev_b32_e32 v5, 16, v37
	s_waitcnt vmcnt(2) lgkmcnt(2)
	v_lshlrev_b32_e32 v6, 16, v36
	v_fmac_f32_e32 v16, v33, v5
	s_waitcnt vmcnt(1) lgkmcnt(1)
	v_lshlrev_b32_e32 v5, 16, v35
	v_fmac_f32_e32 v16, v29, v6
	v_fmac_f32_e32 v16, v31, v5
	s_waitcnt vmcnt(0) lgkmcnt(0)
	v_lshlrev_b32_e32 v5, 16, v34
	v_fmac_f32_e32 v16, v27, v5
.LBB674_21:                             ;   in Loop: Header=BB674_23 Depth=1
	s_or_b32 exec_lo, exec_lo, s3
	s_waitcnt vmcnt(3) lgkmcnt(3)
	v_lshlrev_b32_e32 v5, 16, v32
	s_waitcnt vmcnt(2) lgkmcnt(2)
	v_lshlrev_b32_e32 v6, 16, v30
	v_fmac_f32_e32 v15, v33, v5
	s_waitcnt vmcnt(1) lgkmcnt(1)
	v_lshlrev_b32_e32 v5, 16, v28
	v_fmac_f32_e32 v15, v29, v6
	v_fmac_f32_e32 v15, v31, v5
	s_waitcnt vmcnt(0) lgkmcnt(0)
	v_lshlrev_b32_e32 v5, 16, v26
	v_fmac_f32_e32 v15, v27, v5
.LBB674_22:                             ;   in Loop: Header=BB674_23 Depth=1
	s_or_b32 exec_lo, exec_lo, s25
	v_add_nc_u32_e32 v20, 64, v20
	v_add_nc_u32_e32 v21, s21, v21
	;; [unrolled: 1-line block ×5, first 2 shown]
	v_cmp_le_i32_e64 s3, s6, v20
	s_add_i32 s24, s24, s23
	s_or_b32 s22, s3, s22
	s_andn2_b32 exec_lo, exec_lo, s22
	s_cbranch_execz .LBB674_28
.LBB674_23:                             ; =>This Inner Loop Header: Depth=1
	s_and_saveexec_b32 s25, vcc_lo
	s_cbranch_execz .LBB674_22
; %bb.24:                               ;   in Loop: Header=BB674_23 Depth=1
	v_add_nc_u32_e32 v5, s24, v25
	v_add_nc_u32_e32 v7, s24, v4
	;; [unrolled: 1-line block ×5, first 2 shown]
	v_ashrrev_i32_e32 v6, 31, v5
	v_ashrrev_i32_e32 v8, 31, v7
	;; [unrolled: 1-line block ×5, first 2 shown]
	v_lshlrev_b64 v[5:6], 1, v[5:6]
	v_lshlrev_b64 v[7:8], 1, v[7:8]
	;; [unrolled: 1-line block ×4, first 2 shown]
	v_add_nc_u32_e32 v28, s5, v21
	v_add_nc_u32_e32 v30, s5, v2
	v_add_co_u32 v5, s3, s14, v5
	v_add_co_ci_u32_e64 v6, null, s15, v6, s3
	v_add_co_u32 v7, s3, s14, v7
	v_add_co_ci_u32_e64 v8, null, s15, v8, s3
	;; [unrolled: 2-line block ×4, first 2 shown]
	v_lshlrev_b64 v[26:27], 1, v[26:27]
	s_clause 0x3
	flat_load_ushort v33, v[5:6]
	flat_load_ushort v34, v[7:8]
	;; [unrolled: 1-line block ×4, first 2 shown]
	v_add_nc_u32_e32 v9, s5, v3
	v_ashrrev_i32_e32 v29, 31, v28
	v_ashrrev_i32_e32 v31, 31, v30
	v_add_co_u32 v5, s3, s12, v26
	v_ashrrev_i32_e32 v10, 31, v9
	v_lshlrev_b64 v[7:8], 1, v[28:29]
	v_add_co_ci_u32_e64 v6, null, s13, v27, s3
	v_lshlrev_b64 v[26:27], 1, v[30:31]
	v_lshlrev_b64 v[9:10], 1, v[9:10]
	v_add_co_u32 v11, s3, s12, v7
	v_add_co_ci_u32_e64 v12, null, s13, v8, s3
	v_add_co_u32 v7, s3, s12, v26
	v_add_co_ci_u32_e64 v8, null, s13, v27, s3
	;; [unrolled: 2-line block ×3, first 2 shown]
	s_clause 0x3
	flat_load_ushort v32, v[5:6]
	flat_load_ushort v30, v[11:12]
	flat_load_ushort v28, v[7:8]
	flat_load_ushort v26, v[9:10]
	s_waitcnt vmcnt(7) lgkmcnt(7)
	v_lshlrev_b32_e32 v33, 16, v33
	s_waitcnt vmcnt(6) lgkmcnt(6)
	v_lshlrev_b32_e32 v29, 16, v34
	;; [unrolled: 2-line block ×4, first 2 shown]
	s_and_saveexec_b32 s3, s0
	s_cbranch_execz .LBB674_21
; %bb.25:                               ;   in Loop: Header=BB674_23 Depth=1
	s_clause 0x3
	flat_load_ushort v37, v[5:6] offset:128
	flat_load_ushort v36, v[11:12] offset:128
	flat_load_ushort v35, v[7:8] offset:128
	flat_load_ushort v34, v[9:10] offset:128
	s_and_saveexec_b32 s26, s1
	s_cbranch_execz .LBB674_20
; %bb.26:                               ;   in Loop: Header=BB674_23 Depth=1
	s_clause 0x3
	flat_load_ushort v41, v[5:6] offset:256
	flat_load_ushort v40, v[11:12] offset:256
	flat_load_ushort v39, v[7:8] offset:256
	flat_load_ushort v38, v[9:10] offset:256
	;; [unrolled: 8-line block ×3, first 2 shown]
	s_waitcnt vmcnt(3) lgkmcnt(3)
	v_lshlrev_b32_e32 v5, 16, v5
	s_waitcnt vmcnt(2) lgkmcnt(2)
	v_lshlrev_b32_e32 v6, 16, v6
	v_fmac_f32_e32 v18, v33, v5
	s_waitcnt vmcnt(1) lgkmcnt(1)
	v_lshlrev_b32_e32 v5, 16, v7
	v_fmac_f32_e32 v18, v29, v6
	;; [unrolled: 3-line block ×3, first 2 shown]
	v_fmac_f32_e32 v18, v27, v6
	s_branch .LBB674_19
.LBB674_28:
	s_or_b32 exec_lo, exec_lo, s22
.LBB674_29:
	s_or_b32 exec_lo, exec_lo, s20
	s_sub_i32 s0, s9, s6
	s_cmp_lt_i32 s0, 1
	s_cbranch_scc1 .LBB674_47
; %bb.30:
	v_cmp_gt_i32_e32 vcc_lo, s9, v20
	v_mov_b32_e32 v11, 0
	v_or_b32_e32 v2, 1, v20
	v_mov_b32_e32 v10, 0
	v_mov_b32_e32 v21, 0
	;; [unrolled: 1-line block ×3, first 2 shown]
	s_and_saveexec_b32 s1, vcc_lo
	s_cbranch_execz .LBB674_38
; %bb.31:
	s_waitcnt lgkmcnt(0)
	v_mul_lo_u32 v3, v20, s4
	v_mov_b32_e32 v12, 0
	v_mov_b32_e32 v10, 0
	;; [unrolled: 1-line block ×3, first 2 shown]
	s_mov_b32 s2, exec_lo
	v_ashrrev_i32_e32 v4, 31, v3
	v_lshlrev_b64 v[3:4], 1, v[3:4]
	v_add_co_u32 v3, s0, s14, v3
	v_add_co_ci_u32_e64 v4, null, s15, v4, s0
	flat_load_ushort v3, v[3:4]
	v_cmpx_gt_i32_e64 s9, v2
	s_cbranch_execz .LBB674_37
; %bb.32:
	v_mul_lo_u32 v4, v2, s4
	v_mov_b32_e32 v10, 0
	v_mov_b32_e32 v11, 0
	s_mov_b32 s3, exec_lo
	v_ashrrev_i32_e32 v5, 31, v4
	v_lshlrev_b64 v[4:5], 1, v[4:5]
	v_add_co_u32 v4, s0, s14, v4
	v_add_co_ci_u32_e64 v5, null, s15, v5, s0
	flat_load_ushort v4, v[4:5]
	v_or_b32_e32 v5, 2, v20
	v_cmpx_gt_i32_e64 s9, v5
	s_cbranch_execz .LBB674_36
; %bb.33:
	v_mul_lo_u32 v5, v5, s4
	v_mov_b32_e32 v10, 0
	s_mov_b32 s6, exec_lo
	v_ashrrev_i32_e32 v6, 31, v5
	v_lshlrev_b64 v[5:6], 1, v[5:6]
	v_add_co_u32 v5, s0, s14, v5
	v_add_co_ci_u32_e64 v6, null, s15, v6, s0
	flat_load_ushort v5, v[5:6]
	v_or_b32_e32 v6, 3, v20
	v_cmpx_gt_i32_e64 s9, v6
	s_cbranch_execz .LBB674_35
; %bb.34:
	v_mul_lo_u32 v6, v6, s4
	v_ashrrev_i32_e32 v7, 31, v6
	v_lshlrev_b64 v[6:7], 1, v[6:7]
	v_add_co_u32 v6, s0, s14, v6
	v_add_co_ci_u32_e64 v7, null, s15, v7, s0
	flat_load_ushort v6, v[6:7]
	s_waitcnt vmcnt(0) lgkmcnt(0)
	v_lshlrev_b32_e32 v10, 16, v6
.LBB674_35:
	s_or_b32 exec_lo, exec_lo, s6
	s_waitcnt vmcnt(0) lgkmcnt(0)
	v_lshlrev_b32_e32 v11, 16, v5
.LBB674_36:
	s_or_b32 exec_lo, exec_lo, s3
	s_waitcnt vmcnt(0) lgkmcnt(0)
	v_lshlrev_b32_e32 v12, 16, v4
.LBB674_37:
	s_or_b32 exec_lo, exec_lo, s2
	s_waitcnt vmcnt(0) lgkmcnt(0)
	v_lshlrev_b32_e32 v21, 16, v3
.LBB674_38:
	s_or_b32 exec_lo, exec_lo, s1
	s_mov_b32 s1, exec_lo
	v_cmpx_gt_i32_e64 s8, v19
	s_cbranch_execz .LBB674_46
; %bb.39:
	s_waitcnt lgkmcnt(0)
	v_mul_lo_u32 v3, v20, s19
	v_mul_lo_u32 v4, v2, s19
	v_or_b32_e32 v5, 2, v20
	v_or_b32_e32 v6, 3, v20
	s_mov_b32 s0, exec_lo
	v_mul_lo_u32 v7, v5, s19
	v_cndmask_b32_e32 v3, 0, v3, vcc_lo
	v_cmp_gt_i32_e32 vcc_lo, s9, v2
	v_mul_lo_u32 v8, v6, s19
	v_add_nc_u32_e32 v2, v3, v19
	v_cndmask_b32_e32 v4, 0, v4, vcc_lo
	v_cmp_gt_i32_e32 vcc_lo, s9, v5
	v_ashrrev_i32_e32 v3, 31, v2
	v_add_nc_u32_e32 v4, v4, v19
	v_cndmask_b32_e32 v7, 0, v7, vcc_lo
	v_cmp_gt_i32_e32 vcc_lo, s9, v6
	v_lshlrev_b64 v[2:3], 1, v[2:3]
	v_ashrrev_i32_e32 v5, 31, v4
	v_add_nc_u32_e32 v6, v7, v19
	v_cndmask_b32_e32 v8, 0, v8, vcc_lo
	v_lshlrev_b64 v[4:5], 1, v[4:5]
	v_ashrrev_i32_e32 v7, 31, v6
	v_add_nc_u32_e32 v8, v8, v19
	v_add_co_u32 v2, vcc_lo, s12, v2
	v_add_co_ci_u32_e64 v3, null, s13, v3, vcc_lo
	v_ashrrev_i32_e32 v9, 31, v8
	v_add_co_u32 v4, vcc_lo, s12, v4
	v_add_co_ci_u32_e64 v5, null, s13, v5, vcc_lo
	v_lshlrev_b64 v[6:7], 1, v[6:7]
	v_lshlrev_b64 v[8:9], 1, v[8:9]
	s_clause 0x1
	flat_load_ushort v20, v[2:3]
	flat_load_ushort v22, v[4:5]
	v_add_co_u32 v6, vcc_lo, s12, v6
	v_add_co_ci_u32_e64 v7, null, s13, v7, vcc_lo
	v_add_co_u32 v8, vcc_lo, s12, v8
	v_add_co_ci_u32_e64 v9, null, s13, v9, vcc_lo
	s_clause 0x1
	flat_load_ushort v23, v[6:7]
	flat_load_ushort v24, v[8:9]
	s_waitcnt vmcnt(3) lgkmcnt(3)
	v_lshlrev_b32_e32 v20, 16, v20
	s_waitcnt vmcnt(2) lgkmcnt(2)
	v_lshlrev_b32_e32 v22, 16, v22
	v_fmac_f32_e32 v15, v21, v20
	v_fmac_f32_e32 v15, v12, v22
	v_add_nc_u32_e32 v22, 64, v19
	s_waitcnt vmcnt(1) lgkmcnt(1)
	v_lshlrev_b32_e32 v23, 16, v23
	s_waitcnt vmcnt(0) lgkmcnt(0)
	v_lshlrev_b32_e32 v20, 16, v24
	v_fmac_f32_e32 v15, v11, v23
	v_cmpx_gt_i32_e64 s8, v22
	s_cbranch_execz .LBB674_45
; %bb.40:
	s_clause 0x3
	flat_load_ushort v22, v[2:3] offset:128
	flat_load_ushort v23, v[4:5] offset:128
	;; [unrolled: 1-line block ×4, first 2 shown]
	s_mov_b32 s2, exec_lo
	s_waitcnt vmcnt(3) lgkmcnt(3)
	v_lshlrev_b32_e32 v22, 16, v22
	s_waitcnt vmcnt(2) lgkmcnt(2)
	v_lshlrev_b32_e32 v23, 16, v23
	s_waitcnt vmcnt(1) lgkmcnt(1)
	v_lshlrev_b32_e32 v24, 16, v24
	v_fmac_f32_e32 v16, v21, v22
	s_waitcnt vmcnt(0) lgkmcnt(0)
	v_lshlrev_b32_e32 v22, 16, v25
	v_fmac_f32_e32 v16, v12, v23
	v_add_nc_u32_e32 v23, 0x80, v19
	v_fmac_f32_e32 v16, v11, v24
	v_cmpx_gt_i32_e64 s8, v23
	s_cbranch_execz .LBB674_44
; %bb.41:
	s_clause 0x3
	flat_load_ushort v23, v[2:3] offset:256
	flat_load_ushort v24, v[4:5] offset:256
	;; [unrolled: 1-line block ×4, first 2 shown]
	s_mov_b32 s3, exec_lo
	s_waitcnt vmcnt(3) lgkmcnt(3)
	v_lshlrev_b32_e32 v23, 16, v23
	s_waitcnt vmcnt(2) lgkmcnt(2)
	v_lshlrev_b32_e32 v24, 16, v24
	v_fmac_f32_e32 v17, v21, v23
	s_waitcnt vmcnt(1) lgkmcnt(1)
	v_lshlrev_b32_e32 v23, 16, v25
	v_fmac_f32_e32 v17, v12, v24
	v_add_nc_u32_e32 v24, 0xc0, v19
	s_waitcnt vmcnt(0) lgkmcnt(0)
	v_lshlrev_b32_e32 v19, 16, v26
	v_fmac_f32_e32 v17, v11, v23
	v_cmpx_gt_i32_e64 s8, v24
	s_cbranch_execz .LBB674_43
; %bb.42:
	s_clause 0x3
	flat_load_ushort v2, v[2:3] offset:384
	flat_load_ushort v3, v[4:5] offset:384
	flat_load_ushort v4, v[6:7] offset:384
	flat_load_ushort v5, v[8:9] offset:384
	s_waitcnt vmcnt(3) lgkmcnt(3)
	v_lshlrev_b32_e32 v2, 16, v2
	s_waitcnt vmcnt(2) lgkmcnt(2)
	v_lshlrev_b32_e32 v3, 16, v3
	v_fmac_f32_e32 v18, v21, v2
	s_waitcnt vmcnt(1) lgkmcnt(1)
	v_lshlrev_b32_e32 v2, 16, v4
	v_fmac_f32_e32 v18, v12, v3
	;; [unrolled: 3-line block ×3, first 2 shown]
	v_fmac_f32_e32 v18, v10, v3
.LBB674_43:
	s_or_b32 exec_lo, exec_lo, s3
	v_fmac_f32_e32 v17, v10, v19
.LBB674_44:
	s_or_b32 exec_lo, exec_lo, s2
	v_fmac_f32_e32 v16, v10, v22
.LBB674_45:
	s_or_b32 exec_lo, exec_lo, s0
	v_fmac_f32_e32 v15, v10, v20
.LBB674_46:
	s_or_b32 exec_lo, exec_lo, s1
.LBB674_47:
	v_lshlrev_b32_e32 v0, 2, v0
	s_mov_b32 s0, exec_lo
                                        ; implicit-def: $vgpr3
                                        ; implicit-def: $vgpr4_vgpr5
	v_lshl_add_u32 v1, v1, 10, v0
	ds_write2st64_b32 v1, v15, v16 offset1:1
	ds_write2st64_b32 v1, v17, v18 offset0:2 offset1:3
	s_waitcnt lgkmcnt(0)
	s_barrier
	buffer_gl0_inv
	v_cmpx_gt_u32_e32 0x100, v13
	s_cbranch_execz .LBB674_53
; %bb.48:
	v_lshl_add_u32 v6, v14, 2, v0
	s_mov_b32 s2, s18
	s_mov_b32 s1, exec_lo
	ds_read2st64_b32 v[0:1], v6 offset1:4
	ds_read2st64_b32 v[2:3], v6 offset0:8 offset1:12
	ds_read2st64_b32 v[4:5], v6 offset0:16 offset1:20
	s_waitcnt lgkmcnt(2)
	v_add_f32_e32 v7, v0, v1
	ds_read2st64_b32 v[0:1], v6 offset0:24 offset1:28
	s_waitcnt lgkmcnt(2)
	v_add_f32_e32 v2, v2, v7
	v_add_f32_e32 v7, v3, v2
	ds_read2st64_b32 v[2:3], v6 offset0:32 offset1:36
	s_waitcnt lgkmcnt(2)
	v_add_f32_e32 v4, v4, v7
	v_add_f32_e32 v7, v5, v4
	ds_read2st64_b32 v[4:5], v6 offset0:40 offset1:44
	s_waitcnt lgkmcnt(2)
	v_add_f32_e32 v0, v0, v7
	v_add_f32_e32 v0, v1, v0
	s_waitcnt lgkmcnt(1)
	v_add_f32_e32 v2, v2, v0
	ds_read2st64_b32 v[0:1], v6 offset0:48 offset1:52
	v_add_f32_e32 v2, v3, v2
	s_waitcnt lgkmcnt(1)
	v_add_f32_e32 v4, v4, v2
	ds_read2st64_b32 v[2:3], v6 offset0:56 offset1:60
	v_add_f32_e32 v4, v5, v4
	s_waitcnt lgkmcnt(1)
	v_add_f32_e32 v0, v0, v4
                                        ; implicit-def: $vgpr4_vgpr5
	v_add_f32_e32 v0, v1, v0
	v_or_b32_e32 v1, s5, v13
	s_waitcnt lgkmcnt(0)
	v_add_f32_e32 v0, v2, v0
	v_add_f32_e32 v0, v3, v0
                                        ; implicit-def: $vgpr3
	ds_write_b32 v6, v0
	v_cmpx_gt_i32_e64 s8, v1
	s_cbranch_execz .LBB674_52
; %bb.49:
	v_mul_lo_u32 v4, s17, v1
	v_cmp_eq_f32_e64 s2, s7, 0
	v_mul_f32_e32 v3, s10, v0
	s_and_b32 vcc_lo, exec_lo, s2
	v_ashrrev_i32_e32 v5, 31, v4
	s_cbranch_vccnz .LBB674_51
; %bb.50:
	v_lshlrev_b64 v[0:1], 2, v[4:5]
	v_add_co_u32 v0, vcc_lo, s11, v0
	v_add_co_ci_u32_e64 v1, null, s16, v1, vcc_lo
	flat_load_dword v0, v[0:1]
	s_waitcnt vmcnt(0) lgkmcnt(0)
	v_fmac_f32_e32 v3, s7, v0
.LBB674_51:
	s_or_b32 s2, s18, exec_lo
.LBB674_52:
	s_or_b32 exec_lo, exec_lo, s1
	s_andn2_b32 s1, s18, exec_lo
	s_and_b32 s2, s2, exec_lo
	s_or_b32 s18, s1, s2
.LBB674_53:
	s_or_b32 exec_lo, exec_lo, s0
.LBB674_54:
	s_and_saveexec_b32 s0, s18
	s_cbranch_execz .LBB674_56
; %bb.55:
	v_lshlrev_b64 v[0:1], 2, v[4:5]
	v_add_co_u32 v0, vcc_lo, s11, v0
	v_add_co_ci_u32_e64 v1, null, s16, v1, vcc_lo
	flat_store_dword v[0:1], v3
.LBB674_56:
	s_endpgm
	.section	.rodata,"a",@progbits
	.p2align	6, 0x0
	.amdhsa_kernel _ZL20rocblas_gemvn_kernelILi64ELi16EiPK16rocblas_bfloat16fKPfEviiT3_lPKT2_lT1_lS8_lS9_lS5_lPT4_lS9_li
		.amdhsa_group_segment_fixed_size 16384
		.amdhsa_private_segment_fixed_size 0
		.amdhsa_kernarg_size 400
		.amdhsa_user_sgpr_count 6
		.amdhsa_user_sgpr_private_segment_buffer 1
		.amdhsa_user_sgpr_dispatch_ptr 0
		.amdhsa_user_sgpr_queue_ptr 0
		.amdhsa_user_sgpr_kernarg_segment_ptr 1
		.amdhsa_user_sgpr_dispatch_id 0
		.amdhsa_user_sgpr_flat_scratch_init 0
		.amdhsa_user_sgpr_private_segment_size 0
		.amdhsa_wavefront_size32 1
		.amdhsa_uses_dynamic_stack 0
		.amdhsa_system_sgpr_private_segment_wavefront_offset 0
		.amdhsa_system_sgpr_workgroup_id_x 1
		.amdhsa_system_sgpr_workgroup_id_y 0
		.amdhsa_system_sgpr_workgroup_id_z 1
		.amdhsa_system_sgpr_workgroup_info 0
		.amdhsa_system_vgpr_workitem_id 1
		.amdhsa_next_free_vgpr 42
		.amdhsa_next_free_sgpr 28
		.amdhsa_reserve_vcc 1
		.amdhsa_reserve_flat_scratch 1
		.amdhsa_float_round_mode_32 0
		.amdhsa_float_round_mode_16_64 0
		.amdhsa_float_denorm_mode_32 3
		.amdhsa_float_denorm_mode_16_64 3
		.amdhsa_dx10_clamp 1
		.amdhsa_ieee_mode 1
		.amdhsa_fp16_overflow 0
		.amdhsa_workgroup_processor_mode 1
		.amdhsa_memory_ordered 1
		.amdhsa_forward_progress 1
		.amdhsa_shared_vgpr_count 0
		.amdhsa_exception_fp_ieee_invalid_op 0
		.amdhsa_exception_fp_denorm_src 0
		.amdhsa_exception_fp_ieee_div_zero 0
		.amdhsa_exception_fp_ieee_overflow 0
		.amdhsa_exception_fp_ieee_underflow 0
		.amdhsa_exception_fp_ieee_inexact 0
		.amdhsa_exception_int_div_zero 0
	.end_amdhsa_kernel
	.section	.text._ZL20rocblas_gemvn_kernelILi64ELi16EiPK16rocblas_bfloat16fKPfEviiT3_lPKT2_lT1_lS8_lS9_lS5_lPT4_lS9_li,"axG",@progbits,_ZL20rocblas_gemvn_kernelILi64ELi16EiPK16rocblas_bfloat16fKPfEviiT3_lPKT2_lT1_lS8_lS9_lS5_lPT4_lS9_li,comdat
.Lfunc_end674:
	.size	_ZL20rocblas_gemvn_kernelILi64ELi16EiPK16rocblas_bfloat16fKPfEviiT3_lPKT2_lT1_lS8_lS9_lS5_lPT4_lS9_li, .Lfunc_end674-_ZL20rocblas_gemvn_kernelILi64ELi16EiPK16rocblas_bfloat16fKPfEviiT3_lPKT2_lT1_lS8_lS9_lS5_lPT4_lS9_li
                                        ; -- End function
	.set _ZL20rocblas_gemvn_kernelILi64ELi16EiPK16rocblas_bfloat16fKPfEviiT3_lPKT2_lT1_lS8_lS9_lS5_lPT4_lS9_li.num_vgpr, 42
	.set _ZL20rocblas_gemvn_kernelILi64ELi16EiPK16rocblas_bfloat16fKPfEviiT3_lPKT2_lT1_lS8_lS9_lS5_lPT4_lS9_li.num_agpr, 0
	.set _ZL20rocblas_gemvn_kernelILi64ELi16EiPK16rocblas_bfloat16fKPfEviiT3_lPKT2_lT1_lS8_lS9_lS5_lPT4_lS9_li.numbered_sgpr, 28
	.set _ZL20rocblas_gemvn_kernelILi64ELi16EiPK16rocblas_bfloat16fKPfEviiT3_lPKT2_lT1_lS8_lS9_lS5_lPT4_lS9_li.num_named_barrier, 0
	.set _ZL20rocblas_gemvn_kernelILi64ELi16EiPK16rocblas_bfloat16fKPfEviiT3_lPKT2_lT1_lS8_lS9_lS5_lPT4_lS9_li.private_seg_size, 0
	.set _ZL20rocblas_gemvn_kernelILi64ELi16EiPK16rocblas_bfloat16fKPfEviiT3_lPKT2_lT1_lS8_lS9_lS5_lPT4_lS9_li.uses_vcc, 1
	.set _ZL20rocblas_gemvn_kernelILi64ELi16EiPK16rocblas_bfloat16fKPfEviiT3_lPKT2_lT1_lS8_lS9_lS5_lPT4_lS9_li.uses_flat_scratch, 1
	.set _ZL20rocblas_gemvn_kernelILi64ELi16EiPK16rocblas_bfloat16fKPfEviiT3_lPKT2_lT1_lS8_lS9_lS5_lPT4_lS9_li.has_dyn_sized_stack, 0
	.set _ZL20rocblas_gemvn_kernelILi64ELi16EiPK16rocblas_bfloat16fKPfEviiT3_lPKT2_lT1_lS8_lS9_lS5_lPT4_lS9_li.has_recursion, 0
	.set _ZL20rocblas_gemvn_kernelILi64ELi16EiPK16rocblas_bfloat16fKPfEviiT3_lPKT2_lT1_lS8_lS9_lS5_lPT4_lS9_li.has_indirect_call, 0
	.section	.AMDGPU.csdata,"",@progbits
; Kernel info:
; codeLenInByte = 2960
; TotalNumSgprs: 30
; NumVgprs: 42
; ScratchSize: 0
; MemoryBound: 0
; FloatMode: 240
; IeeeMode: 1
; LDSByteSize: 16384 bytes/workgroup (compile time only)
; SGPRBlocks: 0
; VGPRBlocks: 5
; NumSGPRsForWavesPerEU: 30
; NumVGPRsForWavesPerEU: 42
; Occupancy: 16
; WaveLimiterHint : 1
; COMPUTE_PGM_RSRC2:SCRATCH_EN: 0
; COMPUTE_PGM_RSRC2:USER_SGPR: 6
; COMPUTE_PGM_RSRC2:TRAP_HANDLER: 0
; COMPUTE_PGM_RSRC2:TGID_X_EN: 1
; COMPUTE_PGM_RSRC2:TGID_Y_EN: 0
; COMPUTE_PGM_RSRC2:TGID_Z_EN: 1
; COMPUTE_PGM_RSRC2:TIDIG_COMP_CNT: 1
	.section	.text._ZL20rocblas_gemvn_kernelILi64ELi16ElPK16rocblas_bfloat16fKPfEviiT3_lPKT2_lT1_lS8_lS9_lS5_lPT4_lS9_li,"axG",@progbits,_ZL20rocblas_gemvn_kernelILi64ELi16ElPK16rocblas_bfloat16fKPfEviiT3_lPKT2_lT1_lS8_lS9_lS5_lPT4_lS9_li,comdat
	.globl	_ZL20rocblas_gemvn_kernelILi64ELi16ElPK16rocblas_bfloat16fKPfEviiT3_lPKT2_lT1_lS8_lS9_lS5_lPT4_lS9_li ; -- Begin function _ZL20rocblas_gemvn_kernelILi64ELi16ElPK16rocblas_bfloat16fKPfEviiT3_lPKT2_lT1_lS8_lS9_lS5_lPT4_lS9_li
	.p2align	8
	.type	_ZL20rocblas_gemvn_kernelILi64ELi16ElPK16rocblas_bfloat16fKPfEviiT3_lPKT2_lT1_lS8_lS9_lS5_lPT4_lS9_li,@function
_ZL20rocblas_gemvn_kernelILi64ELi16ElPK16rocblas_bfloat16fKPfEviiT3_lPKT2_lT1_lS8_lS9_lS5_lPT4_lS9_li: ; @_ZL20rocblas_gemvn_kernelILi64ELi16ElPK16rocblas_bfloat16fKPfEviiT3_lPKT2_lT1_lS8_lS9_lS5_lPT4_lS9_li
; %bb.0:
	s_load_dwordx2 s[0:1], s[4:5], 0x9c
	s_waitcnt lgkmcnt(0)
	s_lshr_b32 s2, s0, 16
	s_and_b32 s0, s0, 0xffff
	s_and_b32 s1, s1, 0xffff
	s_mul_i32 s0, s2, s0
	s_mul_i32 s0, s0, s1
	s_cmpk_lg_i32 s0, 0x400
	s_cbranch_scc1 .LBB675_56
; %bb.1:
	s_load_dwordx4 s[8:11], s[4:5], 0x0
	s_waitcnt lgkmcnt(0)
	s_load_dword s11, s[4:5], 0x58
	s_mov_b32 s20, s7
	s_mov_b32 s21, 0
	v_cmp_eq_f32_e64 s7, s10, 0
	s_waitcnt lgkmcnt(0)
	v_cmp_eq_f32_e64 s0, s11, 1.0
	s_and_b32 s0, s7, s0
	s_and_b32 vcc_lo, exec_lo, s0
	s_cbranch_vccnz .LBB675_56
; %bb.2:
	s_clause 0x1
	s_load_dwordx4 s[0:3], s[4:5], 0x18
	s_load_dwordx2 s[14:15], s[4:5], 0x28
	v_cmp_neq_f32_e64 s22, s10, 0
	s_and_b32 vcc_lo, exec_lo, s22
	s_cbranch_vccnz .LBB675_4
; %bb.3:
	s_mov_b32 s13, 0
	s_mov_b32 s12, s20
	;; [unrolled: 1-line block ×3, first 2 shown]
	s_mov_b64 s[18:19], 0
	s_andn2_b32 vcc_lo, exec_lo, s16
	s_mov_b64 s[16:17], 0
	s_cbranch_vccz .LBB675_5
	s_branch .LBB675_6
.LBB675_4:
	s_mov_b64 s[12:13], s[20:21]
	s_mov_b64 s[18:19], 0
	;; [unrolled: 1-line block ×3, first 2 shown]
.LBB675_5:
	s_lshl_b64 s[16:17], s[20:21], 3
	s_waitcnt lgkmcnt(0)
	s_add_u32 s0, s0, s16
	s_addc_u32 s1, s1, s17
	s_lshl_b64 s[2:3], s[2:3], 1
	s_load_dwordx2 s[0:1], s[0:1], 0x0
	s_waitcnt lgkmcnt(0)
	s_add_u32 s16, s0, s2
	s_addc_u32 s17, s1, s3
.LBB675_6:
	s_waitcnt lgkmcnt(0)
	s_clause 0x1
	s_load_dwordx4 s[0:3], s[4:5], 0x38
	s_load_dwordx2 s[20:21], s[4:5], 0x48
	s_andn2_b32 vcc_lo, exec_lo, s22
	s_cbranch_vccnz .LBB675_8
; %bb.7:
	s_lshl_b64 s[18:19], s[12:13], 3
	s_waitcnt lgkmcnt(0)
	s_add_u32 s0, s0, s18
	s_addc_u32 s1, s1, s19
	s_lshl_b64 s[2:3], s[2:3], 1
	s_load_dwordx2 s[0:1], s[0:1], 0x0
	s_waitcnt lgkmcnt(0)
	s_add_u32 s18, s0, s2
	s_addc_u32 s19, s1, s3
.LBB675_8:
	s_waitcnt lgkmcnt(0)
	s_load_dwordx4 s[0:3], s[4:5], 0x68
	s_lshl_b64 s[22:23], s[12:13], 3
	s_load_dwordx2 s[12:13], s[4:5], 0x78
	v_lshlrev_b32_e32 v22, 6, v1
	v_add_nc_u32_e32 v21, v22, v0
	s_waitcnt lgkmcnt(0)
	s_add_u32 s0, s0, s22
	s_addc_u32 s1, s1, s23
	s_lshl_b64 s[2:3], s[2:3], 2
	s_load_dwordx2 s[22:23], s[0:1], 0x0
	v_cmp_gt_u32_e64 s0, 0x100, v21
	s_waitcnt lgkmcnt(0)
	s_add_u32 s5, s22, s2
	s_addc_u32 s26, s23, s3
	s_andn2_b32 vcc_lo, exec_lo, s7
	s_cbranch_vccnz .LBB675_15
; %bb.9:
	s_mov_b32 s1, 0
	s_mov_b32 s27, 0
                                        ; implicit-def: $vgpr3
                                        ; implicit-def: $vgpr4_vgpr5
	s_and_saveexec_b32 s2, s0
	s_cbranch_execz .LBB675_16
; %bb.10:
	v_lshl_or_b32 v2, s6, 8, v21
	v_mov_b32_e32 v3, 0
	s_ashr_i32 s23, s8, 31
	s_mov_b32 s22, s8
	s_mov_b32 s3, 0
	s_mov_b32 s0, exec_lo
                                        ; implicit-def: $vgpr4_vgpr5
	v_cmpx_gt_i64_e64 s[22:23], v[2:3]
	s_cbranch_execz .LBB675_14
; %bb.11:
	v_mad_u64_u32 v[4:5], null, s12, v2, 0
	v_cmp_eq_f32_e64 s3, s11, 0
	s_and_b32 vcc_lo, exec_lo, s3
	v_mad_u64_u32 v[5:6], null, s13, v2, v[5:6]
	s_cbranch_vccnz .LBB675_13
; %bb.12:
	v_lshlrev_b64 v[2:3], 2, v[4:5]
	v_add_co_u32 v2, vcc_lo, s5, v2
	v_add_co_ci_u32_e64 v3, null, s26, v3, vcc_lo
	flat_load_dword v2, v[2:3]
	s_waitcnt vmcnt(0) lgkmcnt(0)
	v_mul_f32_e32 v3, s11, v2
.LBB675_13:
	s_mov_b32 s3, exec_lo
.LBB675_14:
	s_or_b32 exec_lo, exec_lo, s0
	s_and_b32 s27, s3, exec_lo
	s_or_b32 exec_lo, exec_lo, s2
	s_and_b32 vcc_lo, exec_lo, s1
	s_cbranch_vccnz .LBB675_17
	s_branch .LBB675_54
.LBB675_15:
	s_mov_b32 s27, 0
                                        ; implicit-def: $vgpr3
                                        ; implicit-def: $vgpr4_vgpr5
	s_cbranch_execnz .LBB675_17
	s_branch .LBB675_54
.LBB675_16:
	s_or_b32 exec_lo, exec_lo, s2
	s_and_b32 vcc_lo, exec_lo, s1
	s_cbranch_vccz .LBB675_54
.LBB675_17:
	s_ashr_i32 s0, s9, 31
	s_lshl_b32 s28, s6, 8
	s_lshr_b32 s0, s0, 26
	v_lshlrev_b32_e32 v27, 2, v1
	v_mov_b32_e32 v23, 0
	v_add_nc_u32_e32 v2, s28, v0
	v_mov_b32_e32 v24, 0
	v_mov_b32_e32 v25, 0
	;; [unrolled: 1-line block ×3, first 2 shown]
	s_add_i32 s29, s9, s0
	s_mov_b32 s30, exec_lo
	s_andn2_b32 s29, s29, 63
	v_cmpx_gt_i32_e64 s29, v27
	s_cbranch_execz .LBB675_29
; %bb.18:
	v_lshlrev_b32_e32 v25, 2, v1
	v_add_nc_u32_e32 v4, 64, v2
	v_mad_u64_u32 v[7:8], null, s20, v1, 0
	v_mad_u64_u32 v[9:10], null, s14, v1, 0
	v_or_b32_e32 v26, 3, v25
	v_add_nc_u32_e32 v11, 0x80, v2
	v_add_nc_u32_e32 v12, 0xc0, v2
	v_cmp_gt_i32_e64 s0, s8, v4
	v_or_b32_e32 v32, 2, v25
	v_mad_u64_u32 v[5:6], null, s14, v26, 0
	v_cmp_gt_i32_e64 s1, s8, v11
	v_cmp_gt_i32_e64 s2, s8, v12
	v_mad_u64_u32 v[16:17], null, s14, v32, 0
	v_mad_u64_u32 v[18:19], null, s20, v26, 0
	v_mov_b32_e32 v4, v6
	v_mov_b32_e32 v6, v8
	;; [unrolled: 1-line block ×3, first 2 shown]
	v_ashrrev_i32_e32 v3, 31, v2
	s_lshl_b64 s[6:7], s[14:15], 7
	v_mad_u64_u32 v[11:12], null, s15, v26, v[4:5]
	v_mad_u64_u32 v[12:13], null, s21, v1, v[6:7]
	v_mad_u64_u32 v[13:14], null, s15, v1, v[8:9]
	v_mad_u64_u32 v[14:15], null, s20, v25, s[20:21]
	v_mov_b32_e32 v6, v11
	v_lshlrev_b64 v[3:4], 1, v[2:3]
	v_mov_b32_e32 v8, v12
	s_lshl_b64 s[22:23], s[20:21], 7
	v_mov_b32_e32 v10, v13
	v_lshlrev_b64 v[11:12], 1, v[5:6]
	s_mov_b32 s31, 0
	v_lshlrev_b64 v[5:6], 3, v[7:8]
	v_mov_b32_e32 v7, v17
	v_mov_b32_e32 v8, v15
	v_lshlrev_b64 v[9:10], 3, v[9:10]
	v_add_co_u32 v28, s3, s16, v11
	v_add_co_ci_u32_e64 v29, null, s17, v12, s3
	v_mad_u64_u32 v[11:12], null, s14, v25, s[14:15]
	v_mad_u64_u32 v[23:24], null, s15, v32, v[7:8]
	v_mov_b32_e32 v7, v19
	v_mad_u64_u32 v[19:20], null, s21, v25, v[8:9]
	v_add_co_u32 v30, s3, s16, v9
	v_mad_u64_u32 v[7:8], null, s21, v26, v[7:8]
	v_mov_b32_e32 v8, v12
	v_mov_b32_e32 v17, v23
	v_mad_u64_u32 v[23:24], null, s20, v32, 0
	v_mov_b32_e32 v15, v19
	v_mad_u64_u32 v[12:13], null, s15, v25, v[8:9]
	v_lshlrev_b64 v[16:17], 1, v[16:17]
	v_mov_b32_e32 v19, v7
	v_add_co_ci_u32_e64 v31, null, s17, v10, s3
	v_mov_b32_e32 v8, v24
	v_mov_b32_e32 v26, 0
	v_lshlrev_b64 v[11:12], 1, v[11:12]
	s_mov_b64 s[24:25], s[18:19]
	v_cmp_gt_i32_e32 vcc_lo, s8, v2
	v_mad_u64_u32 v[24:25], null, s21, v32, v[8:9]
	v_add_co_u32 v32, s3, s16, v16
	v_add_co_ci_u32_e64 v33, null, s17, v17, s3
	v_add_co_u32 v34, s3, s16, v11
	v_lshlrev_b64 v[7:8], 1, v[14:15]
	v_lshlrev_b64 v[9:10], 1, v[18:19]
	v_add_co_ci_u32_e64 v35, null, s17, v12, s3
	v_lshlrev_b64 v[11:12], 1, v[23:24]
	v_mov_b32_e32 v23, 0
	v_mov_b32_e32 v24, 0
	;; [unrolled: 1-line block ×3, first 2 shown]
	s_branch .LBB675_23
.LBB675_19:                             ;   in Loop: Header=BB675_23 Depth=1
	s_or_b32 exec_lo, exec_lo, s34
	s_waitcnt vmcnt(3) lgkmcnt(3)
	v_lshlrev_b32_e32 v13, 16, v51
	s_waitcnt vmcnt(2) lgkmcnt(2)
	v_lshlrev_b32_e32 v14, 16, v50
	v_fmac_f32_e32 v25, v43, v13
	s_waitcnt vmcnt(1) lgkmcnt(1)
	v_lshlrev_b32_e32 v13, 16, v49
	v_fmac_f32_e32 v25, v39, v14
	v_fmac_f32_e32 v25, v41, v13
	s_waitcnt vmcnt(0) lgkmcnt(0)
	v_lshlrev_b32_e32 v13, 16, v48
	v_fmac_f32_e32 v25, v37, v13
.LBB675_20:                             ;   in Loop: Header=BB675_23 Depth=1
	s_or_b32 exec_lo, exec_lo, s33
	s_waitcnt vmcnt(3) lgkmcnt(3)
	v_lshlrev_b32_e32 v13, 16, v47
	s_waitcnt vmcnt(2) lgkmcnt(2)
	v_lshlrev_b32_e32 v14, 16, v46
	v_fmac_f32_e32 v24, v43, v13
	s_waitcnt vmcnt(1) lgkmcnt(1)
	v_lshlrev_b32_e32 v13, 16, v45
	v_fmac_f32_e32 v24, v39, v14
	v_fmac_f32_e32 v24, v41, v13
	s_waitcnt vmcnt(0) lgkmcnt(0)
	v_lshlrev_b32_e32 v13, 16, v44
	v_fmac_f32_e32 v24, v37, v13
.LBB675_21:                             ;   in Loop: Header=BB675_23 Depth=1
	s_or_b32 exec_lo, exec_lo, s3
	s_waitcnt vmcnt(3) lgkmcnt(3)
	v_lshlrev_b32_e32 v13, 16, v42
	s_waitcnt vmcnt(2) lgkmcnt(2)
	v_lshlrev_b32_e32 v14, 16, v40
	v_fmac_f32_e32 v23, v43, v13
	s_waitcnt vmcnt(1) lgkmcnt(1)
	v_lshlrev_b32_e32 v13, 16, v38
	v_fmac_f32_e32 v23, v39, v14
	v_fmac_f32_e32 v23, v41, v13
	s_waitcnt vmcnt(0) lgkmcnt(0)
	v_lshlrev_b32_e32 v13, 16, v36
	v_fmac_f32_e32 v23, v37, v13
.LBB675_22:                             ;   in Loop: Header=BB675_23 Depth=1
	s_or_b32 exec_lo, exec_lo, s4
	v_add_co_u32 v28, s3, v28, s6
	v_add_nc_u32_e32 v27, 64, v27
	v_add_co_ci_u32_e64 v29, null, s7, v29, s3
	v_add_co_u32 v30, s3, v30, s6
	v_add_co_ci_u32_e64 v31, null, s7, v31, s3
	v_add_co_u32 v32, s3, v32, s6
	v_add_co_ci_u32_e64 v33, null, s7, v33, s3
	v_cmp_le_i32_e64 s3, s29, v27
	v_add_co_u32 v34, s4, v34, s6
	v_add_co_ci_u32_e64 v35, null, s7, v35, s4
	s_add_u32 s24, s24, s22
	s_addc_u32 s25, s25, s23
	s_or_b32 s31, s3, s31
	s_andn2_b32 exec_lo, exec_lo, s31
	s_cbranch_execz .LBB675_28
.LBB675_23:                             ; =>This Inner Loop Header: Depth=1
	s_and_saveexec_b32 s4, vcc_lo
	s_cbranch_execz .LBB675_22
; %bb.24:                               ;   in Loop: Header=BB675_23 Depth=1
	v_add_co_u32 v13, s3, s24, v5
	v_add_co_ci_u32_e64 v14, null, s25, v6, s3
	v_add_co_u32 v15, s3, s24, v7
	v_add_co_ci_u32_e64 v16, null, s25, v8, s3
	;; [unrolled: 2-line block ×4, first 2 shown]
	s_clause 0x3
	flat_load_ushort v37, v[13:14]
	flat_load_ushort v39, v[15:16]
	flat_load_ushort v41, v[17:18]
	flat_load_ushort v44, v[19:20]
	v_add_co_u32 v13, s3, v30, v3
	v_add_co_ci_u32_e64 v14, null, v31, v4, s3
	v_add_co_u32 v17, s3, v34, v3
	v_add_co_ci_u32_e64 v18, null, v35, v4, s3
	v_add_co_u32 v15, s3, v32, v3
	v_add_co_ci_u32_e64 v16, null, v33, v4, s3
	v_add_co_u32 v19, s3, v28, v3
	v_add_co_ci_u32_e64 v20, null, v29, v4, s3
	flat_load_ushort v42, v[13:14]
	flat_load_ushort v40, v[17:18]
	flat_load_ushort v38, v[15:16]
	flat_load_ushort v36, v[19:20]
	s_waitcnt vmcnt(7) lgkmcnt(7)
	v_lshlrev_b32_e32 v43, 16, v37
	s_waitcnt vmcnt(6) lgkmcnt(6)
	v_lshlrev_b32_e32 v39, 16, v39
	;; [unrolled: 2-line block ×4, first 2 shown]
	s_and_saveexec_b32 s3, s0
	s_cbranch_execz .LBB675_21
; %bb.25:                               ;   in Loop: Header=BB675_23 Depth=1
	flat_load_ushort v47, v[13:14] offset:128
	flat_load_ushort v46, v[17:18] offset:128
	flat_load_ushort v45, v[15:16] offset:128
	flat_load_ushort v44, v[19:20] offset:128
	s_and_saveexec_b32 s33, s1
	s_cbranch_execz .LBB675_20
; %bb.26:                               ;   in Loop: Header=BB675_23 Depth=1
	flat_load_ushort v51, v[13:14] offset:256
	flat_load_ushort v50, v[17:18] offset:256
	flat_load_ushort v49, v[15:16] offset:256
	flat_load_ushort v48, v[19:20] offset:256
	;; [unrolled: 7-line block ×3, first 2 shown]
	s_waitcnt vmcnt(3) lgkmcnt(3)
	v_lshlrev_b32_e32 v13, 16, v13
	s_waitcnt vmcnt(2) lgkmcnt(2)
	v_lshlrev_b32_e32 v14, 16, v14
	v_fmac_f32_e32 v26, v43, v13
	s_waitcnt vmcnt(1) lgkmcnt(1)
	v_lshlrev_b32_e32 v13, 16, v15
	v_fmac_f32_e32 v26, v39, v14
	;; [unrolled: 3-line block ×3, first 2 shown]
	v_fmac_f32_e32 v26, v37, v14
	s_branch .LBB675_19
.LBB675_28:
	s_or_b32 exec_lo, exec_lo, s31
.LBB675_29:
	s_or_b32 exec_lo, exec_lo, s30
	s_sub_i32 s0, s9, s29
	s_cmp_lt_i32 s0, 1
	s_cbranch_scc1 .LBB675_47
; %bb.30:
	v_cmp_gt_i32_e32 vcc_lo, s9, v27
	v_mov_b32_e32 v12, 0
	v_or_b32_e32 v4, 1, v27
	v_mov_b32_e32 v11, 0
	v_mov_b32_e32 v14, 0
	;; [unrolled: 1-line block ×3, first 2 shown]
	s_and_saveexec_b32 s1, vcc_lo
	s_cbranch_execz .LBB675_38
; %bb.31:
	v_mad_u64_u32 v[5:6], null, s20, v27, 0
	v_mov_b32_e32 v13, 0
	v_mov_b32_e32 v11, 0
	;; [unrolled: 1-line block ×3, first 2 shown]
	s_mov_b32 s2, exec_lo
	v_mov_b32_e32 v3, v6
	v_mad_u64_u32 v[6:7], null, s21, v27, v[3:4]
	v_lshlrev_b64 v[5:6], 1, v[5:6]
	v_add_co_u32 v5, s0, s18, v5
	v_add_co_ci_u32_e64 v6, null, s19, v6, s0
	flat_load_ushort v3, v[5:6]
	v_cmpx_gt_i32_e64 s9, v4
	s_cbranch_execz .LBB675_37
; %bb.32:
	v_mad_u64_u32 v[5:6], null, s20, v4, 0
	v_mov_b32_e32 v11, 0
	v_mov_b32_e32 v12, 0
	s_mov_b32 s3, exec_lo
	v_mad_u64_u32 v[6:7], null, s21, v4, v[6:7]
	v_lshlrev_b64 v[5:6], 1, v[5:6]
	v_add_co_u32 v5, s0, s18, v5
	v_add_co_ci_u32_e64 v6, null, s19, v6, s0
	flat_load_ushort v5, v[5:6]
	v_or_b32_e32 v6, 2, v27
	v_cmpx_gt_i32_e64 s9, v6
	s_cbranch_execz .LBB675_36
; %bb.33:
	v_mad_u64_u32 v[7:8], null, s20, v6, 0
	v_mov_b32_e32 v11, 0
	s_mov_b32 s4, exec_lo
	v_mad_u64_u32 v[8:9], null, s21, v6, v[8:9]
	v_lshlrev_b64 v[6:7], 1, v[7:8]
	v_add_co_u32 v6, s0, s18, v6
	v_add_co_ci_u32_e64 v7, null, s19, v7, s0
	flat_load_ushort v6, v[6:7]
	v_or_b32_e32 v7, 3, v27
	v_cmpx_gt_i32_e64 s9, v7
	s_cbranch_execz .LBB675_35
; %bb.34:
	v_mad_u64_u32 v[8:9], null, s20, v7, 0
	v_mad_u64_u32 v[9:10], null, s21, v7, v[9:10]
	v_lshlrev_b64 v[7:8], 1, v[8:9]
	v_add_co_u32 v7, s0, s18, v7
	v_add_co_ci_u32_e64 v8, null, s19, v8, s0
	flat_load_ushort v7, v[7:8]
	s_waitcnt vmcnt(0) lgkmcnt(0)
	v_lshlrev_b32_e32 v11, 16, v7
.LBB675_35:
	s_or_b32 exec_lo, exec_lo, s4
	s_waitcnt vmcnt(0) lgkmcnt(0)
	v_lshlrev_b32_e32 v12, 16, v6
.LBB675_36:
	s_or_b32 exec_lo, exec_lo, s3
	s_waitcnt vmcnt(0) lgkmcnt(0)
	v_lshlrev_b32_e32 v13, 16, v5
.LBB675_37:
	s_or_b32 exec_lo, exec_lo, s2
	s_waitcnt vmcnt(0) lgkmcnt(0)
	v_lshlrev_b32_e32 v14, 16, v3
.LBB675_38:
	s_or_b32 exec_lo, exec_lo, s1
	s_mov_b32 s1, exec_lo
	v_cmpx_gt_i32_e64 s8, v2
	s_cbranch_execz .LBB675_46
; %bb.39:
	v_mad_u64_u32 v[5:6], null, s14, v27, 0
	v_mad_u64_u32 v[7:8], null, s14, v4, 0
	v_ashrrev_i32_e32 v3, 31, v2
	v_or_b32_e32 v20, 2, v27
	v_or_b32_e32 v29, 3, v27
	v_cndmask_b32_e32 v5, 0, v5, vcc_lo
	v_lshlrev_b64 v[9:10], 1, v[2:3]
	v_mad_u64_u32 v[15:16], null, s15, v27, v[6:7]
	v_mov_b32_e32 v3, v8
	v_mad_u64_u32 v[16:17], null, s14, v20, 0
	v_mad_u64_u32 v[18:19], null, s14, v29, 0
	;; [unrolled: 1-line block ×3, first 2 shown]
	v_cndmask_b32_e32 v6, 0, v15, vcc_lo
	v_cmp_gt_i32_e32 vcc_lo, s9, v4
	v_mov_b32_e32 v3, v17
	v_cmp_gt_i32_e64 s0, s9, v20
	v_mov_b32_e32 v8, v19
	v_cndmask_b32_e32 v4, 0, v7, vcc_lo
	v_lshlrev_b64 v[6:7], 1, v[5:6]
	v_cndmask_b32_e32 v5, 0, v27, vcc_lo
	v_mad_u64_u32 v[19:20], null, s15, v20, v[3:4]
	v_add_co_u32 v3, vcc_lo, s16, v6
	v_add_co_ci_u32_e64 v7, null, s17, v7, vcc_lo
	v_lshlrev_b64 v[5:6], 1, v[4:5]
	v_add_co_u32 v3, vcc_lo, v3, v9
	v_add_co_ci_u32_e64 v4, null, v7, v10, vcc_lo
	v_cndmask_b32_e64 v7, 0, v16, s0
	v_mad_u64_u32 v[15:16], null, s15, v29, v[8:9]
	v_add_co_u32 v5, vcc_lo, s16, v5
	v_add_co_ci_u32_e64 v6, null, s17, v6, vcc_lo
	v_cmp_gt_i32_e32 vcc_lo, s9, v29
	v_cndmask_b32_e64 v8, 0, v19, s0
	v_add_co_u32 v5, s0, v5, v9
	v_add_co_ci_u32_e64 v6, null, v6, v10, s0
	v_cndmask_b32_e32 v16, 0, v18, vcc_lo
	v_cndmask_b32_e32 v17, 0, v15, vcc_lo
	v_lshlrev_b64 v[7:8], 1, v[7:8]
	s_clause 0x1
	flat_load_ushort v18, v[3:4]
	flat_load_ushort v19, v[5:6]
	s_mov_b32 s0, exec_lo
	v_lshlrev_b64 v[15:16], 1, v[16:17]
	v_add_co_u32 v7, vcc_lo, s16, v7
	v_add_co_ci_u32_e64 v8, null, s17, v8, vcc_lo
	v_add_co_u32 v15, vcc_lo, s16, v15
	v_add_co_ci_u32_e64 v16, null, s17, v16, vcc_lo
	;; [unrolled: 2-line block ×4, first 2 shown]
	s_clause 0x1
	flat_load_ushort v15, v[7:8]
	flat_load_ushort v16, v[9:10]
	s_waitcnt vmcnt(3) lgkmcnt(3)
	v_lshlrev_b32_e32 v17, 16, v18
	s_waitcnt vmcnt(2) lgkmcnt(2)
	v_lshlrev_b32_e32 v18, 16, v19
	v_fmac_f32_e32 v23, v14, v17
	v_fmac_f32_e32 v23, v13, v18
	v_add_nc_u32_e32 v18, 64, v2
	s_waitcnt vmcnt(1) lgkmcnt(1)
	v_lshlrev_b32_e32 v17, 16, v15
	s_waitcnt vmcnt(0) lgkmcnt(0)
	v_lshlrev_b32_e32 v15, 16, v16
	v_fmac_f32_e32 v23, v12, v17
	v_cmpx_gt_i32_e64 s8, v18
	s_cbranch_execz .LBB675_45
; %bb.40:
	s_clause 0x3
	flat_load_ushort v16, v[3:4] offset:128
	flat_load_ushort v17, v[5:6] offset:128
	;; [unrolled: 1-line block ×4, first 2 shown]
	s_mov_b32 s2, exec_lo
	s_waitcnt vmcnt(3) lgkmcnt(3)
	v_lshlrev_b32_e32 v16, 16, v16
	s_waitcnt vmcnt(2) lgkmcnt(2)
	v_lshlrev_b32_e32 v17, 16, v17
	;; [unrolled: 2-line block ×3, first 2 shown]
	v_fmac_f32_e32 v24, v14, v16
	s_waitcnt vmcnt(0) lgkmcnt(0)
	v_lshlrev_b32_e32 v16, 16, v19
	v_fmac_f32_e32 v24, v13, v17
	v_add_nc_u32_e32 v17, 0x80, v2
	v_fmac_f32_e32 v24, v12, v18
	v_cmpx_gt_i32_e64 s8, v17
	s_cbranch_execz .LBB675_44
; %bb.41:
	s_clause 0x3
	flat_load_ushort v17, v[3:4] offset:256
	flat_load_ushort v18, v[5:6] offset:256
	;; [unrolled: 1-line block ×4, first 2 shown]
	s_mov_b32 s3, exec_lo
	s_waitcnt vmcnt(3) lgkmcnt(3)
	v_lshlrev_b32_e32 v17, 16, v17
	s_waitcnt vmcnt(2) lgkmcnt(2)
	v_lshlrev_b32_e32 v18, 16, v18
	v_fmac_f32_e32 v25, v14, v17
	s_waitcnt vmcnt(1) lgkmcnt(1)
	v_lshlrev_b32_e32 v17, 16, v19
	v_fmac_f32_e32 v25, v13, v18
	v_add_nc_u32_e32 v18, 0xc0, v2
	s_waitcnt vmcnt(0) lgkmcnt(0)
	v_lshlrev_b32_e32 v2, 16, v20
	v_fmac_f32_e32 v25, v12, v17
	v_cmpx_gt_i32_e64 s8, v18
	s_cbranch_execz .LBB675_43
; %bb.42:
	s_clause 0x3
	flat_load_ushort v3, v[3:4] offset:384
	flat_load_ushort v4, v[5:6] offset:384
	;; [unrolled: 1-line block ×4, first 2 shown]
	s_waitcnt vmcnt(3) lgkmcnt(3)
	v_lshlrev_b32_e32 v3, 16, v3
	s_waitcnt vmcnt(2) lgkmcnt(2)
	v_lshlrev_b32_e32 v4, 16, v4
	v_fmac_f32_e32 v26, v14, v3
	s_waitcnt vmcnt(1) lgkmcnt(1)
	v_lshlrev_b32_e32 v3, 16, v5
	v_fmac_f32_e32 v26, v13, v4
	;; [unrolled: 3-line block ×3, first 2 shown]
	v_fmac_f32_e32 v26, v11, v4
.LBB675_43:
	s_or_b32 exec_lo, exec_lo, s3
	v_fmac_f32_e32 v25, v11, v2
.LBB675_44:
	s_or_b32 exec_lo, exec_lo, s2
	v_fmac_f32_e32 v24, v11, v16
.LBB675_45:
	s_or_b32 exec_lo, exec_lo, s0
	v_fmac_f32_e32 v23, v11, v15
.LBB675_46:
	s_or_b32 exec_lo, exec_lo, s1
.LBB675_47:
	v_lshlrev_b32_e32 v0, 2, v0
	s_mov_b32 s0, exec_lo
                                        ; implicit-def: $vgpr3
                                        ; implicit-def: $vgpr4_vgpr5
	v_lshl_add_u32 v1, v1, 10, v0
	ds_write2st64_b32 v1, v23, v24 offset1:1
	ds_write2st64_b32 v1, v25, v26 offset0:2 offset1:3
	s_waitcnt lgkmcnt(0)
	s_barrier
	buffer_gl0_inv
	v_cmpx_gt_u32_e32 0x100, v21
	s_cbranch_execz .LBB675_53
; %bb.48:
	v_lshl_add_u32 v6, v22, 2, v0
	s_mov_b32 s2, s27
	s_mov_b32 s1, exec_lo
	ds_read2st64_b32 v[0:1], v6 offset1:4
	ds_read2st64_b32 v[2:3], v6 offset0:8 offset1:12
	ds_read2st64_b32 v[4:5], v6 offset0:16 offset1:20
	s_waitcnt lgkmcnt(2)
	v_add_f32_e32 v7, v0, v1
	ds_read2st64_b32 v[0:1], v6 offset0:24 offset1:28
	s_waitcnt lgkmcnt(2)
	v_add_f32_e32 v2, v2, v7
	v_add_f32_e32 v7, v3, v2
	ds_read2st64_b32 v[2:3], v6 offset0:32 offset1:36
	s_waitcnt lgkmcnt(2)
	v_add_f32_e32 v4, v4, v7
	;; [unrolled: 4-line block ×3, first 2 shown]
	v_add_f32_e32 v0, v1, v0
	s_waitcnt lgkmcnt(1)
	v_add_f32_e32 v2, v2, v0
	ds_read2st64_b32 v[0:1], v6 offset0:48 offset1:52
	v_add_f32_e32 v2, v3, v2
	s_waitcnt lgkmcnt(1)
	v_add_f32_e32 v4, v4, v2
	ds_read2st64_b32 v[2:3], v6 offset0:56 offset1:60
	v_add_f32_e32 v4, v5, v4
	s_waitcnt lgkmcnt(1)
	v_add_f32_e32 v0, v0, v4
                                        ; implicit-def: $vgpr4_vgpr5
	v_add_f32_e32 v0, v1, v0
	v_or_b32_e32 v1, s28, v21
	s_waitcnt lgkmcnt(0)
	v_add_f32_e32 v0, v2, v0
	v_add_f32_e32 v0, v3, v0
                                        ; implicit-def: $vgpr3
	ds_write_b32 v6, v0
	v_cmpx_gt_i32_e64 s8, v1
	s_cbranch_execz .LBB675_52
; %bb.49:
	v_ashrrev_i32_e32 v2, 31, v1
	v_mul_lo_u32 v6, s13, v1
	v_mad_u64_u32 v[4:5], null, s12, v1, 0
	v_cmp_eq_f32_e64 s2, s11, 0
	v_mul_lo_u32 v1, s12, v2
	v_mul_f32_e32 v3, s10, v0
	s_and_b32 vcc_lo, exec_lo, s2
	v_add3_u32 v5, v5, v1, v6
	s_cbranch_vccnz .LBB675_51
; %bb.50:
	v_lshlrev_b64 v[0:1], 2, v[4:5]
	v_add_co_u32 v0, vcc_lo, s5, v0
	v_add_co_ci_u32_e64 v1, null, s26, v1, vcc_lo
	flat_load_dword v0, v[0:1]
	s_waitcnt vmcnt(0) lgkmcnt(0)
	v_fmac_f32_e32 v3, s11, v0
.LBB675_51:
	s_or_b32 s2, s27, exec_lo
.LBB675_52:
	s_or_b32 exec_lo, exec_lo, s1
	s_andn2_b32 s1, s27, exec_lo
	s_and_b32 s2, s2, exec_lo
	s_or_b32 s27, s1, s2
.LBB675_53:
	s_or_b32 exec_lo, exec_lo, s0
.LBB675_54:
	s_and_saveexec_b32 s0, s27
	s_cbranch_execz .LBB675_56
; %bb.55:
	v_lshlrev_b64 v[0:1], 2, v[4:5]
	v_add_co_u32 v0, vcc_lo, s5, v0
	v_add_co_ci_u32_e64 v1, null, s26, v1, vcc_lo
	flat_store_dword v[0:1], v3
.LBB675_56:
	s_endpgm
	.section	.rodata,"a",@progbits
	.p2align	6, 0x0
	.amdhsa_kernel _ZL20rocblas_gemvn_kernelILi64ELi16ElPK16rocblas_bfloat16fKPfEviiT3_lPKT2_lT1_lS8_lS9_lS5_lPT4_lS9_li
		.amdhsa_group_segment_fixed_size 16384
		.amdhsa_private_segment_fixed_size 0
		.amdhsa_kernarg_size 400
		.amdhsa_user_sgpr_count 6
		.amdhsa_user_sgpr_private_segment_buffer 1
		.amdhsa_user_sgpr_dispatch_ptr 0
		.amdhsa_user_sgpr_queue_ptr 0
		.amdhsa_user_sgpr_kernarg_segment_ptr 1
		.amdhsa_user_sgpr_dispatch_id 0
		.amdhsa_user_sgpr_flat_scratch_init 0
		.amdhsa_user_sgpr_private_segment_size 0
		.amdhsa_wavefront_size32 1
		.amdhsa_uses_dynamic_stack 0
		.amdhsa_system_sgpr_private_segment_wavefront_offset 0
		.amdhsa_system_sgpr_workgroup_id_x 1
		.amdhsa_system_sgpr_workgroup_id_y 0
		.amdhsa_system_sgpr_workgroup_id_z 1
		.amdhsa_system_sgpr_workgroup_info 0
		.amdhsa_system_vgpr_workitem_id 1
		.amdhsa_next_free_vgpr 52
		.amdhsa_next_free_sgpr 35
		.amdhsa_reserve_vcc 1
		.amdhsa_reserve_flat_scratch 1
		.amdhsa_float_round_mode_32 0
		.amdhsa_float_round_mode_16_64 0
		.amdhsa_float_denorm_mode_32 3
		.amdhsa_float_denorm_mode_16_64 3
		.amdhsa_dx10_clamp 1
		.amdhsa_ieee_mode 1
		.amdhsa_fp16_overflow 0
		.amdhsa_workgroup_processor_mode 1
		.amdhsa_memory_ordered 1
		.amdhsa_forward_progress 1
		.amdhsa_shared_vgpr_count 0
		.amdhsa_exception_fp_ieee_invalid_op 0
		.amdhsa_exception_fp_denorm_src 0
		.amdhsa_exception_fp_ieee_div_zero 0
		.amdhsa_exception_fp_ieee_overflow 0
		.amdhsa_exception_fp_ieee_underflow 0
		.amdhsa_exception_fp_ieee_inexact 0
		.amdhsa_exception_int_div_zero 0
	.end_amdhsa_kernel
	.section	.text._ZL20rocblas_gemvn_kernelILi64ELi16ElPK16rocblas_bfloat16fKPfEviiT3_lPKT2_lT1_lS8_lS9_lS5_lPT4_lS9_li,"axG",@progbits,_ZL20rocblas_gemvn_kernelILi64ELi16ElPK16rocblas_bfloat16fKPfEviiT3_lPKT2_lT1_lS8_lS9_lS5_lPT4_lS9_li,comdat
.Lfunc_end675:
	.size	_ZL20rocblas_gemvn_kernelILi64ELi16ElPK16rocblas_bfloat16fKPfEviiT3_lPKT2_lT1_lS8_lS9_lS5_lPT4_lS9_li, .Lfunc_end675-_ZL20rocblas_gemvn_kernelILi64ELi16ElPK16rocblas_bfloat16fKPfEviiT3_lPKT2_lT1_lS8_lS9_lS5_lPT4_lS9_li
                                        ; -- End function
	.set _ZL20rocblas_gemvn_kernelILi64ELi16ElPK16rocblas_bfloat16fKPfEviiT3_lPKT2_lT1_lS8_lS9_lS5_lPT4_lS9_li.num_vgpr, 52
	.set _ZL20rocblas_gemvn_kernelILi64ELi16ElPK16rocblas_bfloat16fKPfEviiT3_lPKT2_lT1_lS8_lS9_lS5_lPT4_lS9_li.num_agpr, 0
	.set _ZL20rocblas_gemvn_kernelILi64ELi16ElPK16rocblas_bfloat16fKPfEviiT3_lPKT2_lT1_lS8_lS9_lS5_lPT4_lS9_li.numbered_sgpr, 35
	.set _ZL20rocblas_gemvn_kernelILi64ELi16ElPK16rocblas_bfloat16fKPfEviiT3_lPKT2_lT1_lS8_lS9_lS5_lPT4_lS9_li.num_named_barrier, 0
	.set _ZL20rocblas_gemvn_kernelILi64ELi16ElPK16rocblas_bfloat16fKPfEviiT3_lPKT2_lT1_lS8_lS9_lS5_lPT4_lS9_li.private_seg_size, 0
	.set _ZL20rocblas_gemvn_kernelILi64ELi16ElPK16rocblas_bfloat16fKPfEviiT3_lPKT2_lT1_lS8_lS9_lS5_lPT4_lS9_li.uses_vcc, 1
	.set _ZL20rocblas_gemvn_kernelILi64ELi16ElPK16rocblas_bfloat16fKPfEviiT3_lPKT2_lT1_lS8_lS9_lS5_lPT4_lS9_li.uses_flat_scratch, 1
	.set _ZL20rocblas_gemvn_kernelILi64ELi16ElPK16rocblas_bfloat16fKPfEviiT3_lPKT2_lT1_lS8_lS9_lS5_lPT4_lS9_li.has_dyn_sized_stack, 0
	.set _ZL20rocblas_gemvn_kernelILi64ELi16ElPK16rocblas_bfloat16fKPfEviiT3_lPKT2_lT1_lS8_lS9_lS5_lPT4_lS9_li.has_recursion, 0
	.set _ZL20rocblas_gemvn_kernelILi64ELi16ElPK16rocblas_bfloat16fKPfEviiT3_lPKT2_lT1_lS8_lS9_lS5_lPT4_lS9_li.has_indirect_call, 0
	.section	.AMDGPU.csdata,"",@progbits
; Kernel info:
; codeLenInByte = 3260
; TotalNumSgprs: 37
; NumVgprs: 52
; ScratchSize: 0
; MemoryBound: 0
; FloatMode: 240
; IeeeMode: 1
; LDSByteSize: 16384 bytes/workgroup (compile time only)
; SGPRBlocks: 0
; VGPRBlocks: 6
; NumSGPRsForWavesPerEU: 37
; NumVGPRsForWavesPerEU: 52
; Occupancy: 16
; WaveLimiterHint : 1
; COMPUTE_PGM_RSRC2:SCRATCH_EN: 0
; COMPUTE_PGM_RSRC2:USER_SGPR: 6
; COMPUTE_PGM_RSRC2:TRAP_HANDLER: 0
; COMPUTE_PGM_RSRC2:TGID_X_EN: 1
; COMPUTE_PGM_RSRC2:TGID_Y_EN: 0
; COMPUTE_PGM_RSRC2:TGID_Z_EN: 1
; COMPUTE_PGM_RSRC2:TIDIG_COMP_CNT: 1
	.section	.text._ZL22rocblas_gemvtsm_kernelILb0ELi256EPK16rocblas_bfloat16PKfKPfEviiT2_lPKT1_lilSA_lilS7_lPT3_lil,"axG",@progbits,_ZL22rocblas_gemvtsm_kernelILb0ELi256EPK16rocblas_bfloat16PKfKPfEviiT2_lPKT1_lilSA_lilS7_lPT3_lil,comdat
	.globl	_ZL22rocblas_gemvtsm_kernelILb0ELi256EPK16rocblas_bfloat16PKfKPfEviiT2_lPKT1_lilSA_lilS7_lPT3_lil ; -- Begin function _ZL22rocblas_gemvtsm_kernelILb0ELi256EPK16rocblas_bfloat16PKfKPfEviiT2_lPKT1_lilSA_lilS7_lPT3_lil
	.p2align	8
	.type	_ZL22rocblas_gemvtsm_kernelILb0ELi256EPK16rocblas_bfloat16PKfKPfEviiT2_lPKT1_lilSA_lilS7_lPT3_lil,@function
_ZL22rocblas_gemvtsm_kernelILb0ELi256EPK16rocblas_bfloat16PKfKPfEviiT2_lPKT1_lilSA_lilS7_lPT3_lil: ; @_ZL22rocblas_gemvtsm_kernelILb0ELi256EPK16rocblas_bfloat16PKfKPfEviiT2_lPKT1_lilSA_lilS7_lPT3_lil
; %bb.0:
	s_clause 0x1
	s_load_dwordx8 s[16:23], s[4:5], 0x8
	s_load_dwordx8 s[8:15], s[4:5], 0x58
	s_mov_b32 s7, 0
	s_waitcnt lgkmcnt(0)
	s_mul_i32 s1, s19, s6
	s_mul_hi_u32 s2, s18, s6
	s_mul_i32 s0, s18, s6
	s_add_i32 s1, s2, s1
	s_mul_i32 s2, s11, s6
	s_lshl_b64 s[0:1], s[0:1], 2
	s_mul_hi_u32 s3, s10, s6
	s_add_u32 s0, s16, s0
	s_addc_u32 s1, s17, s1
	s_add_i32 s3, s3, s2
	s_mul_i32 s2, s10, s6
	s_lshl_b64 s[2:3], s[2:3], 2
	s_add_u32 s2, s8, s2
	s_addc_u32 s3, s9, s3
	s_load_dword s19, s[0:1], 0x0
	s_load_dword s18, s[2:3], 0x0
	s_waitcnt lgkmcnt(0)
	v_cmp_eq_f32_e64 s0, s19, 0
	v_cmp_eq_f32_e64 s1, s18, 1.0
	s_and_b32 s1, s0, s1
	s_and_b32 vcc_lo, exec_lo, s1
	s_cbranch_vccnz .LBB676_62
; %bb.1:
	v_cmp_neq_f32_e64 s1, s19, 0
	s_mov_b64 s[16:17], 0
	s_and_b32 vcc_lo, exec_lo, s0
	s_mov_b64 s[8:9], 0
	s_cbranch_vccnz .LBB676_3
; %bb.2:
	s_lshl_b64 s[2:3], s[6:7], 3
	s_add_u32 s2, s20, s2
	s_addc_u32 s3, s21, s3
	s_lshl_b64 s[8:9], s[22:23], 1
	s_load_dwordx2 s[2:3], s[2:3], 0x0
	s_waitcnt lgkmcnt(0)
	s_add_u32 s8, s2, s8
	s_addc_u32 s9, s3, s9
.LBB676_3:
	s_andn2_b32 vcc_lo, exec_lo, s1
	s_cbranch_vccnz .LBB676_5
; %bb.4:
	s_load_dwordx4 s[20:23], s[4:5], 0x38
	s_lshl_b64 s[2:3], s[6:7], 3
	s_waitcnt lgkmcnt(0)
	s_add_u32 s2, s20, s2
	s_addc_u32 s3, s21, s3
	s_lshl_b64 s[10:11], s[22:23], 1
	s_load_dwordx2 s[2:3], s[2:3], 0x0
	s_waitcnt lgkmcnt(0)
	s_add_u32 s16, s2, s10
	s_addc_u32 s17, s3, s11
.LBB676_5:
	s_lshl_b64 s[2:3], s[6:7], 3
	s_add_u32 s10, s12, s2
	s_addc_u32 s11, s13, s3
	s_clause 0x1
	s_load_dwordx2 s[2:3], s[4:5], 0x0
	s_load_dword s6, s[4:5], 0x78
	s_load_dwordx2 s[10:11], s[10:11], 0x0
	s_andn2_b32 vcc_lo, exec_lo, s0
	s_mov_b32 s0, -1
	s_cbranch_vccnz .LBB676_20
; %bb.6:
	s_waitcnt lgkmcnt(0)
	s_cmp_gt_i32 s3, 0
	v_cmp_neq_f32_e64 s0, s18, 0
	s_cselect_b32 s12, -1, 0
	v_cndmask_b32_e64 v1, 0, 1, s12
	s_and_b32 vcc_lo, exec_lo, s0
	v_cmp_ne_u32_e64 s0, 1, v1
	s_cbranch_vccnz .LBB676_13
; %bb.7:
	s_and_b32 vcc_lo, exec_lo, s0
	s_cbranch_vccnz .LBB676_12
; %bb.8:
	v_mad_i64_i32 v[1:2], null, s6, v0, 0
	s_lshl_b64 s[0:1], s[14:15], 2
	s_ashr_i32 s7, s6, 31
	s_add_u32 s0, s10, s0
	s_addc_u32 s1, s11, s1
	v_mov_b32_e32 v3, 0
	v_lshlrev_b64 v[1:2], 2, v[1:2]
	v_add_co_u32 v1, vcc_lo, s0, v1
	v_add_co_ci_u32_e64 v2, null, s1, v2, vcc_lo
	s_lshl_b64 s[0:1], s[6:7], 10
	s_mov_b32 s7, 0
	s_branch .LBB676_10
.LBB676_9:                              ;   in Loop: Header=BB676_10 Depth=1
	s_or_b32 exec_lo, exec_lo, s13
	v_add_co_u32 v1, vcc_lo, v1, s0
	v_add_co_ci_u32_e64 v2, null, s1, v2, vcc_lo
	s_addk_i32 s7, 0x100
	s_cmp_ge_i32 s7, s3
	s_cbranch_scc1 .LBB676_12
.LBB676_10:                             ; =>This Inner Loop Header: Depth=1
	v_add_nc_u32_e32 v4, s7, v0
	s_mov_b32 s13, exec_lo
	v_cmpx_gt_i32_e64 s3, v4
	s_cbranch_execz .LBB676_9
; %bb.11:                               ;   in Loop: Header=BB676_10 Depth=1
	flat_store_dword v[1:2], v3
	s_branch .LBB676_9
.LBB676_12:
	s_cbranch_execz .LBB676_14
	s_branch .LBB676_19
.LBB676_13:
.LBB676_14:
	s_andn2_b32 vcc_lo, exec_lo, s12
	s_cbranch_vccnz .LBB676_19
; %bb.15:
	v_mad_i64_i32 v[1:2], null, s6, v0, 0
	s_lshl_b64 s[0:1], s[14:15], 2
	s_ashr_i32 s7, s6, 31
	s_add_u32 s0, s10, s0
	s_addc_u32 s1, s11, s1
	v_lshlrev_b64 v[1:2], 2, v[1:2]
	v_add_co_u32 v1, vcc_lo, s0, v1
	v_add_co_ci_u32_e64 v2, null, s1, v2, vcc_lo
	s_lshl_b64 s[0:1], s[6:7], 10
	s_mov_b32 s7, 0
	s_branch .LBB676_17
	.p2align	6
.LBB676_16:                             ;   in Loop: Header=BB676_17 Depth=1
	s_or_b32 exec_lo, exec_lo, s12
	v_add_co_u32 v1, vcc_lo, v1, s0
	v_add_co_ci_u32_e64 v2, null, s1, v2, vcc_lo
	s_addk_i32 s7, 0x100
	s_cmp_ge_i32 s7, s3
	s_cbranch_scc1 .LBB676_19
.LBB676_17:                             ; =>This Inner Loop Header: Depth=1
	v_add_nc_u32_e32 v3, s7, v0
	s_mov_b32 s12, exec_lo
	v_cmpx_gt_i32_e64 s3, v3
	s_cbranch_execz .LBB676_16
; %bb.18:                               ;   in Loop: Header=BB676_17 Depth=1
	flat_load_dword v3, v[1:2]
	s_waitcnt vmcnt(0) lgkmcnt(0)
	v_mul_f32_e32 v3, s18, v3
	flat_store_dword v[1:2], v3
	s_branch .LBB676_16
.LBB676_19:
	s_mov_b32 s0, 0
.LBB676_20:
	s_andn2_b32 vcc_lo, exec_lo, s0
	s_cbranch_vccnz .LBB676_62
; %bb.21:
	s_mov_b32 s0, exec_lo
	s_waitcnt lgkmcnt(0)
	v_cmpx_gt_i32_e64 s2, v0
	s_cbranch_execz .LBB676_27
; %bb.22:
	s_load_dword s1, s[4:5], 0x48
	s_waitcnt lgkmcnt(0)
	v_mad_i64_i32 v[1:2], null, s1, v0, 0
	v_lshlrev_b64 v[1:2], 1, v[1:2]
	v_add_co_u32 v1, vcc_lo, s16, v1
	v_add_co_ci_u32_e64 v2, null, s17, v2, vcc_lo
	flat_load_ushort v1, v[1:2]
	s_waitcnt vmcnt(0) lgkmcnt(0)
	v_lshlrev_b32_e32 v1, 16, v1
	v_mul_f32_e32 v1, s19, v1
	v_and_b32_e32 v2, 0x7f800000, v1
	v_cmp_ne_u32_e32 vcc_lo, 0x7f800000, v2
                                        ; implicit-def: $vgpr2
	s_and_saveexec_b32 s1, vcc_lo
	s_xor_b32 s1, exec_lo, s1
; %bb.23:
	v_bfe_u32 v2, v1, 16, 1
	v_add3_u32 v2, v1, v2, 0x7fff
                                        ; implicit-def: $vgpr1
; %bb.24:
	s_andn2_saveexec_b32 s1, s1
; %bb.25:
	v_mov_b32_e32 v2, 0
	v_or_b32_e32 v3, 0x10000, v1
	v_cmp_eq_u32_sdwa vcc_lo, v1, v2 src0_sel:WORD_0 src1_sel:DWORD
	v_cndmask_b32_e32 v2, v3, v1, vcc_lo
; %bb.26:
	s_or_b32 exec_lo, exec_lo, s1
	v_and_b32_e32 v1, 0xffff0000, v2
	v_lshlrev_b32_e32 v2, 2, v0
	ds_write_b32 v2, v1
.LBB676_27:
	s_or_b32 exec_lo, exec_lo, s0
	s_cmp_lt_i32 s3, 1
	s_waitcnt lgkmcnt(0)
	s_waitcnt_vscnt null, 0x0
	s_barrier
	buffer_gl0_inv
	s_cbranch_scc1 .LBB676_62
; %bb.28:
	s_load_dword s0, s[4:5], 0x28
	s_lshl_b64 s[4:5], s[14:15], 2
	v_mov_b32_e32 v7, 0
	s_add_u32 s4, s10, s4
	s_addc_u32 s5, s11, s5
	s_ashr_i32 s7, s6, 31
	v_cmp_neq_f32_e64 s10, s18, 0
	s_waitcnt lgkmcnt(0)
	v_mad_i64_i32 v[1:2], null, s0, v0, 0
	s_ashr_i32 s1, s0, 31
	s_cmp_gt_i32 s2, 0
	s_cselect_b32 s11, -1, 0
	s_and_b32 s12, s2, 3
	s_cmp_gt_u32 s2, 3
	v_lshlrev_b64 v[1:2], 1, v[1:2]
	s_cselect_b32 s13, -1, 0
	s_and_b32 s2, s2, 0x7ffffffc
	s_cmp_lg_u32 s12, 0
	s_cselect_b32 s14, -1, 0
	v_add_co_u32 v1, vcc_lo, s8, v1
	v_add_co_ci_u32_e64 v2, null, s9, v2, vcc_lo
	s_mov_b32 s8, 0
	s_lshl_b64 s[0:1], s[0:1], 9
	s_branch .LBB676_31
.LBB676_29:                             ;   in Loop: Header=BB676_31 Depth=1
	s_inst_prefetch 0x2
	v_add_co_u32 v3, vcc_lo, s4, v3
	v_add_co_ci_u32_e64 v4, null, s5, v4, vcc_lo
	flat_store_dword v[3:4], v8
.LBB676_30:                             ;   in Loop: Header=BB676_31 Depth=1
	s_or_b32 exec_lo, exec_lo, s9
	v_add_co_u32 v1, vcc_lo, v1, s0
	v_add_co_ci_u32_e64 v2, null, s1, v2, vcc_lo
	s_addk_i32 s8, 0x100
	s_cmp_ge_i32 s8, s3
	s_cbranch_scc1 .LBB676_62
.LBB676_31:                             ; =>This Loop Header: Depth=1
                                        ;     Child Loop BB676_38 Depth 2
                                        ;     Child Loop BB676_58 Depth 2
	v_add_nc_u32_e32 v3, s8, v0
	s_mov_b32 s9, exec_lo
	v_cmpx_gt_i32_e64 s3, v3
	s_cbranch_execz .LBB676_30
; %bb.32:                               ;   in Loop: Header=BB676_31 Depth=1
	v_mad_u64_u32 v[4:5], null, v3, s6, 0
	s_andn2_b32 vcc_lo, exec_lo, s10
	v_mad_u64_u32 v[5:6], null, v3, s7, v[5:6]
	v_lshlrev_b64 v[3:4], 2, v[4:5]
	s_cbranch_vccnz .LBB676_34
; %bb.33:                               ;   in Loop: Header=BB676_31 Depth=1
	v_add_co_u32 v5, vcc_lo, s4, v3
	v_add_co_ci_u32_e64 v6, null, s5, v4, vcc_lo
	flat_load_dword v5, v[5:6]
	s_waitcnt vmcnt(0) lgkmcnt(0)
	v_mul_f32_e32 v8, s18, v5
	s_andn2_b32 vcc_lo, exec_lo, s11
	s_cbranch_vccz .LBB676_35
	s_branch .LBB676_29
.LBB676_34:                             ;   in Loop: Header=BB676_31 Depth=1
	v_mov_b32_e32 v8, 0
	s_andn2_b32 vcc_lo, exec_lo, s11
	s_cbranch_vccnz .LBB676_29
.LBB676_35:                             ;   in Loop: Header=BB676_31 Depth=1
	s_andn2_b32 vcc_lo, exec_lo, s13
	s_mov_b32 s15, 0
	s_cbranch_vccnz .LBB676_55
; %bb.36:                               ;   in Loop: Header=BB676_31 Depth=1
	v_mov_b32_e32 v6, v2
	v_mov_b32_e32 v5, v1
	s_mov_b32 s16, 0
	s_branch .LBB676_38
.LBB676_37:                             ;   in Loop: Header=BB676_38 Depth=2
	s_or_b32 exec_lo, exec_lo, s17
	v_and_b32_e32 v9, 0xffff0000, v9
	v_and_b32_e32 v10, 0xffff0000, v10
	v_add_co_u32 v5, vcc_lo, v5, 8
	v_add_co_ci_u32_e64 v6, null, 0, v6, vcc_lo
	v_add_f32_e32 v8, v8, v9
	v_and_b32_e32 v9, 0xffff0000, v11
	s_add_i32 s16, s16, 4
	s_add_i32 s15, s15, 16
	s_cmp_eq_u32 s2, s16
	v_add_f32_e32 v8, v8, v10
	v_and_b32_e32 v10, 0xffff0000, v12
	v_add_f32_e32 v8, v8, v9
	v_add_f32_e32 v8, v8, v10
	s_cbranch_scc1 .LBB676_54
.LBB676_38:                             ;   Parent Loop BB676_31 Depth=1
                                        ; =>  This Inner Loop Header: Depth=2
	flat_load_ushort v9, v[5:6]
	v_mov_b32_e32 v10, s15
	ds_read_b32 v10, v10
	s_waitcnt vmcnt(0) lgkmcnt(1)
	v_lshlrev_b32_e32 v9, 16, v9
	s_waitcnt lgkmcnt(0)
	v_mul_f32_e32 v10, v10, v9
	v_and_b32_e32 v9, 0x7f800000, v10
	v_cmp_ne_u32_e32 vcc_lo, 0x7f800000, v9
                                        ; implicit-def: $vgpr9
	s_and_saveexec_b32 s17, vcc_lo
	s_xor_b32 s17, exec_lo, s17
; %bb.39:                               ;   in Loop: Header=BB676_38 Depth=2
	v_bfe_u32 v9, v10, 16, 1
	v_add3_u32 v9, v10, v9, 0x7fff
                                        ; implicit-def: $vgpr10
; %bb.40:                               ;   in Loop: Header=BB676_38 Depth=2
	s_andn2_saveexec_b32 s17, s17
; %bb.41:                               ;   in Loop: Header=BB676_38 Depth=2
	v_or_b32_e32 v9, 0x10000, v10
	v_cmp_eq_u32_sdwa vcc_lo, v10, v7 src0_sel:WORD_0 src1_sel:DWORD
	v_cndmask_b32_e32 v9, v9, v10, vcc_lo
; %bb.42:                               ;   in Loop: Header=BB676_38 Depth=2
	s_or_b32 exec_lo, exec_lo, s17
	flat_load_ushort v10, v[5:6] offset:2
	v_mov_b32_e32 v11, s15
	ds_read_b32 v11, v11 offset:4
	s_waitcnt vmcnt(0) lgkmcnt(1)
	v_lshlrev_b32_e32 v10, 16, v10
	s_waitcnt lgkmcnt(0)
	v_mul_f32_e32 v11, v11, v10
	v_and_b32_e32 v10, 0x7f800000, v11
	v_cmp_ne_u32_e32 vcc_lo, 0x7f800000, v10
                                        ; implicit-def: $vgpr10
	s_and_saveexec_b32 s17, vcc_lo
	s_xor_b32 s17, exec_lo, s17
; %bb.43:                               ;   in Loop: Header=BB676_38 Depth=2
	v_bfe_u32 v10, v11, 16, 1
	v_add3_u32 v10, v11, v10, 0x7fff
                                        ; implicit-def: $vgpr11
; %bb.44:                               ;   in Loop: Header=BB676_38 Depth=2
	s_andn2_saveexec_b32 s17, s17
; %bb.45:                               ;   in Loop: Header=BB676_38 Depth=2
	v_or_b32_e32 v10, 0x10000, v11
	v_cmp_eq_u32_sdwa vcc_lo, v11, v7 src0_sel:WORD_0 src1_sel:DWORD
	v_cndmask_b32_e32 v10, v10, v11, vcc_lo
; %bb.46:                               ;   in Loop: Header=BB676_38 Depth=2
	s_or_b32 exec_lo, exec_lo, s17
	flat_load_ushort v11, v[5:6] offset:4
	v_mov_b32_e32 v12, s15
	ds_read_b32 v12, v12 offset:8
	s_waitcnt vmcnt(0) lgkmcnt(1)
	v_lshlrev_b32_e32 v11, 16, v11
	s_waitcnt lgkmcnt(0)
	v_mul_f32_e32 v12, v12, v11
	v_and_b32_e32 v11, 0x7f800000, v12
	v_cmp_ne_u32_e32 vcc_lo, 0x7f800000, v11
                                        ; implicit-def: $vgpr11
	s_and_saveexec_b32 s17, vcc_lo
	s_xor_b32 s17, exec_lo, s17
; %bb.47:                               ;   in Loop: Header=BB676_38 Depth=2
	v_bfe_u32 v11, v12, 16, 1
	v_add3_u32 v11, v12, v11, 0x7fff
                                        ; implicit-def: $vgpr12
; %bb.48:                               ;   in Loop: Header=BB676_38 Depth=2
	s_andn2_saveexec_b32 s17, s17
; %bb.49:                               ;   in Loop: Header=BB676_38 Depth=2
	v_or_b32_e32 v11, 0x10000, v12
	v_cmp_eq_u32_sdwa vcc_lo, v12, v7 src0_sel:WORD_0 src1_sel:DWORD
	v_cndmask_b32_e32 v11, v11, v12, vcc_lo
; %bb.50:                               ;   in Loop: Header=BB676_38 Depth=2
	s_or_b32 exec_lo, exec_lo, s17
	flat_load_ushort v12, v[5:6] offset:6
	v_mov_b32_e32 v13, s15
	ds_read_b32 v13, v13 offset:12
	s_waitcnt vmcnt(0) lgkmcnt(1)
	v_lshlrev_b32_e32 v12, 16, v12
	s_waitcnt lgkmcnt(0)
	v_mul_f32_e32 v13, v13, v12
	v_and_b32_e32 v12, 0x7f800000, v13
	v_cmp_ne_u32_e32 vcc_lo, 0x7f800000, v12
                                        ; implicit-def: $vgpr12
	s_and_saveexec_b32 s17, vcc_lo
	s_xor_b32 s17, exec_lo, s17
; %bb.51:                               ;   in Loop: Header=BB676_38 Depth=2
	v_bfe_u32 v12, v13, 16, 1
	v_add3_u32 v12, v13, v12, 0x7fff
                                        ; implicit-def: $vgpr13
; %bb.52:                               ;   in Loop: Header=BB676_38 Depth=2
	s_andn2_saveexec_b32 s17, s17
	s_cbranch_execz .LBB676_37
; %bb.53:                               ;   in Loop: Header=BB676_38 Depth=2
	v_or_b32_e32 v12, 0x10000, v13
	v_cmp_eq_u32_sdwa vcc_lo, v13, v7 src0_sel:WORD_0 src1_sel:DWORD
	v_cndmask_b32_e32 v12, v12, v13, vcc_lo
	s_branch .LBB676_37
.LBB676_54:                             ;   in Loop: Header=BB676_31 Depth=1
	s_mov_b32 s15, s2
.LBB676_55:                             ;   in Loop: Header=BB676_31 Depth=1
	s_andn2_b32 vcc_lo, exec_lo, s14
	s_cbranch_vccnz .LBB676_29
; %bb.56:                               ;   in Loop: Header=BB676_31 Depth=1
	s_lshl_b32 s16, s15, 1
	s_lshl_b32 s15, s15, 2
	v_add_co_u32 v5, vcc_lo, v1, s16
	v_add_co_ci_u32_e64 v6, null, 0, v2, vcc_lo
	s_mov_b32 s16, s12
	s_inst_prefetch 0x1
	s_branch .LBB676_58
	.p2align	6
.LBB676_57:                             ;   in Loop: Header=BB676_58 Depth=2
	s_or_b32 exec_lo, exec_lo, s17
	v_and_b32_e32 v9, 0xffff0000, v10
	v_add_co_u32 v5, vcc_lo, v5, 2
	v_add_co_ci_u32_e64 v6, null, 0, v6, vcc_lo
	v_add_f32_e32 v8, v8, v9
	s_add_i32 s16, s16, -1
	s_add_i32 s15, s15, 4
	s_cmp_lg_u32 s16, 0
	s_cbranch_scc0 .LBB676_29
.LBB676_58:                             ;   Parent Loop BB676_31 Depth=1
                                        ; =>  This Inner Loop Header: Depth=2
	flat_load_ushort v9, v[5:6]
	v_mov_b32_e32 v10, s15
	ds_read_b32 v10, v10
	s_waitcnt vmcnt(0) lgkmcnt(1)
	v_lshlrev_b32_e32 v9, 16, v9
	s_waitcnt lgkmcnt(0)
	v_mul_f32_e32 v9, v10, v9
	v_and_b32_e32 v10, 0x7f800000, v9
	v_cmp_ne_u32_e32 vcc_lo, 0x7f800000, v10
                                        ; implicit-def: $vgpr10
	s_and_saveexec_b32 s17, vcc_lo
	s_xor_b32 s17, exec_lo, s17
; %bb.59:                               ;   in Loop: Header=BB676_58 Depth=2
	v_bfe_u32 v10, v9, 16, 1
	v_add3_u32 v10, v9, v10, 0x7fff
                                        ; implicit-def: $vgpr9
; %bb.60:                               ;   in Loop: Header=BB676_58 Depth=2
	s_andn2_saveexec_b32 s17, s17
	s_cbranch_execz .LBB676_57
; %bb.61:                               ;   in Loop: Header=BB676_58 Depth=2
	v_or_b32_e32 v10, 0x10000, v9
	v_cmp_eq_u32_sdwa vcc_lo, v9, v7 src0_sel:WORD_0 src1_sel:DWORD
	v_cndmask_b32_e32 v10, v10, v9, vcc_lo
	s_branch .LBB676_57
.LBB676_62:
	s_endpgm
	.section	.rodata,"a",@progbits
	.p2align	6, 0x0
	.amdhsa_kernel _ZL22rocblas_gemvtsm_kernelILb0ELi256EPK16rocblas_bfloat16PKfKPfEviiT2_lPKT1_lilSA_lilS7_lPT3_lil
		.amdhsa_group_segment_fixed_size 256
		.amdhsa_private_segment_fixed_size 0
		.amdhsa_kernarg_size 136
		.amdhsa_user_sgpr_count 6
		.amdhsa_user_sgpr_private_segment_buffer 1
		.amdhsa_user_sgpr_dispatch_ptr 0
		.amdhsa_user_sgpr_queue_ptr 0
		.amdhsa_user_sgpr_kernarg_segment_ptr 1
		.amdhsa_user_sgpr_dispatch_id 0
		.amdhsa_user_sgpr_flat_scratch_init 0
		.amdhsa_user_sgpr_private_segment_size 0
		.amdhsa_wavefront_size32 1
		.amdhsa_uses_dynamic_stack 0
		.amdhsa_system_sgpr_private_segment_wavefront_offset 0
		.amdhsa_system_sgpr_workgroup_id_x 1
		.amdhsa_system_sgpr_workgroup_id_y 0
		.amdhsa_system_sgpr_workgroup_id_z 0
		.amdhsa_system_sgpr_workgroup_info 0
		.amdhsa_system_vgpr_workitem_id 0
		.amdhsa_next_free_vgpr 14
		.amdhsa_next_free_sgpr 24
		.amdhsa_reserve_vcc 1
		.amdhsa_reserve_flat_scratch 0
		.amdhsa_float_round_mode_32 0
		.amdhsa_float_round_mode_16_64 0
		.amdhsa_float_denorm_mode_32 3
		.amdhsa_float_denorm_mode_16_64 3
		.amdhsa_dx10_clamp 1
		.amdhsa_ieee_mode 1
		.amdhsa_fp16_overflow 0
		.amdhsa_workgroup_processor_mode 1
		.amdhsa_memory_ordered 1
		.amdhsa_forward_progress 1
		.amdhsa_shared_vgpr_count 0
		.amdhsa_exception_fp_ieee_invalid_op 0
		.amdhsa_exception_fp_denorm_src 0
		.amdhsa_exception_fp_ieee_div_zero 0
		.amdhsa_exception_fp_ieee_overflow 0
		.amdhsa_exception_fp_ieee_underflow 0
		.amdhsa_exception_fp_ieee_inexact 0
		.amdhsa_exception_int_div_zero 0
	.end_amdhsa_kernel
	.section	.text._ZL22rocblas_gemvtsm_kernelILb0ELi256EPK16rocblas_bfloat16PKfKPfEviiT2_lPKT1_lilSA_lilS7_lPT3_lil,"axG",@progbits,_ZL22rocblas_gemvtsm_kernelILb0ELi256EPK16rocblas_bfloat16PKfKPfEviiT2_lPKT1_lilSA_lilS7_lPT3_lil,comdat
.Lfunc_end676:
	.size	_ZL22rocblas_gemvtsm_kernelILb0ELi256EPK16rocblas_bfloat16PKfKPfEviiT2_lPKT1_lilSA_lilS7_lPT3_lil, .Lfunc_end676-_ZL22rocblas_gemvtsm_kernelILb0ELi256EPK16rocblas_bfloat16PKfKPfEviiT2_lPKT1_lilSA_lilS7_lPT3_lil
                                        ; -- End function
	.set _ZL22rocblas_gemvtsm_kernelILb0ELi256EPK16rocblas_bfloat16PKfKPfEviiT2_lPKT1_lilSA_lilS7_lPT3_lil.num_vgpr, 14
	.set _ZL22rocblas_gemvtsm_kernelILb0ELi256EPK16rocblas_bfloat16PKfKPfEviiT2_lPKT1_lilSA_lilS7_lPT3_lil.num_agpr, 0
	.set _ZL22rocblas_gemvtsm_kernelILb0ELi256EPK16rocblas_bfloat16PKfKPfEviiT2_lPKT1_lilSA_lilS7_lPT3_lil.numbered_sgpr, 24
	.set _ZL22rocblas_gemvtsm_kernelILb0ELi256EPK16rocblas_bfloat16PKfKPfEviiT2_lPKT1_lilSA_lilS7_lPT3_lil.num_named_barrier, 0
	.set _ZL22rocblas_gemvtsm_kernelILb0ELi256EPK16rocblas_bfloat16PKfKPfEviiT2_lPKT1_lilSA_lilS7_lPT3_lil.private_seg_size, 0
	.set _ZL22rocblas_gemvtsm_kernelILb0ELi256EPK16rocblas_bfloat16PKfKPfEviiT2_lPKT1_lilSA_lilS7_lPT3_lil.uses_vcc, 1
	.set _ZL22rocblas_gemvtsm_kernelILb0ELi256EPK16rocblas_bfloat16PKfKPfEviiT2_lPKT1_lilSA_lilS7_lPT3_lil.uses_flat_scratch, 0
	.set _ZL22rocblas_gemvtsm_kernelILb0ELi256EPK16rocblas_bfloat16PKfKPfEviiT2_lPKT1_lilSA_lilS7_lPT3_lil.has_dyn_sized_stack, 0
	.set _ZL22rocblas_gemvtsm_kernelILb0ELi256EPK16rocblas_bfloat16PKfKPfEviiT2_lPKT1_lilSA_lilS7_lPT3_lil.has_recursion, 0
	.set _ZL22rocblas_gemvtsm_kernelILb0ELi256EPK16rocblas_bfloat16PKfKPfEviiT2_lPKT1_lilSA_lilS7_lPT3_lil.has_indirect_call, 0
	.section	.AMDGPU.csdata,"",@progbits
; Kernel info:
; codeLenInByte = 1956
; TotalNumSgprs: 26
; NumVgprs: 14
; ScratchSize: 0
; MemoryBound: 0
; FloatMode: 240
; IeeeMode: 1
; LDSByteSize: 256 bytes/workgroup (compile time only)
; SGPRBlocks: 0
; VGPRBlocks: 1
; NumSGPRsForWavesPerEU: 26
; NumVGPRsForWavesPerEU: 14
; Occupancy: 16
; WaveLimiterHint : 1
; COMPUTE_PGM_RSRC2:SCRATCH_EN: 0
; COMPUTE_PGM_RSRC2:USER_SGPR: 6
; COMPUTE_PGM_RSRC2:TRAP_HANDLER: 0
; COMPUTE_PGM_RSRC2:TGID_X_EN: 1
; COMPUTE_PGM_RSRC2:TGID_Y_EN: 0
; COMPUTE_PGM_RSRC2:TGID_Z_EN: 0
; COMPUTE_PGM_RSRC2:TIDIG_COMP_CNT: 0
	.section	.text._ZL22rocblas_gemvtsm_kernelILb0ELi256EPK16rocblas_bfloat16fKPfEviiT2_lPKT1_lilS8_lilS5_lPT3_lil,"axG",@progbits,_ZL22rocblas_gemvtsm_kernelILb0ELi256EPK16rocblas_bfloat16fKPfEviiT2_lPKT1_lilS8_lilS5_lPT3_lil,comdat
	.globl	_ZL22rocblas_gemvtsm_kernelILb0ELi256EPK16rocblas_bfloat16fKPfEviiT2_lPKT1_lilS8_lilS5_lPT3_lil ; -- Begin function _ZL22rocblas_gemvtsm_kernelILb0ELi256EPK16rocblas_bfloat16fKPfEviiT2_lPKT1_lilS8_lilS5_lPT3_lil
	.p2align	8
	.type	_ZL22rocblas_gemvtsm_kernelILb0ELi256EPK16rocblas_bfloat16fKPfEviiT2_lPKT1_lilS8_lilS5_lPT3_lil,@function
_ZL22rocblas_gemvtsm_kernelILb0ELi256EPK16rocblas_bfloat16fKPfEviiT2_lPKT1_lilS8_lilS5_lPT3_lil: ; @_ZL22rocblas_gemvtsm_kernelILb0ELi256EPK16rocblas_bfloat16fKPfEviiT2_lPKT1_lilS8_lilS5_lPT3_lil
; %bb.0:
	s_load_dwordx4 s[8:11], s[4:5], 0x0
	s_waitcnt lgkmcnt(0)
	s_load_dword s11, s[4:5], 0x58
	s_mov_b32 s7, 0
	v_cmp_eq_f32_e64 s18, s10, 0
	s_waitcnt lgkmcnt(0)
	v_cmp_eq_f32_e64 s0, s11, 1.0
	s_and_b32 s0, s18, s0
	s_and_b32 vcc_lo, exec_lo, s0
	s_cbranch_vccnz .LBB677_64
; %bb.1:
	v_cmp_neq_f32_e64 s0, s10, 0
	s_and_b32 vcc_lo, exec_lo, s0
	s_cbranch_vccnz .LBB677_3
; %bb.2:
	s_mov_b32 s15, 0
	s_mov_b32 s14, s6
	;; [unrolled: 1-line block ×3, first 2 shown]
	s_mov_b64 s[16:17], 0
	s_andn2_b32 vcc_lo, exec_lo, s1
	s_mov_b64 s[12:13], 0
	s_cbranch_vccz .LBB677_4
	s_branch .LBB677_5
.LBB677_3:
	s_mov_b64 s[14:15], s[6:7]
	s_mov_b64 s[16:17], 0
	;; [unrolled: 1-line block ×3, first 2 shown]
.LBB677_4:
	s_load_dwordx4 s[20:23], s[4:5], 0x18
	s_lshl_b64 s[2:3], s[6:7], 3
	s_waitcnt lgkmcnt(0)
	s_add_u32 s2, s20, s2
	s_addc_u32 s3, s21, s3
	s_lshl_b64 s[6:7], s[22:23], 1
	s_load_dwordx2 s[2:3], s[2:3], 0x0
	s_waitcnt lgkmcnt(0)
	s_add_u32 s12, s2, s6
	s_addc_u32 s13, s3, s7
.LBB677_5:
	s_andn2_b32 vcc_lo, exec_lo, s0
	s_cbranch_vccnz .LBB677_7
; %bb.6:
	s_load_dwordx4 s[0:3], s[4:5], 0x38
	s_lshl_b64 s[6:7], s[14:15], 3
	s_waitcnt lgkmcnt(0)
	s_add_u32 s0, s0, s6
	s_addc_u32 s1, s1, s7
	s_lshl_b64 s[2:3], s[2:3], 1
	s_load_dwordx2 s[0:1], s[0:1], 0x0
	s_waitcnt lgkmcnt(0)
	s_add_u32 s16, s0, s2
	s_addc_u32 s17, s1, s3
.LBB677_7:
	s_clause 0x1
	s_load_dwordx4 s[0:3], s[4:5], 0x68
	s_load_dword s6, s[4:5], 0x78
	s_lshl_b64 s[14:15], s[14:15], 3
	s_waitcnt lgkmcnt(0)
	s_add_u32 s0, s0, s14
	s_addc_u32 s1, s1, s15
	s_andn2_b32 vcc_lo, exec_lo, s18
	s_load_dwordx2 s[14:15], s[0:1], 0x0
	s_mov_b32 s0, -1
	s_cbranch_vccnz .LBB677_22
; %bb.8:
	s_cmp_gt_i32 s9, 0
	v_cmp_neq_f32_e64 s0, s11, 0
	s_cselect_b32 s18, -1, 0
	v_cndmask_b32_e64 v1, 0, 1, s18
	s_and_b32 vcc_lo, exec_lo, s0
	v_cmp_ne_u32_e64 s0, 1, v1
	s_cbranch_vccnz .LBB677_15
; %bb.9:
	s_and_b32 vcc_lo, exec_lo, s0
	s_cbranch_vccnz .LBB677_14
; %bb.10:
	v_mad_i64_i32 v[1:2], null, s6, v0, 0
	s_lshl_b64 s[0:1], s[2:3], 2
	s_ashr_i32 s7, s6, 31
	s_waitcnt lgkmcnt(0)
	s_add_u32 s0, s14, s0
	s_addc_u32 s1, s15, s1
	v_mov_b32_e32 v3, 0
	v_lshlrev_b64 v[1:2], 2, v[1:2]
	v_add_co_u32 v1, vcc_lo, s0, v1
	v_add_co_ci_u32_e64 v2, null, s1, v2, vcc_lo
	s_lshl_b64 s[0:1], s[6:7], 10
	s_mov_b32 s7, 0
	s_branch .LBB677_12
.LBB677_11:                             ;   in Loop: Header=BB677_12 Depth=1
	s_or_b32 exec_lo, exec_lo, s19
	v_add_co_u32 v1, vcc_lo, v1, s0
	v_add_co_ci_u32_e64 v2, null, s1, v2, vcc_lo
	s_addk_i32 s7, 0x100
	s_cmp_ge_i32 s7, s9
	s_cbranch_scc1 .LBB677_14
.LBB677_12:                             ; =>This Inner Loop Header: Depth=1
	v_add_nc_u32_e32 v4, s7, v0
	s_mov_b32 s19, exec_lo
	v_cmpx_gt_i32_e64 s9, v4
	s_cbranch_execz .LBB677_11
; %bb.13:                               ;   in Loop: Header=BB677_12 Depth=1
	flat_store_dword v[1:2], v3
	s_branch .LBB677_11
.LBB677_14:
	s_cbranch_execz .LBB677_16
	s_branch .LBB677_21
.LBB677_15:
.LBB677_16:
	s_andn2_b32 vcc_lo, exec_lo, s18
	s_cbranch_vccnz .LBB677_21
; %bb.17:
	v_mad_i64_i32 v[1:2], null, s6, v0, 0
	s_lshl_b64 s[0:1], s[2:3], 2
	s_ashr_i32 s7, s6, 31
	s_waitcnt lgkmcnt(0)
	s_add_u32 s0, s14, s0
	s_addc_u32 s1, s15, s1
	v_lshlrev_b64 v[1:2], 2, v[1:2]
	v_add_co_u32 v1, vcc_lo, s0, v1
	v_add_co_ci_u32_e64 v2, null, s1, v2, vcc_lo
	s_lshl_b64 s[0:1], s[6:7], 10
	s_mov_b32 s7, 0
	s_branch .LBB677_19
	.p2align	6
.LBB677_18:                             ;   in Loop: Header=BB677_19 Depth=1
	s_or_b32 exec_lo, exec_lo, s18
	v_add_co_u32 v1, vcc_lo, v1, s0
	v_add_co_ci_u32_e64 v2, null, s1, v2, vcc_lo
	s_addk_i32 s7, 0x100
	s_cmp_ge_i32 s7, s9
	s_cbranch_scc1 .LBB677_21
.LBB677_19:                             ; =>This Inner Loop Header: Depth=1
	v_add_nc_u32_e32 v3, s7, v0
	s_mov_b32 s18, exec_lo
	v_cmpx_gt_i32_e64 s9, v3
	s_cbranch_execz .LBB677_18
; %bb.20:                               ;   in Loop: Header=BB677_19 Depth=1
	flat_load_dword v3, v[1:2]
	s_waitcnt vmcnt(0) lgkmcnt(0)
	v_mul_f32_e32 v3, s11, v3
	flat_store_dword v[1:2], v3
	s_branch .LBB677_18
.LBB677_21:
	s_mov_b32 s0, 0
.LBB677_22:
	s_andn2_b32 vcc_lo, exec_lo, s0
	s_cbranch_vccnz .LBB677_64
; %bb.23:
	s_mov_b32 s0, exec_lo
	v_cmpx_gt_i32_e64 s8, v0
	s_cbranch_execz .LBB677_29
; %bb.24:
	s_load_dword s1, s[4:5], 0x48
	s_waitcnt lgkmcnt(0)
	v_mad_i64_i32 v[1:2], null, s1, v0, 0
	v_lshlrev_b64 v[1:2], 1, v[1:2]
	v_add_co_u32 v1, vcc_lo, s16, v1
	v_add_co_ci_u32_e64 v2, null, s17, v2, vcc_lo
	flat_load_ushort v1, v[1:2]
	s_waitcnt vmcnt(0) lgkmcnt(0)
	v_lshlrev_b32_e32 v1, 16, v1
	v_mul_f32_e32 v1, s10, v1
	v_and_b32_e32 v2, 0x7f800000, v1
	v_cmp_ne_u32_e32 vcc_lo, 0x7f800000, v2
                                        ; implicit-def: $vgpr2
	s_and_saveexec_b32 s1, vcc_lo
	s_xor_b32 s1, exec_lo, s1
; %bb.25:
	v_bfe_u32 v2, v1, 16, 1
	v_add3_u32 v2, v1, v2, 0x7fff
                                        ; implicit-def: $vgpr1
; %bb.26:
	s_andn2_saveexec_b32 s1, s1
; %bb.27:
	v_mov_b32_e32 v2, 0
	v_or_b32_e32 v3, 0x10000, v1
	v_cmp_eq_u32_sdwa vcc_lo, v1, v2 src0_sel:WORD_0 src1_sel:DWORD
	v_cndmask_b32_e32 v2, v3, v1, vcc_lo
; %bb.28:
	s_or_b32 exec_lo, exec_lo, s1
	v_and_b32_e32 v1, 0xffff0000, v2
	v_lshlrev_b32_e32 v2, 2, v0
	ds_write_b32 v2, v1
.LBB677_29:
	s_or_b32 exec_lo, exec_lo, s0
	s_cmp_lt_i32 s9, 1
	s_waitcnt lgkmcnt(0)
	s_waitcnt_vscnt null, 0x0
	s_barrier
	buffer_gl0_inv
	s_cbranch_scc1 .LBB677_64
; %bb.30:
	s_load_dword s0, s[4:5], 0x28
	s_lshl_b64 s[2:3], s[2:3], 2
	v_cmp_neq_f32_e64 s5, s11, 0
	s_add_u32 s2, s14, s2
	s_addc_u32 s3, s15, s3
	s_ashr_i32 s4, s6, 31
	v_mov_b32_e32 v7, 0
	s_waitcnt lgkmcnt(0)
	v_mad_i64_i32 v[1:2], null, s0, v0, 0
	s_ashr_i32 s1, s0, 31
	s_cmp_gt_i32 s8, 0
	s_cselect_b32 s7, -1, 0
	s_and_b32 s10, s8, 3
	s_cmp_gt_u32 s8, 3
	v_lshlrev_b64 v[1:2], 1, v[1:2]
	s_cselect_b32 s14, -1, 0
	s_and_b32 s8, s8, 0x7ffffffc
	s_cmp_lg_u32 s10, 0
	s_cselect_b32 s15, -1, 0
	v_add_co_u32 v1, vcc_lo, s12, v1
	v_add_co_ci_u32_e64 v2, null, s13, v2, vcc_lo
	s_mov_b32 s12, 0
	s_lshl_b64 s[0:1], s[0:1], 9
	s_branch .LBB677_33
.LBB677_31:                             ;   in Loop: Header=BB677_33 Depth=1
	s_inst_prefetch 0x2
	v_add_co_u32 v3, vcc_lo, s2, v3
	v_add_co_ci_u32_e64 v4, null, s3, v4, vcc_lo
	flat_store_dword v[3:4], v8
.LBB677_32:                             ;   in Loop: Header=BB677_33 Depth=1
	s_or_b32 exec_lo, exec_lo, s13
	v_add_co_u32 v1, vcc_lo, v1, s0
	v_add_co_ci_u32_e64 v2, null, s1, v2, vcc_lo
	s_addk_i32 s12, 0x100
	s_cmp_ge_i32 s12, s9
	s_cbranch_scc1 .LBB677_64
.LBB677_33:                             ; =>This Loop Header: Depth=1
                                        ;     Child Loop BB677_40 Depth 2
                                        ;     Child Loop BB677_60 Depth 2
	v_add_nc_u32_e32 v3, s12, v0
	s_mov_b32 s13, exec_lo
	v_cmpx_gt_i32_e64 s9, v3
	s_cbranch_execz .LBB677_32
; %bb.34:                               ;   in Loop: Header=BB677_33 Depth=1
	v_mad_u64_u32 v[4:5], null, v3, s6, 0
	s_andn2_b32 vcc_lo, exec_lo, s5
	v_mad_u64_u32 v[5:6], null, v3, s4, v[5:6]
	v_lshlrev_b64 v[3:4], 2, v[4:5]
	s_cbranch_vccnz .LBB677_36
; %bb.35:                               ;   in Loop: Header=BB677_33 Depth=1
	v_add_co_u32 v5, vcc_lo, s2, v3
	v_add_co_ci_u32_e64 v6, null, s3, v4, vcc_lo
	flat_load_dword v5, v[5:6]
	s_waitcnt vmcnt(0) lgkmcnt(0)
	v_mul_f32_e32 v8, s11, v5
	s_andn2_b32 vcc_lo, exec_lo, s7
	s_cbranch_vccz .LBB677_37
	s_branch .LBB677_31
.LBB677_36:                             ;   in Loop: Header=BB677_33 Depth=1
	v_mov_b32_e32 v8, 0
	s_andn2_b32 vcc_lo, exec_lo, s7
	s_cbranch_vccnz .LBB677_31
.LBB677_37:                             ;   in Loop: Header=BB677_33 Depth=1
	s_andn2_b32 vcc_lo, exec_lo, s14
	s_mov_b32 s16, 0
	s_cbranch_vccnz .LBB677_57
; %bb.38:                               ;   in Loop: Header=BB677_33 Depth=1
	v_mov_b32_e32 v6, v2
	v_mov_b32_e32 v5, v1
	s_mov_b32 s17, 0
	s_branch .LBB677_40
.LBB677_39:                             ;   in Loop: Header=BB677_40 Depth=2
	s_or_b32 exec_lo, exec_lo, s18
	v_and_b32_e32 v9, 0xffff0000, v9
	v_and_b32_e32 v10, 0xffff0000, v10
	v_add_co_u32 v5, vcc_lo, v5, 8
	v_add_co_ci_u32_e64 v6, null, 0, v6, vcc_lo
	v_add_f32_e32 v8, v8, v9
	v_and_b32_e32 v9, 0xffff0000, v11
	s_add_i32 s17, s17, 4
	s_add_i32 s16, s16, 16
	s_cmp_eq_u32 s8, s17
	v_add_f32_e32 v8, v8, v10
	v_and_b32_e32 v10, 0xffff0000, v12
	v_add_f32_e32 v8, v8, v9
	v_add_f32_e32 v8, v8, v10
	s_cbranch_scc1 .LBB677_56
.LBB677_40:                             ;   Parent Loop BB677_33 Depth=1
                                        ; =>  This Inner Loop Header: Depth=2
	flat_load_ushort v9, v[5:6]
	v_mov_b32_e32 v10, s16
	ds_read_b32 v10, v10
	s_waitcnt vmcnt(0) lgkmcnt(1)
	v_lshlrev_b32_e32 v9, 16, v9
	s_waitcnt lgkmcnt(0)
	v_mul_f32_e32 v10, v10, v9
	v_and_b32_e32 v9, 0x7f800000, v10
	v_cmp_ne_u32_e32 vcc_lo, 0x7f800000, v9
                                        ; implicit-def: $vgpr9
	s_and_saveexec_b32 s18, vcc_lo
	s_xor_b32 s18, exec_lo, s18
; %bb.41:                               ;   in Loop: Header=BB677_40 Depth=2
	v_bfe_u32 v9, v10, 16, 1
	v_add3_u32 v9, v10, v9, 0x7fff
                                        ; implicit-def: $vgpr10
; %bb.42:                               ;   in Loop: Header=BB677_40 Depth=2
	s_andn2_saveexec_b32 s18, s18
; %bb.43:                               ;   in Loop: Header=BB677_40 Depth=2
	v_or_b32_e32 v9, 0x10000, v10
	v_cmp_eq_u32_sdwa vcc_lo, v10, v7 src0_sel:WORD_0 src1_sel:DWORD
	v_cndmask_b32_e32 v9, v9, v10, vcc_lo
; %bb.44:                               ;   in Loop: Header=BB677_40 Depth=2
	s_or_b32 exec_lo, exec_lo, s18
	flat_load_ushort v10, v[5:6] offset:2
	v_mov_b32_e32 v11, s16
	ds_read_b32 v11, v11 offset:4
	s_waitcnt vmcnt(0) lgkmcnt(1)
	v_lshlrev_b32_e32 v10, 16, v10
	s_waitcnt lgkmcnt(0)
	v_mul_f32_e32 v11, v11, v10
	v_and_b32_e32 v10, 0x7f800000, v11
	v_cmp_ne_u32_e32 vcc_lo, 0x7f800000, v10
                                        ; implicit-def: $vgpr10
	s_and_saveexec_b32 s18, vcc_lo
	s_xor_b32 s18, exec_lo, s18
; %bb.45:                               ;   in Loop: Header=BB677_40 Depth=2
	v_bfe_u32 v10, v11, 16, 1
	v_add3_u32 v10, v11, v10, 0x7fff
                                        ; implicit-def: $vgpr11
; %bb.46:                               ;   in Loop: Header=BB677_40 Depth=2
	s_andn2_saveexec_b32 s18, s18
; %bb.47:                               ;   in Loop: Header=BB677_40 Depth=2
	v_or_b32_e32 v10, 0x10000, v11
	v_cmp_eq_u32_sdwa vcc_lo, v11, v7 src0_sel:WORD_0 src1_sel:DWORD
	v_cndmask_b32_e32 v10, v10, v11, vcc_lo
; %bb.48:                               ;   in Loop: Header=BB677_40 Depth=2
	s_or_b32 exec_lo, exec_lo, s18
	flat_load_ushort v11, v[5:6] offset:4
	v_mov_b32_e32 v12, s16
	ds_read_b32 v12, v12 offset:8
	s_waitcnt vmcnt(0) lgkmcnt(1)
	v_lshlrev_b32_e32 v11, 16, v11
	s_waitcnt lgkmcnt(0)
	v_mul_f32_e32 v12, v12, v11
	v_and_b32_e32 v11, 0x7f800000, v12
	v_cmp_ne_u32_e32 vcc_lo, 0x7f800000, v11
                                        ; implicit-def: $vgpr11
	s_and_saveexec_b32 s18, vcc_lo
	s_xor_b32 s18, exec_lo, s18
; %bb.49:                               ;   in Loop: Header=BB677_40 Depth=2
	v_bfe_u32 v11, v12, 16, 1
	v_add3_u32 v11, v12, v11, 0x7fff
                                        ; implicit-def: $vgpr12
; %bb.50:                               ;   in Loop: Header=BB677_40 Depth=2
	s_andn2_saveexec_b32 s18, s18
; %bb.51:                               ;   in Loop: Header=BB677_40 Depth=2
	v_or_b32_e32 v11, 0x10000, v12
	v_cmp_eq_u32_sdwa vcc_lo, v12, v7 src0_sel:WORD_0 src1_sel:DWORD
	v_cndmask_b32_e32 v11, v11, v12, vcc_lo
; %bb.52:                               ;   in Loop: Header=BB677_40 Depth=2
	s_or_b32 exec_lo, exec_lo, s18
	flat_load_ushort v12, v[5:6] offset:6
	v_mov_b32_e32 v13, s16
	ds_read_b32 v13, v13 offset:12
	s_waitcnt vmcnt(0) lgkmcnt(1)
	v_lshlrev_b32_e32 v12, 16, v12
	s_waitcnt lgkmcnt(0)
	v_mul_f32_e32 v13, v13, v12
	v_and_b32_e32 v12, 0x7f800000, v13
	v_cmp_ne_u32_e32 vcc_lo, 0x7f800000, v12
                                        ; implicit-def: $vgpr12
	s_and_saveexec_b32 s18, vcc_lo
	s_xor_b32 s18, exec_lo, s18
; %bb.53:                               ;   in Loop: Header=BB677_40 Depth=2
	v_bfe_u32 v12, v13, 16, 1
	v_add3_u32 v12, v13, v12, 0x7fff
                                        ; implicit-def: $vgpr13
; %bb.54:                               ;   in Loop: Header=BB677_40 Depth=2
	s_andn2_saveexec_b32 s18, s18
	s_cbranch_execz .LBB677_39
; %bb.55:                               ;   in Loop: Header=BB677_40 Depth=2
	v_or_b32_e32 v12, 0x10000, v13
	v_cmp_eq_u32_sdwa vcc_lo, v13, v7 src0_sel:WORD_0 src1_sel:DWORD
	v_cndmask_b32_e32 v12, v12, v13, vcc_lo
	s_branch .LBB677_39
.LBB677_56:                             ;   in Loop: Header=BB677_33 Depth=1
	s_mov_b32 s16, s8
.LBB677_57:                             ;   in Loop: Header=BB677_33 Depth=1
	s_andn2_b32 vcc_lo, exec_lo, s15
	s_cbranch_vccnz .LBB677_31
; %bb.58:                               ;   in Loop: Header=BB677_33 Depth=1
	s_lshl_b32 s17, s16, 1
	s_lshl_b32 s16, s16, 2
	v_add_co_u32 v5, vcc_lo, v1, s17
	v_add_co_ci_u32_e64 v6, null, 0, v2, vcc_lo
	s_mov_b32 s17, s10
	s_inst_prefetch 0x1
	s_branch .LBB677_60
	.p2align	6
.LBB677_59:                             ;   in Loop: Header=BB677_60 Depth=2
	s_or_b32 exec_lo, exec_lo, s18
	v_and_b32_e32 v9, 0xffff0000, v10
	v_add_co_u32 v5, vcc_lo, v5, 2
	v_add_co_ci_u32_e64 v6, null, 0, v6, vcc_lo
	v_add_f32_e32 v8, v8, v9
	s_add_i32 s17, s17, -1
	s_add_i32 s16, s16, 4
	s_cmp_lg_u32 s17, 0
	s_cbranch_scc0 .LBB677_31
.LBB677_60:                             ;   Parent Loop BB677_33 Depth=1
                                        ; =>  This Inner Loop Header: Depth=2
	flat_load_ushort v9, v[5:6]
	v_mov_b32_e32 v10, s16
	ds_read_b32 v10, v10
	s_waitcnt vmcnt(0) lgkmcnt(1)
	v_lshlrev_b32_e32 v9, 16, v9
	s_waitcnt lgkmcnt(0)
	v_mul_f32_e32 v9, v10, v9
	v_and_b32_e32 v10, 0x7f800000, v9
	v_cmp_ne_u32_e32 vcc_lo, 0x7f800000, v10
                                        ; implicit-def: $vgpr10
	s_and_saveexec_b32 s18, vcc_lo
	s_xor_b32 s18, exec_lo, s18
; %bb.61:                               ;   in Loop: Header=BB677_60 Depth=2
	v_bfe_u32 v10, v9, 16, 1
	v_add3_u32 v10, v9, v10, 0x7fff
                                        ; implicit-def: $vgpr9
; %bb.62:                               ;   in Loop: Header=BB677_60 Depth=2
	s_andn2_saveexec_b32 s18, s18
	s_cbranch_execz .LBB677_59
; %bb.63:                               ;   in Loop: Header=BB677_60 Depth=2
	v_or_b32_e32 v10, 0x10000, v9
	v_cmp_eq_u32_sdwa vcc_lo, v9, v7 src0_sel:WORD_0 src1_sel:DWORD
	v_cndmask_b32_e32 v10, v10, v9, vcc_lo
	s_branch .LBB677_59
.LBB677_64:
	s_endpgm
	.section	.rodata,"a",@progbits
	.p2align	6, 0x0
	.amdhsa_kernel _ZL22rocblas_gemvtsm_kernelILb0ELi256EPK16rocblas_bfloat16fKPfEviiT2_lPKT1_lilS8_lilS5_lPT3_lil
		.amdhsa_group_segment_fixed_size 256
		.amdhsa_private_segment_fixed_size 0
		.amdhsa_kernarg_size 136
		.amdhsa_user_sgpr_count 6
		.amdhsa_user_sgpr_private_segment_buffer 1
		.amdhsa_user_sgpr_dispatch_ptr 0
		.amdhsa_user_sgpr_queue_ptr 0
		.amdhsa_user_sgpr_kernarg_segment_ptr 1
		.amdhsa_user_sgpr_dispatch_id 0
		.amdhsa_user_sgpr_flat_scratch_init 0
		.amdhsa_user_sgpr_private_segment_size 0
		.amdhsa_wavefront_size32 1
		.amdhsa_uses_dynamic_stack 0
		.amdhsa_system_sgpr_private_segment_wavefront_offset 0
		.amdhsa_system_sgpr_workgroup_id_x 1
		.amdhsa_system_sgpr_workgroup_id_y 0
		.amdhsa_system_sgpr_workgroup_id_z 0
		.amdhsa_system_sgpr_workgroup_info 0
		.amdhsa_system_vgpr_workitem_id 0
		.amdhsa_next_free_vgpr 14
		.amdhsa_next_free_sgpr 24
		.amdhsa_reserve_vcc 1
		.amdhsa_reserve_flat_scratch 0
		.amdhsa_float_round_mode_32 0
		.amdhsa_float_round_mode_16_64 0
		.amdhsa_float_denorm_mode_32 3
		.amdhsa_float_denorm_mode_16_64 3
		.amdhsa_dx10_clamp 1
		.amdhsa_ieee_mode 1
		.amdhsa_fp16_overflow 0
		.amdhsa_workgroup_processor_mode 1
		.amdhsa_memory_ordered 1
		.amdhsa_forward_progress 1
		.amdhsa_shared_vgpr_count 0
		.amdhsa_exception_fp_ieee_invalid_op 0
		.amdhsa_exception_fp_denorm_src 0
		.amdhsa_exception_fp_ieee_div_zero 0
		.amdhsa_exception_fp_ieee_overflow 0
		.amdhsa_exception_fp_ieee_underflow 0
		.amdhsa_exception_fp_ieee_inexact 0
		.amdhsa_exception_int_div_zero 0
	.end_amdhsa_kernel
	.section	.text._ZL22rocblas_gemvtsm_kernelILb0ELi256EPK16rocblas_bfloat16fKPfEviiT2_lPKT1_lilS8_lilS5_lPT3_lil,"axG",@progbits,_ZL22rocblas_gemvtsm_kernelILb0ELi256EPK16rocblas_bfloat16fKPfEviiT2_lPKT1_lilS8_lilS5_lPT3_lil,comdat
.Lfunc_end677:
	.size	_ZL22rocblas_gemvtsm_kernelILb0ELi256EPK16rocblas_bfloat16fKPfEviiT2_lPKT1_lilS8_lilS5_lPT3_lil, .Lfunc_end677-_ZL22rocblas_gemvtsm_kernelILb0ELi256EPK16rocblas_bfloat16fKPfEviiT2_lPKT1_lilS8_lilS5_lPT3_lil
                                        ; -- End function
	.set _ZL22rocblas_gemvtsm_kernelILb0ELi256EPK16rocblas_bfloat16fKPfEviiT2_lPKT1_lilS8_lilS5_lPT3_lil.num_vgpr, 14
	.set _ZL22rocblas_gemvtsm_kernelILb0ELi256EPK16rocblas_bfloat16fKPfEviiT2_lPKT1_lilS8_lilS5_lPT3_lil.num_agpr, 0
	.set _ZL22rocblas_gemvtsm_kernelILb0ELi256EPK16rocblas_bfloat16fKPfEviiT2_lPKT1_lilS8_lilS5_lPT3_lil.numbered_sgpr, 24
	.set _ZL22rocblas_gemvtsm_kernelILb0ELi256EPK16rocblas_bfloat16fKPfEviiT2_lPKT1_lilS8_lilS5_lPT3_lil.num_named_barrier, 0
	.set _ZL22rocblas_gemvtsm_kernelILb0ELi256EPK16rocblas_bfloat16fKPfEviiT2_lPKT1_lilS8_lilS5_lPT3_lil.private_seg_size, 0
	.set _ZL22rocblas_gemvtsm_kernelILb0ELi256EPK16rocblas_bfloat16fKPfEviiT2_lPKT1_lilS8_lilS5_lPT3_lil.uses_vcc, 1
	.set _ZL22rocblas_gemvtsm_kernelILb0ELi256EPK16rocblas_bfloat16fKPfEviiT2_lPKT1_lilS8_lilS5_lPT3_lil.uses_flat_scratch, 0
	.set _ZL22rocblas_gemvtsm_kernelILb0ELi256EPK16rocblas_bfloat16fKPfEviiT2_lPKT1_lilS8_lilS5_lPT3_lil.has_dyn_sized_stack, 0
	.set _ZL22rocblas_gemvtsm_kernelILb0ELi256EPK16rocblas_bfloat16fKPfEviiT2_lPKT1_lilS8_lilS5_lPT3_lil.has_recursion, 0
	.set _ZL22rocblas_gemvtsm_kernelILb0ELi256EPK16rocblas_bfloat16fKPfEviiT2_lPKT1_lilS8_lilS5_lPT3_lil.has_indirect_call, 0
	.section	.AMDGPU.csdata,"",@progbits
; Kernel info:
; codeLenInByte = 1956
; TotalNumSgprs: 26
; NumVgprs: 14
; ScratchSize: 0
; MemoryBound: 0
; FloatMode: 240
; IeeeMode: 1
; LDSByteSize: 256 bytes/workgroup (compile time only)
; SGPRBlocks: 0
; VGPRBlocks: 1
; NumSGPRsForWavesPerEU: 26
; NumVGPRsForWavesPerEU: 14
; Occupancy: 16
; WaveLimiterHint : 1
; COMPUTE_PGM_RSRC2:SCRATCH_EN: 0
; COMPUTE_PGM_RSRC2:USER_SGPR: 6
; COMPUTE_PGM_RSRC2:TRAP_HANDLER: 0
; COMPUTE_PGM_RSRC2:TGID_X_EN: 1
; COMPUTE_PGM_RSRC2:TGID_Y_EN: 0
; COMPUTE_PGM_RSRC2:TGID_Z_EN: 0
; COMPUTE_PGM_RSRC2:TIDIG_COMP_CNT: 0
	.section	.text._ZL32rocblas_gemvt_warp_reduce_kernelILb0ELi256EiPK16rocblas_bfloat16PKfKPfEviiT3_lPKT2_lT1_lSA_lSB_lS7_lPT4_lSB_li,"axG",@progbits,_ZL32rocblas_gemvt_warp_reduce_kernelILb0ELi256EiPK16rocblas_bfloat16PKfKPfEviiT3_lPKT2_lT1_lSA_lSB_lS7_lPT4_lSB_li,comdat
	.globl	_ZL32rocblas_gemvt_warp_reduce_kernelILb0ELi256EiPK16rocblas_bfloat16PKfKPfEviiT3_lPKT2_lT1_lSA_lSB_lS7_lPT4_lSB_li ; -- Begin function _ZL32rocblas_gemvt_warp_reduce_kernelILb0ELi256EiPK16rocblas_bfloat16PKfKPfEviiT3_lPKT2_lT1_lSA_lSB_lS7_lPT4_lSB_li
	.p2align	8
	.type	_ZL32rocblas_gemvt_warp_reduce_kernelILb0ELi256EiPK16rocblas_bfloat16PKfKPfEviiT3_lPKT2_lT1_lSA_lSB_lS7_lPT4_lSB_li,@function
_ZL32rocblas_gemvt_warp_reduce_kernelILb0ELi256EiPK16rocblas_bfloat16PKfKPfEviiT3_lPKT2_lT1_lSA_lSB_lS7_lPT4_lSB_li: ; @_ZL32rocblas_gemvt_warp_reduce_kernelILb0ELi256EiPK16rocblas_bfloat16PKfKPfEviiT3_lPKT2_lT1_lSA_lSB_lS7_lPT4_lSB_li
; %bb.0:
	s_clause 0x1
	s_load_dwordx8 s[16:23], s[4:5], 0x8
	s_load_dwordx8 s[8:15], s[4:5], 0x58
	s_mov_b32 s0, s7
	s_waitcnt lgkmcnt(0)
	s_mul_i32 s1, s19, s7
	s_mul_hi_u32 s3, s18, s7
	s_mul_i32 s2, s18, s7
	s_add_i32 s3, s3, s1
	s_mul_i32 s1, s11, s7
	s_lshl_b64 s[2:3], s[2:3], 2
	s_mul_hi_u32 s7, s10, s7
	s_add_u32 s2, s16, s2
	s_addc_u32 s3, s17, s3
	s_add_i32 s11, s7, s1
	s_mul_i32 s10, s10, s0
	s_lshl_b64 s[10:11], s[10:11], 2
	s_add_u32 s8, s8, s10
	s_addc_u32 s9, s9, s11
	s_load_dword s16, s[2:3], 0x0
	s_load_dword s7, s[8:9], 0x0
	s_waitcnt lgkmcnt(0)
	v_cmp_eq_f32_e64 s10, s16, 0
	v_cmp_eq_f32_e64 s1, s7, 1.0
	s_and_b32 s1, s10, s1
	s_and_b32 vcc_lo, exec_lo, s1
	s_mov_b32 s1, 0
	s_cbranch_vccnz .LBB678_41
; %bb.1:
	v_cmp_neq_f32_e64 s11, s16, 0
	s_mov_b64 s[2:3], 0
	s_and_b32 vcc_lo, exec_lo, s10
	s_mov_b64 s[8:9], 0
	s_cbranch_vccnz .LBB678_3
; %bb.2:
	s_lshl_b64 s[8:9], s[0:1], 3
	s_add_u32 s8, s20, s8
	s_addc_u32 s9, s21, s9
	s_lshl_b64 s[18:19], s[22:23], 1
	s_load_dwordx2 s[8:9], s[8:9], 0x0
	s_waitcnt lgkmcnt(0)
	s_add_u32 s8, s8, s18
	s_addc_u32 s9, s9, s19
.LBB678_3:
	s_andn2_b32 vcc_lo, exec_lo, s11
	s_cbranch_vccnz .LBB678_5
; %bb.4:
	s_load_dwordx4 s[20:23], s[4:5], 0x38
	s_lshl_b64 s[2:3], s[0:1], 3
	s_waitcnt lgkmcnt(0)
	s_add_u32 s2, s20, s2
	s_addc_u32 s3, s21, s3
	s_lshl_b64 s[18:19], s[22:23], 1
	s_load_dwordx2 s[2:3], s[2:3], 0x0
	s_waitcnt lgkmcnt(0)
	s_add_u32 s2, s2, s18
	s_addc_u32 s3, s3, s19
.LBB678_5:
	s_lshl_b64 s[0:1], s[0:1], 3
	s_add_u32 s0, s12, s0
	s_addc_u32 s1, s13, s1
	s_lshl_b64 s[14:15], s[14:15], 2
	s_load_dwordx2 s[12:13], s[0:1], 0x0
	s_load_dword s17, s[4:5], 0x78
	v_cmp_eq_u32_e64 s0, 0, v0
	s_waitcnt lgkmcnt(0)
	s_add_u32 s1, s12, s14
	s_addc_u32 s12, s13, s15
	s_andn2_b32 vcc_lo, exec_lo, s10
	s_cbranch_vccnz .LBB678_10
; %bb.6:
	s_mov_b32 s14, 0
	s_mov_b32 s13, 0
                                        ; implicit-def: $vgpr1
                                        ; implicit-def: $sgpr10_sgpr11
	s_and_saveexec_b32 s15, s0
	s_cbranch_execz .LBB678_11
; %bb.7:
	v_cmp_eq_f32_e64 s0, s7, 0
	v_mov_b32_e32 v1, 0
	s_mul_i32 s10, s17, s6
	s_ashr_i32 s11, s10, 31
	s_and_b32 vcc_lo, exec_lo, s0
	s_cbranch_vccnz .LBB678_9
; %bb.8:
	s_lshl_b64 s[18:19], s[10:11], 2
	s_add_u32 s18, s1, s18
	s_addc_u32 s19, s12, s19
	v_mov_b32_e32 v1, s18
	v_mov_b32_e32 v2, s19
	flat_load_dword v1, v[1:2]
	s_waitcnt vmcnt(0) lgkmcnt(0)
	v_mul_f32_e32 v1, s7, v1
.LBB678_9:
	s_mov_b32 s13, exec_lo
	s_or_b32 exec_lo, exec_lo, s15
	s_and_b32 vcc_lo, exec_lo, s14
	s_cbranch_vccnz .LBB678_12
	s_branch .LBB678_39
.LBB678_10:
	s_mov_b32 s13, 0
                                        ; implicit-def: $vgpr1
                                        ; implicit-def: $sgpr10_sgpr11
	s_cbranch_execnz .LBB678_12
	s_branch .LBB678_39
.LBB678_11:
	s_or_b32 exec_lo, exec_lo, s15
	s_and_b32 vcc_lo, exec_lo, s14
	s_cbranch_vccz .LBB678_39
.LBB678_12:
	s_clause 0x2
	s_load_dword s10, s[4:5], 0x0
	s_load_dword s0, s[4:5], 0x28
	s_load_dword s5, s[4:5], 0x48
	v_mov_b32_e32 v7, 0
	s_waitcnt lgkmcnt(0)
	v_cmp_gt_i32_e32 vcc_lo, s10, v0
	s_mul_i32 s14, s0, s6
	s_ashr_i32 s0, s10, 31
	s_ashr_i32 s15, s14, 31
	s_lshr_b32 s0, s0, 24
	v_cndmask_b32_e32 v1, 0, v0, vcc_lo
	s_lshl_b64 s[14:15], s[14:15], 1
	s_add_i32 s0, s10, s0
	v_lshlrev_b32_e32 v1, 1, v1
	v_add_co_u32 v1, s4, s8, v1
	v_add_co_ci_u32_e64 v2, null, s9, 0, s4
	s_and_b32 s4, s0, 0xffffff00
	v_add_co_u32 v1, vcc_lo, v1, s14
	v_add_co_ci_u32_e64 v2, null, s15, v2, vcc_lo
	s_mov_b32 s9, 0
	s_mov_b32 s8, exec_lo
	v_cmpx_gt_i32_e64 s4, v0
	s_cbranch_execz .LBB678_20
; %bb.13:
	v_mul_lo_u32 v3, v0, s5
	v_mov_b32_e32 v6, v2
	v_mov_b32_e32 v8, 0
	;; [unrolled: 1-line block ×5, first 2 shown]
	s_lshl_b32 s11, s5, 8
	s_branch .LBB678_15
.LBB678_14:                             ;   in Loop: Header=BB678_15 Depth=1
	s_or_b32 exec_lo, exec_lo, s0
	v_add_nc_u32_e32 v9, 0x100, v9
	v_and_b32_e32 v4, 0xffff0000, v10
	v_add_co_u32 v5, s0, 0x200, v5
	v_add_co_ci_u32_e64 v6, null, 0, v6, s0
	v_cmp_le_i32_e32 vcc_lo, s4, v9
	v_add_f32_e32 v7, v7, v4
	v_add_nc_u32_e32 v3, s11, v3
	s_or_b32 s9, vcc_lo, s9
	s_andn2_b32 exec_lo, exec_lo, s9
	s_cbranch_execz .LBB678_19
.LBB678_15:                             ; =>This Inner Loop Header: Depth=1
	v_ashrrev_i32_e32 v4, 31, v3
	v_lshlrev_b64 v[10:11], 1, v[3:4]
	v_add_co_u32 v10, vcc_lo, s2, v10
	v_add_co_ci_u32_e64 v11, null, s3, v11, vcc_lo
	flat_load_ushort v4, v[5:6]
	flat_load_ushort v10, v[10:11]
	s_waitcnt vmcnt(1) lgkmcnt(1)
	v_lshlrev_b32_e32 v4, 16, v4
	s_waitcnt vmcnt(0) lgkmcnt(0)
	v_lshlrev_b32_e32 v10, 16, v10
	v_mul_f32_e32 v4, v4, v10
	v_and_b32_e32 v10, 0x7f800000, v4
	v_cmp_ne_u32_e32 vcc_lo, 0x7f800000, v10
                                        ; implicit-def: $vgpr10
	s_and_saveexec_b32 s0, vcc_lo
	s_xor_b32 s0, exec_lo, s0
; %bb.16:                               ;   in Loop: Header=BB678_15 Depth=1
	v_bfe_u32 v10, v4, 16, 1
	v_add3_u32 v10, v4, v10, 0x7fff
                                        ; implicit-def: $vgpr4
; %bb.17:                               ;   in Loop: Header=BB678_15 Depth=1
	s_andn2_saveexec_b32 s0, s0
	s_cbranch_execz .LBB678_14
; %bb.18:                               ;   in Loop: Header=BB678_15 Depth=1
	v_or_b32_e32 v10, 0x10000, v4
	v_cmp_eq_u32_sdwa vcc_lo, v4, v8 src0_sel:WORD_0 src1_sel:DWORD
	v_cndmask_b32_e32 v10, v10, v4, vcc_lo
	s_branch .LBB678_14
.LBB678_19:
	s_or_b32 exec_lo, exec_lo, s9
.LBB678_20:
	s_or_b32 exec_lo, exec_lo, s8
	v_add_nc_u32_e32 v3, s4, v0
	s_mov_b32 s0, exec_lo
	v_cmpx_gt_i32_e64 s10, v3
	s_cbranch_execz .LBB678_26
; %bb.21:
	v_mul_lo_u32 v3, s5, v3
	s_ashr_i32 s5, s4, 31
	s_lshl_b64 s[4:5], s[4:5], 1
	v_ashrrev_i32_e32 v4, 31, v3
	v_lshlrev_b64 v[3:4], 1, v[3:4]
	v_add_co_u32 v3, vcc_lo, s2, v3
	v_add_co_ci_u32_e64 v4, null, s3, v4, vcc_lo
	v_add_co_u32 v1, vcc_lo, v1, s4
	v_add_co_ci_u32_e64 v2, null, s5, v2, vcc_lo
	flat_load_ushort v3, v[3:4]
	flat_load_ushort v1, v[1:2]
	s_waitcnt vmcnt(1) lgkmcnt(1)
	v_lshlrev_b32_e32 v2, 16, v3
	s_waitcnt vmcnt(0) lgkmcnt(0)
	v_lshlrev_b32_e32 v1, 16, v1
	v_mul_f32_e32 v1, v1, v2
	v_and_b32_e32 v2, 0x7f800000, v1
	v_cmp_ne_u32_e32 vcc_lo, 0x7f800000, v2
                                        ; implicit-def: $vgpr2
	s_and_saveexec_b32 s2, vcc_lo
	s_xor_b32 s2, exec_lo, s2
; %bb.22:
	v_bfe_u32 v2, v1, 16, 1
	v_add3_u32 v2, v1, v2, 0x7fff
                                        ; implicit-def: $vgpr1
; %bb.23:
	s_andn2_saveexec_b32 s2, s2
; %bb.24:
	v_mov_b32_e32 v2, 0
	v_or_b32_e32 v3, 0x10000, v1
	v_cmp_eq_u32_sdwa vcc_lo, v1, v2 src0_sel:WORD_0 src1_sel:DWORD
	v_cndmask_b32_e32 v2, v3, v1, vcc_lo
; %bb.25:
	s_or_b32 exec_lo, exec_lo, s2
	v_and_b32_e32 v1, 0xffff0000, v2
	v_add_f32_e32 v7, v7, v1
.LBB678_26:
	s_or_b32 exec_lo, exec_lo, s0
	v_and_b32_e32 v5, 31, v0
	v_cmp_gt_u32_e32 vcc_lo, 32, v0
	v_lshlrev_b32_e32 v1, 2, v5
	s_and_saveexec_b32 s0, vcc_lo
; %bb.27:
	v_mov_b32_e32 v2, 0
	ds_write_b32 v1, v2
; %bb.28:
	s_or_b32 exec_lo, exec_lo, s0
	v_mbcnt_lo_u32_b32 v4, -1, 0
	s_mov_b32 s2, exec_lo
	s_waitcnt lgkmcnt(0)
	s_barrier
	buffer_gl0_inv
	v_lshl_or_b32 v2, v4, 2, 64
	v_cmp_gt_u32_e64 s0, 24, v4
	ds_bpermute_b32 v2, v2, v7
	v_cndmask_b32_e64 v3, 0, 8, s0
	v_cmp_gt_u32_e64 s0, 28, v4
	v_add_lshl_u32 v3, v3, v4, 2
	s_waitcnt lgkmcnt(0)
	v_add_f32_e32 v6, v7, v2
	v_cndmask_b32_e64 v2, 0, 4, s0
	v_cmp_gt_u32_e64 s0, 30, v4
	ds_bpermute_b32 v3, v3, v6
	v_add_lshl_u32 v2, v2, v4, 2
	s_waitcnt lgkmcnt(0)
	v_add_f32_e32 v6, v6, v3
	v_cndmask_b32_e64 v3, 0, 2, s0
	v_cmp_ne_u32_e64 s0, 31, v4
	ds_bpermute_b32 v7, v2, v6
	v_add_lshl_u32 v3, v3, v4, 2
	v_add_co_ci_u32_e64 v4, null, 0, v4, s0
	v_lshlrev_b32_e32 v4, 2, v4
	s_waitcnt lgkmcnt(0)
	v_add_f32_e32 v6, v6, v7
	ds_bpermute_b32 v7, v3, v6
	s_waitcnt lgkmcnt(0)
	v_add_f32_e32 v6, v6, v7
	ds_bpermute_b32 v7, v4, v6
	v_cmpx_eq_u32_e32 0, v5
	s_cbranch_execz .LBB678_30
; %bb.29:
	v_lshrrev_b32_e32 v5, 3, v0
	s_waitcnt lgkmcnt(0)
	v_add_f32_e32 v6, v6, v7
	v_and_b32_e32 v5, 28, v5
	ds_write_b32 v5, v6
.LBB678_30:
	s_or_b32 exec_lo, exec_lo, s2
	v_mov_b32_e32 v5, 0
	s_mov_b32 s2, exec_lo
	s_waitcnt lgkmcnt(0)
	s_barrier
	buffer_gl0_inv
	v_cmpx_gt_u32_e32 8, v0
; %bb.31:
	ds_read_b32 v5, v1
; %bb.32:
	s_or_b32 exec_lo, exec_lo, s2
	s_and_saveexec_b32 s0, vcc_lo
	s_cbranch_execz .LBB678_34
; %bb.33:
	s_waitcnt lgkmcnt(0)
	ds_bpermute_b32 v1, v2, v5
	s_waitcnt lgkmcnt(0)
	v_add_f32_e32 v1, v5, v1
	ds_bpermute_b32 v2, v3, v1
	s_waitcnt lgkmcnt(0)
	v_add_f32_e32 v1, v1, v2
	;; [unrolled: 3-line block ×3, first 2 shown]
.LBB678_34:
	s_or_b32 exec_lo, exec_lo, s0
	s_mov_b32 s0, exec_lo
                                        ; implicit-def: $vgpr1
                                        ; implicit-def: $sgpr10_sgpr11
	v_cmpx_eq_u32_e32 0, v0
	s_cbranch_execz .LBB678_38
; %bb.35:
	v_cmp_eq_f32_e64 s2, s7, 0
	s_waitcnt lgkmcnt(0)
	v_mul_f32_e32 v1, s16, v5
	s_mul_i32 s10, s17, s6
	s_ashr_i32 s11, s10, 31
	s_and_b32 vcc_lo, exec_lo, s2
	s_cbranch_vccnz .LBB678_37
; %bb.36:
	s_lshl_b64 s[2:3], s[10:11], 2
	s_add_u32 s2, s1, s2
	s_addc_u32 s3, s12, s3
	v_mov_b32_e32 v2, s2
	v_mov_b32_e32 v3, s3
	flat_load_dword v0, v[2:3]
	s_waitcnt vmcnt(0) lgkmcnt(0)
	v_fmac_f32_e32 v1, s7, v0
.LBB678_37:
	s_or_b32 s13, s13, exec_lo
.LBB678_38:
	s_or_b32 exec_lo, exec_lo, s0
.LBB678_39:
	s_and_saveexec_b32 s0, s13
	s_cbranch_execz .LBB678_41
; %bb.40:
	s_lshl_b64 s[2:3], s[10:11], 2
	s_add_u32 s0, s1, s2
	s_addc_u32 s1, s12, s3
	v_mov_b32_e32 v3, s1
	v_mov_b32_e32 v2, s0
	flat_store_dword v[2:3], v1
.LBB678_41:
	s_endpgm
	.section	.rodata,"a",@progbits
	.p2align	6, 0x0
	.amdhsa_kernel _ZL32rocblas_gemvt_warp_reduce_kernelILb0ELi256EiPK16rocblas_bfloat16PKfKPfEviiT3_lPKT2_lT1_lSA_lSB_lS7_lPT4_lSB_li
		.amdhsa_group_segment_fixed_size 128
		.amdhsa_private_segment_fixed_size 0
		.amdhsa_kernarg_size 140
		.amdhsa_user_sgpr_count 6
		.amdhsa_user_sgpr_private_segment_buffer 1
		.amdhsa_user_sgpr_dispatch_ptr 0
		.amdhsa_user_sgpr_queue_ptr 0
		.amdhsa_user_sgpr_kernarg_segment_ptr 1
		.amdhsa_user_sgpr_dispatch_id 0
		.amdhsa_user_sgpr_flat_scratch_init 0
		.amdhsa_user_sgpr_private_segment_size 0
		.amdhsa_wavefront_size32 1
		.amdhsa_uses_dynamic_stack 0
		.amdhsa_system_sgpr_private_segment_wavefront_offset 0
		.amdhsa_system_sgpr_workgroup_id_x 1
		.amdhsa_system_sgpr_workgroup_id_y 0
		.amdhsa_system_sgpr_workgroup_id_z 1
		.amdhsa_system_sgpr_workgroup_info 0
		.amdhsa_system_vgpr_workitem_id 0
		.amdhsa_next_free_vgpr 12
		.amdhsa_next_free_sgpr 24
		.amdhsa_reserve_vcc 1
		.amdhsa_reserve_flat_scratch 0
		.amdhsa_float_round_mode_32 0
		.amdhsa_float_round_mode_16_64 0
		.amdhsa_float_denorm_mode_32 3
		.amdhsa_float_denorm_mode_16_64 3
		.amdhsa_dx10_clamp 1
		.amdhsa_ieee_mode 1
		.amdhsa_fp16_overflow 0
		.amdhsa_workgroup_processor_mode 1
		.amdhsa_memory_ordered 1
		.amdhsa_forward_progress 1
		.amdhsa_shared_vgpr_count 0
		.amdhsa_exception_fp_ieee_invalid_op 0
		.amdhsa_exception_fp_denorm_src 0
		.amdhsa_exception_fp_ieee_div_zero 0
		.amdhsa_exception_fp_ieee_overflow 0
		.amdhsa_exception_fp_ieee_underflow 0
		.amdhsa_exception_fp_ieee_inexact 0
		.amdhsa_exception_int_div_zero 0
	.end_amdhsa_kernel
	.section	.text._ZL32rocblas_gemvt_warp_reduce_kernelILb0ELi256EiPK16rocblas_bfloat16PKfKPfEviiT3_lPKT2_lT1_lSA_lSB_lS7_lPT4_lSB_li,"axG",@progbits,_ZL32rocblas_gemvt_warp_reduce_kernelILb0ELi256EiPK16rocblas_bfloat16PKfKPfEviiT3_lPKT2_lT1_lSA_lSB_lS7_lPT4_lSB_li,comdat
.Lfunc_end678:
	.size	_ZL32rocblas_gemvt_warp_reduce_kernelILb0ELi256EiPK16rocblas_bfloat16PKfKPfEviiT3_lPKT2_lT1_lSA_lSB_lS7_lPT4_lSB_li, .Lfunc_end678-_ZL32rocblas_gemvt_warp_reduce_kernelILb0ELi256EiPK16rocblas_bfloat16PKfKPfEviiT3_lPKT2_lT1_lSA_lSB_lS7_lPT4_lSB_li
                                        ; -- End function
	.set _ZL32rocblas_gemvt_warp_reduce_kernelILb0ELi256EiPK16rocblas_bfloat16PKfKPfEviiT3_lPKT2_lT1_lSA_lSB_lS7_lPT4_lSB_li.num_vgpr, 12
	.set _ZL32rocblas_gemvt_warp_reduce_kernelILb0ELi256EiPK16rocblas_bfloat16PKfKPfEviiT3_lPKT2_lT1_lSA_lSB_lS7_lPT4_lSB_li.num_agpr, 0
	.set _ZL32rocblas_gemvt_warp_reduce_kernelILb0ELi256EiPK16rocblas_bfloat16PKfKPfEviiT3_lPKT2_lT1_lSA_lSB_lS7_lPT4_lSB_li.numbered_sgpr, 24
	.set _ZL32rocblas_gemvt_warp_reduce_kernelILb0ELi256EiPK16rocblas_bfloat16PKfKPfEviiT3_lPKT2_lT1_lSA_lSB_lS7_lPT4_lSB_li.num_named_barrier, 0
	.set _ZL32rocblas_gemvt_warp_reduce_kernelILb0ELi256EiPK16rocblas_bfloat16PKfKPfEviiT3_lPKT2_lT1_lSA_lSB_lS7_lPT4_lSB_li.private_seg_size, 0
	.set _ZL32rocblas_gemvt_warp_reduce_kernelILb0ELi256EiPK16rocblas_bfloat16PKfKPfEviiT3_lPKT2_lT1_lSA_lSB_lS7_lPT4_lSB_li.uses_vcc, 1
	.set _ZL32rocblas_gemvt_warp_reduce_kernelILb0ELi256EiPK16rocblas_bfloat16PKfKPfEviiT3_lPKT2_lT1_lSA_lSB_lS7_lPT4_lSB_li.uses_flat_scratch, 0
	.set _ZL32rocblas_gemvt_warp_reduce_kernelILb0ELi256EiPK16rocblas_bfloat16PKfKPfEviiT3_lPKT2_lT1_lSA_lSB_lS7_lPT4_lSB_li.has_dyn_sized_stack, 0
	.set _ZL32rocblas_gemvt_warp_reduce_kernelILb0ELi256EiPK16rocblas_bfloat16PKfKPfEviiT3_lPKT2_lT1_lSA_lSB_lS7_lPT4_lSB_li.has_recursion, 0
	.set _ZL32rocblas_gemvt_warp_reduce_kernelILb0ELi256EiPK16rocblas_bfloat16PKfKPfEviiT3_lPKT2_lT1_lSA_lSB_lS7_lPT4_lSB_li.has_indirect_call, 0
	.section	.AMDGPU.csdata,"",@progbits
; Kernel info:
; codeLenInByte = 1524
; TotalNumSgprs: 26
; NumVgprs: 12
; ScratchSize: 0
; MemoryBound: 0
; FloatMode: 240
; IeeeMode: 1
; LDSByteSize: 128 bytes/workgroup (compile time only)
; SGPRBlocks: 0
; VGPRBlocks: 1
; NumSGPRsForWavesPerEU: 26
; NumVGPRsForWavesPerEU: 12
; Occupancy: 16
; WaveLimiterHint : 1
; COMPUTE_PGM_RSRC2:SCRATCH_EN: 0
; COMPUTE_PGM_RSRC2:USER_SGPR: 6
; COMPUTE_PGM_RSRC2:TRAP_HANDLER: 0
; COMPUTE_PGM_RSRC2:TGID_X_EN: 1
; COMPUTE_PGM_RSRC2:TGID_Y_EN: 0
; COMPUTE_PGM_RSRC2:TGID_Z_EN: 1
; COMPUTE_PGM_RSRC2:TIDIG_COMP_CNT: 0
	.section	.text._ZL32rocblas_gemvt_warp_reduce_kernelILb0ELi256ElPK16rocblas_bfloat16PKfKPfEviiT3_lPKT2_lT1_lSA_lSB_lS7_lPT4_lSB_li,"axG",@progbits,_ZL32rocblas_gemvt_warp_reduce_kernelILb0ELi256ElPK16rocblas_bfloat16PKfKPfEviiT3_lPKT2_lT1_lSA_lSB_lS7_lPT4_lSB_li,comdat
	.globl	_ZL32rocblas_gemvt_warp_reduce_kernelILb0ELi256ElPK16rocblas_bfloat16PKfKPfEviiT3_lPKT2_lT1_lSA_lSB_lS7_lPT4_lSB_li ; -- Begin function _ZL32rocblas_gemvt_warp_reduce_kernelILb0ELi256ElPK16rocblas_bfloat16PKfKPfEviiT3_lPKT2_lT1_lSA_lSB_lS7_lPT4_lSB_li
	.p2align	8
	.type	_ZL32rocblas_gemvt_warp_reduce_kernelILb0ELi256ElPK16rocblas_bfloat16PKfKPfEviiT3_lPKT2_lT1_lSA_lSB_lS7_lPT4_lSB_li,@function
_ZL32rocblas_gemvt_warp_reduce_kernelILb0ELi256ElPK16rocblas_bfloat16PKfKPfEviiT3_lPKT2_lT1_lSA_lSB_lS7_lPT4_lSB_li: ; @_ZL32rocblas_gemvt_warp_reduce_kernelILb0ELi256ElPK16rocblas_bfloat16PKfKPfEviiT3_lPKT2_lT1_lSA_lSB_lS7_lPT4_lSB_li
; %bb.0:
	s_clause 0x1
	s_load_dwordx8 s[16:23], s[4:5], 0x8
	s_load_dwordx8 s[8:15], s[4:5], 0x58
	s_mov_b32 s26, s7
	s_mov_b32 s27, 0
	s_waitcnt lgkmcnt(0)
	s_mul_i32 s1, s19, s7
	s_mul_hi_u32 s2, s18, s7
	s_mul_i32 s0, s18, s7
	s_add_i32 s1, s2, s1
	s_mul_i32 s2, s11, s7
	s_lshl_b64 s[0:1], s[0:1], 2
	s_mul_hi_u32 s3, s10, s7
	s_add_u32 s0, s16, s0
	s_addc_u32 s1, s17, s1
	s_add_i32 s3, s3, s2
	s_mul_i32 s2, s10, s7
	s_lshl_b64 s[2:3], s[2:3], 2
	s_add_u32 s2, s8, s2
	s_addc_u32 s3, s9, s3
	s_load_dword s28, s[0:1], 0x0
	s_load_dword s7, s[2:3], 0x0
	s_waitcnt lgkmcnt(0)
	v_cmp_eq_f32_e64 s29, s28, 0
	v_cmp_eq_f32_e64 s0, s7, 1.0
	s_and_b32 s0, s29, s0
	s_and_b32 vcc_lo, exec_lo, s0
	s_cbranch_vccnz .LBB679_41
; %bb.1:
	s_clause 0x1
	s_load_dwordx2 s[18:19], s[4:5], 0x28
	s_load_dwordx2 s[8:9], s[4:5], 0x78
	v_cmp_neq_f32_e64 s30, s28, 0
	s_mov_b64 s[10:11], 0
	s_and_b32 vcc_lo, exec_lo, s29
	s_mov_b64 s[24:25], 0
	s_cbranch_vccnz .LBB679_3
; %bb.2:
	s_lshl_b64 s[0:1], s[26:27], 3
	s_add_u32 s0, s20, s0
	s_addc_u32 s1, s21, s1
	s_lshl_b64 s[2:3], s[22:23], 1
	s_load_dwordx2 s[0:1], s[0:1], 0x0
	s_waitcnt lgkmcnt(0)
	s_add_u32 s24, s0, s2
	s_addc_u32 s25, s1, s3
.LBB679_3:
	s_clause 0x1
	s_load_dwordx4 s[0:3], s[4:5], 0x38
	s_load_dwordx2 s[16:17], s[4:5], 0x48
	s_andn2_b32 vcc_lo, exec_lo, s30
	s_cbranch_vccnz .LBB679_5
; %bb.4:
	s_lshl_b64 s[10:11], s[26:27], 3
	s_waitcnt lgkmcnt(0)
	s_add_u32 s0, s0, s10
	s_addc_u32 s1, s1, s11
	s_lshl_b64 s[2:3], s[2:3], 1
	s_load_dwordx2 s[0:1], s[0:1], 0x0
	s_waitcnt lgkmcnt(0)
	s_add_u32 s10, s0, s2
	s_addc_u32 s11, s1, s3
.LBB679_5:
	s_waitcnt lgkmcnt(0)
	s_lshl_b64 s[0:1], s[26:27], 3
	s_add_u32 s0, s12, s0
	s_addc_u32 s1, s13, s1
	s_lshl_b64 s[12:13], s[14:15], 2
	s_load_dwordx2 s[2:3], s[0:1], 0x0
	v_cmp_eq_u32_e64 s0, 0, v0
	s_waitcnt lgkmcnt(0)
	s_add_u32 s1, s2, s12
	s_addc_u32 s12, s3, s13
	s_andn2_b32 vcc_lo, exec_lo, s29
	s_cbranch_vccnz .LBB679_10
; %bb.6:
	s_mov_b32 s14, 0
	s_mov_b32 s13, 0
                                        ; implicit-def: $vgpr1
                                        ; implicit-def: $sgpr2_sgpr3
	s_and_saveexec_b32 s15, s0
	s_cbranch_execz .LBB679_11
; %bb.7:
	s_ashr_i32 s0, s6, 31
	v_cmp_eq_f32_e64 s13, s7, 0
	s_mul_hi_u32 s2, s8, s6
	s_mul_i32 s0, s8, s0
	v_mov_b32_e32 v1, 0
	s_add_i32 s0, s2, s0
	s_mul_i32 s2, s9, s6
	s_and_b32 vcc_lo, exec_lo, s13
	s_add_i32 s3, s0, s2
	s_mul_i32 s2, s8, s6
	s_cbranch_vccnz .LBB679_9
; %bb.8:
	s_lshl_b64 s[20:21], s[2:3], 2
	s_add_u32 s20, s1, s20
	s_addc_u32 s21, s12, s21
	v_mov_b32_e32 v1, s20
	v_mov_b32_e32 v2, s21
	flat_load_dword v1, v[1:2]
	s_waitcnt vmcnt(0) lgkmcnt(0)
	v_mul_f32_e32 v1, s7, v1
.LBB679_9:
	s_mov_b32 s13, exec_lo
	s_or_b32 exec_lo, exec_lo, s15
	s_and_b32 vcc_lo, exec_lo, s14
	s_cbranch_vccnz .LBB679_12
	s_branch .LBB679_39
.LBB679_10:
	s_mov_b32 s13, 0
                                        ; implicit-def: $vgpr1
                                        ; implicit-def: $sgpr2_sgpr3
	s_cbranch_execnz .LBB679_12
	s_branch .LBB679_39
.LBB679_11:
	s_or_b32 exec_lo, exec_lo, s15
	s_and_b32 vcc_lo, exec_lo, s14
	s_cbranch_vccz .LBB679_39
.LBB679_12:
	s_load_dword s3, s[4:5], 0x0
	s_ashr_i32 s14, s6, 31
	s_mul_hi_u32 s0, s18, s6
	s_mul_i32 s4, s18, s14
	s_mul_i32 s2, s19, s6
	s_add_i32 s0, s0, s4
	s_mul_i32 s4, s18, s6
	s_add_i32 s5, s0, s2
	v_mov_b32_e32 v7, 0
	s_lshl_b64 s[4:5], s[4:5], 1
	s_mov_b32 s18, 0
	s_mov_b32 s15, exec_lo
	s_waitcnt lgkmcnt(0)
	v_cmp_gt_i32_e32 vcc_lo, s3, v0
	s_ashr_i32 s0, s3, 31
	s_lshr_b32 s0, s0, 24
	s_add_i32 s0, s3, s0
	v_cndmask_b32_e32 v1, 0, v0, vcc_lo
	v_lshlrev_b32_e32 v1, 1, v1
	v_add_co_u32 v1, s2, s24, v1
	v_add_co_ci_u32_e64 v2, null, s25, 0, s2
	s_and_b32 s2, s0, 0xffffff00
	v_add_co_u32 v1, vcc_lo, v1, s4
	v_add_co_ci_u32_e64 v2, null, s5, v2, vcc_lo
	v_cmpx_gt_i32_e64 s2, v0
	s_cbranch_execz .LBB679_20
; %bb.13:
	v_mad_u64_u32 v[3:4], null, s16, v0, 0
	v_mov_b32_e32 v8, 0
	v_mov_b32_e32 v9, v0
	;; [unrolled: 1-line block ×3, first 2 shown]
	s_lshl_b64 s[4:5], s[16:17], 9
	v_mad_u64_u32 v[4:5], null, s17, v0, v[4:5]
	v_lshlrev_b64 v[5:6], 1, v[3:4]
	v_mov_b32_e32 v4, v2
	v_mov_b32_e32 v3, v1
	v_add_co_u32 v5, vcc_lo, s10, v5
	v_add_co_ci_u32_e64 v6, null, s11, v6, vcc_lo
	s_inst_prefetch 0x1
	s_branch .LBB679_15
	.p2align	6
.LBB679_14:                             ;   in Loop: Header=BB679_15 Depth=1
	s_or_b32 exec_lo, exec_lo, s0
	v_add_nc_u32_e32 v9, 0x100, v9
	v_and_b32_e32 v10, 0xffff0000, v11
	v_add_co_u32 v3, vcc_lo, 0x200, v3
	v_add_co_ci_u32_e64 v4, null, 0, v4, vcc_lo
	v_cmp_le_i32_e32 vcc_lo, s2, v9
	v_add_co_u32 v5, s0, v5, s4
	v_add_f32_e32 v7, v7, v10
	v_add_co_ci_u32_e64 v6, null, s5, v6, s0
	s_or_b32 s18, vcc_lo, s18
	s_andn2_b32 exec_lo, exec_lo, s18
	s_cbranch_execz .LBB679_19
.LBB679_15:                             ; =>This Inner Loop Header: Depth=1
	flat_load_ushort v10, v[5:6]
	flat_load_ushort v11, v[3:4]
	s_waitcnt vmcnt(1) lgkmcnt(1)
	v_lshlrev_b32_e32 v10, 16, v10
	s_waitcnt vmcnt(0) lgkmcnt(0)
	v_lshlrev_b32_e32 v11, 16, v11
	v_mul_f32_e32 v10, v11, v10
	v_and_b32_e32 v11, 0x7f800000, v10
	v_cmp_ne_u32_e32 vcc_lo, 0x7f800000, v11
                                        ; implicit-def: $vgpr11
	s_and_saveexec_b32 s0, vcc_lo
	s_xor_b32 s0, exec_lo, s0
; %bb.16:                               ;   in Loop: Header=BB679_15 Depth=1
	v_bfe_u32 v11, v10, 16, 1
	v_add3_u32 v11, v10, v11, 0x7fff
                                        ; implicit-def: $vgpr10
; %bb.17:                               ;   in Loop: Header=BB679_15 Depth=1
	s_andn2_saveexec_b32 s0, s0
	s_cbranch_execz .LBB679_14
; %bb.18:                               ;   in Loop: Header=BB679_15 Depth=1
	v_or_b32_e32 v11, 0x10000, v10
	v_cmp_eq_u32_sdwa vcc_lo, v10, v8 src0_sel:WORD_0 src1_sel:DWORD
	v_cndmask_b32_e32 v11, v11, v10, vcc_lo
	s_branch .LBB679_14
.LBB679_19:
	s_inst_prefetch 0x2
	s_or_b32 exec_lo, exec_lo, s18
.LBB679_20:
	s_or_b32 exec_lo, exec_lo, s15
	v_add_nc_u32_e32 v3, s2, v0
	s_mov_b32 s0, exec_lo
	v_cmpx_gt_i32_e64 s3, v3
	s_cbranch_execz .LBB679_26
; %bb.21:
	v_ashrrev_i32_e32 v5, 31, v3
	v_mul_lo_u32 v6, s17, v3
	v_mad_u64_u32 v[3:4], null, s16, v3, 0
	s_ashr_i32 s3, s2, 31
	v_mul_lo_u32 v5, s16, v5
	s_lshl_b64 s[2:3], s[2:3], 1
	v_add3_u32 v4, v4, v5, v6
	v_lshlrev_b64 v[3:4], 1, v[3:4]
	v_add_co_u32 v3, vcc_lo, s10, v3
	v_add_co_ci_u32_e64 v4, null, s11, v4, vcc_lo
	v_add_co_u32 v1, vcc_lo, v1, s2
	v_add_co_ci_u32_e64 v2, null, s3, v2, vcc_lo
	flat_load_ushort v3, v[3:4]
	flat_load_ushort v1, v[1:2]
	s_waitcnt vmcnt(1) lgkmcnt(1)
	v_lshlrev_b32_e32 v2, 16, v3
	s_waitcnt vmcnt(0) lgkmcnt(0)
	v_lshlrev_b32_e32 v1, 16, v1
	v_mul_f32_e32 v1, v1, v2
	v_and_b32_e32 v2, 0x7f800000, v1
	v_cmp_ne_u32_e32 vcc_lo, 0x7f800000, v2
                                        ; implicit-def: $vgpr2
	s_and_saveexec_b32 s2, vcc_lo
	s_xor_b32 s2, exec_lo, s2
; %bb.22:
	v_bfe_u32 v2, v1, 16, 1
	v_add3_u32 v2, v1, v2, 0x7fff
                                        ; implicit-def: $vgpr1
; %bb.23:
	s_andn2_saveexec_b32 s2, s2
; %bb.24:
	v_mov_b32_e32 v2, 0
	v_or_b32_e32 v3, 0x10000, v1
	v_cmp_eq_u32_sdwa vcc_lo, v1, v2 src0_sel:WORD_0 src1_sel:DWORD
	v_cndmask_b32_e32 v2, v3, v1, vcc_lo
; %bb.25:
	s_or_b32 exec_lo, exec_lo, s2
	v_and_b32_e32 v1, 0xffff0000, v2
	v_add_f32_e32 v7, v7, v1
.LBB679_26:
	s_or_b32 exec_lo, exec_lo, s0
	v_and_b32_e32 v5, 31, v0
	v_cmp_gt_u32_e32 vcc_lo, 32, v0
	v_lshlrev_b32_e32 v1, 2, v5
	s_and_saveexec_b32 s0, vcc_lo
; %bb.27:
	v_mov_b32_e32 v2, 0
	ds_write_b32 v1, v2
; %bb.28:
	s_or_b32 exec_lo, exec_lo, s0
	v_mbcnt_lo_u32_b32 v4, -1, 0
	s_mov_b32 s2, exec_lo
	s_waitcnt lgkmcnt(0)
	s_barrier
	buffer_gl0_inv
	v_lshl_or_b32 v2, v4, 2, 64
	v_cmp_gt_u32_e64 s0, 24, v4
	ds_bpermute_b32 v2, v2, v7
	v_cndmask_b32_e64 v3, 0, 8, s0
	v_cmp_gt_u32_e64 s0, 28, v4
	v_add_lshl_u32 v3, v3, v4, 2
	s_waitcnt lgkmcnt(0)
	v_add_f32_e32 v6, v7, v2
	v_cndmask_b32_e64 v2, 0, 4, s0
	v_cmp_gt_u32_e64 s0, 30, v4
	ds_bpermute_b32 v3, v3, v6
	v_add_lshl_u32 v2, v2, v4, 2
	s_waitcnt lgkmcnt(0)
	v_add_f32_e32 v6, v6, v3
	v_cndmask_b32_e64 v3, 0, 2, s0
	v_cmp_ne_u32_e64 s0, 31, v4
	ds_bpermute_b32 v7, v2, v6
	v_add_lshl_u32 v3, v3, v4, 2
	v_add_co_ci_u32_e64 v4, null, 0, v4, s0
	v_lshlrev_b32_e32 v4, 2, v4
	s_waitcnt lgkmcnt(0)
	v_add_f32_e32 v6, v6, v7
	ds_bpermute_b32 v7, v3, v6
	s_waitcnt lgkmcnt(0)
	v_add_f32_e32 v6, v6, v7
	ds_bpermute_b32 v7, v4, v6
	v_cmpx_eq_u32_e32 0, v5
	s_cbranch_execz .LBB679_30
; %bb.29:
	v_lshrrev_b32_e32 v5, 3, v0
	s_waitcnt lgkmcnt(0)
	v_add_f32_e32 v6, v6, v7
	v_and_b32_e32 v5, 28, v5
	ds_write_b32 v5, v6
.LBB679_30:
	s_or_b32 exec_lo, exec_lo, s2
	v_mov_b32_e32 v5, 0
	s_mov_b32 s2, exec_lo
	s_waitcnt lgkmcnt(0)
	s_barrier
	buffer_gl0_inv
	v_cmpx_gt_u32_e32 8, v0
; %bb.31:
	ds_read_b32 v5, v1
; %bb.32:
	s_or_b32 exec_lo, exec_lo, s2
	s_and_saveexec_b32 s0, vcc_lo
	s_cbranch_execz .LBB679_34
; %bb.33:
	s_waitcnt lgkmcnt(0)
	ds_bpermute_b32 v1, v2, v5
	s_waitcnt lgkmcnt(0)
	v_add_f32_e32 v1, v5, v1
	ds_bpermute_b32 v2, v3, v1
	s_waitcnt lgkmcnt(0)
	v_add_f32_e32 v1, v1, v2
	;; [unrolled: 3-line block ×3, first 2 shown]
.LBB679_34:
	s_or_b32 exec_lo, exec_lo, s0
	s_mov_b32 s0, exec_lo
                                        ; implicit-def: $vgpr1
                                        ; implicit-def: $sgpr2_sgpr3
	v_cmpx_eq_u32_e32 0, v0
	s_cbranch_execz .LBB679_38
; %bb.35:
	v_cmp_eq_f32_e64 s4, s7, 0
	s_mul_i32 s2, s8, s14
	s_mul_hi_u32 s3, s8, s6
	s_waitcnt lgkmcnt(0)
	v_mul_f32_e32 v1, s28, v5
	s_add_i32 s2, s3, s2
	s_mul_i32 s3, s9, s6
	s_and_b32 vcc_lo, exec_lo, s4
	s_add_i32 s3, s2, s3
	s_mul_i32 s2, s8, s6
	s_cbranch_vccnz .LBB679_37
; %bb.36:
	s_lshl_b64 s[4:5], s[2:3], 2
	s_add_u32 s4, s1, s4
	s_addc_u32 s5, s12, s5
	v_mov_b32_e32 v2, s4
	v_mov_b32_e32 v3, s5
	flat_load_dword v0, v[2:3]
	s_waitcnt vmcnt(0) lgkmcnt(0)
	v_fmac_f32_e32 v1, s7, v0
.LBB679_37:
	s_or_b32 s13, s13, exec_lo
.LBB679_38:
	s_or_b32 exec_lo, exec_lo, s0
.LBB679_39:
	s_and_saveexec_b32 s0, s13
	s_cbranch_execz .LBB679_41
; %bb.40:
	s_lshl_b64 s[2:3], s[2:3], 2
	s_add_u32 s0, s1, s2
	s_addc_u32 s1, s12, s3
	v_mov_b32_e32 v3, s1
	v_mov_b32_e32 v2, s0
	flat_store_dword v[2:3], v1
.LBB679_41:
	s_endpgm
	.section	.rodata,"a",@progbits
	.p2align	6, 0x0
	.amdhsa_kernel _ZL32rocblas_gemvt_warp_reduce_kernelILb0ELi256ElPK16rocblas_bfloat16PKfKPfEviiT3_lPKT2_lT1_lSA_lSB_lS7_lPT4_lSB_li
		.amdhsa_group_segment_fixed_size 128
		.amdhsa_private_segment_fixed_size 0
		.amdhsa_kernarg_size 140
		.amdhsa_user_sgpr_count 6
		.amdhsa_user_sgpr_private_segment_buffer 1
		.amdhsa_user_sgpr_dispatch_ptr 0
		.amdhsa_user_sgpr_queue_ptr 0
		.amdhsa_user_sgpr_kernarg_segment_ptr 1
		.amdhsa_user_sgpr_dispatch_id 0
		.amdhsa_user_sgpr_flat_scratch_init 0
		.amdhsa_user_sgpr_private_segment_size 0
		.amdhsa_wavefront_size32 1
		.amdhsa_uses_dynamic_stack 0
		.amdhsa_system_sgpr_private_segment_wavefront_offset 0
		.amdhsa_system_sgpr_workgroup_id_x 1
		.amdhsa_system_sgpr_workgroup_id_y 0
		.amdhsa_system_sgpr_workgroup_id_z 1
		.amdhsa_system_sgpr_workgroup_info 0
		.amdhsa_system_vgpr_workitem_id 0
		.amdhsa_next_free_vgpr 12
		.amdhsa_next_free_sgpr 31
		.amdhsa_reserve_vcc 1
		.amdhsa_reserve_flat_scratch 0
		.amdhsa_float_round_mode_32 0
		.amdhsa_float_round_mode_16_64 0
		.amdhsa_float_denorm_mode_32 3
		.amdhsa_float_denorm_mode_16_64 3
		.amdhsa_dx10_clamp 1
		.amdhsa_ieee_mode 1
		.amdhsa_fp16_overflow 0
		.amdhsa_workgroup_processor_mode 1
		.amdhsa_memory_ordered 1
		.amdhsa_forward_progress 1
		.amdhsa_shared_vgpr_count 0
		.amdhsa_exception_fp_ieee_invalid_op 0
		.amdhsa_exception_fp_denorm_src 0
		.amdhsa_exception_fp_ieee_div_zero 0
		.amdhsa_exception_fp_ieee_overflow 0
		.amdhsa_exception_fp_ieee_underflow 0
		.amdhsa_exception_fp_ieee_inexact 0
		.amdhsa_exception_int_div_zero 0
	.end_amdhsa_kernel
	.section	.text._ZL32rocblas_gemvt_warp_reduce_kernelILb0ELi256ElPK16rocblas_bfloat16PKfKPfEviiT3_lPKT2_lT1_lSA_lSB_lS7_lPT4_lSB_li,"axG",@progbits,_ZL32rocblas_gemvt_warp_reduce_kernelILb0ELi256ElPK16rocblas_bfloat16PKfKPfEviiT3_lPKT2_lT1_lSA_lSB_lS7_lPT4_lSB_li,comdat
.Lfunc_end679:
	.size	_ZL32rocblas_gemvt_warp_reduce_kernelILb0ELi256ElPK16rocblas_bfloat16PKfKPfEviiT3_lPKT2_lT1_lSA_lSB_lS7_lPT4_lSB_li, .Lfunc_end679-_ZL32rocblas_gemvt_warp_reduce_kernelILb0ELi256ElPK16rocblas_bfloat16PKfKPfEviiT3_lPKT2_lT1_lSA_lSB_lS7_lPT4_lSB_li
                                        ; -- End function
	.set _ZL32rocblas_gemvt_warp_reduce_kernelILb0ELi256ElPK16rocblas_bfloat16PKfKPfEviiT3_lPKT2_lT1_lSA_lSB_lS7_lPT4_lSB_li.num_vgpr, 12
	.set _ZL32rocblas_gemvt_warp_reduce_kernelILb0ELi256ElPK16rocblas_bfloat16PKfKPfEviiT3_lPKT2_lT1_lSA_lSB_lS7_lPT4_lSB_li.num_agpr, 0
	.set _ZL32rocblas_gemvt_warp_reduce_kernelILb0ELi256ElPK16rocblas_bfloat16PKfKPfEviiT3_lPKT2_lT1_lSA_lSB_lS7_lPT4_lSB_li.numbered_sgpr, 31
	.set _ZL32rocblas_gemvt_warp_reduce_kernelILb0ELi256ElPK16rocblas_bfloat16PKfKPfEviiT3_lPKT2_lT1_lSA_lSB_lS7_lPT4_lSB_li.num_named_barrier, 0
	.set _ZL32rocblas_gemvt_warp_reduce_kernelILb0ELi256ElPK16rocblas_bfloat16PKfKPfEviiT3_lPKT2_lT1_lSA_lSB_lS7_lPT4_lSB_li.private_seg_size, 0
	.set _ZL32rocblas_gemvt_warp_reduce_kernelILb0ELi256ElPK16rocblas_bfloat16PKfKPfEviiT3_lPKT2_lT1_lSA_lSB_lS7_lPT4_lSB_li.uses_vcc, 1
	.set _ZL32rocblas_gemvt_warp_reduce_kernelILb0ELi256ElPK16rocblas_bfloat16PKfKPfEviiT3_lPKT2_lT1_lSA_lSB_lS7_lPT4_lSB_li.uses_flat_scratch, 0
	.set _ZL32rocblas_gemvt_warp_reduce_kernelILb0ELi256ElPK16rocblas_bfloat16PKfKPfEviiT3_lPKT2_lT1_lSA_lSB_lS7_lPT4_lSB_li.has_dyn_sized_stack, 0
	.set _ZL32rocblas_gemvt_warp_reduce_kernelILb0ELi256ElPK16rocblas_bfloat16PKfKPfEviiT3_lPKT2_lT1_lSA_lSB_lS7_lPT4_lSB_li.has_recursion, 0
	.set _ZL32rocblas_gemvt_warp_reduce_kernelILb0ELi256ElPK16rocblas_bfloat16PKfKPfEviiT3_lPKT2_lT1_lSA_lSB_lS7_lPT4_lSB_li.has_indirect_call, 0
	.section	.AMDGPU.csdata,"",@progbits
; Kernel info:
; codeLenInByte = 1652
; TotalNumSgprs: 33
; NumVgprs: 12
; ScratchSize: 0
; MemoryBound: 0
; FloatMode: 240
; IeeeMode: 1
; LDSByteSize: 128 bytes/workgroup (compile time only)
; SGPRBlocks: 0
; VGPRBlocks: 1
; NumSGPRsForWavesPerEU: 33
; NumVGPRsForWavesPerEU: 12
; Occupancy: 16
; WaveLimiterHint : 1
; COMPUTE_PGM_RSRC2:SCRATCH_EN: 0
; COMPUTE_PGM_RSRC2:USER_SGPR: 6
; COMPUTE_PGM_RSRC2:TRAP_HANDLER: 0
; COMPUTE_PGM_RSRC2:TGID_X_EN: 1
; COMPUTE_PGM_RSRC2:TGID_Y_EN: 0
; COMPUTE_PGM_RSRC2:TGID_Z_EN: 1
; COMPUTE_PGM_RSRC2:TIDIG_COMP_CNT: 0
	.section	.text._ZL32rocblas_gemvt_warp_reduce_kernelILb0ELi256EiPK16rocblas_bfloat16fKPfEviiT3_lPKT2_lT1_lS8_lS9_lS5_lPT4_lS9_li,"axG",@progbits,_ZL32rocblas_gemvt_warp_reduce_kernelILb0ELi256EiPK16rocblas_bfloat16fKPfEviiT3_lPKT2_lT1_lS8_lS9_lS5_lPT4_lS9_li,comdat
	.globl	_ZL32rocblas_gemvt_warp_reduce_kernelILb0ELi256EiPK16rocblas_bfloat16fKPfEviiT3_lPKT2_lT1_lS8_lS9_lS5_lPT4_lS9_li ; -- Begin function _ZL32rocblas_gemvt_warp_reduce_kernelILb0ELi256EiPK16rocblas_bfloat16fKPfEviiT3_lPKT2_lT1_lS8_lS9_lS5_lPT4_lS9_li
	.p2align	8
	.type	_ZL32rocblas_gemvt_warp_reduce_kernelILb0ELi256EiPK16rocblas_bfloat16fKPfEviiT3_lPKT2_lT1_lS8_lS9_lS5_lPT4_lS9_li,@function
_ZL32rocblas_gemvt_warp_reduce_kernelILb0ELi256EiPK16rocblas_bfloat16fKPfEviiT3_lPKT2_lT1_lS8_lS9_lS5_lPT4_lS9_li: ; @_ZL32rocblas_gemvt_warp_reduce_kernelILb0ELi256EiPK16rocblas_bfloat16fKPfEviiT3_lPKT2_lT1_lS8_lS9_lS5_lPT4_lS9_li
; %bb.0:
	s_mov_b32 s10, s7
	s_clause 0x1
	s_load_dword s12, s[4:5], 0x8
	s_load_dword s7, s[4:5], 0x58
	s_mov_b32 s11, 0
	s_waitcnt lgkmcnt(0)
	v_cmp_eq_f32_e64 s15, s12, 0
	v_cmp_eq_f32_e64 s0, s7, 1.0
	s_and_b32 s0, s15, s0
	s_and_b32 vcc_lo, exec_lo, s0
	s_cbranch_vccnz .LBB680_43
; %bb.1:
	v_cmp_neq_f32_e64 s13, s12, 0
	s_and_b32 vcc_lo, exec_lo, s13
	s_cbranch_vccnz .LBB680_3
; %bb.2:
	s_mov_b32 s1, 0
	s_mov_b32 s0, s10
	;; [unrolled: 1-line block ×3, first 2 shown]
	s_mov_b64 s[2:3], 0
	s_andn2_b32 vcc_lo, exec_lo, s8
	s_mov_b64 s[8:9], 0
	s_cbranch_vccz .LBB680_4
	s_branch .LBB680_5
.LBB680_3:
	s_mov_b64 s[0:1], s[10:11]
	s_mov_b64 s[2:3], 0
	;; [unrolled: 1-line block ×3, first 2 shown]
.LBB680_4:
	s_load_dwordx4 s[16:19], s[4:5], 0x18
	s_lshl_b64 s[8:9], s[10:11], 3
	s_waitcnt lgkmcnt(0)
	s_add_u32 s8, s16, s8
	s_addc_u32 s9, s17, s9
	s_lshl_b64 s[10:11], s[18:19], 1
	s_load_dwordx2 s[8:9], s[8:9], 0x0
	s_waitcnt lgkmcnt(0)
	s_add_u32 s8, s8, s10
	s_addc_u32 s9, s9, s11
.LBB680_5:
	s_andn2_b32 vcc_lo, exec_lo, s13
	s_cbranch_vccnz .LBB680_7
; %bb.6:
	s_load_dwordx4 s[16:19], s[4:5], 0x38
	s_lshl_b64 s[2:3], s[0:1], 3
	s_waitcnt lgkmcnt(0)
	s_add_u32 s2, s16, s2
	s_addc_u32 s3, s17, s3
	s_lshl_b64 s[10:11], s[18:19], 1
	s_load_dwordx2 s[2:3], s[2:3], 0x0
	s_waitcnt lgkmcnt(0)
	s_add_u32 s2, s2, s10
	s_addc_u32 s3, s3, s11
.LBB680_7:
	s_clause 0x1
	s_load_dwordx4 s[16:19], s[4:5], 0x68
	s_load_dword s14, s[4:5], 0x78
	s_lshl_b64 s[0:1], s[0:1], 3
	s_waitcnt lgkmcnt(0)
	s_add_u32 s0, s16, s0
	s_addc_u32 s1, s17, s1
	s_lshl_b64 s[16:17], s[18:19], 2
	s_load_dwordx2 s[10:11], s[0:1], 0x0
	v_cmp_eq_u32_e64 s0, 0, v0
	s_waitcnt lgkmcnt(0)
	s_add_u32 s1, s10, s16
	s_addc_u32 s13, s11, s17
	s_andn2_b32 vcc_lo, exec_lo, s15
	s_cbranch_vccnz .LBB680_12
; %bb.8:
	s_mov_b32 s16, 0
	s_mov_b32 s15, 0
                                        ; implicit-def: $vgpr1
                                        ; implicit-def: $sgpr10_sgpr11
	s_and_saveexec_b32 s17, s0
	s_cbranch_execz .LBB680_13
; %bb.9:
	v_cmp_eq_f32_e64 s0, s7, 0
	v_mov_b32_e32 v1, 0
	s_mul_i32 s10, s14, s6
	s_ashr_i32 s11, s10, 31
	s_and_b32 vcc_lo, exec_lo, s0
	s_cbranch_vccnz .LBB680_11
; %bb.10:
	s_lshl_b64 s[18:19], s[10:11], 2
	s_add_u32 s18, s1, s18
	s_addc_u32 s19, s13, s19
	v_mov_b32_e32 v1, s18
	v_mov_b32_e32 v2, s19
	flat_load_dword v1, v[1:2]
	s_waitcnt vmcnt(0) lgkmcnt(0)
	v_mul_f32_e32 v1, s7, v1
.LBB680_11:
	s_mov_b32 s15, exec_lo
	s_or_b32 exec_lo, exec_lo, s17
	s_and_b32 vcc_lo, exec_lo, s16
	s_cbranch_vccnz .LBB680_14
	s_branch .LBB680_41
.LBB680_12:
	s_mov_b32 s15, 0
                                        ; implicit-def: $vgpr1
                                        ; implicit-def: $sgpr10_sgpr11
	s_cbranch_execnz .LBB680_14
	s_branch .LBB680_41
.LBB680_13:
	s_or_b32 exec_lo, exec_lo, s17
	s_and_b32 vcc_lo, exec_lo, s16
	s_cbranch_vccz .LBB680_41
.LBB680_14:
	s_clause 0x2
	s_load_dword s10, s[4:5], 0x0
	s_load_dword s0, s[4:5], 0x28
	;; [unrolled: 1-line block ×3, first 2 shown]
	v_mov_b32_e32 v7, 0
	s_waitcnt lgkmcnt(0)
	v_cmp_gt_i32_e32 vcc_lo, s10, v0
	s_mul_i32 s16, s0, s6
	s_ashr_i32 s0, s10, 31
	s_ashr_i32 s17, s16, 31
	s_lshr_b32 s0, s0, 24
	v_cndmask_b32_e32 v1, 0, v0, vcc_lo
	s_lshl_b64 s[16:17], s[16:17], 1
	s_add_i32 s0, s10, s0
	v_lshlrev_b32_e32 v1, 1, v1
	v_add_co_u32 v1, s4, s8, v1
	v_add_co_ci_u32_e64 v2, null, s9, 0, s4
	s_and_b32 s4, s0, 0xffffff00
	v_add_co_u32 v1, vcc_lo, v1, s16
	v_add_co_ci_u32_e64 v2, null, s17, v2, vcc_lo
	s_mov_b32 s9, 0
	s_mov_b32 s8, exec_lo
	v_cmpx_gt_i32_e64 s4, v0
	s_cbranch_execz .LBB680_22
; %bb.15:
	v_mul_lo_u32 v3, v0, s5
	v_mov_b32_e32 v6, v2
	v_mov_b32_e32 v8, 0
	;; [unrolled: 1-line block ×5, first 2 shown]
	s_lshl_b32 s11, s5, 8
	s_branch .LBB680_17
.LBB680_16:                             ;   in Loop: Header=BB680_17 Depth=1
	s_or_b32 exec_lo, exec_lo, s0
	v_add_nc_u32_e32 v9, 0x100, v9
	v_and_b32_e32 v4, 0xffff0000, v10
	v_add_co_u32 v5, s0, 0x200, v5
	v_add_co_ci_u32_e64 v6, null, 0, v6, s0
	v_cmp_le_i32_e32 vcc_lo, s4, v9
	v_add_f32_e32 v7, v7, v4
	v_add_nc_u32_e32 v3, s11, v3
	s_or_b32 s9, vcc_lo, s9
	s_andn2_b32 exec_lo, exec_lo, s9
	s_cbranch_execz .LBB680_21
.LBB680_17:                             ; =>This Inner Loop Header: Depth=1
	v_ashrrev_i32_e32 v4, 31, v3
	v_lshlrev_b64 v[10:11], 1, v[3:4]
	v_add_co_u32 v10, vcc_lo, s2, v10
	v_add_co_ci_u32_e64 v11, null, s3, v11, vcc_lo
	flat_load_ushort v4, v[5:6]
	flat_load_ushort v10, v[10:11]
	s_waitcnt vmcnt(1) lgkmcnt(1)
	v_lshlrev_b32_e32 v4, 16, v4
	s_waitcnt vmcnt(0) lgkmcnt(0)
	v_lshlrev_b32_e32 v10, 16, v10
	v_mul_f32_e32 v4, v4, v10
	v_and_b32_e32 v10, 0x7f800000, v4
	v_cmp_ne_u32_e32 vcc_lo, 0x7f800000, v10
                                        ; implicit-def: $vgpr10
	s_and_saveexec_b32 s0, vcc_lo
	s_xor_b32 s0, exec_lo, s0
; %bb.18:                               ;   in Loop: Header=BB680_17 Depth=1
	v_bfe_u32 v10, v4, 16, 1
	v_add3_u32 v10, v4, v10, 0x7fff
                                        ; implicit-def: $vgpr4
; %bb.19:                               ;   in Loop: Header=BB680_17 Depth=1
	s_andn2_saveexec_b32 s0, s0
	s_cbranch_execz .LBB680_16
; %bb.20:                               ;   in Loop: Header=BB680_17 Depth=1
	v_or_b32_e32 v10, 0x10000, v4
	v_cmp_eq_u32_sdwa vcc_lo, v4, v8 src0_sel:WORD_0 src1_sel:DWORD
	v_cndmask_b32_e32 v10, v10, v4, vcc_lo
	s_branch .LBB680_16
.LBB680_21:
	s_or_b32 exec_lo, exec_lo, s9
.LBB680_22:
	s_or_b32 exec_lo, exec_lo, s8
	v_add_nc_u32_e32 v3, s4, v0
	s_mov_b32 s0, exec_lo
	v_cmpx_gt_i32_e64 s10, v3
	s_cbranch_execz .LBB680_28
; %bb.23:
	v_mul_lo_u32 v3, s5, v3
	s_ashr_i32 s5, s4, 31
	s_lshl_b64 s[4:5], s[4:5], 1
	v_ashrrev_i32_e32 v4, 31, v3
	v_lshlrev_b64 v[3:4], 1, v[3:4]
	v_add_co_u32 v3, vcc_lo, s2, v3
	v_add_co_ci_u32_e64 v4, null, s3, v4, vcc_lo
	v_add_co_u32 v1, vcc_lo, v1, s4
	v_add_co_ci_u32_e64 v2, null, s5, v2, vcc_lo
	flat_load_ushort v3, v[3:4]
	flat_load_ushort v1, v[1:2]
	s_waitcnt vmcnt(1) lgkmcnt(1)
	v_lshlrev_b32_e32 v2, 16, v3
	s_waitcnt vmcnt(0) lgkmcnt(0)
	v_lshlrev_b32_e32 v1, 16, v1
	v_mul_f32_e32 v1, v1, v2
	v_and_b32_e32 v2, 0x7f800000, v1
	v_cmp_ne_u32_e32 vcc_lo, 0x7f800000, v2
                                        ; implicit-def: $vgpr2
	s_and_saveexec_b32 s2, vcc_lo
	s_xor_b32 s2, exec_lo, s2
; %bb.24:
	v_bfe_u32 v2, v1, 16, 1
	v_add3_u32 v2, v1, v2, 0x7fff
                                        ; implicit-def: $vgpr1
; %bb.25:
	s_andn2_saveexec_b32 s2, s2
; %bb.26:
	v_mov_b32_e32 v2, 0
	v_or_b32_e32 v3, 0x10000, v1
	v_cmp_eq_u32_sdwa vcc_lo, v1, v2 src0_sel:WORD_0 src1_sel:DWORD
	v_cndmask_b32_e32 v2, v3, v1, vcc_lo
; %bb.27:
	s_or_b32 exec_lo, exec_lo, s2
	v_and_b32_e32 v1, 0xffff0000, v2
	v_add_f32_e32 v7, v7, v1
.LBB680_28:
	s_or_b32 exec_lo, exec_lo, s0
	v_and_b32_e32 v5, 31, v0
	v_cmp_gt_u32_e32 vcc_lo, 32, v0
	v_lshlrev_b32_e32 v1, 2, v5
	s_and_saveexec_b32 s0, vcc_lo
; %bb.29:
	v_mov_b32_e32 v2, 0
	ds_write_b32 v1, v2
; %bb.30:
	s_or_b32 exec_lo, exec_lo, s0
	v_mbcnt_lo_u32_b32 v4, -1, 0
	s_mov_b32 s2, exec_lo
	s_waitcnt lgkmcnt(0)
	s_barrier
	buffer_gl0_inv
	v_lshl_or_b32 v2, v4, 2, 64
	v_cmp_gt_u32_e64 s0, 24, v4
	ds_bpermute_b32 v2, v2, v7
	v_cndmask_b32_e64 v3, 0, 8, s0
	v_cmp_gt_u32_e64 s0, 28, v4
	v_add_lshl_u32 v3, v3, v4, 2
	s_waitcnt lgkmcnt(0)
	v_add_f32_e32 v6, v7, v2
	v_cndmask_b32_e64 v2, 0, 4, s0
	v_cmp_gt_u32_e64 s0, 30, v4
	ds_bpermute_b32 v3, v3, v6
	v_add_lshl_u32 v2, v2, v4, 2
	s_waitcnt lgkmcnt(0)
	v_add_f32_e32 v6, v6, v3
	v_cndmask_b32_e64 v3, 0, 2, s0
	v_cmp_ne_u32_e64 s0, 31, v4
	ds_bpermute_b32 v7, v2, v6
	v_add_lshl_u32 v3, v3, v4, 2
	v_add_co_ci_u32_e64 v4, null, 0, v4, s0
	v_lshlrev_b32_e32 v4, 2, v4
	s_waitcnt lgkmcnt(0)
	v_add_f32_e32 v6, v6, v7
	ds_bpermute_b32 v7, v3, v6
	s_waitcnt lgkmcnt(0)
	v_add_f32_e32 v6, v6, v7
	ds_bpermute_b32 v7, v4, v6
	v_cmpx_eq_u32_e32 0, v5
	s_cbranch_execz .LBB680_32
; %bb.31:
	v_lshrrev_b32_e32 v5, 3, v0
	s_waitcnt lgkmcnt(0)
	v_add_f32_e32 v6, v6, v7
	v_and_b32_e32 v5, 28, v5
	ds_write_b32 v5, v6
.LBB680_32:
	s_or_b32 exec_lo, exec_lo, s2
	v_mov_b32_e32 v5, 0
	s_mov_b32 s2, exec_lo
	s_waitcnt lgkmcnt(0)
	s_barrier
	buffer_gl0_inv
	v_cmpx_gt_u32_e32 8, v0
; %bb.33:
	ds_read_b32 v5, v1
; %bb.34:
	s_or_b32 exec_lo, exec_lo, s2
	s_and_saveexec_b32 s0, vcc_lo
	s_cbranch_execz .LBB680_36
; %bb.35:
	s_waitcnt lgkmcnt(0)
	ds_bpermute_b32 v1, v2, v5
	s_waitcnt lgkmcnt(0)
	v_add_f32_e32 v1, v5, v1
	ds_bpermute_b32 v2, v3, v1
	s_waitcnt lgkmcnt(0)
	v_add_f32_e32 v1, v1, v2
	;; [unrolled: 3-line block ×3, first 2 shown]
.LBB680_36:
	s_or_b32 exec_lo, exec_lo, s0
	s_mov_b32 s0, exec_lo
                                        ; implicit-def: $vgpr1
                                        ; implicit-def: $sgpr10_sgpr11
	v_cmpx_eq_u32_e32 0, v0
	s_cbranch_execz .LBB680_40
; %bb.37:
	v_cmp_eq_f32_e64 s2, s7, 0
	s_waitcnt lgkmcnt(0)
	v_mul_f32_e32 v1, s12, v5
	s_mul_i32 s10, s14, s6
	s_ashr_i32 s11, s10, 31
	s_and_b32 vcc_lo, exec_lo, s2
	s_cbranch_vccnz .LBB680_39
; %bb.38:
	s_lshl_b64 s[2:3], s[10:11], 2
	s_add_u32 s2, s1, s2
	s_addc_u32 s3, s13, s3
	v_mov_b32_e32 v2, s2
	v_mov_b32_e32 v3, s3
	flat_load_dword v0, v[2:3]
	s_waitcnt vmcnt(0) lgkmcnt(0)
	v_fmac_f32_e32 v1, s7, v0
.LBB680_39:
	s_or_b32 s15, s15, exec_lo
.LBB680_40:
	s_or_b32 exec_lo, exec_lo, s0
.LBB680_41:
	s_and_saveexec_b32 s0, s15
	s_cbranch_execz .LBB680_43
; %bb.42:
	s_lshl_b64 s[2:3], s[10:11], 2
	s_add_u32 s0, s1, s2
	s_addc_u32 s1, s13, s3
	v_mov_b32_e32 v3, s1
	v_mov_b32_e32 v2, s0
	flat_store_dword v[2:3], v1
.LBB680_43:
	s_endpgm
	.section	.rodata,"a",@progbits
	.p2align	6, 0x0
	.amdhsa_kernel _ZL32rocblas_gemvt_warp_reduce_kernelILb0ELi256EiPK16rocblas_bfloat16fKPfEviiT3_lPKT2_lT1_lS8_lS9_lS5_lPT4_lS9_li
		.amdhsa_group_segment_fixed_size 128
		.amdhsa_private_segment_fixed_size 0
		.amdhsa_kernarg_size 140
		.amdhsa_user_sgpr_count 6
		.amdhsa_user_sgpr_private_segment_buffer 1
		.amdhsa_user_sgpr_dispatch_ptr 0
		.amdhsa_user_sgpr_queue_ptr 0
		.amdhsa_user_sgpr_kernarg_segment_ptr 1
		.amdhsa_user_sgpr_dispatch_id 0
		.amdhsa_user_sgpr_flat_scratch_init 0
		.amdhsa_user_sgpr_private_segment_size 0
		.amdhsa_wavefront_size32 1
		.amdhsa_uses_dynamic_stack 0
		.amdhsa_system_sgpr_private_segment_wavefront_offset 0
		.amdhsa_system_sgpr_workgroup_id_x 1
		.amdhsa_system_sgpr_workgroup_id_y 0
		.amdhsa_system_sgpr_workgroup_id_z 1
		.amdhsa_system_sgpr_workgroup_info 0
		.amdhsa_system_vgpr_workitem_id 0
		.amdhsa_next_free_vgpr 12
		.amdhsa_next_free_sgpr 20
		.amdhsa_reserve_vcc 1
		.amdhsa_reserve_flat_scratch 0
		.amdhsa_float_round_mode_32 0
		.amdhsa_float_round_mode_16_64 0
		.amdhsa_float_denorm_mode_32 3
		.amdhsa_float_denorm_mode_16_64 3
		.amdhsa_dx10_clamp 1
		.amdhsa_ieee_mode 1
		.amdhsa_fp16_overflow 0
		.amdhsa_workgroup_processor_mode 1
		.amdhsa_memory_ordered 1
		.amdhsa_forward_progress 1
		.amdhsa_shared_vgpr_count 0
		.amdhsa_exception_fp_ieee_invalid_op 0
		.amdhsa_exception_fp_denorm_src 0
		.amdhsa_exception_fp_ieee_div_zero 0
		.amdhsa_exception_fp_ieee_overflow 0
		.amdhsa_exception_fp_ieee_underflow 0
		.amdhsa_exception_fp_ieee_inexact 0
		.amdhsa_exception_int_div_zero 0
	.end_amdhsa_kernel
	.section	.text._ZL32rocblas_gemvt_warp_reduce_kernelILb0ELi256EiPK16rocblas_bfloat16fKPfEviiT3_lPKT2_lT1_lS8_lS9_lS5_lPT4_lS9_li,"axG",@progbits,_ZL32rocblas_gemvt_warp_reduce_kernelILb0ELi256EiPK16rocblas_bfloat16fKPfEviiT3_lPKT2_lT1_lS8_lS9_lS5_lPT4_lS9_li,comdat
.Lfunc_end680:
	.size	_ZL32rocblas_gemvt_warp_reduce_kernelILb0ELi256EiPK16rocblas_bfloat16fKPfEviiT3_lPKT2_lT1_lS8_lS9_lS5_lPT4_lS9_li, .Lfunc_end680-_ZL32rocblas_gemvt_warp_reduce_kernelILb0ELi256EiPK16rocblas_bfloat16fKPfEviiT3_lPKT2_lT1_lS8_lS9_lS5_lPT4_lS9_li
                                        ; -- End function
	.set _ZL32rocblas_gemvt_warp_reduce_kernelILb0ELi256EiPK16rocblas_bfloat16fKPfEviiT3_lPKT2_lT1_lS8_lS9_lS5_lPT4_lS9_li.num_vgpr, 12
	.set _ZL32rocblas_gemvt_warp_reduce_kernelILb0ELi256EiPK16rocblas_bfloat16fKPfEviiT3_lPKT2_lT1_lS8_lS9_lS5_lPT4_lS9_li.num_agpr, 0
	.set _ZL32rocblas_gemvt_warp_reduce_kernelILb0ELi256EiPK16rocblas_bfloat16fKPfEviiT3_lPKT2_lT1_lS8_lS9_lS5_lPT4_lS9_li.numbered_sgpr, 20
	.set _ZL32rocblas_gemvt_warp_reduce_kernelILb0ELi256EiPK16rocblas_bfloat16fKPfEviiT3_lPKT2_lT1_lS8_lS9_lS5_lPT4_lS9_li.num_named_barrier, 0
	.set _ZL32rocblas_gemvt_warp_reduce_kernelILb0ELi256EiPK16rocblas_bfloat16fKPfEviiT3_lPKT2_lT1_lS8_lS9_lS5_lPT4_lS9_li.private_seg_size, 0
	.set _ZL32rocblas_gemvt_warp_reduce_kernelILb0ELi256EiPK16rocblas_bfloat16fKPfEviiT3_lPKT2_lT1_lS8_lS9_lS5_lPT4_lS9_li.uses_vcc, 1
	.set _ZL32rocblas_gemvt_warp_reduce_kernelILb0ELi256EiPK16rocblas_bfloat16fKPfEviiT3_lPKT2_lT1_lS8_lS9_lS5_lPT4_lS9_li.uses_flat_scratch, 0
	.set _ZL32rocblas_gemvt_warp_reduce_kernelILb0ELi256EiPK16rocblas_bfloat16fKPfEviiT3_lPKT2_lT1_lS8_lS9_lS5_lPT4_lS9_li.has_dyn_sized_stack, 0
	.set _ZL32rocblas_gemvt_warp_reduce_kernelILb0ELi256EiPK16rocblas_bfloat16fKPfEviiT3_lPKT2_lT1_lS8_lS9_lS5_lPT4_lS9_li.has_recursion, 0
	.set _ZL32rocblas_gemvt_warp_reduce_kernelILb0ELi256EiPK16rocblas_bfloat16fKPfEviiT3_lPKT2_lT1_lS8_lS9_lS5_lPT4_lS9_li.has_indirect_call, 0
	.section	.AMDGPU.csdata,"",@progbits
; Kernel info:
; codeLenInByte = 1512
; TotalNumSgprs: 22
; NumVgprs: 12
; ScratchSize: 0
; MemoryBound: 0
; FloatMode: 240
; IeeeMode: 1
; LDSByteSize: 128 bytes/workgroup (compile time only)
; SGPRBlocks: 0
; VGPRBlocks: 1
; NumSGPRsForWavesPerEU: 22
; NumVGPRsForWavesPerEU: 12
; Occupancy: 16
; WaveLimiterHint : 1
; COMPUTE_PGM_RSRC2:SCRATCH_EN: 0
; COMPUTE_PGM_RSRC2:USER_SGPR: 6
; COMPUTE_PGM_RSRC2:TRAP_HANDLER: 0
; COMPUTE_PGM_RSRC2:TGID_X_EN: 1
; COMPUTE_PGM_RSRC2:TGID_Y_EN: 0
; COMPUTE_PGM_RSRC2:TGID_Z_EN: 1
; COMPUTE_PGM_RSRC2:TIDIG_COMP_CNT: 0
	.section	.text._ZL32rocblas_gemvt_warp_reduce_kernelILb0ELi256ElPK16rocblas_bfloat16fKPfEviiT3_lPKT2_lT1_lS8_lS9_lS5_lPT4_lS9_li,"axG",@progbits,_ZL32rocblas_gemvt_warp_reduce_kernelILb0ELi256ElPK16rocblas_bfloat16fKPfEviiT3_lPKT2_lT1_lS8_lS9_lS5_lPT4_lS9_li,comdat
	.globl	_ZL32rocblas_gemvt_warp_reduce_kernelILb0ELi256ElPK16rocblas_bfloat16fKPfEviiT3_lPKT2_lT1_lS8_lS9_lS5_lPT4_lS9_li ; -- Begin function _ZL32rocblas_gemvt_warp_reduce_kernelILb0ELi256ElPK16rocblas_bfloat16fKPfEviiT3_lPKT2_lT1_lS8_lS9_lS5_lPT4_lS9_li
	.p2align	8
	.type	_ZL32rocblas_gemvt_warp_reduce_kernelILb0ELi256ElPK16rocblas_bfloat16fKPfEviiT3_lPKT2_lT1_lS8_lS9_lS5_lPT4_lS9_li,@function
_ZL32rocblas_gemvt_warp_reduce_kernelILb0ELi256ElPK16rocblas_bfloat16fKPfEviiT3_lPKT2_lT1_lS8_lS9_lS5_lPT4_lS9_li: ; @_ZL32rocblas_gemvt_warp_reduce_kernelILb0ELi256ElPK16rocblas_bfloat16fKPfEviiT3_lPKT2_lT1_lS8_lS9_lS5_lPT4_lS9_li
; %bb.0:
	s_mov_b32 s10, s7
	s_clause 0x1
	s_load_dword s18, s[4:5], 0x8
	s_load_dword s7, s[4:5], 0x58
	s_mov_b32 s11, 0
	s_waitcnt lgkmcnt(0)
	v_cmp_eq_f32_e64 s20, s18, 0
	v_cmp_eq_f32_e64 s0, s7, 1.0
	s_and_b32 s0, s20, s0
	s_and_b32 vcc_lo, exec_lo, s0
	s_cbranch_vccnz .LBB681_43
; %bb.1:
	s_clause 0x1
	s_load_dwordx4 s[0:3], s[4:5], 0x18
	s_load_dwordx2 s[12:13], s[4:5], 0x28
	v_cmp_neq_f32_e64 s19, s18, 0
	s_and_b32 vcc_lo, exec_lo, s19
	s_cbranch_vccnz .LBB681_3
; %bb.2:
	s_mov_b32 s17, 0
	s_mov_b32 s16, s10
	;; [unrolled: 1-line block ×3, first 2 shown]
	s_mov_b64 s[8:9], 0
	s_andn2_b32 vcc_lo, exec_lo, s14
	s_mov_b64 s[14:15], 0
	s_cbranch_vccz .LBB681_4
	s_branch .LBB681_5
.LBB681_3:
	s_mov_b64 s[16:17], s[10:11]
	s_mov_b64 s[8:9], 0
	;; [unrolled: 1-line block ×3, first 2 shown]
.LBB681_4:
	s_lshl_b64 s[10:11], s[10:11], 3
	s_waitcnt lgkmcnt(0)
	s_add_u32 s0, s0, s10
	s_addc_u32 s1, s1, s11
	s_lshl_b64 s[2:3], s[2:3], 1
	s_load_dwordx2 s[0:1], s[0:1], 0x0
	s_waitcnt lgkmcnt(0)
	s_add_u32 s14, s0, s2
	s_addc_u32 s15, s1, s3
.LBB681_5:
	s_waitcnt lgkmcnt(0)
	s_clause 0x1
	s_load_dwordx4 s[0:3], s[4:5], 0x38
	s_load_dwordx2 s[10:11], s[4:5], 0x48
	s_andn2_b32 vcc_lo, exec_lo, s19
	s_cbranch_vccnz .LBB681_7
; %bb.6:
	s_lshl_b64 s[8:9], s[16:17], 3
	s_waitcnt lgkmcnt(0)
	s_add_u32 s0, s0, s8
	s_addc_u32 s1, s1, s9
	s_lshl_b64 s[2:3], s[2:3], 1
	s_load_dwordx2 s[0:1], s[0:1], 0x0
	s_waitcnt lgkmcnt(0)
	s_add_u32 s8, s0, s2
	s_addc_u32 s9, s1, s3
.LBB681_7:
	s_load_dwordx4 s[24:27], s[4:5], 0x68
	s_waitcnt lgkmcnt(0)
	s_load_dwordx2 s[2:3], s[4:5], 0x78
	s_lshl_b64 s[0:1], s[16:17], 3
	s_add_u32 s0, s24, s0
	s_addc_u32 s1, s25, s1
	s_lshl_b64 s[22:23], s[26:27], 2
	s_load_dwordx2 s[16:17], s[0:1], 0x0
	v_cmp_eq_u32_e64 s0, 0, v0
	s_waitcnt lgkmcnt(0)
	s_add_u32 s1, s16, s22
	s_addc_u32 s19, s17, s23
	s_andn2_b32 vcc_lo, exec_lo, s20
	s_cbranch_vccnz .LBB681_12
; %bb.8:
	s_mov_b32 s21, 0
	s_mov_b32 s20, 0
                                        ; implicit-def: $vgpr1
                                        ; implicit-def: $sgpr16_sgpr17
	s_and_saveexec_b32 s22, s0
	s_cbranch_execz .LBB681_13
; %bb.9:
	s_ashr_i32 s0, s6, 31
	v_cmp_eq_f32_e64 s20, s7, 0
	s_mul_hi_u32 s16, s2, s6
	s_mul_i32 s0, s2, s0
	v_mov_b32_e32 v1, 0
	s_add_i32 s0, s16, s0
	s_mul_i32 s16, s3, s6
	s_and_b32 vcc_lo, exec_lo, s20
	s_add_i32 s17, s0, s16
	s_mul_i32 s16, s2, s6
	s_cbranch_vccnz .LBB681_11
; %bb.10:
	s_lshl_b64 s[24:25], s[16:17], 2
	s_add_u32 s24, s1, s24
	s_addc_u32 s25, s19, s25
	v_mov_b32_e32 v1, s24
	v_mov_b32_e32 v2, s25
	flat_load_dword v1, v[1:2]
	s_waitcnt vmcnt(0) lgkmcnt(0)
	v_mul_f32_e32 v1, s7, v1
.LBB681_11:
	s_mov_b32 s20, exec_lo
	s_or_b32 exec_lo, exec_lo, s22
	s_and_b32 vcc_lo, exec_lo, s21
	s_cbranch_vccnz .LBB681_14
	s_branch .LBB681_41
.LBB681_12:
	s_mov_b32 s20, 0
                                        ; implicit-def: $vgpr1
                                        ; implicit-def: $sgpr16_sgpr17
	s_cbranch_execnz .LBB681_14
	s_branch .LBB681_41
.LBB681_13:
	s_or_b32 exec_lo, exec_lo, s22
	s_and_b32 vcc_lo, exec_lo, s21
	s_cbranch_vccz .LBB681_41
.LBB681_14:
	s_load_dword s5, s[4:5], 0x0
	s_ashr_i32 s21, s6, 31
	s_mul_hi_u32 s0, s12, s6
	s_mul_i32 s4, s13, s6
	s_mul_i32 s13, s12, s21
	s_mul_i32 s12, s12, s6
	s_add_i32 s0, s0, s13
	v_mov_b32_e32 v7, 0
	s_add_i32 s13, s0, s4
	s_lshl_b64 s[12:13], s[12:13], 1
	s_waitcnt lgkmcnt(0)
	v_cmp_gt_i32_e32 vcc_lo, s5, v0
	s_ashr_i32 s0, s5, 31
	s_lshr_b32 s0, s0, 24
	s_add_i32 s0, s5, s0
	v_cndmask_b32_e32 v1, 0, v0, vcc_lo
	v_lshlrev_b32_e32 v1, 1, v1
	v_add_co_u32 v1, s4, s14, v1
	v_add_co_ci_u32_e64 v2, null, s15, 0, s4
	s_and_b32 s4, s0, 0xffffff00
	v_add_co_u32 v1, vcc_lo, v1, s12
	v_add_co_ci_u32_e64 v2, null, s13, v2, vcc_lo
	s_mov_b32 s15, 0
	s_mov_b32 s14, exec_lo
	v_cmpx_gt_i32_e64 s4, v0
	s_cbranch_execz .LBB681_22
; %bb.15:
	v_mad_u64_u32 v[3:4], null, s10, v0, 0
	v_mov_b32_e32 v8, 0
	v_mov_b32_e32 v9, v0
	;; [unrolled: 1-line block ×3, first 2 shown]
	s_lshl_b64 s[12:13], s[10:11], 9
	v_mad_u64_u32 v[4:5], null, s11, v0, v[4:5]
	v_lshlrev_b64 v[5:6], 1, v[3:4]
	v_mov_b32_e32 v4, v2
	v_mov_b32_e32 v3, v1
	v_add_co_u32 v5, vcc_lo, s8, v5
	v_add_co_ci_u32_e64 v6, null, s9, v6, vcc_lo
	s_inst_prefetch 0x1
	s_branch .LBB681_17
	.p2align	6
.LBB681_16:                             ;   in Loop: Header=BB681_17 Depth=1
	s_or_b32 exec_lo, exec_lo, s0
	v_add_nc_u32_e32 v9, 0x100, v9
	v_and_b32_e32 v10, 0xffff0000, v11
	v_add_co_u32 v3, vcc_lo, 0x200, v3
	v_add_co_ci_u32_e64 v4, null, 0, v4, vcc_lo
	v_cmp_le_i32_e32 vcc_lo, s4, v9
	v_add_co_u32 v5, s0, v5, s12
	v_add_f32_e32 v7, v7, v10
	v_add_co_ci_u32_e64 v6, null, s13, v6, s0
	s_or_b32 s15, vcc_lo, s15
	s_andn2_b32 exec_lo, exec_lo, s15
	s_cbranch_execz .LBB681_21
.LBB681_17:                             ; =>This Inner Loop Header: Depth=1
	flat_load_ushort v10, v[5:6]
	flat_load_ushort v11, v[3:4]
	s_waitcnt vmcnt(1) lgkmcnt(1)
	v_lshlrev_b32_e32 v10, 16, v10
	s_waitcnt vmcnt(0) lgkmcnt(0)
	v_lshlrev_b32_e32 v11, 16, v11
	v_mul_f32_e32 v10, v11, v10
	v_and_b32_e32 v11, 0x7f800000, v10
	v_cmp_ne_u32_e32 vcc_lo, 0x7f800000, v11
                                        ; implicit-def: $vgpr11
	s_and_saveexec_b32 s0, vcc_lo
	s_xor_b32 s0, exec_lo, s0
; %bb.18:                               ;   in Loop: Header=BB681_17 Depth=1
	v_bfe_u32 v11, v10, 16, 1
	v_add3_u32 v11, v10, v11, 0x7fff
                                        ; implicit-def: $vgpr10
; %bb.19:                               ;   in Loop: Header=BB681_17 Depth=1
	s_andn2_saveexec_b32 s0, s0
	s_cbranch_execz .LBB681_16
; %bb.20:                               ;   in Loop: Header=BB681_17 Depth=1
	v_or_b32_e32 v11, 0x10000, v10
	v_cmp_eq_u32_sdwa vcc_lo, v10, v8 src0_sel:WORD_0 src1_sel:DWORD
	v_cndmask_b32_e32 v11, v11, v10, vcc_lo
	s_branch .LBB681_16
.LBB681_21:
	s_inst_prefetch 0x2
	s_or_b32 exec_lo, exec_lo, s15
.LBB681_22:
	s_or_b32 exec_lo, exec_lo, s14
	v_add_nc_u32_e32 v3, s4, v0
	s_mov_b32 s0, exec_lo
	v_cmpx_gt_i32_e64 s5, v3
	s_cbranch_execz .LBB681_28
; %bb.23:
	v_ashrrev_i32_e32 v5, 31, v3
	v_mul_lo_u32 v6, s11, v3
	v_mad_u64_u32 v[3:4], null, s10, v3, 0
	s_ashr_i32 s5, s4, 31
	v_mul_lo_u32 v5, s10, v5
	s_lshl_b64 s[4:5], s[4:5], 1
	v_add3_u32 v4, v4, v5, v6
	v_lshlrev_b64 v[3:4], 1, v[3:4]
	v_add_co_u32 v3, vcc_lo, s8, v3
	v_add_co_ci_u32_e64 v4, null, s9, v4, vcc_lo
	v_add_co_u32 v1, vcc_lo, v1, s4
	v_add_co_ci_u32_e64 v2, null, s5, v2, vcc_lo
	flat_load_ushort v3, v[3:4]
	flat_load_ushort v1, v[1:2]
	s_waitcnt vmcnt(1) lgkmcnt(1)
	v_lshlrev_b32_e32 v2, 16, v3
	s_waitcnt vmcnt(0) lgkmcnt(0)
	v_lshlrev_b32_e32 v1, 16, v1
	v_mul_f32_e32 v1, v1, v2
	v_and_b32_e32 v2, 0x7f800000, v1
	v_cmp_ne_u32_e32 vcc_lo, 0x7f800000, v2
                                        ; implicit-def: $vgpr2
	s_and_saveexec_b32 s4, vcc_lo
	s_xor_b32 s4, exec_lo, s4
; %bb.24:
	v_bfe_u32 v2, v1, 16, 1
	v_add3_u32 v2, v1, v2, 0x7fff
                                        ; implicit-def: $vgpr1
; %bb.25:
	s_andn2_saveexec_b32 s4, s4
; %bb.26:
	v_mov_b32_e32 v2, 0
	v_or_b32_e32 v3, 0x10000, v1
	v_cmp_eq_u32_sdwa vcc_lo, v1, v2 src0_sel:WORD_0 src1_sel:DWORD
	v_cndmask_b32_e32 v2, v3, v1, vcc_lo
; %bb.27:
	s_or_b32 exec_lo, exec_lo, s4
	v_and_b32_e32 v1, 0xffff0000, v2
	v_add_f32_e32 v7, v7, v1
.LBB681_28:
	s_or_b32 exec_lo, exec_lo, s0
	v_and_b32_e32 v5, 31, v0
	v_cmp_gt_u32_e32 vcc_lo, 32, v0
	v_lshlrev_b32_e32 v1, 2, v5
	s_and_saveexec_b32 s0, vcc_lo
; %bb.29:
	v_mov_b32_e32 v2, 0
	ds_write_b32 v1, v2
; %bb.30:
	s_or_b32 exec_lo, exec_lo, s0
	v_mbcnt_lo_u32_b32 v4, -1, 0
	s_mov_b32 s4, exec_lo
	s_waitcnt lgkmcnt(0)
	s_barrier
	buffer_gl0_inv
	v_lshl_or_b32 v2, v4, 2, 64
	v_cmp_gt_u32_e64 s0, 24, v4
	ds_bpermute_b32 v2, v2, v7
	v_cndmask_b32_e64 v3, 0, 8, s0
	v_cmp_gt_u32_e64 s0, 28, v4
	v_add_lshl_u32 v3, v3, v4, 2
	s_waitcnt lgkmcnt(0)
	v_add_f32_e32 v6, v7, v2
	v_cndmask_b32_e64 v2, 0, 4, s0
	v_cmp_gt_u32_e64 s0, 30, v4
	ds_bpermute_b32 v3, v3, v6
	v_add_lshl_u32 v2, v2, v4, 2
	s_waitcnt lgkmcnt(0)
	v_add_f32_e32 v6, v6, v3
	v_cndmask_b32_e64 v3, 0, 2, s0
	v_cmp_ne_u32_e64 s0, 31, v4
	ds_bpermute_b32 v7, v2, v6
	v_add_lshl_u32 v3, v3, v4, 2
	v_add_co_ci_u32_e64 v4, null, 0, v4, s0
	v_lshlrev_b32_e32 v4, 2, v4
	s_waitcnt lgkmcnt(0)
	v_add_f32_e32 v6, v6, v7
	ds_bpermute_b32 v7, v3, v6
	s_waitcnt lgkmcnt(0)
	v_add_f32_e32 v6, v6, v7
	ds_bpermute_b32 v7, v4, v6
	v_cmpx_eq_u32_e32 0, v5
	s_cbranch_execz .LBB681_32
; %bb.31:
	v_lshrrev_b32_e32 v5, 3, v0
	s_waitcnt lgkmcnt(0)
	v_add_f32_e32 v6, v6, v7
	v_and_b32_e32 v5, 28, v5
	ds_write_b32 v5, v6
.LBB681_32:
	s_or_b32 exec_lo, exec_lo, s4
	v_mov_b32_e32 v5, 0
	s_mov_b32 s4, exec_lo
	s_waitcnt lgkmcnt(0)
	s_barrier
	buffer_gl0_inv
	v_cmpx_gt_u32_e32 8, v0
; %bb.33:
	ds_read_b32 v5, v1
; %bb.34:
	s_or_b32 exec_lo, exec_lo, s4
	s_and_saveexec_b32 s0, vcc_lo
	s_cbranch_execz .LBB681_36
; %bb.35:
	s_waitcnt lgkmcnt(0)
	ds_bpermute_b32 v1, v2, v5
	s_waitcnt lgkmcnt(0)
	v_add_f32_e32 v1, v5, v1
	ds_bpermute_b32 v2, v3, v1
	s_waitcnt lgkmcnt(0)
	v_add_f32_e32 v1, v1, v2
	;; [unrolled: 3-line block ×3, first 2 shown]
.LBB681_36:
	s_or_b32 exec_lo, exec_lo, s0
	s_mov_b32 s0, exec_lo
                                        ; implicit-def: $vgpr1
                                        ; implicit-def: $sgpr16_sgpr17
	v_cmpx_eq_u32_e32 0, v0
	s_cbranch_execz .LBB681_40
; %bb.37:
	v_cmp_eq_f32_e64 s8, s7, 0
	s_mul_i32 s4, s2, s21
	s_mul_hi_u32 s5, s2, s6
	s_waitcnt lgkmcnt(0)
	v_mul_f32_e32 v1, s18, v5
	s_add_i32 s4, s5, s4
	s_mul_i32 s3, s3, s6
	s_and_b32 vcc_lo, exec_lo, s8
	s_add_i32 s17, s4, s3
	s_mul_i32 s16, s2, s6
	s_cbranch_vccnz .LBB681_39
; %bb.38:
	s_lshl_b64 s[2:3], s[16:17], 2
	s_add_u32 s2, s1, s2
	s_addc_u32 s3, s19, s3
	v_mov_b32_e32 v2, s2
	v_mov_b32_e32 v3, s3
	flat_load_dword v0, v[2:3]
	s_waitcnt vmcnt(0) lgkmcnt(0)
	v_fmac_f32_e32 v1, s7, v0
.LBB681_39:
	s_or_b32 s20, s20, exec_lo
.LBB681_40:
	s_or_b32 exec_lo, exec_lo, s0
.LBB681_41:
	s_and_saveexec_b32 s0, s20
	s_cbranch_execz .LBB681_43
; %bb.42:
	s_lshl_b64 s[2:3], s[16:17], 2
	s_add_u32 s0, s1, s2
	s_addc_u32 s1, s19, s3
	v_mov_b32_e32 v3, s1
	v_mov_b32_e32 v2, s0
	flat_store_dword v[2:3], v1
.LBB681_43:
	s_endpgm
	.section	.rodata,"a",@progbits
	.p2align	6, 0x0
	.amdhsa_kernel _ZL32rocblas_gemvt_warp_reduce_kernelILb0ELi256ElPK16rocblas_bfloat16fKPfEviiT3_lPKT2_lT1_lS8_lS9_lS5_lPT4_lS9_li
		.amdhsa_group_segment_fixed_size 128
		.amdhsa_private_segment_fixed_size 0
		.amdhsa_kernarg_size 140
		.amdhsa_user_sgpr_count 6
		.amdhsa_user_sgpr_private_segment_buffer 1
		.amdhsa_user_sgpr_dispatch_ptr 0
		.amdhsa_user_sgpr_queue_ptr 0
		.amdhsa_user_sgpr_kernarg_segment_ptr 1
		.amdhsa_user_sgpr_dispatch_id 0
		.amdhsa_user_sgpr_flat_scratch_init 0
		.amdhsa_user_sgpr_private_segment_size 0
		.amdhsa_wavefront_size32 1
		.amdhsa_uses_dynamic_stack 0
		.amdhsa_system_sgpr_private_segment_wavefront_offset 0
		.amdhsa_system_sgpr_workgroup_id_x 1
		.amdhsa_system_sgpr_workgroup_id_y 0
		.amdhsa_system_sgpr_workgroup_id_z 1
		.amdhsa_system_sgpr_workgroup_info 0
		.amdhsa_system_vgpr_workitem_id 0
		.amdhsa_next_free_vgpr 12
		.amdhsa_next_free_sgpr 28
		.amdhsa_reserve_vcc 1
		.amdhsa_reserve_flat_scratch 0
		.amdhsa_float_round_mode_32 0
		.amdhsa_float_round_mode_16_64 0
		.amdhsa_float_denorm_mode_32 3
		.amdhsa_float_denorm_mode_16_64 3
		.amdhsa_dx10_clamp 1
		.amdhsa_ieee_mode 1
		.amdhsa_fp16_overflow 0
		.amdhsa_workgroup_processor_mode 1
		.amdhsa_memory_ordered 1
		.amdhsa_forward_progress 1
		.amdhsa_shared_vgpr_count 0
		.amdhsa_exception_fp_ieee_invalid_op 0
		.amdhsa_exception_fp_denorm_src 0
		.amdhsa_exception_fp_ieee_div_zero 0
		.amdhsa_exception_fp_ieee_overflow 0
		.amdhsa_exception_fp_ieee_underflow 0
		.amdhsa_exception_fp_ieee_inexact 0
		.amdhsa_exception_int_div_zero 0
	.end_amdhsa_kernel
	.section	.text._ZL32rocblas_gemvt_warp_reduce_kernelILb0ELi256ElPK16rocblas_bfloat16fKPfEviiT3_lPKT2_lT1_lS8_lS9_lS5_lPT4_lS9_li,"axG",@progbits,_ZL32rocblas_gemvt_warp_reduce_kernelILb0ELi256ElPK16rocblas_bfloat16fKPfEviiT3_lPKT2_lT1_lS8_lS9_lS5_lPT4_lS9_li,comdat
.Lfunc_end681:
	.size	_ZL32rocblas_gemvt_warp_reduce_kernelILb0ELi256ElPK16rocblas_bfloat16fKPfEviiT3_lPKT2_lT1_lS8_lS9_lS5_lPT4_lS9_li, .Lfunc_end681-_ZL32rocblas_gemvt_warp_reduce_kernelILb0ELi256ElPK16rocblas_bfloat16fKPfEviiT3_lPKT2_lT1_lS8_lS9_lS5_lPT4_lS9_li
                                        ; -- End function
	.set _ZL32rocblas_gemvt_warp_reduce_kernelILb0ELi256ElPK16rocblas_bfloat16fKPfEviiT3_lPKT2_lT1_lS8_lS9_lS5_lPT4_lS9_li.num_vgpr, 12
	.set _ZL32rocblas_gemvt_warp_reduce_kernelILb0ELi256ElPK16rocblas_bfloat16fKPfEviiT3_lPKT2_lT1_lS8_lS9_lS5_lPT4_lS9_li.num_agpr, 0
	.set _ZL32rocblas_gemvt_warp_reduce_kernelILb0ELi256ElPK16rocblas_bfloat16fKPfEviiT3_lPKT2_lT1_lS8_lS9_lS5_lPT4_lS9_li.numbered_sgpr, 28
	.set _ZL32rocblas_gemvt_warp_reduce_kernelILb0ELi256ElPK16rocblas_bfloat16fKPfEviiT3_lPKT2_lT1_lS8_lS9_lS5_lPT4_lS9_li.num_named_barrier, 0
	.set _ZL32rocblas_gemvt_warp_reduce_kernelILb0ELi256ElPK16rocblas_bfloat16fKPfEviiT3_lPKT2_lT1_lS8_lS9_lS5_lPT4_lS9_li.private_seg_size, 0
	.set _ZL32rocblas_gemvt_warp_reduce_kernelILb0ELi256ElPK16rocblas_bfloat16fKPfEviiT3_lPKT2_lT1_lS8_lS9_lS5_lPT4_lS9_li.uses_vcc, 1
	.set _ZL32rocblas_gemvt_warp_reduce_kernelILb0ELi256ElPK16rocblas_bfloat16fKPfEviiT3_lPKT2_lT1_lS8_lS9_lS5_lPT4_lS9_li.uses_flat_scratch, 0
	.set _ZL32rocblas_gemvt_warp_reduce_kernelILb0ELi256ElPK16rocblas_bfloat16fKPfEviiT3_lPKT2_lT1_lS8_lS9_lS5_lPT4_lS9_li.has_dyn_sized_stack, 0
	.set _ZL32rocblas_gemvt_warp_reduce_kernelILb0ELi256ElPK16rocblas_bfloat16fKPfEviiT3_lPKT2_lT1_lS8_lS9_lS5_lPT4_lS9_li.has_recursion, 0
	.set _ZL32rocblas_gemvt_warp_reduce_kernelILb0ELi256ElPK16rocblas_bfloat16fKPfEviiT3_lPKT2_lT1_lS8_lS9_lS5_lPT4_lS9_li.has_indirect_call, 0
	.section	.AMDGPU.csdata,"",@progbits
; Kernel info:
; codeLenInByte = 1652
; TotalNumSgprs: 30
; NumVgprs: 12
; ScratchSize: 0
; MemoryBound: 0
; FloatMode: 240
; IeeeMode: 1
; LDSByteSize: 128 bytes/workgroup (compile time only)
; SGPRBlocks: 0
; VGPRBlocks: 1
; NumSGPRsForWavesPerEU: 30
; NumVGPRsForWavesPerEU: 12
; Occupancy: 16
; WaveLimiterHint : 1
; COMPUTE_PGM_RSRC2:SCRATCH_EN: 0
; COMPUTE_PGM_RSRC2:USER_SGPR: 6
; COMPUTE_PGM_RSRC2:TRAP_HANDLER: 0
; COMPUTE_PGM_RSRC2:TGID_X_EN: 1
; COMPUTE_PGM_RSRC2:TGID_Y_EN: 0
; COMPUTE_PGM_RSRC2:TGID_Z_EN: 1
; COMPUTE_PGM_RSRC2:TIDIG_COMP_CNT: 0
	.section	.text._ZL20rocblas_gemvt_kernelILb0ELi256EPK16rocblas_bfloat16PKfKPfEviiT2_lPKT1_lilSA_lilS7_lPT3_lili,"axG",@progbits,_ZL20rocblas_gemvt_kernelILb0ELi256EPK16rocblas_bfloat16PKfKPfEviiT2_lPKT1_lilSA_lilS7_lPT3_lili,comdat
	.globl	_ZL20rocblas_gemvt_kernelILb0ELi256EPK16rocblas_bfloat16PKfKPfEviiT2_lPKT1_lilSA_lilS7_lPT3_lili ; -- Begin function _ZL20rocblas_gemvt_kernelILb0ELi256EPK16rocblas_bfloat16PKfKPfEviiT2_lPKT1_lilSA_lilS7_lPT3_lili
	.p2align	8
	.type	_ZL20rocblas_gemvt_kernelILb0ELi256EPK16rocblas_bfloat16PKfKPfEviiT2_lPKT1_lilSA_lilS7_lPT3_lili,@function
_ZL20rocblas_gemvt_kernelILb0ELi256EPK16rocblas_bfloat16PKfKPfEviiT2_lPKT1_lilSA_lilS7_lPT3_lili: ; @_ZL20rocblas_gemvt_kernelILb0ELi256EPK16rocblas_bfloat16PKfKPfEviiT2_lPKT1_lilSA_lilS7_lPT3_lili
; %bb.0:
	s_clause 0x1
	s_load_dwordx8 s[16:23], s[4:5], 0x8
	s_load_dwordx8 s[8:15], s[4:5], 0x58
	s_mov_b32 s0, s7
	s_waitcnt lgkmcnt(0)
	s_mul_i32 s1, s19, s7
	s_mul_hi_u32 s3, s18, s7
	s_mul_i32 s2, s18, s7
	s_add_i32 s3, s3, s1
	s_mul_i32 s1, s11, s7
	s_lshl_b64 s[2:3], s[2:3], 2
	s_mul_hi_u32 s7, s10, s7
	s_add_u32 s2, s16, s2
	s_addc_u32 s3, s17, s3
	s_add_i32 s11, s7, s1
	s_mul_i32 s10, s10, s0
	s_lshl_b64 s[10:11], s[10:11], 2
	s_add_u32 s8, s8, s10
	s_addc_u32 s9, s9, s11
	s_load_dword s16, s[2:3], 0x0
	s_load_dword s7, s[8:9], 0x0
	s_waitcnt lgkmcnt(0)
	v_cmp_eq_f32_e64 s10, s16, 0
	v_cmp_eq_f32_e64 s1, s7, 1.0
	s_and_b32 s1, s10, s1
	s_and_b32 vcc_lo, exec_lo, s1
	s_mov_b32 s1, 0
	s_cbranch_vccnz .LBB682_48
; %bb.1:
	v_cmp_neq_f32_e64 s11, s16, 0
	s_mov_b64 s[2:3], 0
	s_and_b32 vcc_lo, exec_lo, s10
	s_mov_b64 s[8:9], 0
	s_cbranch_vccnz .LBB682_3
; %bb.2:
	s_lshl_b64 s[8:9], s[0:1], 3
	s_add_u32 s8, s20, s8
	s_addc_u32 s9, s21, s9
	s_lshl_b64 s[18:19], s[22:23], 1
	s_load_dwordx2 s[8:9], s[8:9], 0x0
	s_waitcnt lgkmcnt(0)
	s_add_u32 s8, s8, s18
	s_addc_u32 s9, s9, s19
.LBB682_3:
	s_andn2_b32 vcc_lo, exec_lo, s11
	s_cbranch_vccnz .LBB682_5
; %bb.4:
	s_load_dwordx4 s[20:23], s[4:5], 0x38
	s_lshl_b64 s[2:3], s[0:1], 3
	s_waitcnt lgkmcnt(0)
	s_add_u32 s2, s20, s2
	s_addc_u32 s3, s21, s3
	s_lshl_b64 s[18:19], s[22:23], 1
	s_load_dwordx2 s[2:3], s[2:3], 0x0
	s_waitcnt lgkmcnt(0)
	s_add_u32 s2, s2, s18
	s_addc_u32 s3, s3, s19
.LBB682_5:
	s_lshl_b64 s[0:1], s[0:1], 3
	s_add_u32 s0, s12, s0
	s_addc_u32 s1, s13, s1
	s_lshl_b64 s[14:15], s[14:15], 2
	s_load_dwordx2 s[12:13], s[0:1], 0x0
	s_load_dword s17, s[4:5], 0x78
	v_cmp_eq_u32_e64 s0, 0, v0
	s_waitcnt lgkmcnt(0)
	s_add_u32 s12, s12, s14
	s_addc_u32 s13, s13, s15
	s_andn2_b32 vcc_lo, exec_lo, s10
	s_cbranch_vccnz .LBB682_10
; %bb.6:
	s_mov_b32 s1, 0
	s_mov_b32 s14, 0
                                        ; implicit-def: $vgpr1
                                        ; implicit-def: $sgpr10_sgpr11
	s_and_saveexec_b32 s15, s0
	s_cbranch_execz .LBB682_11
; %bb.7:
	v_cmp_eq_f32_e64 s0, s7, 0
	v_mov_b32_e32 v1, 0
	s_mul_hi_i32 s11, s17, s6
	s_mul_i32 s10, s17, s6
	s_and_b32 vcc_lo, exec_lo, s0
	s_cbranch_vccnz .LBB682_9
; %bb.8:
	s_lshl_b64 s[18:19], s[10:11], 2
	s_add_u32 s18, s12, s18
	s_addc_u32 s19, s13, s19
	v_mov_b32_e32 v1, s18
	v_mov_b32_e32 v2, s19
	flat_load_dword v1, v[1:2]
	s_waitcnt vmcnt(0) lgkmcnt(0)
	v_mul_f32_e32 v1, s7, v1
.LBB682_9:
	s_mov_b32 s14, exec_lo
	s_or_b32 exec_lo, exec_lo, s15
	s_and_b32 vcc_lo, exec_lo, s1
	s_cbranch_vccnz .LBB682_12
	s_branch .LBB682_46
.LBB682_10:
	s_mov_b32 s14, 0
                                        ; implicit-def: $vgpr1
                                        ; implicit-def: $sgpr10_sgpr11
	s_cbranch_execnz .LBB682_12
	s_branch .LBB682_46
.LBB682_11:
	s_or_b32 exec_lo, exec_lo, s15
	s_and_b32 vcc_lo, exec_lo, s1
	s_cbranch_vccz .LBB682_46
.LBB682_12:
	s_clause 0x2
	s_load_dword s10, s[4:5], 0x0
	s_load_dword s1, s[4:5], 0x28
	;; [unrolled: 1-line block ×3, first 2 shown]
	v_mov_b32_e32 v7, 0
	s_waitcnt lgkmcnt(0)
	v_cmp_gt_i32_e32 vcc_lo, s10, v0
	s_mul_hi_i32 s5, s1, s6
	s_mul_i32 s4, s1, s6
	s_ashr_i32 s1, s10, 31
	s_lshl_b64 s[4:5], s[4:5], 1
	v_cndmask_b32_e32 v1, 0, v0, vcc_lo
	s_lshr_b32 s1, s1, 24
	s_add_i32 s1, s10, s1
	v_lshlrev_b32_e32 v1, 1, v1
	v_add_co_u32 v1, s8, s8, v1
	v_add_co_ci_u32_e64 v2, null, s9, 0, s8
	v_add_co_u32 v1, vcc_lo, v1, s4
	v_add_co_ci_u32_e64 v2, null, s5, v2, vcc_lo
	s_and_b32 s4, s1, 0xffffff00
	s_cmpk_lt_i32 s10, 0x100
	s_mov_b32 s5, 0
	s_cbranch_scc1 .LBB682_19
; %bb.13:
	v_mad_i64_i32 v[3:4], null, s0, v0, 0
	v_mov_b32_e32 v8, 0
	v_mov_b32_e32 v7, 0
	s_ashr_i32 s1, s0, 31
	s_lshl_b64 s[8:9], s[0:1], 9
	v_lshlrev_b64 v[5:6], 1, v[3:4]
	v_mov_b32_e32 v4, v2
	v_mov_b32_e32 v3, v1
	v_add_co_u32 v5, vcc_lo, s2, v5
	v_add_co_ci_u32_e64 v6, null, s3, v6, vcc_lo
	s_inst_prefetch 0x1
	s_branch .LBB682_15
	.p2align	6
.LBB682_14:                             ;   in Loop: Header=BB682_15 Depth=1
	s_or_b32 exec_lo, exec_lo, s1
	v_and_b32_e32 v9, 0xffff0000, v10
	v_add_co_u32 v5, vcc_lo, v5, s8
	v_add_co_ci_u32_e64 v6, null, s9, v6, vcc_lo
	v_add_co_u32 v3, vcc_lo, 0x200, v3
	v_add_f32_e32 v7, v7, v9
	v_add_co_ci_u32_e64 v4, null, 0, v4, vcc_lo
	s_addk_i32 s5, 0x100
	s_cmp_ge_i32 s5, s4
	s_cbranch_scc1 .LBB682_19
.LBB682_15:                             ; =>This Inner Loop Header: Depth=1
	flat_load_ushort v9, v[5:6]
	flat_load_ushort v10, v[3:4]
	s_waitcnt vmcnt(1) lgkmcnt(1)
	v_lshlrev_b32_e32 v9, 16, v9
	s_waitcnt vmcnt(0) lgkmcnt(0)
	v_lshlrev_b32_e32 v10, 16, v10
	v_mul_f32_e32 v9, v10, v9
	v_and_b32_e32 v10, 0x7f800000, v9
	v_cmp_ne_u32_e32 vcc_lo, 0x7f800000, v10
                                        ; implicit-def: $vgpr10
	s_and_saveexec_b32 s1, vcc_lo
	s_xor_b32 s1, exec_lo, s1
; %bb.16:                               ;   in Loop: Header=BB682_15 Depth=1
	v_bfe_u32 v10, v9, 16, 1
	v_add3_u32 v10, v9, v10, 0x7fff
                                        ; implicit-def: $vgpr9
; %bb.17:                               ;   in Loop: Header=BB682_15 Depth=1
	s_andn2_saveexec_b32 s1, s1
	s_cbranch_execz .LBB682_14
; %bb.18:                               ;   in Loop: Header=BB682_15 Depth=1
	v_or_b32_e32 v10, 0x10000, v9
	v_cmp_eq_u32_sdwa vcc_lo, v9, v8 src0_sel:WORD_0 src1_sel:DWORD
	v_cndmask_b32_e32 v10, v10, v9, vcc_lo
	s_branch .LBB682_14
.LBB682_19:
	s_inst_prefetch 0x2
	v_add_nc_u32_e32 v3, s4, v0
	s_mov_b32 s1, exec_lo
	v_cmpx_gt_i32_e64 s10, v3
	s_cbranch_execz .LBB682_25
; %bb.20:
	v_mad_i64_i32 v[3:4], null, s0, v3, 0
	s_ashr_i32 s5, s4, 31
	s_lshl_b64 s[4:5], s[4:5], 1
	v_lshlrev_b64 v[3:4], 1, v[3:4]
	v_add_co_u32 v3, vcc_lo, s2, v3
	v_add_co_ci_u32_e64 v4, null, s3, v4, vcc_lo
	v_add_co_u32 v1, vcc_lo, v1, s4
	v_add_co_ci_u32_e64 v2, null, s5, v2, vcc_lo
	flat_load_ushort v3, v[3:4]
	flat_load_ushort v1, v[1:2]
	s_waitcnt vmcnt(1) lgkmcnt(1)
	v_lshlrev_b32_e32 v2, 16, v3
	s_waitcnt vmcnt(0) lgkmcnt(0)
	v_lshlrev_b32_e32 v1, 16, v1
	v_mul_f32_e32 v1, v1, v2
	v_and_b32_e32 v2, 0x7f800000, v1
	v_cmp_ne_u32_e32 vcc_lo, 0x7f800000, v2
                                        ; implicit-def: $vgpr2
	s_and_saveexec_b32 s0, vcc_lo
	s_xor_b32 s0, exec_lo, s0
; %bb.21:
	v_bfe_u32 v2, v1, 16, 1
	v_add3_u32 v2, v1, v2, 0x7fff
                                        ; implicit-def: $vgpr1
; %bb.22:
	s_andn2_saveexec_b32 s0, s0
; %bb.23:
	v_mov_b32_e32 v2, 0
	v_or_b32_e32 v3, 0x10000, v1
	v_cmp_eq_u32_sdwa vcc_lo, v1, v2 src0_sel:WORD_0 src1_sel:DWORD
	v_cndmask_b32_e32 v2, v3, v1, vcc_lo
; %bb.24:
	s_or_b32 exec_lo, exec_lo, s0
	v_and_b32_e32 v1, 0xffff0000, v2
	v_add_f32_e32 v7, v7, v1
.LBB682_25:
	s_or_b32 exec_lo, exec_lo, s1
	v_lshlrev_b32_e32 v1, 2, v0
	s_mov_b32 s0, exec_lo
	ds_write_b32 v1, v7
	s_waitcnt lgkmcnt(0)
	s_barrier
	buffer_gl0_inv
	v_cmpx_gt_u32_e32 0x80, v0
	s_cbranch_execz .LBB682_27
; %bb.26:
	ds_read2st64_b32 v[2:3], v1 offset1:2
	s_waitcnt lgkmcnt(0)
	v_add_f32_e32 v2, v3, v2
	ds_write_b32 v1, v2
.LBB682_27:
	s_or_b32 exec_lo, exec_lo, s0
	s_mov_b32 s0, exec_lo
	s_waitcnt lgkmcnt(0)
	s_barrier
	buffer_gl0_inv
	v_cmpx_gt_u32_e32 64, v0
	s_cbranch_execz .LBB682_29
; %bb.28:
	ds_read2st64_b32 v[2:3], v1 offset1:1
	s_waitcnt lgkmcnt(0)
	v_add_f32_e32 v2, v3, v2
	ds_write_b32 v1, v2
.LBB682_29:
	s_or_b32 exec_lo, exec_lo, s0
	s_mov_b32 s0, exec_lo
	s_waitcnt lgkmcnt(0)
	s_barrier
	buffer_gl0_inv
	v_cmpx_gt_u32_e32 32, v0
	s_cbranch_execz .LBB682_31
; %bb.30:
	ds_read2_b32 v[2:3], v1 offset1:32
	s_waitcnt lgkmcnt(0)
	v_add_f32_e32 v2, v3, v2
	ds_write_b32 v1, v2
.LBB682_31:
	s_or_b32 exec_lo, exec_lo, s0
	s_mov_b32 s0, exec_lo
	s_waitcnt lgkmcnt(0)
	s_barrier
	buffer_gl0_inv
	v_cmpx_gt_u32_e32 16, v0
	s_cbranch_execz .LBB682_33
; %bb.32:
	ds_read2_b32 v[2:3], v1 offset1:16
	s_waitcnt lgkmcnt(0)
	v_add_f32_e32 v2, v3, v2
	ds_write_b32 v1, v2
.LBB682_33:
	;; [unrolled: 13-line block ×5, first 2 shown]
	s_or_b32 exec_lo, exec_lo, s0
	v_cmp_eq_u32_e32 vcc_lo, 0, v0
	s_waitcnt lgkmcnt(0)
	s_barrier
	buffer_gl0_inv
	s_and_saveexec_b32 s0, vcc_lo
	s_cbranch_execz .LBB682_41
; %bb.40:
	v_mov_b32_e32 v2, 0
	ds_read_b64 v[0:1], v2
	s_waitcnt lgkmcnt(0)
	v_add_f32_e32 v0, v1, v0
	ds_write_b32 v2, v0
.LBB682_41:
	s_or_b32 exec_lo, exec_lo, s0
	s_waitcnt lgkmcnt(0)
	s_barrier
	buffer_gl0_inv
                                        ; implicit-def: $vgpr1
                                        ; implicit-def: $sgpr10_sgpr11
	s_and_saveexec_b32 s0, vcc_lo
	s_cbranch_execz .LBB682_45
; %bb.42:
	v_mov_b32_e32 v0, 0
	v_cmp_eq_f32_e64 s1, s7, 0
	s_mul_hi_i32 s11, s17, s6
	s_mul_i32 s10, s17, s6
	ds_read_b32 v0, v0
	s_and_b32 vcc_lo, exec_lo, s1
	s_waitcnt lgkmcnt(0)
	v_mul_f32_e32 v1, s16, v0
	s_cbranch_vccnz .LBB682_44
; %bb.43:
	s_lshl_b64 s[2:3], s[10:11], 2
	s_add_u32 s2, s12, s2
	s_addc_u32 s3, s13, s3
	v_mov_b32_e32 v2, s2
	v_mov_b32_e32 v3, s3
	flat_load_dword v0, v[2:3]
	s_waitcnt vmcnt(0) lgkmcnt(0)
	v_fmac_f32_e32 v1, s7, v0
.LBB682_44:
	s_or_b32 s14, s14, exec_lo
.LBB682_45:
	s_or_b32 exec_lo, exec_lo, s0
.LBB682_46:
	s_and_saveexec_b32 s0, s14
	s_cbranch_execz .LBB682_48
; %bb.47:
	s_lshl_b64 s[0:1], s[10:11], 2
	s_add_u32 s0, s12, s0
	s_addc_u32 s1, s13, s1
	v_mov_b32_e32 v3, s1
	v_mov_b32_e32 v2, s0
	flat_store_dword v[2:3], v1
.LBB682_48:
	s_endpgm
	.section	.rodata,"a",@progbits
	.p2align	6, 0x0
	.amdhsa_kernel _ZL20rocblas_gemvt_kernelILb0ELi256EPK16rocblas_bfloat16PKfKPfEviiT2_lPKT1_lilSA_lilS7_lPT3_lili
		.amdhsa_group_segment_fixed_size 1024
		.amdhsa_private_segment_fixed_size 0
		.amdhsa_kernarg_size 140
		.amdhsa_user_sgpr_count 6
		.amdhsa_user_sgpr_private_segment_buffer 1
		.amdhsa_user_sgpr_dispatch_ptr 0
		.amdhsa_user_sgpr_queue_ptr 0
		.amdhsa_user_sgpr_kernarg_segment_ptr 1
		.amdhsa_user_sgpr_dispatch_id 0
		.amdhsa_user_sgpr_flat_scratch_init 0
		.amdhsa_user_sgpr_private_segment_size 0
		.amdhsa_wavefront_size32 1
		.amdhsa_uses_dynamic_stack 0
		.amdhsa_system_sgpr_private_segment_wavefront_offset 0
		.amdhsa_system_sgpr_workgroup_id_x 1
		.amdhsa_system_sgpr_workgroup_id_y 0
		.amdhsa_system_sgpr_workgroup_id_z 1
		.amdhsa_system_sgpr_workgroup_info 0
		.amdhsa_system_vgpr_workitem_id 0
		.amdhsa_next_free_vgpr 11
		.amdhsa_next_free_sgpr 24
		.amdhsa_reserve_vcc 1
		.amdhsa_reserve_flat_scratch 0
		.amdhsa_float_round_mode_32 0
		.amdhsa_float_round_mode_16_64 0
		.amdhsa_float_denorm_mode_32 3
		.amdhsa_float_denorm_mode_16_64 3
		.amdhsa_dx10_clamp 1
		.amdhsa_ieee_mode 1
		.amdhsa_fp16_overflow 0
		.amdhsa_workgroup_processor_mode 1
		.amdhsa_memory_ordered 1
		.amdhsa_forward_progress 1
		.amdhsa_shared_vgpr_count 0
		.amdhsa_exception_fp_ieee_invalid_op 0
		.amdhsa_exception_fp_denorm_src 0
		.amdhsa_exception_fp_ieee_div_zero 0
		.amdhsa_exception_fp_ieee_overflow 0
		.amdhsa_exception_fp_ieee_underflow 0
		.amdhsa_exception_fp_ieee_inexact 0
		.amdhsa_exception_int_div_zero 0
	.end_amdhsa_kernel
	.section	.text._ZL20rocblas_gemvt_kernelILb0ELi256EPK16rocblas_bfloat16PKfKPfEviiT2_lPKT1_lilSA_lilS7_lPT3_lili,"axG",@progbits,_ZL20rocblas_gemvt_kernelILb0ELi256EPK16rocblas_bfloat16PKfKPfEviiT2_lPKT1_lilSA_lilS7_lPT3_lili,comdat
.Lfunc_end682:
	.size	_ZL20rocblas_gemvt_kernelILb0ELi256EPK16rocblas_bfloat16PKfKPfEviiT2_lPKT1_lilSA_lilS7_lPT3_lili, .Lfunc_end682-_ZL20rocblas_gemvt_kernelILb0ELi256EPK16rocblas_bfloat16PKfKPfEviiT2_lPKT1_lilSA_lilS7_lPT3_lili
                                        ; -- End function
	.set _ZL20rocblas_gemvt_kernelILb0ELi256EPK16rocblas_bfloat16PKfKPfEviiT2_lPKT1_lilSA_lilS7_lPT3_lili.num_vgpr, 11
	.set _ZL20rocblas_gemvt_kernelILb0ELi256EPK16rocblas_bfloat16PKfKPfEviiT2_lPKT1_lilSA_lilS7_lPT3_lili.num_agpr, 0
	.set _ZL20rocblas_gemvt_kernelILb0ELi256EPK16rocblas_bfloat16PKfKPfEviiT2_lPKT1_lilSA_lilS7_lPT3_lili.numbered_sgpr, 24
	.set _ZL20rocblas_gemvt_kernelILb0ELi256EPK16rocblas_bfloat16PKfKPfEviiT2_lPKT1_lilSA_lilS7_lPT3_lili.num_named_barrier, 0
	.set _ZL20rocblas_gemvt_kernelILb0ELi256EPK16rocblas_bfloat16PKfKPfEviiT2_lPKT1_lilSA_lilS7_lPT3_lili.private_seg_size, 0
	.set _ZL20rocblas_gemvt_kernelILb0ELi256EPK16rocblas_bfloat16PKfKPfEviiT2_lPKT1_lilSA_lilS7_lPT3_lili.uses_vcc, 1
	.set _ZL20rocblas_gemvt_kernelILb0ELi256EPK16rocblas_bfloat16PKfKPfEviiT2_lPKT1_lilSA_lilS7_lPT3_lili.uses_flat_scratch, 0
	.set _ZL20rocblas_gemvt_kernelILb0ELi256EPK16rocblas_bfloat16PKfKPfEviiT2_lPKT1_lilSA_lilS7_lPT3_lili.has_dyn_sized_stack, 0
	.set _ZL20rocblas_gemvt_kernelILb0ELi256EPK16rocblas_bfloat16PKfKPfEviiT2_lPKT1_lilSA_lilS7_lPT3_lili.has_recursion, 0
	.set _ZL20rocblas_gemvt_kernelILb0ELi256EPK16rocblas_bfloat16PKfKPfEviiT2_lPKT1_lilSA_lilS7_lPT3_lili.has_indirect_call, 0
	.section	.AMDGPU.csdata,"",@progbits
; Kernel info:
; codeLenInByte = 1644
; TotalNumSgprs: 26
; NumVgprs: 11
; ScratchSize: 0
; MemoryBound: 0
; FloatMode: 240
; IeeeMode: 1
; LDSByteSize: 1024 bytes/workgroup (compile time only)
; SGPRBlocks: 0
; VGPRBlocks: 1
; NumSGPRsForWavesPerEU: 26
; NumVGPRsForWavesPerEU: 11
; Occupancy: 16
; WaveLimiterHint : 1
; COMPUTE_PGM_RSRC2:SCRATCH_EN: 0
; COMPUTE_PGM_RSRC2:USER_SGPR: 6
; COMPUTE_PGM_RSRC2:TRAP_HANDLER: 0
; COMPUTE_PGM_RSRC2:TGID_X_EN: 1
; COMPUTE_PGM_RSRC2:TGID_Y_EN: 0
; COMPUTE_PGM_RSRC2:TGID_Z_EN: 1
; COMPUTE_PGM_RSRC2:TIDIG_COMP_CNT: 0
	.section	.text._ZL20rocblas_gemvt_kernelILb0ELi256EPK16rocblas_bfloat16fKPfEviiT2_lPKT1_lilS8_lilS5_lPT3_lili,"axG",@progbits,_ZL20rocblas_gemvt_kernelILb0ELi256EPK16rocblas_bfloat16fKPfEviiT2_lPKT1_lilS8_lilS5_lPT3_lili,comdat
	.globl	_ZL20rocblas_gemvt_kernelILb0ELi256EPK16rocblas_bfloat16fKPfEviiT2_lPKT1_lilS8_lilS5_lPT3_lili ; -- Begin function _ZL20rocblas_gemvt_kernelILb0ELi256EPK16rocblas_bfloat16fKPfEviiT2_lPKT1_lilS8_lilS5_lPT3_lili
	.p2align	8
	.type	_ZL20rocblas_gemvt_kernelILb0ELi256EPK16rocblas_bfloat16fKPfEviiT2_lPKT1_lilS8_lilS5_lPT3_lili,@function
_ZL20rocblas_gemvt_kernelILb0ELi256EPK16rocblas_bfloat16fKPfEviiT2_lPKT1_lilS8_lilS5_lPT3_lili: ; @_ZL20rocblas_gemvt_kernelILb0ELi256EPK16rocblas_bfloat16fKPfEviiT2_lPKT1_lilS8_lilS5_lPT3_lili
; %bb.0:
	s_mov_b32 s10, s7
	s_clause 0x1
	s_load_dword s12, s[4:5], 0x8
	s_load_dword s7, s[4:5], 0x58
	s_mov_b32 s11, 0
	s_waitcnt lgkmcnt(0)
	v_cmp_eq_f32_e64 s16, s12, 0
	v_cmp_eq_f32_e64 s0, s7, 1.0
	s_and_b32 s0, s16, s0
	s_and_b32 vcc_lo, exec_lo, s0
	s_cbranch_vccnz .LBB683_50
; %bb.1:
	v_cmp_neq_f32_e64 s13, s12, 0
	s_and_b32 vcc_lo, exec_lo, s13
	s_cbranch_vccnz .LBB683_3
; %bb.2:
	s_mov_b32 s1, 0
	s_mov_b32 s0, s10
	;; [unrolled: 1-line block ×3, first 2 shown]
	s_mov_b64 s[2:3], 0
	s_andn2_b32 vcc_lo, exec_lo, s8
	s_mov_b64 s[8:9], 0
	s_cbranch_vccz .LBB683_4
	s_branch .LBB683_5
.LBB683_3:
	s_mov_b64 s[0:1], s[10:11]
	s_mov_b64 s[2:3], 0
	s_mov_b64 s[8:9], 0
.LBB683_4:
	s_load_dwordx4 s[20:23], s[4:5], 0x18
	s_lshl_b64 s[8:9], s[10:11], 3
	s_waitcnt lgkmcnt(0)
	s_add_u32 s8, s20, s8
	s_addc_u32 s9, s21, s9
	s_lshl_b64 s[10:11], s[22:23], 1
	s_load_dwordx2 s[8:9], s[8:9], 0x0
	s_waitcnt lgkmcnt(0)
	s_add_u32 s8, s8, s10
	s_addc_u32 s9, s9, s11
.LBB683_5:
	s_andn2_b32 vcc_lo, exec_lo, s13
	s_cbranch_vccnz .LBB683_7
; %bb.6:
	s_load_dwordx4 s[20:23], s[4:5], 0x38
	s_lshl_b64 s[2:3], s[0:1], 3
	s_waitcnt lgkmcnt(0)
	s_add_u32 s2, s20, s2
	s_addc_u32 s3, s21, s3
	s_lshl_b64 s[10:11], s[22:23], 1
	s_load_dwordx2 s[2:3], s[2:3], 0x0
	s_waitcnt lgkmcnt(0)
	s_add_u32 s2, s2, s10
	s_addc_u32 s3, s3, s11
.LBB683_7:
	s_clause 0x1
	s_load_dwordx4 s[20:23], s[4:5], 0x68
	s_load_dword s15, s[4:5], 0x78
	s_lshl_b64 s[0:1], s[0:1], 3
	s_waitcnt lgkmcnt(0)
	s_add_u32 s0, s20, s0
	s_addc_u32 s1, s21, s1
	s_lshl_b64 s[18:19], s[22:23], 2
	s_load_dwordx2 s[10:11], s[0:1], 0x0
	v_cmp_eq_u32_e64 s0, 0, v0
	s_waitcnt lgkmcnt(0)
	s_add_u32 s13, s10, s18
	s_addc_u32 s14, s11, s19
	s_andn2_b32 vcc_lo, exec_lo, s16
	s_cbranch_vccnz .LBB683_12
; %bb.8:
	s_mov_b32 s1, 0
	s_mov_b32 s16, 0
                                        ; implicit-def: $vgpr1
                                        ; implicit-def: $sgpr10_sgpr11
	s_and_saveexec_b32 s17, s0
	s_cbranch_execz .LBB683_13
; %bb.9:
	v_cmp_eq_f32_e64 s0, s7, 0
	v_mov_b32_e32 v1, 0
	s_mul_hi_i32 s11, s15, s6
	s_mul_i32 s10, s15, s6
	s_and_b32 vcc_lo, exec_lo, s0
	s_cbranch_vccnz .LBB683_11
; %bb.10:
	s_lshl_b64 s[18:19], s[10:11], 2
	s_add_u32 s18, s13, s18
	s_addc_u32 s19, s14, s19
	v_mov_b32_e32 v1, s18
	v_mov_b32_e32 v2, s19
	flat_load_dword v1, v[1:2]
	s_waitcnt vmcnt(0) lgkmcnt(0)
	v_mul_f32_e32 v1, s7, v1
.LBB683_11:
	s_mov_b32 s16, exec_lo
	s_or_b32 exec_lo, exec_lo, s17
	s_and_b32 vcc_lo, exec_lo, s1
	s_cbranch_vccnz .LBB683_14
	s_branch .LBB683_48
.LBB683_12:
	s_mov_b32 s16, 0
                                        ; implicit-def: $vgpr1
                                        ; implicit-def: $sgpr10_sgpr11
	s_cbranch_execnz .LBB683_14
	s_branch .LBB683_48
.LBB683_13:
	s_or_b32 exec_lo, exec_lo, s17
	s_and_b32 vcc_lo, exec_lo, s1
	s_cbranch_vccz .LBB683_48
.LBB683_14:
	s_clause 0x2
	s_load_dword s10, s[4:5], 0x0
	s_load_dword s1, s[4:5], 0x28
	;; [unrolled: 1-line block ×3, first 2 shown]
	v_mov_b32_e32 v7, 0
	s_waitcnt lgkmcnt(0)
	v_cmp_gt_i32_e32 vcc_lo, s10, v0
	s_mul_hi_i32 s5, s1, s6
	s_mul_i32 s4, s1, s6
	s_ashr_i32 s1, s10, 31
	s_lshl_b64 s[4:5], s[4:5], 1
	v_cndmask_b32_e32 v1, 0, v0, vcc_lo
	s_lshr_b32 s1, s1, 24
	s_add_i32 s1, s10, s1
	v_lshlrev_b32_e32 v1, 1, v1
	v_add_co_u32 v1, s8, s8, v1
	v_add_co_ci_u32_e64 v2, null, s9, 0, s8
	v_add_co_u32 v1, vcc_lo, v1, s4
	v_add_co_ci_u32_e64 v2, null, s5, v2, vcc_lo
	s_and_b32 s4, s1, 0xffffff00
	s_cmpk_lt_i32 s10, 0x100
	s_mov_b32 s5, 0
	s_cbranch_scc1 .LBB683_21
; %bb.15:
	v_mad_i64_i32 v[3:4], null, s0, v0, 0
	v_mov_b32_e32 v8, 0
	v_mov_b32_e32 v7, 0
	s_ashr_i32 s1, s0, 31
	s_lshl_b64 s[8:9], s[0:1], 9
	v_lshlrev_b64 v[5:6], 1, v[3:4]
	v_mov_b32_e32 v4, v2
	v_mov_b32_e32 v3, v1
	v_add_co_u32 v5, vcc_lo, s2, v5
	v_add_co_ci_u32_e64 v6, null, s3, v6, vcc_lo
	s_inst_prefetch 0x1
	s_branch .LBB683_17
	.p2align	6
.LBB683_16:                             ;   in Loop: Header=BB683_17 Depth=1
	s_or_b32 exec_lo, exec_lo, s1
	v_and_b32_e32 v9, 0xffff0000, v10
	v_add_co_u32 v5, vcc_lo, v5, s8
	v_add_co_ci_u32_e64 v6, null, s9, v6, vcc_lo
	v_add_co_u32 v3, vcc_lo, 0x200, v3
	v_add_f32_e32 v7, v7, v9
	v_add_co_ci_u32_e64 v4, null, 0, v4, vcc_lo
	s_addk_i32 s5, 0x100
	s_cmp_ge_i32 s5, s4
	s_cbranch_scc1 .LBB683_21
.LBB683_17:                             ; =>This Inner Loop Header: Depth=1
	flat_load_ushort v9, v[5:6]
	flat_load_ushort v10, v[3:4]
	s_waitcnt vmcnt(1) lgkmcnt(1)
	v_lshlrev_b32_e32 v9, 16, v9
	s_waitcnt vmcnt(0) lgkmcnt(0)
	v_lshlrev_b32_e32 v10, 16, v10
	v_mul_f32_e32 v9, v10, v9
	v_and_b32_e32 v10, 0x7f800000, v9
	v_cmp_ne_u32_e32 vcc_lo, 0x7f800000, v10
                                        ; implicit-def: $vgpr10
	s_and_saveexec_b32 s1, vcc_lo
	s_xor_b32 s1, exec_lo, s1
; %bb.18:                               ;   in Loop: Header=BB683_17 Depth=1
	v_bfe_u32 v10, v9, 16, 1
	v_add3_u32 v10, v9, v10, 0x7fff
                                        ; implicit-def: $vgpr9
; %bb.19:                               ;   in Loop: Header=BB683_17 Depth=1
	s_andn2_saveexec_b32 s1, s1
	s_cbranch_execz .LBB683_16
; %bb.20:                               ;   in Loop: Header=BB683_17 Depth=1
	v_or_b32_e32 v10, 0x10000, v9
	v_cmp_eq_u32_sdwa vcc_lo, v9, v8 src0_sel:WORD_0 src1_sel:DWORD
	v_cndmask_b32_e32 v10, v10, v9, vcc_lo
	s_branch .LBB683_16
.LBB683_21:
	s_inst_prefetch 0x2
	v_add_nc_u32_e32 v3, s4, v0
	s_mov_b32 s1, exec_lo
	v_cmpx_gt_i32_e64 s10, v3
	s_cbranch_execz .LBB683_27
; %bb.22:
	v_mad_i64_i32 v[3:4], null, s0, v3, 0
	s_ashr_i32 s5, s4, 31
	s_lshl_b64 s[4:5], s[4:5], 1
	v_lshlrev_b64 v[3:4], 1, v[3:4]
	v_add_co_u32 v3, vcc_lo, s2, v3
	v_add_co_ci_u32_e64 v4, null, s3, v4, vcc_lo
	v_add_co_u32 v1, vcc_lo, v1, s4
	v_add_co_ci_u32_e64 v2, null, s5, v2, vcc_lo
	flat_load_ushort v3, v[3:4]
	flat_load_ushort v1, v[1:2]
	s_waitcnt vmcnt(1) lgkmcnt(1)
	v_lshlrev_b32_e32 v2, 16, v3
	s_waitcnt vmcnt(0) lgkmcnt(0)
	v_lshlrev_b32_e32 v1, 16, v1
	v_mul_f32_e32 v1, v1, v2
	v_and_b32_e32 v2, 0x7f800000, v1
	v_cmp_ne_u32_e32 vcc_lo, 0x7f800000, v2
                                        ; implicit-def: $vgpr2
	s_and_saveexec_b32 s0, vcc_lo
	s_xor_b32 s0, exec_lo, s0
; %bb.23:
	v_bfe_u32 v2, v1, 16, 1
	v_add3_u32 v2, v1, v2, 0x7fff
                                        ; implicit-def: $vgpr1
; %bb.24:
	s_andn2_saveexec_b32 s0, s0
; %bb.25:
	v_mov_b32_e32 v2, 0
	v_or_b32_e32 v3, 0x10000, v1
	v_cmp_eq_u32_sdwa vcc_lo, v1, v2 src0_sel:WORD_0 src1_sel:DWORD
	v_cndmask_b32_e32 v2, v3, v1, vcc_lo
; %bb.26:
	s_or_b32 exec_lo, exec_lo, s0
	v_and_b32_e32 v1, 0xffff0000, v2
	v_add_f32_e32 v7, v7, v1
.LBB683_27:
	s_or_b32 exec_lo, exec_lo, s1
	v_lshlrev_b32_e32 v1, 2, v0
	s_mov_b32 s0, exec_lo
	ds_write_b32 v1, v7
	s_waitcnt lgkmcnt(0)
	s_barrier
	buffer_gl0_inv
	v_cmpx_gt_u32_e32 0x80, v0
	s_cbranch_execz .LBB683_29
; %bb.28:
	ds_read2st64_b32 v[2:3], v1 offset1:2
	s_waitcnt lgkmcnt(0)
	v_add_f32_e32 v2, v3, v2
	ds_write_b32 v1, v2
.LBB683_29:
	s_or_b32 exec_lo, exec_lo, s0
	s_mov_b32 s0, exec_lo
	s_waitcnt lgkmcnt(0)
	s_barrier
	buffer_gl0_inv
	v_cmpx_gt_u32_e32 64, v0
	s_cbranch_execz .LBB683_31
; %bb.30:
	ds_read2st64_b32 v[2:3], v1 offset1:1
	s_waitcnt lgkmcnt(0)
	v_add_f32_e32 v2, v3, v2
	ds_write_b32 v1, v2
.LBB683_31:
	s_or_b32 exec_lo, exec_lo, s0
	s_mov_b32 s0, exec_lo
	s_waitcnt lgkmcnt(0)
	s_barrier
	buffer_gl0_inv
	v_cmpx_gt_u32_e32 32, v0
	s_cbranch_execz .LBB683_33
; %bb.32:
	ds_read2_b32 v[2:3], v1 offset1:32
	s_waitcnt lgkmcnt(0)
	v_add_f32_e32 v2, v3, v2
	ds_write_b32 v1, v2
.LBB683_33:
	s_or_b32 exec_lo, exec_lo, s0
	s_mov_b32 s0, exec_lo
	s_waitcnt lgkmcnt(0)
	s_barrier
	buffer_gl0_inv
	v_cmpx_gt_u32_e32 16, v0
	s_cbranch_execz .LBB683_35
; %bb.34:
	ds_read2_b32 v[2:3], v1 offset1:16
	s_waitcnt lgkmcnt(0)
	v_add_f32_e32 v2, v3, v2
	ds_write_b32 v1, v2
.LBB683_35:
	;; [unrolled: 13-line block ×5, first 2 shown]
	s_or_b32 exec_lo, exec_lo, s0
	v_cmp_eq_u32_e32 vcc_lo, 0, v0
	s_waitcnt lgkmcnt(0)
	s_barrier
	buffer_gl0_inv
	s_and_saveexec_b32 s0, vcc_lo
	s_cbranch_execz .LBB683_43
; %bb.42:
	v_mov_b32_e32 v2, 0
	ds_read_b64 v[0:1], v2
	s_waitcnt lgkmcnt(0)
	v_add_f32_e32 v0, v1, v0
	ds_write_b32 v2, v0
.LBB683_43:
	s_or_b32 exec_lo, exec_lo, s0
	s_waitcnt lgkmcnt(0)
	s_barrier
	buffer_gl0_inv
                                        ; implicit-def: $vgpr1
                                        ; implicit-def: $sgpr10_sgpr11
	s_and_saveexec_b32 s0, vcc_lo
	s_cbranch_execz .LBB683_47
; %bb.44:
	v_mov_b32_e32 v0, 0
	v_cmp_eq_f32_e64 s1, s7, 0
	s_mul_hi_i32 s11, s15, s6
	s_mul_i32 s10, s15, s6
	ds_read_b32 v0, v0
	s_and_b32 vcc_lo, exec_lo, s1
	s_waitcnt lgkmcnt(0)
	v_mul_f32_e32 v1, s12, v0
	s_cbranch_vccnz .LBB683_46
; %bb.45:
	s_lshl_b64 s[2:3], s[10:11], 2
	s_add_u32 s2, s13, s2
	s_addc_u32 s3, s14, s3
	v_mov_b32_e32 v2, s2
	v_mov_b32_e32 v3, s3
	flat_load_dword v0, v[2:3]
	s_waitcnt vmcnt(0) lgkmcnt(0)
	v_fmac_f32_e32 v1, s7, v0
.LBB683_46:
	s_or_b32 s16, s16, exec_lo
.LBB683_47:
	s_or_b32 exec_lo, exec_lo, s0
.LBB683_48:
	s_and_saveexec_b32 s0, s16
	s_cbranch_execz .LBB683_50
; %bb.49:
	s_lshl_b64 s[0:1], s[10:11], 2
	s_add_u32 s0, s13, s0
	s_addc_u32 s1, s14, s1
	v_mov_b32_e32 v3, s1
	v_mov_b32_e32 v2, s0
	flat_store_dword v[2:3], v1
.LBB683_50:
	s_endpgm
	.section	.rodata,"a",@progbits
	.p2align	6, 0x0
	.amdhsa_kernel _ZL20rocblas_gemvt_kernelILb0ELi256EPK16rocblas_bfloat16fKPfEviiT2_lPKT1_lilS8_lilS5_lPT3_lili
		.amdhsa_group_segment_fixed_size 1024
		.amdhsa_private_segment_fixed_size 0
		.amdhsa_kernarg_size 140
		.amdhsa_user_sgpr_count 6
		.amdhsa_user_sgpr_private_segment_buffer 1
		.amdhsa_user_sgpr_dispatch_ptr 0
		.amdhsa_user_sgpr_queue_ptr 0
		.amdhsa_user_sgpr_kernarg_segment_ptr 1
		.amdhsa_user_sgpr_dispatch_id 0
		.amdhsa_user_sgpr_flat_scratch_init 0
		.amdhsa_user_sgpr_private_segment_size 0
		.amdhsa_wavefront_size32 1
		.amdhsa_uses_dynamic_stack 0
		.amdhsa_system_sgpr_private_segment_wavefront_offset 0
		.amdhsa_system_sgpr_workgroup_id_x 1
		.amdhsa_system_sgpr_workgroup_id_y 0
		.amdhsa_system_sgpr_workgroup_id_z 1
		.amdhsa_system_sgpr_workgroup_info 0
		.amdhsa_system_vgpr_workitem_id 0
		.amdhsa_next_free_vgpr 11
		.amdhsa_next_free_sgpr 24
		.amdhsa_reserve_vcc 1
		.amdhsa_reserve_flat_scratch 0
		.amdhsa_float_round_mode_32 0
		.amdhsa_float_round_mode_16_64 0
		.amdhsa_float_denorm_mode_32 3
		.amdhsa_float_denorm_mode_16_64 3
		.amdhsa_dx10_clamp 1
		.amdhsa_ieee_mode 1
		.amdhsa_fp16_overflow 0
		.amdhsa_workgroup_processor_mode 1
		.amdhsa_memory_ordered 1
		.amdhsa_forward_progress 1
		.amdhsa_shared_vgpr_count 0
		.amdhsa_exception_fp_ieee_invalid_op 0
		.amdhsa_exception_fp_denorm_src 0
		.amdhsa_exception_fp_ieee_div_zero 0
		.amdhsa_exception_fp_ieee_overflow 0
		.amdhsa_exception_fp_ieee_underflow 0
		.amdhsa_exception_fp_ieee_inexact 0
		.amdhsa_exception_int_div_zero 0
	.end_amdhsa_kernel
	.section	.text._ZL20rocblas_gemvt_kernelILb0ELi256EPK16rocblas_bfloat16fKPfEviiT2_lPKT1_lilS8_lilS5_lPT3_lili,"axG",@progbits,_ZL20rocblas_gemvt_kernelILb0ELi256EPK16rocblas_bfloat16fKPfEviiT2_lPKT1_lilS8_lilS5_lPT3_lili,comdat
.Lfunc_end683:
	.size	_ZL20rocblas_gemvt_kernelILb0ELi256EPK16rocblas_bfloat16fKPfEviiT2_lPKT1_lilS8_lilS5_lPT3_lili, .Lfunc_end683-_ZL20rocblas_gemvt_kernelILb0ELi256EPK16rocblas_bfloat16fKPfEviiT2_lPKT1_lilS8_lilS5_lPT3_lili
                                        ; -- End function
	.set _ZL20rocblas_gemvt_kernelILb0ELi256EPK16rocblas_bfloat16fKPfEviiT2_lPKT1_lilS8_lilS5_lPT3_lili.num_vgpr, 11
	.set _ZL20rocblas_gemvt_kernelILb0ELi256EPK16rocblas_bfloat16fKPfEviiT2_lPKT1_lilS8_lilS5_lPT3_lili.num_agpr, 0
	.set _ZL20rocblas_gemvt_kernelILb0ELi256EPK16rocblas_bfloat16fKPfEviiT2_lPKT1_lilS8_lilS5_lPT3_lili.numbered_sgpr, 24
	.set _ZL20rocblas_gemvt_kernelILb0ELi256EPK16rocblas_bfloat16fKPfEviiT2_lPKT1_lilS8_lilS5_lPT3_lili.num_named_barrier, 0
	.set _ZL20rocblas_gemvt_kernelILb0ELi256EPK16rocblas_bfloat16fKPfEviiT2_lPKT1_lilS8_lilS5_lPT3_lili.private_seg_size, 0
	.set _ZL20rocblas_gemvt_kernelILb0ELi256EPK16rocblas_bfloat16fKPfEviiT2_lPKT1_lilS8_lilS5_lPT3_lili.uses_vcc, 1
	.set _ZL20rocblas_gemvt_kernelILb0ELi256EPK16rocblas_bfloat16fKPfEviiT2_lPKT1_lilS8_lilS5_lPT3_lili.uses_flat_scratch, 0
	.set _ZL20rocblas_gemvt_kernelILb0ELi256EPK16rocblas_bfloat16fKPfEviiT2_lPKT1_lilS8_lilS5_lPT3_lili.has_dyn_sized_stack, 0
	.set _ZL20rocblas_gemvt_kernelILb0ELi256EPK16rocblas_bfloat16fKPfEviiT2_lPKT1_lilS8_lilS5_lPT3_lili.has_recursion, 0
	.set _ZL20rocblas_gemvt_kernelILb0ELi256EPK16rocblas_bfloat16fKPfEviiT2_lPKT1_lilS8_lilS5_lPT3_lili.has_indirect_call, 0
	.section	.AMDGPU.csdata,"",@progbits
; Kernel info:
; codeLenInByte = 1644
; TotalNumSgprs: 26
; NumVgprs: 11
; ScratchSize: 0
; MemoryBound: 0
; FloatMode: 240
; IeeeMode: 1
; LDSByteSize: 1024 bytes/workgroup (compile time only)
; SGPRBlocks: 0
; VGPRBlocks: 1
; NumSGPRsForWavesPerEU: 26
; NumVGPRsForWavesPerEU: 11
; Occupancy: 16
; WaveLimiterHint : 1
; COMPUTE_PGM_RSRC2:SCRATCH_EN: 0
; COMPUTE_PGM_RSRC2:USER_SGPR: 6
; COMPUTE_PGM_RSRC2:TRAP_HANDLER: 0
; COMPUTE_PGM_RSRC2:TGID_X_EN: 1
; COMPUTE_PGM_RSRC2:TGID_Y_EN: 0
; COMPUTE_PGM_RSRC2:TGID_Z_EN: 1
; COMPUTE_PGM_RSRC2:TIDIG_COMP_CNT: 0
	.section	.text._ZL32rocblas_gemvt_warp_reduce_kernelILb0ELi1024EiPK16rocblas_bfloat16PKfKPfEviiT3_lPKT2_lT1_lSA_lSB_lS7_lPT4_lSB_li,"axG",@progbits,_ZL32rocblas_gemvt_warp_reduce_kernelILb0ELi1024EiPK16rocblas_bfloat16PKfKPfEviiT3_lPKT2_lT1_lSA_lSB_lS7_lPT4_lSB_li,comdat
	.globl	_ZL32rocblas_gemvt_warp_reduce_kernelILb0ELi1024EiPK16rocblas_bfloat16PKfKPfEviiT3_lPKT2_lT1_lSA_lSB_lS7_lPT4_lSB_li ; -- Begin function _ZL32rocblas_gemvt_warp_reduce_kernelILb0ELi1024EiPK16rocblas_bfloat16PKfKPfEviiT3_lPKT2_lT1_lSA_lSB_lS7_lPT4_lSB_li
	.p2align	8
	.type	_ZL32rocblas_gemvt_warp_reduce_kernelILb0ELi1024EiPK16rocblas_bfloat16PKfKPfEviiT3_lPKT2_lT1_lSA_lSB_lS7_lPT4_lSB_li,@function
_ZL32rocblas_gemvt_warp_reduce_kernelILb0ELi1024EiPK16rocblas_bfloat16PKfKPfEviiT3_lPKT2_lT1_lSA_lSB_lS7_lPT4_lSB_li: ; @_ZL32rocblas_gemvt_warp_reduce_kernelILb0ELi1024EiPK16rocblas_bfloat16PKfKPfEviiT3_lPKT2_lT1_lSA_lSB_lS7_lPT4_lSB_li
; %bb.0:
	s_clause 0x1
	s_load_dwordx8 s[16:23], s[4:5], 0x8
	s_load_dwordx8 s[8:15], s[4:5], 0x58
	s_mov_b32 s0, s7
	s_waitcnt lgkmcnt(0)
	s_mul_i32 s1, s19, s7
	s_mul_hi_u32 s3, s18, s7
	s_mul_i32 s2, s18, s7
	s_add_i32 s3, s3, s1
	s_mul_i32 s1, s11, s7
	s_lshl_b64 s[2:3], s[2:3], 2
	s_mul_hi_u32 s7, s10, s7
	s_add_u32 s2, s16, s2
	s_addc_u32 s3, s17, s3
	s_add_i32 s11, s7, s1
	s_mul_i32 s10, s10, s0
	s_lshl_b64 s[10:11], s[10:11], 2
	s_add_u32 s8, s8, s10
	s_addc_u32 s9, s9, s11
	s_load_dword s16, s[2:3], 0x0
	s_load_dword s7, s[8:9], 0x0
	s_waitcnt lgkmcnt(0)
	v_cmp_eq_f32_e64 s10, s16, 0
	v_cmp_eq_f32_e64 s1, s7, 1.0
	s_and_b32 s1, s10, s1
	s_and_b32 vcc_lo, exec_lo, s1
	s_mov_b32 s1, 0
	s_cbranch_vccnz .LBB684_41
; %bb.1:
	v_cmp_neq_f32_e64 s11, s16, 0
	s_mov_b64 s[2:3], 0
	s_and_b32 vcc_lo, exec_lo, s10
	s_mov_b64 s[8:9], 0
	s_cbranch_vccnz .LBB684_3
; %bb.2:
	s_lshl_b64 s[8:9], s[0:1], 3
	s_add_u32 s8, s20, s8
	s_addc_u32 s9, s21, s9
	s_lshl_b64 s[18:19], s[22:23], 1
	s_load_dwordx2 s[8:9], s[8:9], 0x0
	s_waitcnt lgkmcnt(0)
	s_add_u32 s8, s8, s18
	s_addc_u32 s9, s9, s19
.LBB684_3:
	s_andn2_b32 vcc_lo, exec_lo, s11
	s_cbranch_vccnz .LBB684_5
; %bb.4:
	s_load_dwordx4 s[20:23], s[4:5], 0x38
	s_lshl_b64 s[2:3], s[0:1], 3
	s_waitcnt lgkmcnt(0)
	s_add_u32 s2, s20, s2
	s_addc_u32 s3, s21, s3
	s_lshl_b64 s[18:19], s[22:23], 1
	s_load_dwordx2 s[2:3], s[2:3], 0x0
	s_waitcnt lgkmcnt(0)
	s_add_u32 s2, s2, s18
	s_addc_u32 s3, s3, s19
.LBB684_5:
	s_lshl_b64 s[0:1], s[0:1], 3
	s_add_u32 s0, s12, s0
	s_addc_u32 s1, s13, s1
	s_lshl_b64 s[14:15], s[14:15], 2
	s_load_dwordx2 s[12:13], s[0:1], 0x0
	s_load_dword s17, s[4:5], 0x78
	v_cmp_eq_u32_e64 s0, 0, v0
	s_waitcnt lgkmcnt(0)
	s_add_u32 s1, s12, s14
	s_addc_u32 s12, s13, s15
	s_andn2_b32 vcc_lo, exec_lo, s10
	s_cbranch_vccnz .LBB684_10
; %bb.6:
	s_mov_b32 s14, 0
	s_mov_b32 s13, 0
                                        ; implicit-def: $vgpr1
                                        ; implicit-def: $sgpr10_sgpr11
	s_and_saveexec_b32 s15, s0
	s_cbranch_execz .LBB684_11
; %bb.7:
	v_cmp_eq_f32_e64 s0, s7, 0
	v_mov_b32_e32 v1, 0
	s_mul_i32 s10, s17, s6
	s_ashr_i32 s11, s10, 31
	s_and_b32 vcc_lo, exec_lo, s0
	s_cbranch_vccnz .LBB684_9
; %bb.8:
	s_lshl_b64 s[18:19], s[10:11], 2
	s_add_u32 s18, s1, s18
	s_addc_u32 s19, s12, s19
	v_mov_b32_e32 v1, s18
	v_mov_b32_e32 v2, s19
	flat_load_dword v1, v[1:2]
	s_waitcnt vmcnt(0) lgkmcnt(0)
	v_mul_f32_e32 v1, s7, v1
.LBB684_9:
	s_mov_b32 s13, exec_lo
	s_or_b32 exec_lo, exec_lo, s15
	s_and_b32 vcc_lo, exec_lo, s14
	s_cbranch_vccnz .LBB684_12
	s_branch .LBB684_39
.LBB684_10:
	s_mov_b32 s13, 0
                                        ; implicit-def: $vgpr1
                                        ; implicit-def: $sgpr10_sgpr11
	s_cbranch_execnz .LBB684_12
	s_branch .LBB684_39
.LBB684_11:
	s_or_b32 exec_lo, exec_lo, s15
	s_and_b32 vcc_lo, exec_lo, s14
	s_cbranch_vccz .LBB684_39
.LBB684_12:
	s_clause 0x2
	s_load_dword s10, s[4:5], 0x0
	s_load_dword s0, s[4:5], 0x28
	;; [unrolled: 1-line block ×3, first 2 shown]
	v_mov_b32_e32 v7, 0
	s_waitcnt lgkmcnt(0)
	v_cmp_gt_i32_e32 vcc_lo, s10, v0
	s_mul_i32 s14, s0, s6
	s_ashr_i32 s0, s10, 31
	s_ashr_i32 s15, s14, 31
	s_lshr_b32 s0, s0, 22
	v_cndmask_b32_e32 v1, 0, v0, vcc_lo
	s_lshl_b64 s[14:15], s[14:15], 1
	s_add_i32 s0, s10, s0
	v_lshlrev_b32_e32 v1, 1, v1
	v_add_co_u32 v1, s4, s8, v1
	v_add_co_ci_u32_e64 v2, null, s9, 0, s4
	s_and_b32 s4, s0, 0xfffffc00
	v_add_co_u32 v1, vcc_lo, v1, s14
	v_add_co_ci_u32_e64 v2, null, s15, v2, vcc_lo
	s_mov_b32 s9, 0
	s_mov_b32 s8, exec_lo
	v_cmpx_gt_i32_e64 s4, v0
	s_cbranch_execz .LBB684_20
; %bb.13:
	v_mul_lo_u32 v3, v0, s5
	v_mov_b32_e32 v6, v2
	v_mov_b32_e32 v8, 0
	;; [unrolled: 1-line block ×5, first 2 shown]
	s_lshl_b32 s11, s5, 10
	s_branch .LBB684_15
.LBB684_14:                             ;   in Loop: Header=BB684_15 Depth=1
	s_or_b32 exec_lo, exec_lo, s0
	v_add_nc_u32_e32 v9, 0x400, v9
	v_and_b32_e32 v4, 0xffff0000, v10
	v_add_co_u32 v5, s0, 0x800, v5
	v_add_nc_u32_e32 v3, s11, v3
	v_cmp_le_i32_e32 vcc_lo, s4, v9
	v_add_f32_e32 v7, v7, v4
	v_add_co_ci_u32_e64 v6, null, 0, v6, s0
	s_or_b32 s9, vcc_lo, s9
	s_andn2_b32 exec_lo, exec_lo, s9
	s_cbranch_execz .LBB684_19
.LBB684_15:                             ; =>This Inner Loop Header: Depth=1
	v_ashrrev_i32_e32 v4, 31, v3
	v_lshlrev_b64 v[10:11], 1, v[3:4]
	v_add_co_u32 v10, vcc_lo, s2, v10
	v_add_co_ci_u32_e64 v11, null, s3, v11, vcc_lo
	flat_load_ushort v4, v[5:6]
	flat_load_ushort v10, v[10:11]
	s_waitcnt vmcnt(1) lgkmcnt(1)
	v_lshlrev_b32_e32 v4, 16, v4
	s_waitcnt vmcnt(0) lgkmcnt(0)
	v_lshlrev_b32_e32 v10, 16, v10
	v_mul_f32_e32 v4, v4, v10
	v_and_b32_e32 v10, 0x7f800000, v4
	v_cmp_ne_u32_e32 vcc_lo, 0x7f800000, v10
                                        ; implicit-def: $vgpr10
	s_and_saveexec_b32 s0, vcc_lo
	s_xor_b32 s0, exec_lo, s0
; %bb.16:                               ;   in Loop: Header=BB684_15 Depth=1
	v_bfe_u32 v10, v4, 16, 1
	v_add3_u32 v10, v4, v10, 0x7fff
                                        ; implicit-def: $vgpr4
; %bb.17:                               ;   in Loop: Header=BB684_15 Depth=1
	s_andn2_saveexec_b32 s0, s0
	s_cbranch_execz .LBB684_14
; %bb.18:                               ;   in Loop: Header=BB684_15 Depth=1
	v_or_b32_e32 v10, 0x10000, v4
	v_cmp_eq_u32_sdwa vcc_lo, v4, v8 src0_sel:WORD_0 src1_sel:DWORD
	v_cndmask_b32_e32 v10, v10, v4, vcc_lo
	s_branch .LBB684_14
.LBB684_19:
	s_or_b32 exec_lo, exec_lo, s9
.LBB684_20:
	s_or_b32 exec_lo, exec_lo, s8
	v_or_b32_e32 v3, s4, v0
	s_mov_b32 s0, exec_lo
	v_cmpx_gt_i32_e64 s10, v3
	s_cbranch_execz .LBB684_26
; %bb.21:
	v_mul_lo_u32 v3, s5, v3
	s_ashr_i32 s5, s4, 31
	s_lshl_b64 s[4:5], s[4:5], 1
	v_ashrrev_i32_e32 v4, 31, v3
	v_lshlrev_b64 v[3:4], 1, v[3:4]
	v_add_co_u32 v3, vcc_lo, s2, v3
	v_add_co_ci_u32_e64 v4, null, s3, v4, vcc_lo
	v_add_co_u32 v1, vcc_lo, v1, s4
	v_add_co_ci_u32_e64 v2, null, s5, v2, vcc_lo
	flat_load_ushort v3, v[3:4]
	flat_load_ushort v1, v[1:2]
	s_waitcnt vmcnt(1) lgkmcnt(1)
	v_lshlrev_b32_e32 v2, 16, v3
	s_waitcnt vmcnt(0) lgkmcnt(0)
	v_lshlrev_b32_e32 v1, 16, v1
	v_mul_f32_e32 v1, v1, v2
	v_and_b32_e32 v2, 0x7f800000, v1
	v_cmp_ne_u32_e32 vcc_lo, 0x7f800000, v2
                                        ; implicit-def: $vgpr2
	s_and_saveexec_b32 s2, vcc_lo
	s_xor_b32 s2, exec_lo, s2
; %bb.22:
	v_bfe_u32 v2, v1, 16, 1
	v_add3_u32 v2, v1, v2, 0x7fff
                                        ; implicit-def: $vgpr1
; %bb.23:
	s_andn2_saveexec_b32 s2, s2
; %bb.24:
	v_mov_b32_e32 v2, 0
	v_or_b32_e32 v3, 0x10000, v1
	v_cmp_eq_u32_sdwa vcc_lo, v1, v2 src0_sel:WORD_0 src1_sel:DWORD
	v_cndmask_b32_e32 v2, v3, v1, vcc_lo
; %bb.25:
	s_or_b32 exec_lo, exec_lo, s2
	v_and_b32_e32 v1, 0xffff0000, v2
	v_add_f32_e32 v7, v7, v1
.LBB684_26:
	s_or_b32 exec_lo, exec_lo, s0
	v_and_b32_e32 v8, 31, v0
	v_cmp_gt_u32_e32 vcc_lo, 32, v0
	v_lshlrev_b32_e32 v1, 2, v8
	s_and_saveexec_b32 s0, vcc_lo
; %bb.27:
	v_mov_b32_e32 v2, 0
	ds_write_b32 v1, v2
; %bb.28:
	s_or_b32 exec_lo, exec_lo, s0
	v_mbcnt_lo_u32_b32 v6, -1, 0
	s_mov_b32 s2, exec_lo
	s_waitcnt lgkmcnt(0)
	s_barrier
	buffer_gl0_inv
	v_lshl_or_b32 v2, v6, 2, 64
	v_cmp_gt_u32_e64 s0, 24, v6
	ds_bpermute_b32 v4, v2, v7
	v_cndmask_b32_e64 v3, 0, 8, s0
	v_cmp_gt_u32_e64 s0, 28, v6
	v_add_lshl_u32 v3, v3, v6, 2
	s_waitcnt lgkmcnt(0)
	v_add_f32_e32 v5, v7, v4
	v_cndmask_b32_e64 v4, 0, 4, s0
	v_cmp_gt_u32_e64 s0, 30, v6
	ds_bpermute_b32 v7, v3, v5
	v_add_lshl_u32 v4, v4, v6, 2
	s_waitcnt lgkmcnt(0)
	v_add_f32_e32 v7, v5, v7
	v_cndmask_b32_e64 v5, 0, 2, s0
	v_cmp_ne_u32_e64 s0, 31, v6
	ds_bpermute_b32 v9, v4, v7
	v_add_lshl_u32 v5, v5, v6, 2
	v_add_co_ci_u32_e64 v6, null, 0, v6, s0
	v_lshlrev_b32_e32 v6, 2, v6
	s_waitcnt lgkmcnt(0)
	v_add_f32_e32 v7, v7, v9
	ds_bpermute_b32 v9, v5, v7
	s_waitcnt lgkmcnt(0)
	v_add_f32_e32 v7, v7, v9
	ds_bpermute_b32 v9, v6, v7
	v_cmpx_eq_u32_e32 0, v8
	s_cbranch_execz .LBB684_30
; %bb.29:
	v_lshrrev_b32_e32 v8, 3, v0
	s_waitcnt lgkmcnt(0)
	v_add_f32_e32 v7, v7, v9
	v_and_b32_e32 v8, 0x7c, v8
	ds_write_b32 v8, v7
.LBB684_30:
	s_or_b32 exec_lo, exec_lo, s2
	v_mov_b32_e32 v7, 0
	s_waitcnt lgkmcnt(0)
	s_barrier
	buffer_gl0_inv
	s_and_saveexec_b32 s0, vcc_lo
; %bb.31:
	ds_read_b32 v7, v1
; %bb.32:
	s_or_b32 exec_lo, exec_lo, s0
	s_and_saveexec_b32 s0, vcc_lo
	s_cbranch_execz .LBB684_34
; %bb.33:
	s_waitcnt lgkmcnt(0)
	ds_bpermute_b32 v1, v2, v7
	s_waitcnt lgkmcnt(0)
	v_add_f32_e32 v1, v7, v1
	ds_bpermute_b32 v2, v3, v1
	s_waitcnt lgkmcnt(0)
	v_add_f32_e32 v1, v1, v2
	;; [unrolled: 3-line block ×5, first 2 shown]
.LBB684_34:
	s_or_b32 exec_lo, exec_lo, s0
	s_mov_b32 s0, exec_lo
                                        ; implicit-def: $vgpr1
                                        ; implicit-def: $sgpr10_sgpr11
	v_cmpx_eq_u32_e32 0, v0
	s_cbranch_execz .LBB684_38
; %bb.35:
	v_cmp_eq_f32_e64 s2, s7, 0
	s_waitcnt lgkmcnt(0)
	v_mul_f32_e32 v1, s16, v7
	s_mul_i32 s10, s17, s6
	s_ashr_i32 s11, s10, 31
	s_and_b32 vcc_lo, exec_lo, s2
	s_cbranch_vccnz .LBB684_37
; %bb.36:
	s_lshl_b64 s[2:3], s[10:11], 2
	s_add_u32 s2, s1, s2
	s_addc_u32 s3, s12, s3
	v_mov_b32_e32 v2, s2
	v_mov_b32_e32 v3, s3
	flat_load_dword v0, v[2:3]
	s_waitcnt vmcnt(0) lgkmcnt(0)
	v_fmac_f32_e32 v1, s7, v0
.LBB684_37:
	s_or_b32 s13, s13, exec_lo
.LBB684_38:
	s_or_b32 exec_lo, exec_lo, s0
.LBB684_39:
	s_and_saveexec_b32 s0, s13
	s_cbranch_execz .LBB684_41
; %bb.40:
	s_lshl_b64 s[2:3], s[10:11], 2
	s_add_u32 s0, s1, s2
	s_addc_u32 s1, s12, s3
	v_mov_b32_e32 v3, s1
	v_mov_b32_e32 v2, s0
	flat_store_dword v[2:3], v1
.LBB684_41:
	s_endpgm
	.section	.rodata,"a",@progbits
	.p2align	6, 0x0
	.amdhsa_kernel _ZL32rocblas_gemvt_warp_reduce_kernelILb0ELi1024EiPK16rocblas_bfloat16PKfKPfEviiT3_lPKT2_lT1_lSA_lSB_lS7_lPT4_lSB_li
		.amdhsa_group_segment_fixed_size 128
		.amdhsa_private_segment_fixed_size 0
		.amdhsa_kernarg_size 140
		.amdhsa_user_sgpr_count 6
		.amdhsa_user_sgpr_private_segment_buffer 1
		.amdhsa_user_sgpr_dispatch_ptr 0
		.amdhsa_user_sgpr_queue_ptr 0
		.amdhsa_user_sgpr_kernarg_segment_ptr 1
		.amdhsa_user_sgpr_dispatch_id 0
		.amdhsa_user_sgpr_flat_scratch_init 0
		.amdhsa_user_sgpr_private_segment_size 0
		.amdhsa_wavefront_size32 1
		.amdhsa_uses_dynamic_stack 0
		.amdhsa_system_sgpr_private_segment_wavefront_offset 0
		.amdhsa_system_sgpr_workgroup_id_x 1
		.amdhsa_system_sgpr_workgroup_id_y 0
		.amdhsa_system_sgpr_workgroup_id_z 1
		.amdhsa_system_sgpr_workgroup_info 0
		.amdhsa_system_vgpr_workitem_id 0
		.amdhsa_next_free_vgpr 12
		.amdhsa_next_free_sgpr 24
		.amdhsa_reserve_vcc 1
		.amdhsa_reserve_flat_scratch 0
		.amdhsa_float_round_mode_32 0
		.amdhsa_float_round_mode_16_64 0
		.amdhsa_float_denorm_mode_32 3
		.amdhsa_float_denorm_mode_16_64 3
		.amdhsa_dx10_clamp 1
		.amdhsa_ieee_mode 1
		.amdhsa_fp16_overflow 0
		.amdhsa_workgroup_processor_mode 1
		.amdhsa_memory_ordered 1
		.amdhsa_forward_progress 1
		.amdhsa_shared_vgpr_count 0
		.amdhsa_exception_fp_ieee_invalid_op 0
		.amdhsa_exception_fp_denorm_src 0
		.amdhsa_exception_fp_ieee_div_zero 0
		.amdhsa_exception_fp_ieee_overflow 0
		.amdhsa_exception_fp_ieee_underflow 0
		.amdhsa_exception_fp_ieee_inexact 0
		.amdhsa_exception_int_div_zero 0
	.end_amdhsa_kernel
	.section	.text._ZL32rocblas_gemvt_warp_reduce_kernelILb0ELi1024EiPK16rocblas_bfloat16PKfKPfEviiT3_lPKT2_lT1_lSA_lSB_lS7_lPT4_lSB_li,"axG",@progbits,_ZL32rocblas_gemvt_warp_reduce_kernelILb0ELi1024EiPK16rocblas_bfloat16PKfKPfEviiT3_lPKT2_lT1_lSA_lSB_lS7_lPT4_lSB_li,comdat
.Lfunc_end684:
	.size	_ZL32rocblas_gemvt_warp_reduce_kernelILb0ELi1024EiPK16rocblas_bfloat16PKfKPfEviiT3_lPKT2_lT1_lSA_lSB_lS7_lPT4_lSB_li, .Lfunc_end684-_ZL32rocblas_gemvt_warp_reduce_kernelILb0ELi1024EiPK16rocblas_bfloat16PKfKPfEviiT3_lPKT2_lT1_lSA_lSB_lS7_lPT4_lSB_li
                                        ; -- End function
	.set _ZL32rocblas_gemvt_warp_reduce_kernelILb0ELi1024EiPK16rocblas_bfloat16PKfKPfEviiT3_lPKT2_lT1_lSA_lSB_lS7_lPT4_lSB_li.num_vgpr, 12
	.set _ZL32rocblas_gemvt_warp_reduce_kernelILb0ELi1024EiPK16rocblas_bfloat16PKfKPfEviiT3_lPKT2_lT1_lSA_lSB_lS7_lPT4_lSB_li.num_agpr, 0
	.set _ZL32rocblas_gemvt_warp_reduce_kernelILb0ELi1024EiPK16rocblas_bfloat16PKfKPfEviiT3_lPKT2_lT1_lSA_lSB_lS7_lPT4_lSB_li.numbered_sgpr, 24
	.set _ZL32rocblas_gemvt_warp_reduce_kernelILb0ELi1024EiPK16rocblas_bfloat16PKfKPfEviiT3_lPKT2_lT1_lSA_lSB_lS7_lPT4_lSB_li.num_named_barrier, 0
	.set _ZL32rocblas_gemvt_warp_reduce_kernelILb0ELi1024EiPK16rocblas_bfloat16PKfKPfEviiT3_lPKT2_lT1_lSA_lSB_lS7_lPT4_lSB_li.private_seg_size, 0
	.set _ZL32rocblas_gemvt_warp_reduce_kernelILb0ELi1024EiPK16rocblas_bfloat16PKfKPfEviiT3_lPKT2_lT1_lSA_lSB_lS7_lPT4_lSB_li.uses_vcc, 1
	.set _ZL32rocblas_gemvt_warp_reduce_kernelILb0ELi1024EiPK16rocblas_bfloat16PKfKPfEviiT3_lPKT2_lT1_lSA_lSB_lS7_lPT4_lSB_li.uses_flat_scratch, 0
	.set _ZL32rocblas_gemvt_warp_reduce_kernelILb0ELi1024EiPK16rocblas_bfloat16PKfKPfEviiT3_lPKT2_lT1_lSA_lSB_lS7_lPT4_lSB_li.has_dyn_sized_stack, 0
	.set _ZL32rocblas_gemvt_warp_reduce_kernelILb0ELi1024EiPK16rocblas_bfloat16PKfKPfEviiT3_lPKT2_lT1_lSA_lSB_lS7_lPT4_lSB_li.has_recursion, 0
	.set _ZL32rocblas_gemvt_warp_reduce_kernelILb0ELi1024EiPK16rocblas_bfloat16PKfKPfEviiT3_lPKT2_lT1_lSA_lSB_lS7_lPT4_lSB_li.has_indirect_call, 0
	.section	.AMDGPU.csdata,"",@progbits
; Kernel info:
; codeLenInByte = 1556
; TotalNumSgprs: 26
; NumVgprs: 12
; ScratchSize: 0
; MemoryBound: 0
; FloatMode: 240
; IeeeMode: 1
; LDSByteSize: 128 bytes/workgroup (compile time only)
; SGPRBlocks: 0
; VGPRBlocks: 1
; NumSGPRsForWavesPerEU: 26
; NumVGPRsForWavesPerEU: 12
; Occupancy: 16
; WaveLimiterHint : 1
; COMPUTE_PGM_RSRC2:SCRATCH_EN: 0
; COMPUTE_PGM_RSRC2:USER_SGPR: 6
; COMPUTE_PGM_RSRC2:TRAP_HANDLER: 0
; COMPUTE_PGM_RSRC2:TGID_X_EN: 1
; COMPUTE_PGM_RSRC2:TGID_Y_EN: 0
; COMPUTE_PGM_RSRC2:TGID_Z_EN: 1
; COMPUTE_PGM_RSRC2:TIDIG_COMP_CNT: 0
	.section	.text._ZL32rocblas_gemvt_warp_reduce_kernelILb0ELi1024ElPK16rocblas_bfloat16PKfKPfEviiT3_lPKT2_lT1_lSA_lSB_lS7_lPT4_lSB_li,"axG",@progbits,_ZL32rocblas_gemvt_warp_reduce_kernelILb0ELi1024ElPK16rocblas_bfloat16PKfKPfEviiT3_lPKT2_lT1_lSA_lSB_lS7_lPT4_lSB_li,comdat
	.globl	_ZL32rocblas_gemvt_warp_reduce_kernelILb0ELi1024ElPK16rocblas_bfloat16PKfKPfEviiT3_lPKT2_lT1_lSA_lSB_lS7_lPT4_lSB_li ; -- Begin function _ZL32rocblas_gemvt_warp_reduce_kernelILb0ELi1024ElPK16rocblas_bfloat16PKfKPfEviiT3_lPKT2_lT1_lSA_lSB_lS7_lPT4_lSB_li
	.p2align	8
	.type	_ZL32rocblas_gemvt_warp_reduce_kernelILb0ELi1024ElPK16rocblas_bfloat16PKfKPfEviiT3_lPKT2_lT1_lSA_lSB_lS7_lPT4_lSB_li,@function
_ZL32rocblas_gemvt_warp_reduce_kernelILb0ELi1024ElPK16rocblas_bfloat16PKfKPfEviiT3_lPKT2_lT1_lSA_lSB_lS7_lPT4_lSB_li: ; @_ZL32rocblas_gemvt_warp_reduce_kernelILb0ELi1024ElPK16rocblas_bfloat16PKfKPfEviiT3_lPKT2_lT1_lSA_lSB_lS7_lPT4_lSB_li
; %bb.0:
	s_clause 0x1
	s_load_dwordx8 s[16:23], s[4:5], 0x8
	s_load_dwordx8 s[8:15], s[4:5], 0x58
	s_mov_b32 s26, s7
	s_mov_b32 s27, 0
	s_waitcnt lgkmcnt(0)
	s_mul_i32 s1, s19, s7
	s_mul_hi_u32 s2, s18, s7
	s_mul_i32 s0, s18, s7
	s_add_i32 s1, s2, s1
	s_mul_i32 s2, s11, s7
	s_lshl_b64 s[0:1], s[0:1], 2
	s_mul_hi_u32 s3, s10, s7
	s_add_u32 s0, s16, s0
	s_addc_u32 s1, s17, s1
	s_add_i32 s3, s3, s2
	s_mul_i32 s2, s10, s7
	s_lshl_b64 s[2:3], s[2:3], 2
	s_add_u32 s2, s8, s2
	s_addc_u32 s3, s9, s3
	s_load_dword s28, s[0:1], 0x0
	s_load_dword s7, s[2:3], 0x0
	s_waitcnt lgkmcnt(0)
	v_cmp_eq_f32_e64 s29, s28, 0
	v_cmp_eq_f32_e64 s0, s7, 1.0
	s_and_b32 s0, s29, s0
	s_and_b32 vcc_lo, exec_lo, s0
	s_cbranch_vccnz .LBB685_41
; %bb.1:
	s_clause 0x1
	s_load_dwordx2 s[18:19], s[4:5], 0x28
	s_load_dwordx2 s[8:9], s[4:5], 0x78
	v_cmp_neq_f32_e64 s30, s28, 0
	s_mov_b64 s[10:11], 0
	s_and_b32 vcc_lo, exec_lo, s29
	s_mov_b64 s[24:25], 0
	s_cbranch_vccnz .LBB685_3
; %bb.2:
	s_lshl_b64 s[0:1], s[26:27], 3
	s_add_u32 s0, s20, s0
	s_addc_u32 s1, s21, s1
	s_lshl_b64 s[2:3], s[22:23], 1
	s_load_dwordx2 s[0:1], s[0:1], 0x0
	s_waitcnt lgkmcnt(0)
	s_add_u32 s24, s0, s2
	s_addc_u32 s25, s1, s3
.LBB685_3:
	s_clause 0x1
	s_load_dwordx4 s[0:3], s[4:5], 0x38
	s_load_dwordx2 s[16:17], s[4:5], 0x48
	s_andn2_b32 vcc_lo, exec_lo, s30
	s_cbranch_vccnz .LBB685_5
; %bb.4:
	s_lshl_b64 s[10:11], s[26:27], 3
	s_waitcnt lgkmcnt(0)
	s_add_u32 s0, s0, s10
	s_addc_u32 s1, s1, s11
	s_lshl_b64 s[2:3], s[2:3], 1
	s_load_dwordx2 s[0:1], s[0:1], 0x0
	s_waitcnt lgkmcnt(0)
	s_add_u32 s10, s0, s2
	s_addc_u32 s11, s1, s3
.LBB685_5:
	s_waitcnt lgkmcnt(0)
	s_lshl_b64 s[0:1], s[26:27], 3
	s_add_u32 s0, s12, s0
	s_addc_u32 s1, s13, s1
	s_lshl_b64 s[12:13], s[14:15], 2
	s_load_dwordx2 s[2:3], s[0:1], 0x0
	v_cmp_eq_u32_e64 s0, 0, v0
	s_waitcnt lgkmcnt(0)
	s_add_u32 s1, s2, s12
	s_addc_u32 s12, s3, s13
	s_andn2_b32 vcc_lo, exec_lo, s29
	s_cbranch_vccnz .LBB685_10
; %bb.6:
	s_mov_b32 s14, 0
	s_mov_b32 s13, 0
                                        ; implicit-def: $vgpr1
                                        ; implicit-def: $sgpr2_sgpr3
	s_and_saveexec_b32 s15, s0
	s_cbranch_execz .LBB685_11
; %bb.7:
	s_ashr_i32 s0, s6, 31
	v_cmp_eq_f32_e64 s13, s7, 0
	s_mul_hi_u32 s2, s8, s6
	s_mul_i32 s0, s8, s0
	v_mov_b32_e32 v1, 0
	s_add_i32 s0, s2, s0
	s_mul_i32 s2, s9, s6
	s_and_b32 vcc_lo, exec_lo, s13
	s_add_i32 s3, s0, s2
	s_mul_i32 s2, s8, s6
	s_cbranch_vccnz .LBB685_9
; %bb.8:
	s_lshl_b64 s[20:21], s[2:3], 2
	s_add_u32 s20, s1, s20
	s_addc_u32 s21, s12, s21
	v_mov_b32_e32 v1, s20
	v_mov_b32_e32 v2, s21
	flat_load_dword v1, v[1:2]
	s_waitcnt vmcnt(0) lgkmcnt(0)
	v_mul_f32_e32 v1, s7, v1
.LBB685_9:
	s_mov_b32 s13, exec_lo
	s_or_b32 exec_lo, exec_lo, s15
	s_and_b32 vcc_lo, exec_lo, s14
	s_cbranch_vccnz .LBB685_12
	s_branch .LBB685_39
.LBB685_10:
	s_mov_b32 s13, 0
                                        ; implicit-def: $vgpr1
                                        ; implicit-def: $sgpr2_sgpr3
	s_cbranch_execnz .LBB685_12
	s_branch .LBB685_39
.LBB685_11:
	s_or_b32 exec_lo, exec_lo, s15
	s_and_b32 vcc_lo, exec_lo, s14
	s_cbranch_vccz .LBB685_39
.LBB685_12:
	s_load_dword s3, s[4:5], 0x0
	s_ashr_i32 s14, s6, 31
	s_mul_hi_u32 s0, s18, s6
	s_mul_i32 s4, s18, s14
	s_mul_i32 s2, s19, s6
	s_add_i32 s0, s0, s4
	s_mul_i32 s4, s18, s6
	s_add_i32 s5, s0, s2
	v_mov_b32_e32 v7, 0
	s_lshl_b64 s[4:5], s[4:5], 1
	s_mov_b32 s18, 0
	s_mov_b32 s15, exec_lo
	s_waitcnt lgkmcnt(0)
	v_cmp_gt_i32_e32 vcc_lo, s3, v0
	s_ashr_i32 s0, s3, 31
	s_lshr_b32 s0, s0, 22
	s_add_i32 s0, s3, s0
	v_cndmask_b32_e32 v1, 0, v0, vcc_lo
	v_lshlrev_b32_e32 v1, 1, v1
	v_add_co_u32 v1, s2, s24, v1
	v_add_co_ci_u32_e64 v2, null, s25, 0, s2
	s_and_b32 s2, s0, 0xfffffc00
	v_add_co_u32 v1, vcc_lo, v1, s4
	v_add_co_ci_u32_e64 v2, null, s5, v2, vcc_lo
	v_cmpx_gt_i32_e64 s2, v0
	s_cbranch_execz .LBB685_20
; %bb.13:
	v_mad_u64_u32 v[3:4], null, s16, v0, 0
	v_mov_b32_e32 v8, 0
	v_mov_b32_e32 v9, v0
	v_mov_b32_e32 v7, 0
	s_lshl_b64 s[4:5], s[16:17], 11
	v_mad_u64_u32 v[4:5], null, s17, v0, v[4:5]
	v_lshlrev_b64 v[5:6], 1, v[3:4]
	v_mov_b32_e32 v4, v2
	v_mov_b32_e32 v3, v1
	v_add_co_u32 v5, vcc_lo, s10, v5
	v_add_co_ci_u32_e64 v6, null, s11, v6, vcc_lo
	s_inst_prefetch 0x1
	s_branch .LBB685_15
	.p2align	6
.LBB685_14:                             ;   in Loop: Header=BB685_15 Depth=1
	s_or_b32 exec_lo, exec_lo, s0
	v_add_nc_u32_e32 v9, 0x400, v9
	v_and_b32_e32 v10, 0xffff0000, v11
	v_add_co_u32 v3, vcc_lo, 0x800, v3
	v_add_co_ci_u32_e64 v4, null, 0, v4, vcc_lo
	v_cmp_le_i32_e32 vcc_lo, s2, v9
	v_add_co_u32 v5, s0, v5, s4
	v_add_f32_e32 v7, v7, v10
	v_add_co_ci_u32_e64 v6, null, s5, v6, s0
	s_or_b32 s18, vcc_lo, s18
	s_andn2_b32 exec_lo, exec_lo, s18
	s_cbranch_execz .LBB685_19
.LBB685_15:                             ; =>This Inner Loop Header: Depth=1
	flat_load_ushort v10, v[5:6]
	flat_load_ushort v11, v[3:4]
	s_waitcnt vmcnt(1) lgkmcnt(1)
	v_lshlrev_b32_e32 v10, 16, v10
	s_waitcnt vmcnt(0) lgkmcnt(0)
	v_lshlrev_b32_e32 v11, 16, v11
	v_mul_f32_e32 v10, v11, v10
	v_and_b32_e32 v11, 0x7f800000, v10
	v_cmp_ne_u32_e32 vcc_lo, 0x7f800000, v11
                                        ; implicit-def: $vgpr11
	s_and_saveexec_b32 s0, vcc_lo
	s_xor_b32 s0, exec_lo, s0
; %bb.16:                               ;   in Loop: Header=BB685_15 Depth=1
	v_bfe_u32 v11, v10, 16, 1
	v_add3_u32 v11, v10, v11, 0x7fff
                                        ; implicit-def: $vgpr10
; %bb.17:                               ;   in Loop: Header=BB685_15 Depth=1
	s_andn2_saveexec_b32 s0, s0
	s_cbranch_execz .LBB685_14
; %bb.18:                               ;   in Loop: Header=BB685_15 Depth=1
	v_or_b32_e32 v11, 0x10000, v10
	v_cmp_eq_u32_sdwa vcc_lo, v10, v8 src0_sel:WORD_0 src1_sel:DWORD
	v_cndmask_b32_e32 v11, v11, v10, vcc_lo
	s_branch .LBB685_14
.LBB685_19:
	s_inst_prefetch 0x2
	s_or_b32 exec_lo, exec_lo, s18
.LBB685_20:
	s_or_b32 exec_lo, exec_lo, s15
	v_or_b32_e32 v3, s2, v0
	s_mov_b32 s0, exec_lo
	v_cmpx_gt_i32_e64 s3, v3
	s_cbranch_execz .LBB685_26
; %bb.21:
	v_ashrrev_i32_e32 v5, 31, v3
	v_mul_lo_u32 v6, s17, v3
	v_mad_u64_u32 v[3:4], null, s16, v3, 0
	s_ashr_i32 s3, s2, 31
	v_mul_lo_u32 v5, s16, v5
	s_lshl_b64 s[2:3], s[2:3], 1
	v_add3_u32 v4, v4, v5, v6
	v_lshlrev_b64 v[3:4], 1, v[3:4]
	v_add_co_u32 v3, vcc_lo, s10, v3
	v_add_co_ci_u32_e64 v4, null, s11, v4, vcc_lo
	v_add_co_u32 v1, vcc_lo, v1, s2
	v_add_co_ci_u32_e64 v2, null, s3, v2, vcc_lo
	flat_load_ushort v3, v[3:4]
	flat_load_ushort v1, v[1:2]
	s_waitcnt vmcnt(1) lgkmcnt(1)
	v_lshlrev_b32_e32 v2, 16, v3
	s_waitcnt vmcnt(0) lgkmcnt(0)
	v_lshlrev_b32_e32 v1, 16, v1
	v_mul_f32_e32 v1, v1, v2
	v_and_b32_e32 v2, 0x7f800000, v1
	v_cmp_ne_u32_e32 vcc_lo, 0x7f800000, v2
                                        ; implicit-def: $vgpr2
	s_and_saveexec_b32 s2, vcc_lo
	s_xor_b32 s2, exec_lo, s2
; %bb.22:
	v_bfe_u32 v2, v1, 16, 1
	v_add3_u32 v2, v1, v2, 0x7fff
                                        ; implicit-def: $vgpr1
; %bb.23:
	s_andn2_saveexec_b32 s2, s2
; %bb.24:
	v_mov_b32_e32 v2, 0
	v_or_b32_e32 v3, 0x10000, v1
	v_cmp_eq_u32_sdwa vcc_lo, v1, v2 src0_sel:WORD_0 src1_sel:DWORD
	v_cndmask_b32_e32 v2, v3, v1, vcc_lo
; %bb.25:
	s_or_b32 exec_lo, exec_lo, s2
	v_and_b32_e32 v1, 0xffff0000, v2
	v_add_f32_e32 v7, v7, v1
.LBB685_26:
	s_or_b32 exec_lo, exec_lo, s0
	v_and_b32_e32 v8, 31, v0
	v_cmp_gt_u32_e32 vcc_lo, 32, v0
	v_lshlrev_b32_e32 v1, 2, v8
	s_and_saveexec_b32 s0, vcc_lo
; %bb.27:
	v_mov_b32_e32 v2, 0
	ds_write_b32 v1, v2
; %bb.28:
	s_or_b32 exec_lo, exec_lo, s0
	v_mbcnt_lo_u32_b32 v6, -1, 0
	s_mov_b32 s2, exec_lo
	s_waitcnt lgkmcnt(0)
	s_barrier
	buffer_gl0_inv
	v_lshl_or_b32 v2, v6, 2, 64
	v_cmp_gt_u32_e64 s0, 24, v6
	ds_bpermute_b32 v4, v2, v7
	v_cndmask_b32_e64 v3, 0, 8, s0
	v_cmp_gt_u32_e64 s0, 28, v6
	v_add_lshl_u32 v3, v3, v6, 2
	s_waitcnt lgkmcnt(0)
	v_add_f32_e32 v5, v7, v4
	v_cndmask_b32_e64 v4, 0, 4, s0
	v_cmp_gt_u32_e64 s0, 30, v6
	ds_bpermute_b32 v7, v3, v5
	v_add_lshl_u32 v4, v4, v6, 2
	s_waitcnt lgkmcnt(0)
	v_add_f32_e32 v7, v5, v7
	v_cndmask_b32_e64 v5, 0, 2, s0
	v_cmp_ne_u32_e64 s0, 31, v6
	ds_bpermute_b32 v9, v4, v7
	v_add_lshl_u32 v5, v5, v6, 2
	v_add_co_ci_u32_e64 v6, null, 0, v6, s0
	v_lshlrev_b32_e32 v6, 2, v6
	s_waitcnt lgkmcnt(0)
	v_add_f32_e32 v7, v7, v9
	ds_bpermute_b32 v9, v5, v7
	s_waitcnt lgkmcnt(0)
	v_add_f32_e32 v7, v7, v9
	ds_bpermute_b32 v9, v6, v7
	v_cmpx_eq_u32_e32 0, v8
	s_cbranch_execz .LBB685_30
; %bb.29:
	v_lshrrev_b32_e32 v8, 3, v0
	s_waitcnt lgkmcnt(0)
	v_add_f32_e32 v7, v7, v9
	v_and_b32_e32 v8, 0x7c, v8
	ds_write_b32 v8, v7
.LBB685_30:
	s_or_b32 exec_lo, exec_lo, s2
	v_mov_b32_e32 v7, 0
	s_waitcnt lgkmcnt(0)
	s_barrier
	buffer_gl0_inv
	s_and_saveexec_b32 s0, vcc_lo
; %bb.31:
	ds_read_b32 v7, v1
; %bb.32:
	s_or_b32 exec_lo, exec_lo, s0
	s_and_saveexec_b32 s0, vcc_lo
	s_cbranch_execz .LBB685_34
; %bb.33:
	s_waitcnt lgkmcnt(0)
	ds_bpermute_b32 v1, v2, v7
	s_waitcnt lgkmcnt(0)
	v_add_f32_e32 v1, v7, v1
	ds_bpermute_b32 v2, v3, v1
	s_waitcnt lgkmcnt(0)
	v_add_f32_e32 v1, v1, v2
	;; [unrolled: 3-line block ×5, first 2 shown]
.LBB685_34:
	s_or_b32 exec_lo, exec_lo, s0
	s_mov_b32 s0, exec_lo
                                        ; implicit-def: $vgpr1
                                        ; implicit-def: $sgpr2_sgpr3
	v_cmpx_eq_u32_e32 0, v0
	s_cbranch_execz .LBB685_38
; %bb.35:
	v_cmp_eq_f32_e64 s4, s7, 0
	s_mul_i32 s2, s8, s14
	s_mul_hi_u32 s3, s8, s6
	s_waitcnt lgkmcnt(0)
	v_mul_f32_e32 v1, s28, v7
	s_add_i32 s2, s3, s2
	s_mul_i32 s3, s9, s6
	s_and_b32 vcc_lo, exec_lo, s4
	s_add_i32 s3, s2, s3
	s_mul_i32 s2, s8, s6
	s_cbranch_vccnz .LBB685_37
; %bb.36:
	s_lshl_b64 s[4:5], s[2:3], 2
	s_add_u32 s4, s1, s4
	s_addc_u32 s5, s12, s5
	v_mov_b32_e32 v2, s4
	v_mov_b32_e32 v3, s5
	flat_load_dword v0, v[2:3]
	s_waitcnt vmcnt(0) lgkmcnt(0)
	v_fmac_f32_e32 v1, s7, v0
.LBB685_37:
	s_or_b32 s13, s13, exec_lo
.LBB685_38:
	s_or_b32 exec_lo, exec_lo, s0
.LBB685_39:
	s_and_saveexec_b32 s0, s13
	s_cbranch_execz .LBB685_41
; %bb.40:
	s_lshl_b64 s[2:3], s[2:3], 2
	s_add_u32 s0, s1, s2
	s_addc_u32 s1, s12, s3
	v_mov_b32_e32 v3, s1
	v_mov_b32_e32 v2, s0
	flat_store_dword v[2:3], v1
.LBB685_41:
	s_endpgm
	.section	.rodata,"a",@progbits
	.p2align	6, 0x0
	.amdhsa_kernel _ZL32rocblas_gemvt_warp_reduce_kernelILb0ELi1024ElPK16rocblas_bfloat16PKfKPfEviiT3_lPKT2_lT1_lSA_lSB_lS7_lPT4_lSB_li
		.amdhsa_group_segment_fixed_size 128
		.amdhsa_private_segment_fixed_size 0
		.amdhsa_kernarg_size 140
		.amdhsa_user_sgpr_count 6
		.amdhsa_user_sgpr_private_segment_buffer 1
		.amdhsa_user_sgpr_dispatch_ptr 0
		.amdhsa_user_sgpr_queue_ptr 0
		.amdhsa_user_sgpr_kernarg_segment_ptr 1
		.amdhsa_user_sgpr_dispatch_id 0
		.amdhsa_user_sgpr_flat_scratch_init 0
		.amdhsa_user_sgpr_private_segment_size 0
		.amdhsa_wavefront_size32 1
		.amdhsa_uses_dynamic_stack 0
		.amdhsa_system_sgpr_private_segment_wavefront_offset 0
		.amdhsa_system_sgpr_workgroup_id_x 1
		.amdhsa_system_sgpr_workgroup_id_y 0
		.amdhsa_system_sgpr_workgroup_id_z 1
		.amdhsa_system_sgpr_workgroup_info 0
		.amdhsa_system_vgpr_workitem_id 0
		.amdhsa_next_free_vgpr 12
		.amdhsa_next_free_sgpr 31
		.amdhsa_reserve_vcc 1
		.amdhsa_reserve_flat_scratch 0
		.amdhsa_float_round_mode_32 0
		.amdhsa_float_round_mode_16_64 0
		.amdhsa_float_denorm_mode_32 3
		.amdhsa_float_denorm_mode_16_64 3
		.amdhsa_dx10_clamp 1
		.amdhsa_ieee_mode 1
		.amdhsa_fp16_overflow 0
		.amdhsa_workgroup_processor_mode 1
		.amdhsa_memory_ordered 1
		.amdhsa_forward_progress 1
		.amdhsa_shared_vgpr_count 0
		.amdhsa_exception_fp_ieee_invalid_op 0
		.amdhsa_exception_fp_denorm_src 0
		.amdhsa_exception_fp_ieee_div_zero 0
		.amdhsa_exception_fp_ieee_overflow 0
		.amdhsa_exception_fp_ieee_underflow 0
		.amdhsa_exception_fp_ieee_inexact 0
		.amdhsa_exception_int_div_zero 0
	.end_amdhsa_kernel
	.section	.text._ZL32rocblas_gemvt_warp_reduce_kernelILb0ELi1024ElPK16rocblas_bfloat16PKfKPfEviiT3_lPKT2_lT1_lSA_lSB_lS7_lPT4_lSB_li,"axG",@progbits,_ZL32rocblas_gemvt_warp_reduce_kernelILb0ELi1024ElPK16rocblas_bfloat16PKfKPfEviiT3_lPKT2_lT1_lSA_lSB_lS7_lPT4_lSB_li,comdat
.Lfunc_end685:
	.size	_ZL32rocblas_gemvt_warp_reduce_kernelILb0ELi1024ElPK16rocblas_bfloat16PKfKPfEviiT3_lPKT2_lT1_lSA_lSB_lS7_lPT4_lSB_li, .Lfunc_end685-_ZL32rocblas_gemvt_warp_reduce_kernelILb0ELi1024ElPK16rocblas_bfloat16PKfKPfEviiT3_lPKT2_lT1_lSA_lSB_lS7_lPT4_lSB_li
                                        ; -- End function
	.set _ZL32rocblas_gemvt_warp_reduce_kernelILb0ELi1024ElPK16rocblas_bfloat16PKfKPfEviiT3_lPKT2_lT1_lSA_lSB_lS7_lPT4_lSB_li.num_vgpr, 12
	.set _ZL32rocblas_gemvt_warp_reduce_kernelILb0ELi1024ElPK16rocblas_bfloat16PKfKPfEviiT3_lPKT2_lT1_lSA_lSB_lS7_lPT4_lSB_li.num_agpr, 0
	.set _ZL32rocblas_gemvt_warp_reduce_kernelILb0ELi1024ElPK16rocblas_bfloat16PKfKPfEviiT3_lPKT2_lT1_lSA_lSB_lS7_lPT4_lSB_li.numbered_sgpr, 31
	.set _ZL32rocblas_gemvt_warp_reduce_kernelILb0ELi1024ElPK16rocblas_bfloat16PKfKPfEviiT3_lPKT2_lT1_lSA_lSB_lS7_lPT4_lSB_li.num_named_barrier, 0
	.set _ZL32rocblas_gemvt_warp_reduce_kernelILb0ELi1024ElPK16rocblas_bfloat16PKfKPfEviiT3_lPKT2_lT1_lSA_lSB_lS7_lPT4_lSB_li.private_seg_size, 0
	.set _ZL32rocblas_gemvt_warp_reduce_kernelILb0ELi1024ElPK16rocblas_bfloat16PKfKPfEviiT3_lPKT2_lT1_lSA_lSB_lS7_lPT4_lSB_li.uses_vcc, 1
	.set _ZL32rocblas_gemvt_warp_reduce_kernelILb0ELi1024ElPK16rocblas_bfloat16PKfKPfEviiT3_lPKT2_lT1_lSA_lSB_lS7_lPT4_lSB_li.uses_flat_scratch, 0
	.set _ZL32rocblas_gemvt_warp_reduce_kernelILb0ELi1024ElPK16rocblas_bfloat16PKfKPfEviiT3_lPKT2_lT1_lSA_lSB_lS7_lPT4_lSB_li.has_dyn_sized_stack, 0
	.set _ZL32rocblas_gemvt_warp_reduce_kernelILb0ELi1024ElPK16rocblas_bfloat16PKfKPfEviiT3_lPKT2_lT1_lSA_lSB_lS7_lPT4_lSB_li.has_recursion, 0
	.set _ZL32rocblas_gemvt_warp_reduce_kernelILb0ELi1024ElPK16rocblas_bfloat16PKfKPfEviiT3_lPKT2_lT1_lSA_lSB_lS7_lPT4_lSB_li.has_indirect_call, 0
	.section	.AMDGPU.csdata,"",@progbits
; Kernel info:
; codeLenInByte = 1684
; TotalNumSgprs: 33
; NumVgprs: 12
; ScratchSize: 0
; MemoryBound: 0
; FloatMode: 240
; IeeeMode: 1
; LDSByteSize: 128 bytes/workgroup (compile time only)
; SGPRBlocks: 0
; VGPRBlocks: 1
; NumSGPRsForWavesPerEU: 33
; NumVGPRsForWavesPerEU: 12
; Occupancy: 16
; WaveLimiterHint : 1
; COMPUTE_PGM_RSRC2:SCRATCH_EN: 0
; COMPUTE_PGM_RSRC2:USER_SGPR: 6
; COMPUTE_PGM_RSRC2:TRAP_HANDLER: 0
; COMPUTE_PGM_RSRC2:TGID_X_EN: 1
; COMPUTE_PGM_RSRC2:TGID_Y_EN: 0
; COMPUTE_PGM_RSRC2:TGID_Z_EN: 1
; COMPUTE_PGM_RSRC2:TIDIG_COMP_CNT: 0
	.section	.text._ZL32rocblas_gemvt_warp_reduce_kernelILb0ELi1024EiPK16rocblas_bfloat16fKPfEviiT3_lPKT2_lT1_lS8_lS9_lS5_lPT4_lS9_li,"axG",@progbits,_ZL32rocblas_gemvt_warp_reduce_kernelILb0ELi1024EiPK16rocblas_bfloat16fKPfEviiT3_lPKT2_lT1_lS8_lS9_lS5_lPT4_lS9_li,comdat
	.globl	_ZL32rocblas_gemvt_warp_reduce_kernelILb0ELi1024EiPK16rocblas_bfloat16fKPfEviiT3_lPKT2_lT1_lS8_lS9_lS5_lPT4_lS9_li ; -- Begin function _ZL32rocblas_gemvt_warp_reduce_kernelILb0ELi1024EiPK16rocblas_bfloat16fKPfEviiT3_lPKT2_lT1_lS8_lS9_lS5_lPT4_lS9_li
	.p2align	8
	.type	_ZL32rocblas_gemvt_warp_reduce_kernelILb0ELi1024EiPK16rocblas_bfloat16fKPfEviiT3_lPKT2_lT1_lS8_lS9_lS5_lPT4_lS9_li,@function
_ZL32rocblas_gemvt_warp_reduce_kernelILb0ELi1024EiPK16rocblas_bfloat16fKPfEviiT3_lPKT2_lT1_lS8_lS9_lS5_lPT4_lS9_li: ; @_ZL32rocblas_gemvt_warp_reduce_kernelILb0ELi1024EiPK16rocblas_bfloat16fKPfEviiT3_lPKT2_lT1_lS8_lS9_lS5_lPT4_lS9_li
; %bb.0:
	s_mov_b32 s10, s7
	s_clause 0x1
	s_load_dword s12, s[4:5], 0x8
	s_load_dword s7, s[4:5], 0x58
	s_mov_b32 s11, 0
	s_waitcnt lgkmcnt(0)
	v_cmp_eq_f32_e64 s15, s12, 0
	v_cmp_eq_f32_e64 s0, s7, 1.0
	s_and_b32 s0, s15, s0
	s_and_b32 vcc_lo, exec_lo, s0
	s_cbranch_vccnz .LBB686_43
; %bb.1:
	v_cmp_neq_f32_e64 s13, s12, 0
	s_and_b32 vcc_lo, exec_lo, s13
	s_cbranch_vccnz .LBB686_3
; %bb.2:
	s_mov_b32 s1, 0
	s_mov_b32 s0, s10
	;; [unrolled: 1-line block ×3, first 2 shown]
	s_mov_b64 s[2:3], 0
	s_andn2_b32 vcc_lo, exec_lo, s8
	s_mov_b64 s[8:9], 0
	s_cbranch_vccz .LBB686_4
	s_branch .LBB686_5
.LBB686_3:
	s_mov_b64 s[0:1], s[10:11]
	s_mov_b64 s[2:3], 0
	;; [unrolled: 1-line block ×3, first 2 shown]
.LBB686_4:
	s_load_dwordx4 s[16:19], s[4:5], 0x18
	s_lshl_b64 s[8:9], s[10:11], 3
	s_waitcnt lgkmcnt(0)
	s_add_u32 s8, s16, s8
	s_addc_u32 s9, s17, s9
	s_lshl_b64 s[10:11], s[18:19], 1
	s_load_dwordx2 s[8:9], s[8:9], 0x0
	s_waitcnt lgkmcnt(0)
	s_add_u32 s8, s8, s10
	s_addc_u32 s9, s9, s11
.LBB686_5:
	s_andn2_b32 vcc_lo, exec_lo, s13
	s_cbranch_vccnz .LBB686_7
; %bb.6:
	s_load_dwordx4 s[16:19], s[4:5], 0x38
	s_lshl_b64 s[2:3], s[0:1], 3
	s_waitcnt lgkmcnt(0)
	s_add_u32 s2, s16, s2
	s_addc_u32 s3, s17, s3
	s_lshl_b64 s[10:11], s[18:19], 1
	s_load_dwordx2 s[2:3], s[2:3], 0x0
	s_waitcnt lgkmcnt(0)
	s_add_u32 s2, s2, s10
	s_addc_u32 s3, s3, s11
.LBB686_7:
	s_clause 0x1
	s_load_dwordx4 s[16:19], s[4:5], 0x68
	s_load_dword s14, s[4:5], 0x78
	s_lshl_b64 s[0:1], s[0:1], 3
	s_waitcnt lgkmcnt(0)
	s_add_u32 s0, s16, s0
	s_addc_u32 s1, s17, s1
	s_lshl_b64 s[16:17], s[18:19], 2
	s_load_dwordx2 s[10:11], s[0:1], 0x0
	v_cmp_eq_u32_e64 s0, 0, v0
	s_waitcnt lgkmcnt(0)
	s_add_u32 s1, s10, s16
	s_addc_u32 s13, s11, s17
	s_andn2_b32 vcc_lo, exec_lo, s15
	s_cbranch_vccnz .LBB686_12
; %bb.8:
	s_mov_b32 s16, 0
	s_mov_b32 s15, 0
                                        ; implicit-def: $vgpr1
                                        ; implicit-def: $sgpr10_sgpr11
	s_and_saveexec_b32 s17, s0
	s_cbranch_execz .LBB686_13
; %bb.9:
	v_cmp_eq_f32_e64 s0, s7, 0
	v_mov_b32_e32 v1, 0
	s_mul_i32 s10, s14, s6
	s_ashr_i32 s11, s10, 31
	s_and_b32 vcc_lo, exec_lo, s0
	s_cbranch_vccnz .LBB686_11
; %bb.10:
	s_lshl_b64 s[18:19], s[10:11], 2
	s_add_u32 s18, s1, s18
	s_addc_u32 s19, s13, s19
	v_mov_b32_e32 v1, s18
	v_mov_b32_e32 v2, s19
	flat_load_dword v1, v[1:2]
	s_waitcnt vmcnt(0) lgkmcnt(0)
	v_mul_f32_e32 v1, s7, v1
.LBB686_11:
	s_mov_b32 s15, exec_lo
	s_or_b32 exec_lo, exec_lo, s17
	s_and_b32 vcc_lo, exec_lo, s16
	s_cbranch_vccnz .LBB686_14
	s_branch .LBB686_41
.LBB686_12:
	s_mov_b32 s15, 0
                                        ; implicit-def: $vgpr1
                                        ; implicit-def: $sgpr10_sgpr11
	s_cbranch_execnz .LBB686_14
	s_branch .LBB686_41
.LBB686_13:
	s_or_b32 exec_lo, exec_lo, s17
	s_and_b32 vcc_lo, exec_lo, s16
	s_cbranch_vccz .LBB686_41
.LBB686_14:
	s_clause 0x2
	s_load_dword s10, s[4:5], 0x0
	s_load_dword s0, s[4:5], 0x28
	;; [unrolled: 1-line block ×3, first 2 shown]
	v_mov_b32_e32 v7, 0
	s_waitcnt lgkmcnt(0)
	v_cmp_gt_i32_e32 vcc_lo, s10, v0
	s_mul_i32 s16, s0, s6
	s_ashr_i32 s0, s10, 31
	s_ashr_i32 s17, s16, 31
	s_lshr_b32 s0, s0, 22
	v_cndmask_b32_e32 v1, 0, v0, vcc_lo
	s_lshl_b64 s[16:17], s[16:17], 1
	s_add_i32 s0, s10, s0
	v_lshlrev_b32_e32 v1, 1, v1
	v_add_co_u32 v1, s4, s8, v1
	v_add_co_ci_u32_e64 v2, null, s9, 0, s4
	s_and_b32 s4, s0, 0xfffffc00
	v_add_co_u32 v1, vcc_lo, v1, s16
	v_add_co_ci_u32_e64 v2, null, s17, v2, vcc_lo
	s_mov_b32 s9, 0
	s_mov_b32 s8, exec_lo
	v_cmpx_gt_i32_e64 s4, v0
	s_cbranch_execz .LBB686_22
; %bb.15:
	v_mul_lo_u32 v3, v0, s5
	v_mov_b32_e32 v6, v2
	v_mov_b32_e32 v8, 0
	;; [unrolled: 1-line block ×5, first 2 shown]
	s_lshl_b32 s11, s5, 10
	s_branch .LBB686_17
.LBB686_16:                             ;   in Loop: Header=BB686_17 Depth=1
	s_or_b32 exec_lo, exec_lo, s0
	v_add_nc_u32_e32 v9, 0x400, v9
	v_and_b32_e32 v4, 0xffff0000, v10
	v_add_co_u32 v5, s0, 0x800, v5
	v_add_nc_u32_e32 v3, s11, v3
	v_cmp_le_i32_e32 vcc_lo, s4, v9
	v_add_f32_e32 v7, v7, v4
	v_add_co_ci_u32_e64 v6, null, 0, v6, s0
	s_or_b32 s9, vcc_lo, s9
	s_andn2_b32 exec_lo, exec_lo, s9
	s_cbranch_execz .LBB686_21
.LBB686_17:                             ; =>This Inner Loop Header: Depth=1
	v_ashrrev_i32_e32 v4, 31, v3
	v_lshlrev_b64 v[10:11], 1, v[3:4]
	v_add_co_u32 v10, vcc_lo, s2, v10
	v_add_co_ci_u32_e64 v11, null, s3, v11, vcc_lo
	flat_load_ushort v4, v[5:6]
	flat_load_ushort v10, v[10:11]
	s_waitcnt vmcnt(1) lgkmcnt(1)
	v_lshlrev_b32_e32 v4, 16, v4
	s_waitcnt vmcnt(0) lgkmcnt(0)
	v_lshlrev_b32_e32 v10, 16, v10
	v_mul_f32_e32 v4, v4, v10
	v_and_b32_e32 v10, 0x7f800000, v4
	v_cmp_ne_u32_e32 vcc_lo, 0x7f800000, v10
                                        ; implicit-def: $vgpr10
	s_and_saveexec_b32 s0, vcc_lo
	s_xor_b32 s0, exec_lo, s0
; %bb.18:                               ;   in Loop: Header=BB686_17 Depth=1
	v_bfe_u32 v10, v4, 16, 1
	v_add3_u32 v10, v4, v10, 0x7fff
                                        ; implicit-def: $vgpr4
; %bb.19:                               ;   in Loop: Header=BB686_17 Depth=1
	s_andn2_saveexec_b32 s0, s0
	s_cbranch_execz .LBB686_16
; %bb.20:                               ;   in Loop: Header=BB686_17 Depth=1
	v_or_b32_e32 v10, 0x10000, v4
	v_cmp_eq_u32_sdwa vcc_lo, v4, v8 src0_sel:WORD_0 src1_sel:DWORD
	v_cndmask_b32_e32 v10, v10, v4, vcc_lo
	s_branch .LBB686_16
.LBB686_21:
	s_or_b32 exec_lo, exec_lo, s9
.LBB686_22:
	s_or_b32 exec_lo, exec_lo, s8
	v_or_b32_e32 v3, s4, v0
	s_mov_b32 s0, exec_lo
	v_cmpx_gt_i32_e64 s10, v3
	s_cbranch_execz .LBB686_28
; %bb.23:
	v_mul_lo_u32 v3, s5, v3
	s_ashr_i32 s5, s4, 31
	s_lshl_b64 s[4:5], s[4:5], 1
	v_ashrrev_i32_e32 v4, 31, v3
	v_lshlrev_b64 v[3:4], 1, v[3:4]
	v_add_co_u32 v3, vcc_lo, s2, v3
	v_add_co_ci_u32_e64 v4, null, s3, v4, vcc_lo
	v_add_co_u32 v1, vcc_lo, v1, s4
	v_add_co_ci_u32_e64 v2, null, s5, v2, vcc_lo
	flat_load_ushort v3, v[3:4]
	flat_load_ushort v1, v[1:2]
	s_waitcnt vmcnt(1) lgkmcnt(1)
	v_lshlrev_b32_e32 v2, 16, v3
	s_waitcnt vmcnt(0) lgkmcnt(0)
	v_lshlrev_b32_e32 v1, 16, v1
	v_mul_f32_e32 v1, v1, v2
	v_and_b32_e32 v2, 0x7f800000, v1
	v_cmp_ne_u32_e32 vcc_lo, 0x7f800000, v2
                                        ; implicit-def: $vgpr2
	s_and_saveexec_b32 s2, vcc_lo
	s_xor_b32 s2, exec_lo, s2
; %bb.24:
	v_bfe_u32 v2, v1, 16, 1
	v_add3_u32 v2, v1, v2, 0x7fff
                                        ; implicit-def: $vgpr1
; %bb.25:
	s_andn2_saveexec_b32 s2, s2
; %bb.26:
	v_mov_b32_e32 v2, 0
	v_or_b32_e32 v3, 0x10000, v1
	v_cmp_eq_u32_sdwa vcc_lo, v1, v2 src0_sel:WORD_0 src1_sel:DWORD
	v_cndmask_b32_e32 v2, v3, v1, vcc_lo
; %bb.27:
	s_or_b32 exec_lo, exec_lo, s2
	v_and_b32_e32 v1, 0xffff0000, v2
	v_add_f32_e32 v7, v7, v1
.LBB686_28:
	s_or_b32 exec_lo, exec_lo, s0
	v_and_b32_e32 v8, 31, v0
	v_cmp_gt_u32_e32 vcc_lo, 32, v0
	v_lshlrev_b32_e32 v1, 2, v8
	s_and_saveexec_b32 s0, vcc_lo
; %bb.29:
	v_mov_b32_e32 v2, 0
	ds_write_b32 v1, v2
; %bb.30:
	s_or_b32 exec_lo, exec_lo, s0
	v_mbcnt_lo_u32_b32 v6, -1, 0
	s_mov_b32 s2, exec_lo
	s_waitcnt lgkmcnt(0)
	s_barrier
	buffer_gl0_inv
	v_lshl_or_b32 v2, v6, 2, 64
	v_cmp_gt_u32_e64 s0, 24, v6
	ds_bpermute_b32 v4, v2, v7
	v_cndmask_b32_e64 v3, 0, 8, s0
	v_cmp_gt_u32_e64 s0, 28, v6
	v_add_lshl_u32 v3, v3, v6, 2
	s_waitcnt lgkmcnt(0)
	v_add_f32_e32 v5, v7, v4
	v_cndmask_b32_e64 v4, 0, 4, s0
	v_cmp_gt_u32_e64 s0, 30, v6
	ds_bpermute_b32 v7, v3, v5
	v_add_lshl_u32 v4, v4, v6, 2
	s_waitcnt lgkmcnt(0)
	v_add_f32_e32 v7, v5, v7
	v_cndmask_b32_e64 v5, 0, 2, s0
	v_cmp_ne_u32_e64 s0, 31, v6
	ds_bpermute_b32 v9, v4, v7
	v_add_lshl_u32 v5, v5, v6, 2
	v_add_co_ci_u32_e64 v6, null, 0, v6, s0
	v_lshlrev_b32_e32 v6, 2, v6
	s_waitcnt lgkmcnt(0)
	v_add_f32_e32 v7, v7, v9
	ds_bpermute_b32 v9, v5, v7
	s_waitcnt lgkmcnt(0)
	v_add_f32_e32 v7, v7, v9
	ds_bpermute_b32 v9, v6, v7
	v_cmpx_eq_u32_e32 0, v8
	s_cbranch_execz .LBB686_32
; %bb.31:
	v_lshrrev_b32_e32 v8, 3, v0
	s_waitcnt lgkmcnt(0)
	v_add_f32_e32 v7, v7, v9
	v_and_b32_e32 v8, 0x7c, v8
	ds_write_b32 v8, v7
.LBB686_32:
	s_or_b32 exec_lo, exec_lo, s2
	v_mov_b32_e32 v7, 0
	s_waitcnt lgkmcnt(0)
	s_barrier
	buffer_gl0_inv
	s_and_saveexec_b32 s0, vcc_lo
; %bb.33:
	ds_read_b32 v7, v1
; %bb.34:
	s_or_b32 exec_lo, exec_lo, s0
	s_and_saveexec_b32 s0, vcc_lo
	s_cbranch_execz .LBB686_36
; %bb.35:
	s_waitcnt lgkmcnt(0)
	ds_bpermute_b32 v1, v2, v7
	s_waitcnt lgkmcnt(0)
	v_add_f32_e32 v1, v7, v1
	ds_bpermute_b32 v2, v3, v1
	s_waitcnt lgkmcnt(0)
	v_add_f32_e32 v1, v1, v2
	;; [unrolled: 3-line block ×5, first 2 shown]
.LBB686_36:
	s_or_b32 exec_lo, exec_lo, s0
	s_mov_b32 s0, exec_lo
                                        ; implicit-def: $vgpr1
                                        ; implicit-def: $sgpr10_sgpr11
	v_cmpx_eq_u32_e32 0, v0
	s_cbranch_execz .LBB686_40
; %bb.37:
	v_cmp_eq_f32_e64 s2, s7, 0
	s_waitcnt lgkmcnt(0)
	v_mul_f32_e32 v1, s12, v7
	s_mul_i32 s10, s14, s6
	s_ashr_i32 s11, s10, 31
	s_and_b32 vcc_lo, exec_lo, s2
	s_cbranch_vccnz .LBB686_39
; %bb.38:
	s_lshl_b64 s[2:3], s[10:11], 2
	s_add_u32 s2, s1, s2
	s_addc_u32 s3, s13, s3
	v_mov_b32_e32 v2, s2
	v_mov_b32_e32 v3, s3
	flat_load_dword v0, v[2:3]
	s_waitcnt vmcnt(0) lgkmcnt(0)
	v_fmac_f32_e32 v1, s7, v0
.LBB686_39:
	s_or_b32 s15, s15, exec_lo
.LBB686_40:
	s_or_b32 exec_lo, exec_lo, s0
.LBB686_41:
	s_and_saveexec_b32 s0, s15
	s_cbranch_execz .LBB686_43
; %bb.42:
	s_lshl_b64 s[2:3], s[10:11], 2
	s_add_u32 s0, s1, s2
	s_addc_u32 s1, s13, s3
	v_mov_b32_e32 v3, s1
	v_mov_b32_e32 v2, s0
	flat_store_dword v[2:3], v1
.LBB686_43:
	s_endpgm
	.section	.rodata,"a",@progbits
	.p2align	6, 0x0
	.amdhsa_kernel _ZL32rocblas_gemvt_warp_reduce_kernelILb0ELi1024EiPK16rocblas_bfloat16fKPfEviiT3_lPKT2_lT1_lS8_lS9_lS5_lPT4_lS9_li
		.amdhsa_group_segment_fixed_size 128
		.amdhsa_private_segment_fixed_size 0
		.amdhsa_kernarg_size 140
		.amdhsa_user_sgpr_count 6
		.amdhsa_user_sgpr_private_segment_buffer 1
		.amdhsa_user_sgpr_dispatch_ptr 0
		.amdhsa_user_sgpr_queue_ptr 0
		.amdhsa_user_sgpr_kernarg_segment_ptr 1
		.amdhsa_user_sgpr_dispatch_id 0
		.amdhsa_user_sgpr_flat_scratch_init 0
		.amdhsa_user_sgpr_private_segment_size 0
		.amdhsa_wavefront_size32 1
		.amdhsa_uses_dynamic_stack 0
		.amdhsa_system_sgpr_private_segment_wavefront_offset 0
		.amdhsa_system_sgpr_workgroup_id_x 1
		.amdhsa_system_sgpr_workgroup_id_y 0
		.amdhsa_system_sgpr_workgroup_id_z 1
		.amdhsa_system_sgpr_workgroup_info 0
		.amdhsa_system_vgpr_workitem_id 0
		.amdhsa_next_free_vgpr 12
		.amdhsa_next_free_sgpr 20
		.amdhsa_reserve_vcc 1
		.amdhsa_reserve_flat_scratch 0
		.amdhsa_float_round_mode_32 0
		.amdhsa_float_round_mode_16_64 0
		.amdhsa_float_denorm_mode_32 3
		.amdhsa_float_denorm_mode_16_64 3
		.amdhsa_dx10_clamp 1
		.amdhsa_ieee_mode 1
		.amdhsa_fp16_overflow 0
		.amdhsa_workgroup_processor_mode 1
		.amdhsa_memory_ordered 1
		.amdhsa_forward_progress 1
		.amdhsa_shared_vgpr_count 0
		.amdhsa_exception_fp_ieee_invalid_op 0
		.amdhsa_exception_fp_denorm_src 0
		.amdhsa_exception_fp_ieee_div_zero 0
		.amdhsa_exception_fp_ieee_overflow 0
		.amdhsa_exception_fp_ieee_underflow 0
		.amdhsa_exception_fp_ieee_inexact 0
		.amdhsa_exception_int_div_zero 0
	.end_amdhsa_kernel
	.section	.text._ZL32rocblas_gemvt_warp_reduce_kernelILb0ELi1024EiPK16rocblas_bfloat16fKPfEviiT3_lPKT2_lT1_lS8_lS9_lS5_lPT4_lS9_li,"axG",@progbits,_ZL32rocblas_gemvt_warp_reduce_kernelILb0ELi1024EiPK16rocblas_bfloat16fKPfEviiT3_lPKT2_lT1_lS8_lS9_lS5_lPT4_lS9_li,comdat
.Lfunc_end686:
	.size	_ZL32rocblas_gemvt_warp_reduce_kernelILb0ELi1024EiPK16rocblas_bfloat16fKPfEviiT3_lPKT2_lT1_lS8_lS9_lS5_lPT4_lS9_li, .Lfunc_end686-_ZL32rocblas_gemvt_warp_reduce_kernelILb0ELi1024EiPK16rocblas_bfloat16fKPfEviiT3_lPKT2_lT1_lS8_lS9_lS5_lPT4_lS9_li
                                        ; -- End function
	.set _ZL32rocblas_gemvt_warp_reduce_kernelILb0ELi1024EiPK16rocblas_bfloat16fKPfEviiT3_lPKT2_lT1_lS8_lS9_lS5_lPT4_lS9_li.num_vgpr, 12
	.set _ZL32rocblas_gemvt_warp_reduce_kernelILb0ELi1024EiPK16rocblas_bfloat16fKPfEviiT3_lPKT2_lT1_lS8_lS9_lS5_lPT4_lS9_li.num_agpr, 0
	.set _ZL32rocblas_gemvt_warp_reduce_kernelILb0ELi1024EiPK16rocblas_bfloat16fKPfEviiT3_lPKT2_lT1_lS8_lS9_lS5_lPT4_lS9_li.numbered_sgpr, 20
	.set _ZL32rocblas_gemvt_warp_reduce_kernelILb0ELi1024EiPK16rocblas_bfloat16fKPfEviiT3_lPKT2_lT1_lS8_lS9_lS5_lPT4_lS9_li.num_named_barrier, 0
	.set _ZL32rocblas_gemvt_warp_reduce_kernelILb0ELi1024EiPK16rocblas_bfloat16fKPfEviiT3_lPKT2_lT1_lS8_lS9_lS5_lPT4_lS9_li.private_seg_size, 0
	.set _ZL32rocblas_gemvt_warp_reduce_kernelILb0ELi1024EiPK16rocblas_bfloat16fKPfEviiT3_lPKT2_lT1_lS8_lS9_lS5_lPT4_lS9_li.uses_vcc, 1
	.set _ZL32rocblas_gemvt_warp_reduce_kernelILb0ELi1024EiPK16rocblas_bfloat16fKPfEviiT3_lPKT2_lT1_lS8_lS9_lS5_lPT4_lS9_li.uses_flat_scratch, 0
	.set _ZL32rocblas_gemvt_warp_reduce_kernelILb0ELi1024EiPK16rocblas_bfloat16fKPfEviiT3_lPKT2_lT1_lS8_lS9_lS5_lPT4_lS9_li.has_dyn_sized_stack, 0
	.set _ZL32rocblas_gemvt_warp_reduce_kernelILb0ELi1024EiPK16rocblas_bfloat16fKPfEviiT3_lPKT2_lT1_lS8_lS9_lS5_lPT4_lS9_li.has_recursion, 0
	.set _ZL32rocblas_gemvt_warp_reduce_kernelILb0ELi1024EiPK16rocblas_bfloat16fKPfEviiT3_lPKT2_lT1_lS8_lS9_lS5_lPT4_lS9_li.has_indirect_call, 0
	.section	.AMDGPU.csdata,"",@progbits
; Kernel info:
; codeLenInByte = 1544
; TotalNumSgprs: 22
; NumVgprs: 12
; ScratchSize: 0
; MemoryBound: 0
; FloatMode: 240
; IeeeMode: 1
; LDSByteSize: 128 bytes/workgroup (compile time only)
; SGPRBlocks: 0
; VGPRBlocks: 1
; NumSGPRsForWavesPerEU: 22
; NumVGPRsForWavesPerEU: 12
; Occupancy: 16
; WaveLimiterHint : 1
; COMPUTE_PGM_RSRC2:SCRATCH_EN: 0
; COMPUTE_PGM_RSRC2:USER_SGPR: 6
; COMPUTE_PGM_RSRC2:TRAP_HANDLER: 0
; COMPUTE_PGM_RSRC2:TGID_X_EN: 1
; COMPUTE_PGM_RSRC2:TGID_Y_EN: 0
; COMPUTE_PGM_RSRC2:TGID_Z_EN: 1
; COMPUTE_PGM_RSRC2:TIDIG_COMP_CNT: 0
	.section	.text._ZL32rocblas_gemvt_warp_reduce_kernelILb0ELi1024ElPK16rocblas_bfloat16fKPfEviiT3_lPKT2_lT1_lS8_lS9_lS5_lPT4_lS9_li,"axG",@progbits,_ZL32rocblas_gemvt_warp_reduce_kernelILb0ELi1024ElPK16rocblas_bfloat16fKPfEviiT3_lPKT2_lT1_lS8_lS9_lS5_lPT4_lS9_li,comdat
	.globl	_ZL32rocblas_gemvt_warp_reduce_kernelILb0ELi1024ElPK16rocblas_bfloat16fKPfEviiT3_lPKT2_lT1_lS8_lS9_lS5_lPT4_lS9_li ; -- Begin function _ZL32rocblas_gemvt_warp_reduce_kernelILb0ELi1024ElPK16rocblas_bfloat16fKPfEviiT3_lPKT2_lT1_lS8_lS9_lS5_lPT4_lS9_li
	.p2align	8
	.type	_ZL32rocblas_gemvt_warp_reduce_kernelILb0ELi1024ElPK16rocblas_bfloat16fKPfEviiT3_lPKT2_lT1_lS8_lS9_lS5_lPT4_lS9_li,@function
_ZL32rocblas_gemvt_warp_reduce_kernelILb0ELi1024ElPK16rocblas_bfloat16fKPfEviiT3_lPKT2_lT1_lS8_lS9_lS5_lPT4_lS9_li: ; @_ZL32rocblas_gemvt_warp_reduce_kernelILb0ELi1024ElPK16rocblas_bfloat16fKPfEviiT3_lPKT2_lT1_lS8_lS9_lS5_lPT4_lS9_li
; %bb.0:
	s_mov_b32 s10, s7
	s_clause 0x1
	s_load_dword s18, s[4:5], 0x8
	s_load_dword s7, s[4:5], 0x58
	s_mov_b32 s11, 0
	s_waitcnt lgkmcnt(0)
	v_cmp_eq_f32_e64 s20, s18, 0
	v_cmp_eq_f32_e64 s0, s7, 1.0
	s_and_b32 s0, s20, s0
	s_and_b32 vcc_lo, exec_lo, s0
	s_cbranch_vccnz .LBB687_43
; %bb.1:
	s_clause 0x1
	s_load_dwordx4 s[0:3], s[4:5], 0x18
	s_load_dwordx2 s[12:13], s[4:5], 0x28
	v_cmp_neq_f32_e64 s19, s18, 0
	s_and_b32 vcc_lo, exec_lo, s19
	s_cbranch_vccnz .LBB687_3
; %bb.2:
	s_mov_b32 s17, 0
	s_mov_b32 s16, s10
	;; [unrolled: 1-line block ×3, first 2 shown]
	s_mov_b64 s[8:9], 0
	s_andn2_b32 vcc_lo, exec_lo, s14
	s_mov_b64 s[14:15], 0
	s_cbranch_vccz .LBB687_4
	s_branch .LBB687_5
.LBB687_3:
	s_mov_b64 s[16:17], s[10:11]
	s_mov_b64 s[8:9], 0
	;; [unrolled: 1-line block ×3, first 2 shown]
.LBB687_4:
	s_lshl_b64 s[10:11], s[10:11], 3
	s_waitcnt lgkmcnt(0)
	s_add_u32 s0, s0, s10
	s_addc_u32 s1, s1, s11
	s_lshl_b64 s[2:3], s[2:3], 1
	s_load_dwordx2 s[0:1], s[0:1], 0x0
	s_waitcnt lgkmcnt(0)
	s_add_u32 s14, s0, s2
	s_addc_u32 s15, s1, s3
.LBB687_5:
	s_waitcnt lgkmcnt(0)
	s_clause 0x1
	s_load_dwordx4 s[0:3], s[4:5], 0x38
	s_load_dwordx2 s[10:11], s[4:5], 0x48
	s_andn2_b32 vcc_lo, exec_lo, s19
	s_cbranch_vccnz .LBB687_7
; %bb.6:
	s_lshl_b64 s[8:9], s[16:17], 3
	s_waitcnt lgkmcnt(0)
	s_add_u32 s0, s0, s8
	s_addc_u32 s1, s1, s9
	s_lshl_b64 s[2:3], s[2:3], 1
	s_load_dwordx2 s[0:1], s[0:1], 0x0
	s_waitcnt lgkmcnt(0)
	s_add_u32 s8, s0, s2
	s_addc_u32 s9, s1, s3
.LBB687_7:
	s_load_dwordx4 s[24:27], s[4:5], 0x68
	s_waitcnt lgkmcnt(0)
	s_load_dwordx2 s[2:3], s[4:5], 0x78
	s_lshl_b64 s[0:1], s[16:17], 3
	s_add_u32 s0, s24, s0
	s_addc_u32 s1, s25, s1
	s_lshl_b64 s[22:23], s[26:27], 2
	s_load_dwordx2 s[16:17], s[0:1], 0x0
	v_cmp_eq_u32_e64 s0, 0, v0
	s_waitcnt lgkmcnt(0)
	s_add_u32 s1, s16, s22
	s_addc_u32 s19, s17, s23
	s_andn2_b32 vcc_lo, exec_lo, s20
	s_cbranch_vccnz .LBB687_12
; %bb.8:
	s_mov_b32 s21, 0
	s_mov_b32 s20, 0
                                        ; implicit-def: $vgpr1
                                        ; implicit-def: $sgpr16_sgpr17
	s_and_saveexec_b32 s22, s0
	s_cbranch_execz .LBB687_13
; %bb.9:
	s_ashr_i32 s0, s6, 31
	v_cmp_eq_f32_e64 s20, s7, 0
	s_mul_hi_u32 s16, s2, s6
	s_mul_i32 s0, s2, s0
	v_mov_b32_e32 v1, 0
	s_add_i32 s0, s16, s0
	s_mul_i32 s16, s3, s6
	s_and_b32 vcc_lo, exec_lo, s20
	s_add_i32 s17, s0, s16
	s_mul_i32 s16, s2, s6
	s_cbranch_vccnz .LBB687_11
; %bb.10:
	s_lshl_b64 s[24:25], s[16:17], 2
	s_add_u32 s24, s1, s24
	s_addc_u32 s25, s19, s25
	v_mov_b32_e32 v1, s24
	v_mov_b32_e32 v2, s25
	flat_load_dword v1, v[1:2]
	s_waitcnt vmcnt(0) lgkmcnt(0)
	v_mul_f32_e32 v1, s7, v1
.LBB687_11:
	s_mov_b32 s20, exec_lo
	s_or_b32 exec_lo, exec_lo, s22
	s_and_b32 vcc_lo, exec_lo, s21
	s_cbranch_vccnz .LBB687_14
	s_branch .LBB687_41
.LBB687_12:
	s_mov_b32 s20, 0
                                        ; implicit-def: $vgpr1
                                        ; implicit-def: $sgpr16_sgpr17
	s_cbranch_execnz .LBB687_14
	s_branch .LBB687_41
.LBB687_13:
	s_or_b32 exec_lo, exec_lo, s22
	s_and_b32 vcc_lo, exec_lo, s21
	s_cbranch_vccz .LBB687_41
.LBB687_14:
	s_load_dword s5, s[4:5], 0x0
	s_ashr_i32 s21, s6, 31
	s_mul_hi_u32 s0, s12, s6
	s_mul_i32 s4, s13, s6
	s_mul_i32 s13, s12, s21
	;; [unrolled: 1-line block ×3, first 2 shown]
	s_add_i32 s0, s0, s13
	v_mov_b32_e32 v7, 0
	s_add_i32 s13, s0, s4
	s_lshl_b64 s[12:13], s[12:13], 1
	s_waitcnt lgkmcnt(0)
	v_cmp_gt_i32_e32 vcc_lo, s5, v0
	s_ashr_i32 s0, s5, 31
	s_lshr_b32 s0, s0, 22
	s_add_i32 s0, s5, s0
	v_cndmask_b32_e32 v1, 0, v0, vcc_lo
	v_lshlrev_b32_e32 v1, 1, v1
	v_add_co_u32 v1, s4, s14, v1
	v_add_co_ci_u32_e64 v2, null, s15, 0, s4
	s_and_b32 s4, s0, 0xfffffc00
	v_add_co_u32 v1, vcc_lo, v1, s12
	v_add_co_ci_u32_e64 v2, null, s13, v2, vcc_lo
	s_mov_b32 s15, 0
	s_mov_b32 s14, exec_lo
	v_cmpx_gt_i32_e64 s4, v0
	s_cbranch_execz .LBB687_22
; %bb.15:
	v_mad_u64_u32 v[3:4], null, s10, v0, 0
	v_mov_b32_e32 v8, 0
	v_mov_b32_e32 v9, v0
	;; [unrolled: 1-line block ×3, first 2 shown]
	s_lshl_b64 s[12:13], s[10:11], 11
	v_mad_u64_u32 v[4:5], null, s11, v0, v[4:5]
	v_lshlrev_b64 v[5:6], 1, v[3:4]
	v_mov_b32_e32 v4, v2
	v_mov_b32_e32 v3, v1
	v_add_co_u32 v5, vcc_lo, s8, v5
	v_add_co_ci_u32_e64 v6, null, s9, v6, vcc_lo
	s_inst_prefetch 0x1
	s_branch .LBB687_17
	.p2align	6
.LBB687_16:                             ;   in Loop: Header=BB687_17 Depth=1
	s_or_b32 exec_lo, exec_lo, s0
	v_add_nc_u32_e32 v9, 0x400, v9
	v_and_b32_e32 v10, 0xffff0000, v11
	v_add_co_u32 v3, vcc_lo, 0x800, v3
	v_add_co_ci_u32_e64 v4, null, 0, v4, vcc_lo
	v_cmp_le_i32_e32 vcc_lo, s4, v9
	v_add_co_u32 v5, s0, v5, s12
	v_add_f32_e32 v7, v7, v10
	v_add_co_ci_u32_e64 v6, null, s13, v6, s0
	s_or_b32 s15, vcc_lo, s15
	s_andn2_b32 exec_lo, exec_lo, s15
	s_cbranch_execz .LBB687_21
.LBB687_17:                             ; =>This Inner Loop Header: Depth=1
	flat_load_ushort v10, v[5:6]
	flat_load_ushort v11, v[3:4]
	s_waitcnt vmcnt(1) lgkmcnt(1)
	v_lshlrev_b32_e32 v10, 16, v10
	s_waitcnt vmcnt(0) lgkmcnt(0)
	v_lshlrev_b32_e32 v11, 16, v11
	v_mul_f32_e32 v10, v11, v10
	v_and_b32_e32 v11, 0x7f800000, v10
	v_cmp_ne_u32_e32 vcc_lo, 0x7f800000, v11
                                        ; implicit-def: $vgpr11
	s_and_saveexec_b32 s0, vcc_lo
	s_xor_b32 s0, exec_lo, s0
; %bb.18:                               ;   in Loop: Header=BB687_17 Depth=1
	v_bfe_u32 v11, v10, 16, 1
	v_add3_u32 v11, v10, v11, 0x7fff
                                        ; implicit-def: $vgpr10
; %bb.19:                               ;   in Loop: Header=BB687_17 Depth=1
	s_andn2_saveexec_b32 s0, s0
	s_cbranch_execz .LBB687_16
; %bb.20:                               ;   in Loop: Header=BB687_17 Depth=1
	v_or_b32_e32 v11, 0x10000, v10
	v_cmp_eq_u32_sdwa vcc_lo, v10, v8 src0_sel:WORD_0 src1_sel:DWORD
	v_cndmask_b32_e32 v11, v11, v10, vcc_lo
	s_branch .LBB687_16
.LBB687_21:
	s_inst_prefetch 0x2
	s_or_b32 exec_lo, exec_lo, s15
.LBB687_22:
	s_or_b32 exec_lo, exec_lo, s14
	v_or_b32_e32 v3, s4, v0
	s_mov_b32 s0, exec_lo
	v_cmpx_gt_i32_e64 s5, v3
	s_cbranch_execz .LBB687_28
; %bb.23:
	v_ashrrev_i32_e32 v5, 31, v3
	v_mul_lo_u32 v6, s11, v3
	v_mad_u64_u32 v[3:4], null, s10, v3, 0
	s_ashr_i32 s5, s4, 31
	v_mul_lo_u32 v5, s10, v5
	s_lshl_b64 s[4:5], s[4:5], 1
	v_add3_u32 v4, v4, v5, v6
	v_lshlrev_b64 v[3:4], 1, v[3:4]
	v_add_co_u32 v3, vcc_lo, s8, v3
	v_add_co_ci_u32_e64 v4, null, s9, v4, vcc_lo
	v_add_co_u32 v1, vcc_lo, v1, s4
	v_add_co_ci_u32_e64 v2, null, s5, v2, vcc_lo
	flat_load_ushort v3, v[3:4]
	flat_load_ushort v1, v[1:2]
	s_waitcnt vmcnt(1) lgkmcnt(1)
	v_lshlrev_b32_e32 v2, 16, v3
	s_waitcnt vmcnt(0) lgkmcnt(0)
	v_lshlrev_b32_e32 v1, 16, v1
	v_mul_f32_e32 v1, v1, v2
	v_and_b32_e32 v2, 0x7f800000, v1
	v_cmp_ne_u32_e32 vcc_lo, 0x7f800000, v2
                                        ; implicit-def: $vgpr2
	s_and_saveexec_b32 s4, vcc_lo
	s_xor_b32 s4, exec_lo, s4
; %bb.24:
	v_bfe_u32 v2, v1, 16, 1
	v_add3_u32 v2, v1, v2, 0x7fff
                                        ; implicit-def: $vgpr1
; %bb.25:
	s_andn2_saveexec_b32 s4, s4
; %bb.26:
	v_mov_b32_e32 v2, 0
	v_or_b32_e32 v3, 0x10000, v1
	v_cmp_eq_u32_sdwa vcc_lo, v1, v2 src0_sel:WORD_0 src1_sel:DWORD
	v_cndmask_b32_e32 v2, v3, v1, vcc_lo
; %bb.27:
	s_or_b32 exec_lo, exec_lo, s4
	v_and_b32_e32 v1, 0xffff0000, v2
	v_add_f32_e32 v7, v7, v1
.LBB687_28:
	s_or_b32 exec_lo, exec_lo, s0
	v_and_b32_e32 v8, 31, v0
	v_cmp_gt_u32_e32 vcc_lo, 32, v0
	v_lshlrev_b32_e32 v1, 2, v8
	s_and_saveexec_b32 s0, vcc_lo
; %bb.29:
	v_mov_b32_e32 v2, 0
	ds_write_b32 v1, v2
; %bb.30:
	s_or_b32 exec_lo, exec_lo, s0
	v_mbcnt_lo_u32_b32 v6, -1, 0
	s_mov_b32 s4, exec_lo
	s_waitcnt lgkmcnt(0)
	s_barrier
	buffer_gl0_inv
	v_lshl_or_b32 v2, v6, 2, 64
	v_cmp_gt_u32_e64 s0, 24, v6
	ds_bpermute_b32 v4, v2, v7
	v_cndmask_b32_e64 v3, 0, 8, s0
	v_cmp_gt_u32_e64 s0, 28, v6
	v_add_lshl_u32 v3, v3, v6, 2
	s_waitcnt lgkmcnt(0)
	v_add_f32_e32 v5, v7, v4
	v_cndmask_b32_e64 v4, 0, 4, s0
	v_cmp_gt_u32_e64 s0, 30, v6
	ds_bpermute_b32 v7, v3, v5
	v_add_lshl_u32 v4, v4, v6, 2
	s_waitcnt lgkmcnt(0)
	v_add_f32_e32 v7, v5, v7
	v_cndmask_b32_e64 v5, 0, 2, s0
	v_cmp_ne_u32_e64 s0, 31, v6
	ds_bpermute_b32 v9, v4, v7
	v_add_lshl_u32 v5, v5, v6, 2
	v_add_co_ci_u32_e64 v6, null, 0, v6, s0
	v_lshlrev_b32_e32 v6, 2, v6
	s_waitcnt lgkmcnt(0)
	v_add_f32_e32 v7, v7, v9
	ds_bpermute_b32 v9, v5, v7
	s_waitcnt lgkmcnt(0)
	v_add_f32_e32 v7, v7, v9
	ds_bpermute_b32 v9, v6, v7
	v_cmpx_eq_u32_e32 0, v8
	s_cbranch_execz .LBB687_32
; %bb.31:
	v_lshrrev_b32_e32 v8, 3, v0
	s_waitcnt lgkmcnt(0)
	v_add_f32_e32 v7, v7, v9
	v_and_b32_e32 v8, 0x7c, v8
	ds_write_b32 v8, v7
.LBB687_32:
	s_or_b32 exec_lo, exec_lo, s4
	v_mov_b32_e32 v7, 0
	s_waitcnt lgkmcnt(0)
	s_barrier
	buffer_gl0_inv
	s_and_saveexec_b32 s0, vcc_lo
; %bb.33:
	ds_read_b32 v7, v1
; %bb.34:
	s_or_b32 exec_lo, exec_lo, s0
	s_and_saveexec_b32 s0, vcc_lo
	s_cbranch_execz .LBB687_36
; %bb.35:
	s_waitcnt lgkmcnt(0)
	ds_bpermute_b32 v1, v2, v7
	s_waitcnt lgkmcnt(0)
	v_add_f32_e32 v1, v7, v1
	ds_bpermute_b32 v2, v3, v1
	s_waitcnt lgkmcnt(0)
	v_add_f32_e32 v1, v1, v2
	;; [unrolled: 3-line block ×5, first 2 shown]
.LBB687_36:
	s_or_b32 exec_lo, exec_lo, s0
	s_mov_b32 s0, exec_lo
                                        ; implicit-def: $vgpr1
                                        ; implicit-def: $sgpr16_sgpr17
	v_cmpx_eq_u32_e32 0, v0
	s_cbranch_execz .LBB687_40
; %bb.37:
	v_cmp_eq_f32_e64 s8, s7, 0
	s_mul_i32 s4, s2, s21
	s_mul_hi_u32 s5, s2, s6
	s_waitcnt lgkmcnt(0)
	v_mul_f32_e32 v1, s18, v7
	s_add_i32 s4, s5, s4
	s_mul_i32 s3, s3, s6
	s_and_b32 vcc_lo, exec_lo, s8
	s_add_i32 s17, s4, s3
	s_mul_i32 s16, s2, s6
	s_cbranch_vccnz .LBB687_39
; %bb.38:
	s_lshl_b64 s[2:3], s[16:17], 2
	s_add_u32 s2, s1, s2
	s_addc_u32 s3, s19, s3
	v_mov_b32_e32 v2, s2
	v_mov_b32_e32 v3, s3
	flat_load_dword v0, v[2:3]
	s_waitcnt vmcnt(0) lgkmcnt(0)
	v_fmac_f32_e32 v1, s7, v0
.LBB687_39:
	s_or_b32 s20, s20, exec_lo
.LBB687_40:
	s_or_b32 exec_lo, exec_lo, s0
.LBB687_41:
	s_and_saveexec_b32 s0, s20
	s_cbranch_execz .LBB687_43
; %bb.42:
	s_lshl_b64 s[2:3], s[16:17], 2
	s_add_u32 s0, s1, s2
	s_addc_u32 s1, s19, s3
	v_mov_b32_e32 v3, s1
	v_mov_b32_e32 v2, s0
	flat_store_dword v[2:3], v1
.LBB687_43:
	s_endpgm
	.section	.rodata,"a",@progbits
	.p2align	6, 0x0
	.amdhsa_kernel _ZL32rocblas_gemvt_warp_reduce_kernelILb0ELi1024ElPK16rocblas_bfloat16fKPfEviiT3_lPKT2_lT1_lS8_lS9_lS5_lPT4_lS9_li
		.amdhsa_group_segment_fixed_size 128
		.amdhsa_private_segment_fixed_size 0
		.amdhsa_kernarg_size 140
		.amdhsa_user_sgpr_count 6
		.amdhsa_user_sgpr_private_segment_buffer 1
		.amdhsa_user_sgpr_dispatch_ptr 0
		.amdhsa_user_sgpr_queue_ptr 0
		.amdhsa_user_sgpr_kernarg_segment_ptr 1
		.amdhsa_user_sgpr_dispatch_id 0
		.amdhsa_user_sgpr_flat_scratch_init 0
		.amdhsa_user_sgpr_private_segment_size 0
		.amdhsa_wavefront_size32 1
		.amdhsa_uses_dynamic_stack 0
		.amdhsa_system_sgpr_private_segment_wavefront_offset 0
		.amdhsa_system_sgpr_workgroup_id_x 1
		.amdhsa_system_sgpr_workgroup_id_y 0
		.amdhsa_system_sgpr_workgroup_id_z 1
		.amdhsa_system_sgpr_workgroup_info 0
		.amdhsa_system_vgpr_workitem_id 0
		.amdhsa_next_free_vgpr 12
		.amdhsa_next_free_sgpr 28
		.amdhsa_reserve_vcc 1
		.amdhsa_reserve_flat_scratch 0
		.amdhsa_float_round_mode_32 0
		.amdhsa_float_round_mode_16_64 0
		.amdhsa_float_denorm_mode_32 3
		.amdhsa_float_denorm_mode_16_64 3
		.amdhsa_dx10_clamp 1
		.amdhsa_ieee_mode 1
		.amdhsa_fp16_overflow 0
		.amdhsa_workgroup_processor_mode 1
		.amdhsa_memory_ordered 1
		.amdhsa_forward_progress 1
		.amdhsa_shared_vgpr_count 0
		.amdhsa_exception_fp_ieee_invalid_op 0
		.amdhsa_exception_fp_denorm_src 0
		.amdhsa_exception_fp_ieee_div_zero 0
		.amdhsa_exception_fp_ieee_overflow 0
		.amdhsa_exception_fp_ieee_underflow 0
		.amdhsa_exception_fp_ieee_inexact 0
		.amdhsa_exception_int_div_zero 0
	.end_amdhsa_kernel
	.section	.text._ZL32rocblas_gemvt_warp_reduce_kernelILb0ELi1024ElPK16rocblas_bfloat16fKPfEviiT3_lPKT2_lT1_lS8_lS9_lS5_lPT4_lS9_li,"axG",@progbits,_ZL32rocblas_gemvt_warp_reduce_kernelILb0ELi1024ElPK16rocblas_bfloat16fKPfEviiT3_lPKT2_lT1_lS8_lS9_lS5_lPT4_lS9_li,comdat
.Lfunc_end687:
	.size	_ZL32rocblas_gemvt_warp_reduce_kernelILb0ELi1024ElPK16rocblas_bfloat16fKPfEviiT3_lPKT2_lT1_lS8_lS9_lS5_lPT4_lS9_li, .Lfunc_end687-_ZL32rocblas_gemvt_warp_reduce_kernelILb0ELi1024ElPK16rocblas_bfloat16fKPfEviiT3_lPKT2_lT1_lS8_lS9_lS5_lPT4_lS9_li
                                        ; -- End function
	.set _ZL32rocblas_gemvt_warp_reduce_kernelILb0ELi1024ElPK16rocblas_bfloat16fKPfEviiT3_lPKT2_lT1_lS8_lS9_lS5_lPT4_lS9_li.num_vgpr, 12
	.set _ZL32rocblas_gemvt_warp_reduce_kernelILb0ELi1024ElPK16rocblas_bfloat16fKPfEviiT3_lPKT2_lT1_lS8_lS9_lS5_lPT4_lS9_li.num_agpr, 0
	.set _ZL32rocblas_gemvt_warp_reduce_kernelILb0ELi1024ElPK16rocblas_bfloat16fKPfEviiT3_lPKT2_lT1_lS8_lS9_lS5_lPT4_lS9_li.numbered_sgpr, 28
	.set _ZL32rocblas_gemvt_warp_reduce_kernelILb0ELi1024ElPK16rocblas_bfloat16fKPfEviiT3_lPKT2_lT1_lS8_lS9_lS5_lPT4_lS9_li.num_named_barrier, 0
	.set _ZL32rocblas_gemvt_warp_reduce_kernelILb0ELi1024ElPK16rocblas_bfloat16fKPfEviiT3_lPKT2_lT1_lS8_lS9_lS5_lPT4_lS9_li.private_seg_size, 0
	.set _ZL32rocblas_gemvt_warp_reduce_kernelILb0ELi1024ElPK16rocblas_bfloat16fKPfEviiT3_lPKT2_lT1_lS8_lS9_lS5_lPT4_lS9_li.uses_vcc, 1
	.set _ZL32rocblas_gemvt_warp_reduce_kernelILb0ELi1024ElPK16rocblas_bfloat16fKPfEviiT3_lPKT2_lT1_lS8_lS9_lS5_lPT4_lS9_li.uses_flat_scratch, 0
	.set _ZL32rocblas_gemvt_warp_reduce_kernelILb0ELi1024ElPK16rocblas_bfloat16fKPfEviiT3_lPKT2_lT1_lS8_lS9_lS5_lPT4_lS9_li.has_dyn_sized_stack, 0
	.set _ZL32rocblas_gemvt_warp_reduce_kernelILb0ELi1024ElPK16rocblas_bfloat16fKPfEviiT3_lPKT2_lT1_lS8_lS9_lS5_lPT4_lS9_li.has_recursion, 0
	.set _ZL32rocblas_gemvt_warp_reduce_kernelILb0ELi1024ElPK16rocblas_bfloat16fKPfEviiT3_lPKT2_lT1_lS8_lS9_lS5_lPT4_lS9_li.has_indirect_call, 0
	.section	.AMDGPU.csdata,"",@progbits
; Kernel info:
; codeLenInByte = 1684
; TotalNumSgprs: 30
; NumVgprs: 12
; ScratchSize: 0
; MemoryBound: 0
; FloatMode: 240
; IeeeMode: 1
; LDSByteSize: 128 bytes/workgroup (compile time only)
; SGPRBlocks: 0
; VGPRBlocks: 1
; NumSGPRsForWavesPerEU: 30
; NumVGPRsForWavesPerEU: 12
; Occupancy: 16
; WaveLimiterHint : 1
; COMPUTE_PGM_RSRC2:SCRATCH_EN: 0
; COMPUTE_PGM_RSRC2:USER_SGPR: 6
; COMPUTE_PGM_RSRC2:TRAP_HANDLER: 0
; COMPUTE_PGM_RSRC2:TGID_X_EN: 1
; COMPUTE_PGM_RSRC2:TGID_Y_EN: 0
; COMPUTE_PGM_RSRC2:TGID_Z_EN: 1
; COMPUTE_PGM_RSRC2:TIDIG_COMP_CNT: 0
	.section	.text._ZL22rocblas_gemvtsm_kernelILb1ELi256EPK16rocblas_bfloat16PKfKPfEviiT2_lPKT1_lilSA_lilS7_lPT3_lil,"axG",@progbits,_ZL22rocblas_gemvtsm_kernelILb1ELi256EPK16rocblas_bfloat16PKfKPfEviiT2_lPKT1_lilSA_lilS7_lPT3_lil,comdat
	.globl	_ZL22rocblas_gemvtsm_kernelILb1ELi256EPK16rocblas_bfloat16PKfKPfEviiT2_lPKT1_lilSA_lilS7_lPT3_lil ; -- Begin function _ZL22rocblas_gemvtsm_kernelILb1ELi256EPK16rocblas_bfloat16PKfKPfEviiT2_lPKT1_lilSA_lilS7_lPT3_lil
	.p2align	8
	.type	_ZL22rocblas_gemvtsm_kernelILb1ELi256EPK16rocblas_bfloat16PKfKPfEviiT2_lPKT1_lilSA_lilS7_lPT3_lil,@function
_ZL22rocblas_gemvtsm_kernelILb1ELi256EPK16rocblas_bfloat16PKfKPfEviiT2_lPKT1_lilSA_lilS7_lPT3_lil: ; @_ZL22rocblas_gemvtsm_kernelILb1ELi256EPK16rocblas_bfloat16PKfKPfEviiT2_lPKT1_lilSA_lilS7_lPT3_lil
; %bb.0:
	s_clause 0x1
	s_load_dwordx8 s[16:23], s[4:5], 0x8
	s_load_dwordx8 s[8:15], s[4:5], 0x58
	s_mov_b32 s7, 0
	s_waitcnt lgkmcnt(0)
	s_mul_i32 s1, s19, s6
	s_mul_hi_u32 s2, s18, s6
	s_mul_i32 s0, s18, s6
	s_add_i32 s1, s2, s1
	s_mul_i32 s2, s11, s6
	s_lshl_b64 s[0:1], s[0:1], 2
	s_mul_hi_u32 s3, s10, s6
	s_add_u32 s0, s16, s0
	s_addc_u32 s1, s17, s1
	s_add_i32 s3, s3, s2
	s_mul_i32 s2, s10, s6
	s_lshl_b64 s[2:3], s[2:3], 2
	s_add_u32 s2, s8, s2
	s_addc_u32 s3, s9, s3
	s_load_dword s19, s[0:1], 0x0
	s_load_dword s18, s[2:3], 0x0
	s_waitcnt lgkmcnt(0)
	v_cmp_eq_f32_e64 s0, s19, 0
	v_cmp_eq_f32_e64 s1, s18, 1.0
	s_and_b32 s1, s0, s1
	s_and_b32 vcc_lo, exec_lo, s1
	s_cbranch_vccnz .LBB688_62
; %bb.1:
	v_cmp_neq_f32_e64 s1, s19, 0
	s_mov_b64 s[16:17], 0
	s_and_b32 vcc_lo, exec_lo, s0
	s_mov_b64 s[8:9], 0
	s_cbranch_vccnz .LBB688_3
; %bb.2:
	s_lshl_b64 s[2:3], s[6:7], 3
	s_add_u32 s2, s20, s2
	s_addc_u32 s3, s21, s3
	s_lshl_b64 s[8:9], s[22:23], 1
	s_load_dwordx2 s[2:3], s[2:3], 0x0
	s_waitcnt lgkmcnt(0)
	s_add_u32 s8, s2, s8
	s_addc_u32 s9, s3, s9
.LBB688_3:
	s_andn2_b32 vcc_lo, exec_lo, s1
	s_cbranch_vccnz .LBB688_5
; %bb.4:
	s_load_dwordx4 s[20:23], s[4:5], 0x38
	s_lshl_b64 s[2:3], s[6:7], 3
	s_waitcnt lgkmcnt(0)
	s_add_u32 s2, s20, s2
	s_addc_u32 s3, s21, s3
	s_lshl_b64 s[10:11], s[22:23], 1
	s_load_dwordx2 s[2:3], s[2:3], 0x0
	s_waitcnt lgkmcnt(0)
	s_add_u32 s16, s2, s10
	s_addc_u32 s17, s3, s11
.LBB688_5:
	s_lshl_b64 s[2:3], s[6:7], 3
	s_add_u32 s10, s12, s2
	s_addc_u32 s11, s13, s3
	s_clause 0x1
	s_load_dwordx2 s[2:3], s[4:5], 0x0
	s_load_dword s6, s[4:5], 0x78
	s_load_dwordx2 s[10:11], s[10:11], 0x0
	s_andn2_b32 vcc_lo, exec_lo, s0
	s_mov_b32 s0, -1
	s_cbranch_vccnz .LBB688_20
; %bb.6:
	s_waitcnt lgkmcnt(0)
	s_cmp_gt_i32 s3, 0
	v_cmp_neq_f32_e64 s0, s18, 0
	s_cselect_b32 s12, -1, 0
	v_cndmask_b32_e64 v1, 0, 1, s12
	s_and_b32 vcc_lo, exec_lo, s0
	v_cmp_ne_u32_e64 s0, 1, v1
	s_cbranch_vccnz .LBB688_13
; %bb.7:
	s_and_b32 vcc_lo, exec_lo, s0
	s_cbranch_vccnz .LBB688_12
; %bb.8:
	v_mad_i64_i32 v[1:2], null, s6, v0, 0
	s_lshl_b64 s[0:1], s[14:15], 2
	s_ashr_i32 s7, s6, 31
	s_add_u32 s0, s10, s0
	s_addc_u32 s1, s11, s1
	v_mov_b32_e32 v3, 0
	v_lshlrev_b64 v[1:2], 2, v[1:2]
	v_add_co_u32 v1, vcc_lo, s0, v1
	v_add_co_ci_u32_e64 v2, null, s1, v2, vcc_lo
	s_lshl_b64 s[0:1], s[6:7], 10
	s_mov_b32 s7, 0
	s_branch .LBB688_10
.LBB688_9:                              ;   in Loop: Header=BB688_10 Depth=1
	s_or_b32 exec_lo, exec_lo, s13
	v_add_co_u32 v1, vcc_lo, v1, s0
	v_add_co_ci_u32_e64 v2, null, s1, v2, vcc_lo
	s_addk_i32 s7, 0x100
	s_cmp_ge_i32 s7, s3
	s_cbranch_scc1 .LBB688_12
.LBB688_10:                             ; =>This Inner Loop Header: Depth=1
	v_add_nc_u32_e32 v4, s7, v0
	s_mov_b32 s13, exec_lo
	v_cmpx_gt_i32_e64 s3, v4
	s_cbranch_execz .LBB688_9
; %bb.11:                               ;   in Loop: Header=BB688_10 Depth=1
	flat_store_dword v[1:2], v3
	s_branch .LBB688_9
.LBB688_12:
	s_cbranch_execz .LBB688_14
	s_branch .LBB688_19
.LBB688_13:
.LBB688_14:
	s_andn2_b32 vcc_lo, exec_lo, s12
	s_cbranch_vccnz .LBB688_19
; %bb.15:
	v_mad_i64_i32 v[1:2], null, s6, v0, 0
	s_lshl_b64 s[0:1], s[14:15], 2
	s_ashr_i32 s7, s6, 31
	s_add_u32 s0, s10, s0
	s_addc_u32 s1, s11, s1
	v_lshlrev_b64 v[1:2], 2, v[1:2]
	v_add_co_u32 v1, vcc_lo, s0, v1
	v_add_co_ci_u32_e64 v2, null, s1, v2, vcc_lo
	s_lshl_b64 s[0:1], s[6:7], 10
	s_mov_b32 s7, 0
	s_branch .LBB688_17
	.p2align	6
.LBB688_16:                             ;   in Loop: Header=BB688_17 Depth=1
	s_or_b32 exec_lo, exec_lo, s12
	v_add_co_u32 v1, vcc_lo, v1, s0
	v_add_co_ci_u32_e64 v2, null, s1, v2, vcc_lo
	s_addk_i32 s7, 0x100
	s_cmp_ge_i32 s7, s3
	s_cbranch_scc1 .LBB688_19
.LBB688_17:                             ; =>This Inner Loop Header: Depth=1
	v_add_nc_u32_e32 v3, s7, v0
	s_mov_b32 s12, exec_lo
	v_cmpx_gt_i32_e64 s3, v3
	s_cbranch_execz .LBB688_16
; %bb.18:                               ;   in Loop: Header=BB688_17 Depth=1
	flat_load_dword v3, v[1:2]
	s_waitcnt vmcnt(0) lgkmcnt(0)
	v_mul_f32_e32 v3, s18, v3
	flat_store_dword v[1:2], v3
	s_branch .LBB688_16
.LBB688_19:
	s_mov_b32 s0, 0
.LBB688_20:
	s_andn2_b32 vcc_lo, exec_lo, s0
	s_cbranch_vccnz .LBB688_62
; %bb.21:
	s_mov_b32 s0, exec_lo
	s_waitcnt lgkmcnt(0)
	v_cmpx_gt_i32_e64 s2, v0
	s_cbranch_execz .LBB688_27
; %bb.22:
	s_load_dword s1, s[4:5], 0x48
	s_waitcnt lgkmcnt(0)
	v_mad_i64_i32 v[1:2], null, s1, v0, 0
	v_lshlrev_b64 v[1:2], 1, v[1:2]
	v_add_co_u32 v1, vcc_lo, s16, v1
	v_add_co_ci_u32_e64 v2, null, s17, v2, vcc_lo
	flat_load_ushort v1, v[1:2]
	s_waitcnt vmcnt(0) lgkmcnt(0)
	v_lshlrev_b32_e32 v1, 16, v1
	v_mul_f32_e32 v1, s19, v1
	v_and_b32_e32 v2, 0x7f800000, v1
	v_cmp_ne_u32_e32 vcc_lo, 0x7f800000, v2
                                        ; implicit-def: $vgpr2
	s_and_saveexec_b32 s1, vcc_lo
	s_xor_b32 s1, exec_lo, s1
; %bb.23:
	v_bfe_u32 v2, v1, 16, 1
	v_add3_u32 v2, v1, v2, 0x7fff
                                        ; implicit-def: $vgpr1
; %bb.24:
	s_andn2_saveexec_b32 s1, s1
; %bb.25:
	v_mov_b32_e32 v2, 0
	v_or_b32_e32 v3, 0x10000, v1
	v_cmp_eq_u32_sdwa vcc_lo, v1, v2 src0_sel:WORD_0 src1_sel:DWORD
	v_cndmask_b32_e32 v2, v3, v1, vcc_lo
; %bb.26:
	s_or_b32 exec_lo, exec_lo, s1
	v_and_b32_e32 v1, 0xffff0000, v2
	v_lshlrev_b32_e32 v2, 2, v0
	ds_write_b32 v2, v1
.LBB688_27:
	s_or_b32 exec_lo, exec_lo, s0
	s_cmp_lt_i32 s3, 1
	s_waitcnt lgkmcnt(0)
	s_waitcnt_vscnt null, 0x0
	s_barrier
	buffer_gl0_inv
	s_cbranch_scc1 .LBB688_62
; %bb.28:
	s_load_dword s0, s[4:5], 0x28
	s_lshl_b64 s[4:5], s[14:15], 2
	v_mov_b32_e32 v7, 0
	s_add_u32 s4, s10, s4
	s_addc_u32 s5, s11, s5
	s_ashr_i32 s7, s6, 31
	v_cmp_neq_f32_e64 s10, s18, 0
	s_waitcnt lgkmcnt(0)
	v_mad_i64_i32 v[1:2], null, s0, v0, 0
	s_ashr_i32 s1, s0, 31
	s_cmp_gt_i32 s2, 0
	s_cselect_b32 s11, -1, 0
	s_and_b32 s12, s2, 3
	s_cmp_gt_u32 s2, 3
	v_lshlrev_b64 v[1:2], 1, v[1:2]
	s_cselect_b32 s13, -1, 0
	s_and_b32 s2, s2, 0x7ffffffc
	s_cmp_lg_u32 s12, 0
	s_cselect_b32 s14, -1, 0
	v_add_co_u32 v1, vcc_lo, s8, v1
	v_add_co_ci_u32_e64 v2, null, s9, v2, vcc_lo
	s_mov_b32 s8, 0
	s_lshl_b64 s[0:1], s[0:1], 9
	s_branch .LBB688_31
.LBB688_29:                             ;   in Loop: Header=BB688_31 Depth=1
	s_inst_prefetch 0x2
	v_add_co_u32 v3, vcc_lo, s4, v3
	v_add_co_ci_u32_e64 v4, null, s5, v4, vcc_lo
	flat_store_dword v[3:4], v8
.LBB688_30:                             ;   in Loop: Header=BB688_31 Depth=1
	s_or_b32 exec_lo, exec_lo, s9
	v_add_co_u32 v1, vcc_lo, v1, s0
	v_add_co_ci_u32_e64 v2, null, s1, v2, vcc_lo
	s_addk_i32 s8, 0x100
	s_cmp_ge_i32 s8, s3
	s_cbranch_scc1 .LBB688_62
.LBB688_31:                             ; =>This Loop Header: Depth=1
                                        ;     Child Loop BB688_38 Depth 2
                                        ;     Child Loop BB688_58 Depth 2
	v_add_nc_u32_e32 v3, s8, v0
	s_mov_b32 s9, exec_lo
	v_cmpx_gt_i32_e64 s3, v3
	s_cbranch_execz .LBB688_30
; %bb.32:                               ;   in Loop: Header=BB688_31 Depth=1
	v_mad_u64_u32 v[4:5], null, v3, s6, 0
	s_andn2_b32 vcc_lo, exec_lo, s10
	v_mad_u64_u32 v[5:6], null, v3, s7, v[5:6]
	v_lshlrev_b64 v[3:4], 2, v[4:5]
	s_cbranch_vccnz .LBB688_34
; %bb.33:                               ;   in Loop: Header=BB688_31 Depth=1
	v_add_co_u32 v5, vcc_lo, s4, v3
	v_add_co_ci_u32_e64 v6, null, s5, v4, vcc_lo
	flat_load_dword v5, v[5:6]
	s_waitcnt vmcnt(0) lgkmcnt(0)
	v_mul_f32_e32 v8, s18, v5
	s_andn2_b32 vcc_lo, exec_lo, s11
	s_cbranch_vccz .LBB688_35
	s_branch .LBB688_29
.LBB688_34:                             ;   in Loop: Header=BB688_31 Depth=1
	v_mov_b32_e32 v8, 0
	s_andn2_b32 vcc_lo, exec_lo, s11
	s_cbranch_vccnz .LBB688_29
.LBB688_35:                             ;   in Loop: Header=BB688_31 Depth=1
	s_andn2_b32 vcc_lo, exec_lo, s13
	s_mov_b32 s15, 0
	s_cbranch_vccnz .LBB688_55
; %bb.36:                               ;   in Loop: Header=BB688_31 Depth=1
	v_mov_b32_e32 v6, v2
	v_mov_b32_e32 v5, v1
	s_mov_b32 s16, 0
	s_branch .LBB688_38
.LBB688_37:                             ;   in Loop: Header=BB688_38 Depth=2
	s_or_b32 exec_lo, exec_lo, s17
	v_and_b32_e32 v9, 0xffff0000, v9
	v_and_b32_e32 v10, 0xffff0000, v10
	v_add_co_u32 v5, vcc_lo, v5, 8
	v_add_co_ci_u32_e64 v6, null, 0, v6, vcc_lo
	v_add_f32_e32 v8, v8, v9
	v_and_b32_e32 v9, 0xffff0000, v11
	s_add_i32 s16, s16, 4
	s_add_i32 s15, s15, 16
	s_cmp_eq_u32 s2, s16
	v_add_f32_e32 v8, v8, v10
	v_and_b32_e32 v10, 0xffff0000, v12
	v_add_f32_e32 v8, v8, v9
	v_add_f32_e32 v8, v8, v10
	s_cbranch_scc1 .LBB688_54
.LBB688_38:                             ;   Parent Loop BB688_31 Depth=1
                                        ; =>  This Inner Loop Header: Depth=2
	flat_load_ushort v9, v[5:6]
	v_mov_b32_e32 v10, s15
	ds_read_b32 v10, v10
	s_waitcnt vmcnt(0) lgkmcnt(1)
	v_lshlrev_b32_e32 v9, 16, v9
	s_waitcnt lgkmcnt(0)
	v_mul_f32_e32 v10, v10, v9
	v_and_b32_e32 v9, 0x7f800000, v10
	v_cmp_ne_u32_e32 vcc_lo, 0x7f800000, v9
                                        ; implicit-def: $vgpr9
	s_and_saveexec_b32 s17, vcc_lo
	s_xor_b32 s17, exec_lo, s17
; %bb.39:                               ;   in Loop: Header=BB688_38 Depth=2
	v_bfe_u32 v9, v10, 16, 1
	v_add3_u32 v9, v10, v9, 0x7fff
                                        ; implicit-def: $vgpr10
; %bb.40:                               ;   in Loop: Header=BB688_38 Depth=2
	s_andn2_saveexec_b32 s17, s17
; %bb.41:                               ;   in Loop: Header=BB688_38 Depth=2
	v_or_b32_e32 v9, 0x10000, v10
	v_cmp_eq_u32_sdwa vcc_lo, v10, v7 src0_sel:WORD_0 src1_sel:DWORD
	v_cndmask_b32_e32 v9, v9, v10, vcc_lo
; %bb.42:                               ;   in Loop: Header=BB688_38 Depth=2
	s_or_b32 exec_lo, exec_lo, s17
	flat_load_ushort v10, v[5:6] offset:2
	v_mov_b32_e32 v11, s15
	ds_read_b32 v11, v11 offset:4
	s_waitcnt vmcnt(0) lgkmcnt(1)
	v_lshlrev_b32_e32 v10, 16, v10
	s_waitcnt lgkmcnt(0)
	v_mul_f32_e32 v11, v11, v10
	v_and_b32_e32 v10, 0x7f800000, v11
	v_cmp_ne_u32_e32 vcc_lo, 0x7f800000, v10
                                        ; implicit-def: $vgpr10
	s_and_saveexec_b32 s17, vcc_lo
	s_xor_b32 s17, exec_lo, s17
; %bb.43:                               ;   in Loop: Header=BB688_38 Depth=2
	v_bfe_u32 v10, v11, 16, 1
	v_add3_u32 v10, v11, v10, 0x7fff
                                        ; implicit-def: $vgpr11
; %bb.44:                               ;   in Loop: Header=BB688_38 Depth=2
	s_andn2_saveexec_b32 s17, s17
; %bb.45:                               ;   in Loop: Header=BB688_38 Depth=2
	v_or_b32_e32 v10, 0x10000, v11
	v_cmp_eq_u32_sdwa vcc_lo, v11, v7 src0_sel:WORD_0 src1_sel:DWORD
	v_cndmask_b32_e32 v10, v10, v11, vcc_lo
; %bb.46:                               ;   in Loop: Header=BB688_38 Depth=2
	s_or_b32 exec_lo, exec_lo, s17
	flat_load_ushort v11, v[5:6] offset:4
	v_mov_b32_e32 v12, s15
	ds_read_b32 v12, v12 offset:8
	s_waitcnt vmcnt(0) lgkmcnt(1)
	v_lshlrev_b32_e32 v11, 16, v11
	s_waitcnt lgkmcnt(0)
	v_mul_f32_e32 v12, v12, v11
	v_and_b32_e32 v11, 0x7f800000, v12
	v_cmp_ne_u32_e32 vcc_lo, 0x7f800000, v11
                                        ; implicit-def: $vgpr11
	s_and_saveexec_b32 s17, vcc_lo
	s_xor_b32 s17, exec_lo, s17
; %bb.47:                               ;   in Loop: Header=BB688_38 Depth=2
	v_bfe_u32 v11, v12, 16, 1
	v_add3_u32 v11, v12, v11, 0x7fff
                                        ; implicit-def: $vgpr12
; %bb.48:                               ;   in Loop: Header=BB688_38 Depth=2
	s_andn2_saveexec_b32 s17, s17
; %bb.49:                               ;   in Loop: Header=BB688_38 Depth=2
	v_or_b32_e32 v11, 0x10000, v12
	v_cmp_eq_u32_sdwa vcc_lo, v12, v7 src0_sel:WORD_0 src1_sel:DWORD
	v_cndmask_b32_e32 v11, v11, v12, vcc_lo
; %bb.50:                               ;   in Loop: Header=BB688_38 Depth=2
	s_or_b32 exec_lo, exec_lo, s17
	flat_load_ushort v12, v[5:6] offset:6
	v_mov_b32_e32 v13, s15
	ds_read_b32 v13, v13 offset:12
	s_waitcnt vmcnt(0) lgkmcnt(1)
	v_lshlrev_b32_e32 v12, 16, v12
	s_waitcnt lgkmcnt(0)
	v_mul_f32_e32 v13, v13, v12
	v_and_b32_e32 v12, 0x7f800000, v13
	v_cmp_ne_u32_e32 vcc_lo, 0x7f800000, v12
                                        ; implicit-def: $vgpr12
	s_and_saveexec_b32 s17, vcc_lo
	s_xor_b32 s17, exec_lo, s17
; %bb.51:                               ;   in Loop: Header=BB688_38 Depth=2
	v_bfe_u32 v12, v13, 16, 1
	v_add3_u32 v12, v13, v12, 0x7fff
                                        ; implicit-def: $vgpr13
; %bb.52:                               ;   in Loop: Header=BB688_38 Depth=2
	s_andn2_saveexec_b32 s17, s17
	s_cbranch_execz .LBB688_37
; %bb.53:                               ;   in Loop: Header=BB688_38 Depth=2
	v_or_b32_e32 v12, 0x10000, v13
	v_cmp_eq_u32_sdwa vcc_lo, v13, v7 src0_sel:WORD_0 src1_sel:DWORD
	v_cndmask_b32_e32 v12, v12, v13, vcc_lo
	s_branch .LBB688_37
.LBB688_54:                             ;   in Loop: Header=BB688_31 Depth=1
	s_mov_b32 s15, s2
.LBB688_55:                             ;   in Loop: Header=BB688_31 Depth=1
	s_andn2_b32 vcc_lo, exec_lo, s14
	s_cbranch_vccnz .LBB688_29
; %bb.56:                               ;   in Loop: Header=BB688_31 Depth=1
	s_lshl_b32 s16, s15, 1
	s_lshl_b32 s15, s15, 2
	v_add_co_u32 v5, vcc_lo, v1, s16
	v_add_co_ci_u32_e64 v6, null, 0, v2, vcc_lo
	s_mov_b32 s16, s12
	s_inst_prefetch 0x1
	s_branch .LBB688_58
	.p2align	6
.LBB688_57:                             ;   in Loop: Header=BB688_58 Depth=2
	s_or_b32 exec_lo, exec_lo, s17
	v_and_b32_e32 v9, 0xffff0000, v10
	v_add_co_u32 v5, vcc_lo, v5, 2
	v_add_co_ci_u32_e64 v6, null, 0, v6, vcc_lo
	v_add_f32_e32 v8, v8, v9
	s_add_i32 s16, s16, -1
	s_add_i32 s15, s15, 4
	s_cmp_lg_u32 s16, 0
	s_cbranch_scc0 .LBB688_29
.LBB688_58:                             ;   Parent Loop BB688_31 Depth=1
                                        ; =>  This Inner Loop Header: Depth=2
	flat_load_ushort v9, v[5:6]
	v_mov_b32_e32 v10, s15
	ds_read_b32 v10, v10
	s_waitcnt vmcnt(0) lgkmcnt(1)
	v_lshlrev_b32_e32 v9, 16, v9
	s_waitcnt lgkmcnt(0)
	v_mul_f32_e32 v9, v10, v9
	v_and_b32_e32 v10, 0x7f800000, v9
	v_cmp_ne_u32_e32 vcc_lo, 0x7f800000, v10
                                        ; implicit-def: $vgpr10
	s_and_saveexec_b32 s17, vcc_lo
	s_xor_b32 s17, exec_lo, s17
; %bb.59:                               ;   in Loop: Header=BB688_58 Depth=2
	v_bfe_u32 v10, v9, 16, 1
	v_add3_u32 v10, v9, v10, 0x7fff
                                        ; implicit-def: $vgpr9
; %bb.60:                               ;   in Loop: Header=BB688_58 Depth=2
	s_andn2_saveexec_b32 s17, s17
	s_cbranch_execz .LBB688_57
; %bb.61:                               ;   in Loop: Header=BB688_58 Depth=2
	v_or_b32_e32 v10, 0x10000, v9
	v_cmp_eq_u32_sdwa vcc_lo, v9, v7 src0_sel:WORD_0 src1_sel:DWORD
	v_cndmask_b32_e32 v10, v10, v9, vcc_lo
	s_branch .LBB688_57
.LBB688_62:
	s_endpgm
	.section	.rodata,"a",@progbits
	.p2align	6, 0x0
	.amdhsa_kernel _ZL22rocblas_gemvtsm_kernelILb1ELi256EPK16rocblas_bfloat16PKfKPfEviiT2_lPKT1_lilSA_lilS7_lPT3_lil
		.amdhsa_group_segment_fixed_size 256
		.amdhsa_private_segment_fixed_size 0
		.amdhsa_kernarg_size 136
		.amdhsa_user_sgpr_count 6
		.amdhsa_user_sgpr_private_segment_buffer 1
		.amdhsa_user_sgpr_dispatch_ptr 0
		.amdhsa_user_sgpr_queue_ptr 0
		.amdhsa_user_sgpr_kernarg_segment_ptr 1
		.amdhsa_user_sgpr_dispatch_id 0
		.amdhsa_user_sgpr_flat_scratch_init 0
		.amdhsa_user_sgpr_private_segment_size 0
		.amdhsa_wavefront_size32 1
		.amdhsa_uses_dynamic_stack 0
		.amdhsa_system_sgpr_private_segment_wavefront_offset 0
		.amdhsa_system_sgpr_workgroup_id_x 1
		.amdhsa_system_sgpr_workgroup_id_y 0
		.amdhsa_system_sgpr_workgroup_id_z 0
		.amdhsa_system_sgpr_workgroup_info 0
		.amdhsa_system_vgpr_workitem_id 0
		.amdhsa_next_free_vgpr 14
		.amdhsa_next_free_sgpr 24
		.amdhsa_reserve_vcc 1
		.amdhsa_reserve_flat_scratch 0
		.amdhsa_float_round_mode_32 0
		.amdhsa_float_round_mode_16_64 0
		.amdhsa_float_denorm_mode_32 3
		.amdhsa_float_denorm_mode_16_64 3
		.amdhsa_dx10_clamp 1
		.amdhsa_ieee_mode 1
		.amdhsa_fp16_overflow 0
		.amdhsa_workgroup_processor_mode 1
		.amdhsa_memory_ordered 1
		.amdhsa_forward_progress 1
		.amdhsa_shared_vgpr_count 0
		.amdhsa_exception_fp_ieee_invalid_op 0
		.amdhsa_exception_fp_denorm_src 0
		.amdhsa_exception_fp_ieee_div_zero 0
		.amdhsa_exception_fp_ieee_overflow 0
		.amdhsa_exception_fp_ieee_underflow 0
		.amdhsa_exception_fp_ieee_inexact 0
		.amdhsa_exception_int_div_zero 0
	.end_amdhsa_kernel
	.section	.text._ZL22rocblas_gemvtsm_kernelILb1ELi256EPK16rocblas_bfloat16PKfKPfEviiT2_lPKT1_lilSA_lilS7_lPT3_lil,"axG",@progbits,_ZL22rocblas_gemvtsm_kernelILb1ELi256EPK16rocblas_bfloat16PKfKPfEviiT2_lPKT1_lilSA_lilS7_lPT3_lil,comdat
.Lfunc_end688:
	.size	_ZL22rocblas_gemvtsm_kernelILb1ELi256EPK16rocblas_bfloat16PKfKPfEviiT2_lPKT1_lilSA_lilS7_lPT3_lil, .Lfunc_end688-_ZL22rocblas_gemvtsm_kernelILb1ELi256EPK16rocblas_bfloat16PKfKPfEviiT2_lPKT1_lilSA_lilS7_lPT3_lil
                                        ; -- End function
	.set _ZL22rocblas_gemvtsm_kernelILb1ELi256EPK16rocblas_bfloat16PKfKPfEviiT2_lPKT1_lilSA_lilS7_lPT3_lil.num_vgpr, 14
	.set _ZL22rocblas_gemvtsm_kernelILb1ELi256EPK16rocblas_bfloat16PKfKPfEviiT2_lPKT1_lilSA_lilS7_lPT3_lil.num_agpr, 0
	.set _ZL22rocblas_gemvtsm_kernelILb1ELi256EPK16rocblas_bfloat16PKfKPfEviiT2_lPKT1_lilSA_lilS7_lPT3_lil.numbered_sgpr, 24
	.set _ZL22rocblas_gemvtsm_kernelILb1ELi256EPK16rocblas_bfloat16PKfKPfEviiT2_lPKT1_lilSA_lilS7_lPT3_lil.num_named_barrier, 0
	.set _ZL22rocblas_gemvtsm_kernelILb1ELi256EPK16rocblas_bfloat16PKfKPfEviiT2_lPKT1_lilSA_lilS7_lPT3_lil.private_seg_size, 0
	.set _ZL22rocblas_gemvtsm_kernelILb1ELi256EPK16rocblas_bfloat16PKfKPfEviiT2_lPKT1_lilSA_lilS7_lPT3_lil.uses_vcc, 1
	.set _ZL22rocblas_gemvtsm_kernelILb1ELi256EPK16rocblas_bfloat16PKfKPfEviiT2_lPKT1_lilSA_lilS7_lPT3_lil.uses_flat_scratch, 0
	.set _ZL22rocblas_gemvtsm_kernelILb1ELi256EPK16rocblas_bfloat16PKfKPfEviiT2_lPKT1_lilSA_lilS7_lPT3_lil.has_dyn_sized_stack, 0
	.set _ZL22rocblas_gemvtsm_kernelILb1ELi256EPK16rocblas_bfloat16PKfKPfEviiT2_lPKT1_lilSA_lilS7_lPT3_lil.has_recursion, 0
	.set _ZL22rocblas_gemvtsm_kernelILb1ELi256EPK16rocblas_bfloat16PKfKPfEviiT2_lPKT1_lilSA_lilS7_lPT3_lil.has_indirect_call, 0
	.section	.AMDGPU.csdata,"",@progbits
; Kernel info:
; codeLenInByte = 1956
; TotalNumSgprs: 26
; NumVgprs: 14
; ScratchSize: 0
; MemoryBound: 0
; FloatMode: 240
; IeeeMode: 1
; LDSByteSize: 256 bytes/workgroup (compile time only)
; SGPRBlocks: 0
; VGPRBlocks: 1
; NumSGPRsForWavesPerEU: 26
; NumVGPRsForWavesPerEU: 14
; Occupancy: 16
; WaveLimiterHint : 1
; COMPUTE_PGM_RSRC2:SCRATCH_EN: 0
; COMPUTE_PGM_RSRC2:USER_SGPR: 6
; COMPUTE_PGM_RSRC2:TRAP_HANDLER: 0
; COMPUTE_PGM_RSRC2:TGID_X_EN: 1
; COMPUTE_PGM_RSRC2:TGID_Y_EN: 0
; COMPUTE_PGM_RSRC2:TGID_Z_EN: 0
; COMPUTE_PGM_RSRC2:TIDIG_COMP_CNT: 0
	.section	.text._ZL22rocblas_gemvtsm_kernelILb1ELi256EPK16rocblas_bfloat16fKPfEviiT2_lPKT1_lilS8_lilS5_lPT3_lil,"axG",@progbits,_ZL22rocblas_gemvtsm_kernelILb1ELi256EPK16rocblas_bfloat16fKPfEviiT2_lPKT1_lilS8_lilS5_lPT3_lil,comdat
	.globl	_ZL22rocblas_gemvtsm_kernelILb1ELi256EPK16rocblas_bfloat16fKPfEviiT2_lPKT1_lilS8_lilS5_lPT3_lil ; -- Begin function _ZL22rocblas_gemvtsm_kernelILb1ELi256EPK16rocblas_bfloat16fKPfEviiT2_lPKT1_lilS8_lilS5_lPT3_lil
	.p2align	8
	.type	_ZL22rocblas_gemvtsm_kernelILb1ELi256EPK16rocblas_bfloat16fKPfEviiT2_lPKT1_lilS8_lilS5_lPT3_lil,@function
_ZL22rocblas_gemvtsm_kernelILb1ELi256EPK16rocblas_bfloat16fKPfEviiT2_lPKT1_lilS8_lilS5_lPT3_lil: ; @_ZL22rocblas_gemvtsm_kernelILb1ELi256EPK16rocblas_bfloat16fKPfEviiT2_lPKT1_lilS8_lilS5_lPT3_lil
; %bb.0:
	s_load_dwordx4 s[8:11], s[4:5], 0x0
	s_waitcnt lgkmcnt(0)
	s_load_dword s11, s[4:5], 0x58
	s_mov_b32 s7, 0
	v_cmp_eq_f32_e64 s18, s10, 0
	s_waitcnt lgkmcnt(0)
	v_cmp_eq_f32_e64 s0, s11, 1.0
	s_and_b32 s0, s18, s0
	s_and_b32 vcc_lo, exec_lo, s0
	s_cbranch_vccnz .LBB689_64
; %bb.1:
	v_cmp_neq_f32_e64 s0, s10, 0
	s_and_b32 vcc_lo, exec_lo, s0
	s_cbranch_vccnz .LBB689_3
; %bb.2:
	s_mov_b32 s15, 0
	s_mov_b32 s14, s6
	;; [unrolled: 1-line block ×3, first 2 shown]
	s_mov_b64 s[16:17], 0
	s_andn2_b32 vcc_lo, exec_lo, s1
	s_mov_b64 s[12:13], 0
	s_cbranch_vccz .LBB689_4
	s_branch .LBB689_5
.LBB689_3:
	s_mov_b64 s[14:15], s[6:7]
	s_mov_b64 s[16:17], 0
	;; [unrolled: 1-line block ×3, first 2 shown]
.LBB689_4:
	s_load_dwordx4 s[20:23], s[4:5], 0x18
	s_lshl_b64 s[2:3], s[6:7], 3
	s_waitcnt lgkmcnt(0)
	s_add_u32 s2, s20, s2
	s_addc_u32 s3, s21, s3
	s_lshl_b64 s[6:7], s[22:23], 1
	s_load_dwordx2 s[2:3], s[2:3], 0x0
	s_waitcnt lgkmcnt(0)
	s_add_u32 s12, s2, s6
	s_addc_u32 s13, s3, s7
.LBB689_5:
	s_andn2_b32 vcc_lo, exec_lo, s0
	s_cbranch_vccnz .LBB689_7
; %bb.6:
	s_load_dwordx4 s[0:3], s[4:5], 0x38
	s_lshl_b64 s[6:7], s[14:15], 3
	s_waitcnt lgkmcnt(0)
	s_add_u32 s0, s0, s6
	s_addc_u32 s1, s1, s7
	s_lshl_b64 s[2:3], s[2:3], 1
	s_load_dwordx2 s[0:1], s[0:1], 0x0
	s_waitcnt lgkmcnt(0)
	s_add_u32 s16, s0, s2
	s_addc_u32 s17, s1, s3
.LBB689_7:
	s_clause 0x1
	s_load_dwordx4 s[0:3], s[4:5], 0x68
	s_load_dword s6, s[4:5], 0x78
	s_lshl_b64 s[14:15], s[14:15], 3
	s_waitcnt lgkmcnt(0)
	s_add_u32 s0, s0, s14
	s_addc_u32 s1, s1, s15
	s_andn2_b32 vcc_lo, exec_lo, s18
	s_load_dwordx2 s[14:15], s[0:1], 0x0
	s_mov_b32 s0, -1
	s_cbranch_vccnz .LBB689_22
; %bb.8:
	s_cmp_gt_i32 s9, 0
	v_cmp_neq_f32_e64 s0, s11, 0
	s_cselect_b32 s18, -1, 0
	v_cndmask_b32_e64 v1, 0, 1, s18
	s_and_b32 vcc_lo, exec_lo, s0
	v_cmp_ne_u32_e64 s0, 1, v1
	s_cbranch_vccnz .LBB689_15
; %bb.9:
	s_and_b32 vcc_lo, exec_lo, s0
	s_cbranch_vccnz .LBB689_14
; %bb.10:
	v_mad_i64_i32 v[1:2], null, s6, v0, 0
	s_lshl_b64 s[0:1], s[2:3], 2
	s_ashr_i32 s7, s6, 31
	s_waitcnt lgkmcnt(0)
	s_add_u32 s0, s14, s0
	s_addc_u32 s1, s15, s1
	v_mov_b32_e32 v3, 0
	v_lshlrev_b64 v[1:2], 2, v[1:2]
	v_add_co_u32 v1, vcc_lo, s0, v1
	v_add_co_ci_u32_e64 v2, null, s1, v2, vcc_lo
	s_lshl_b64 s[0:1], s[6:7], 10
	s_mov_b32 s7, 0
	s_branch .LBB689_12
.LBB689_11:                             ;   in Loop: Header=BB689_12 Depth=1
	s_or_b32 exec_lo, exec_lo, s19
	v_add_co_u32 v1, vcc_lo, v1, s0
	v_add_co_ci_u32_e64 v2, null, s1, v2, vcc_lo
	s_addk_i32 s7, 0x100
	s_cmp_ge_i32 s7, s9
	s_cbranch_scc1 .LBB689_14
.LBB689_12:                             ; =>This Inner Loop Header: Depth=1
	v_add_nc_u32_e32 v4, s7, v0
	s_mov_b32 s19, exec_lo
	v_cmpx_gt_i32_e64 s9, v4
	s_cbranch_execz .LBB689_11
; %bb.13:                               ;   in Loop: Header=BB689_12 Depth=1
	flat_store_dword v[1:2], v3
	s_branch .LBB689_11
.LBB689_14:
	s_cbranch_execz .LBB689_16
	s_branch .LBB689_21
.LBB689_15:
.LBB689_16:
	s_andn2_b32 vcc_lo, exec_lo, s18
	s_cbranch_vccnz .LBB689_21
; %bb.17:
	v_mad_i64_i32 v[1:2], null, s6, v0, 0
	s_lshl_b64 s[0:1], s[2:3], 2
	s_ashr_i32 s7, s6, 31
	s_waitcnt lgkmcnt(0)
	s_add_u32 s0, s14, s0
	s_addc_u32 s1, s15, s1
	v_lshlrev_b64 v[1:2], 2, v[1:2]
	v_add_co_u32 v1, vcc_lo, s0, v1
	v_add_co_ci_u32_e64 v2, null, s1, v2, vcc_lo
	s_lshl_b64 s[0:1], s[6:7], 10
	s_mov_b32 s7, 0
	s_branch .LBB689_19
	.p2align	6
.LBB689_18:                             ;   in Loop: Header=BB689_19 Depth=1
	s_or_b32 exec_lo, exec_lo, s18
	v_add_co_u32 v1, vcc_lo, v1, s0
	v_add_co_ci_u32_e64 v2, null, s1, v2, vcc_lo
	s_addk_i32 s7, 0x100
	s_cmp_ge_i32 s7, s9
	s_cbranch_scc1 .LBB689_21
.LBB689_19:                             ; =>This Inner Loop Header: Depth=1
	v_add_nc_u32_e32 v3, s7, v0
	s_mov_b32 s18, exec_lo
	v_cmpx_gt_i32_e64 s9, v3
	s_cbranch_execz .LBB689_18
; %bb.20:                               ;   in Loop: Header=BB689_19 Depth=1
	flat_load_dword v3, v[1:2]
	s_waitcnt vmcnt(0) lgkmcnt(0)
	v_mul_f32_e32 v3, s11, v3
	flat_store_dword v[1:2], v3
	s_branch .LBB689_18
.LBB689_21:
	s_mov_b32 s0, 0
.LBB689_22:
	s_andn2_b32 vcc_lo, exec_lo, s0
	s_cbranch_vccnz .LBB689_64
; %bb.23:
	s_mov_b32 s0, exec_lo
	v_cmpx_gt_i32_e64 s8, v0
	s_cbranch_execz .LBB689_29
; %bb.24:
	s_load_dword s1, s[4:5], 0x48
	s_waitcnt lgkmcnt(0)
	v_mad_i64_i32 v[1:2], null, s1, v0, 0
	v_lshlrev_b64 v[1:2], 1, v[1:2]
	v_add_co_u32 v1, vcc_lo, s16, v1
	v_add_co_ci_u32_e64 v2, null, s17, v2, vcc_lo
	flat_load_ushort v1, v[1:2]
	s_waitcnt vmcnt(0) lgkmcnt(0)
	v_lshlrev_b32_e32 v1, 16, v1
	v_mul_f32_e32 v1, s10, v1
	v_and_b32_e32 v2, 0x7f800000, v1
	v_cmp_ne_u32_e32 vcc_lo, 0x7f800000, v2
                                        ; implicit-def: $vgpr2
	s_and_saveexec_b32 s1, vcc_lo
	s_xor_b32 s1, exec_lo, s1
; %bb.25:
	v_bfe_u32 v2, v1, 16, 1
	v_add3_u32 v2, v1, v2, 0x7fff
                                        ; implicit-def: $vgpr1
; %bb.26:
	s_andn2_saveexec_b32 s1, s1
; %bb.27:
	v_mov_b32_e32 v2, 0
	v_or_b32_e32 v3, 0x10000, v1
	v_cmp_eq_u32_sdwa vcc_lo, v1, v2 src0_sel:WORD_0 src1_sel:DWORD
	v_cndmask_b32_e32 v2, v3, v1, vcc_lo
; %bb.28:
	s_or_b32 exec_lo, exec_lo, s1
	v_and_b32_e32 v1, 0xffff0000, v2
	v_lshlrev_b32_e32 v2, 2, v0
	ds_write_b32 v2, v1
.LBB689_29:
	s_or_b32 exec_lo, exec_lo, s0
	s_cmp_lt_i32 s9, 1
	s_waitcnt lgkmcnt(0)
	s_waitcnt_vscnt null, 0x0
	s_barrier
	buffer_gl0_inv
	s_cbranch_scc1 .LBB689_64
; %bb.30:
	s_load_dword s0, s[4:5], 0x28
	s_lshl_b64 s[2:3], s[2:3], 2
	v_cmp_neq_f32_e64 s5, s11, 0
	s_add_u32 s2, s14, s2
	s_addc_u32 s3, s15, s3
	s_ashr_i32 s4, s6, 31
	v_mov_b32_e32 v7, 0
	s_waitcnt lgkmcnt(0)
	v_mad_i64_i32 v[1:2], null, s0, v0, 0
	s_ashr_i32 s1, s0, 31
	s_cmp_gt_i32 s8, 0
	s_cselect_b32 s7, -1, 0
	s_and_b32 s10, s8, 3
	s_cmp_gt_u32 s8, 3
	v_lshlrev_b64 v[1:2], 1, v[1:2]
	s_cselect_b32 s14, -1, 0
	s_and_b32 s8, s8, 0x7ffffffc
	s_cmp_lg_u32 s10, 0
	s_cselect_b32 s15, -1, 0
	v_add_co_u32 v1, vcc_lo, s12, v1
	v_add_co_ci_u32_e64 v2, null, s13, v2, vcc_lo
	s_mov_b32 s12, 0
	s_lshl_b64 s[0:1], s[0:1], 9
	s_branch .LBB689_33
.LBB689_31:                             ;   in Loop: Header=BB689_33 Depth=1
	s_inst_prefetch 0x2
	v_add_co_u32 v3, vcc_lo, s2, v3
	v_add_co_ci_u32_e64 v4, null, s3, v4, vcc_lo
	flat_store_dword v[3:4], v8
.LBB689_32:                             ;   in Loop: Header=BB689_33 Depth=1
	s_or_b32 exec_lo, exec_lo, s13
	v_add_co_u32 v1, vcc_lo, v1, s0
	v_add_co_ci_u32_e64 v2, null, s1, v2, vcc_lo
	s_addk_i32 s12, 0x100
	s_cmp_ge_i32 s12, s9
	s_cbranch_scc1 .LBB689_64
.LBB689_33:                             ; =>This Loop Header: Depth=1
                                        ;     Child Loop BB689_40 Depth 2
                                        ;     Child Loop BB689_60 Depth 2
	v_add_nc_u32_e32 v3, s12, v0
	s_mov_b32 s13, exec_lo
	v_cmpx_gt_i32_e64 s9, v3
	s_cbranch_execz .LBB689_32
; %bb.34:                               ;   in Loop: Header=BB689_33 Depth=1
	v_mad_u64_u32 v[4:5], null, v3, s6, 0
	s_andn2_b32 vcc_lo, exec_lo, s5
	v_mad_u64_u32 v[5:6], null, v3, s4, v[5:6]
	v_lshlrev_b64 v[3:4], 2, v[4:5]
	s_cbranch_vccnz .LBB689_36
; %bb.35:                               ;   in Loop: Header=BB689_33 Depth=1
	v_add_co_u32 v5, vcc_lo, s2, v3
	v_add_co_ci_u32_e64 v6, null, s3, v4, vcc_lo
	flat_load_dword v5, v[5:6]
	s_waitcnt vmcnt(0) lgkmcnt(0)
	v_mul_f32_e32 v8, s11, v5
	s_andn2_b32 vcc_lo, exec_lo, s7
	s_cbranch_vccz .LBB689_37
	s_branch .LBB689_31
.LBB689_36:                             ;   in Loop: Header=BB689_33 Depth=1
	v_mov_b32_e32 v8, 0
	s_andn2_b32 vcc_lo, exec_lo, s7
	s_cbranch_vccnz .LBB689_31
.LBB689_37:                             ;   in Loop: Header=BB689_33 Depth=1
	s_andn2_b32 vcc_lo, exec_lo, s14
	s_mov_b32 s16, 0
	s_cbranch_vccnz .LBB689_57
; %bb.38:                               ;   in Loop: Header=BB689_33 Depth=1
	v_mov_b32_e32 v6, v2
	v_mov_b32_e32 v5, v1
	s_mov_b32 s17, 0
	s_branch .LBB689_40
.LBB689_39:                             ;   in Loop: Header=BB689_40 Depth=2
	s_or_b32 exec_lo, exec_lo, s18
	v_and_b32_e32 v9, 0xffff0000, v9
	v_and_b32_e32 v10, 0xffff0000, v10
	v_add_co_u32 v5, vcc_lo, v5, 8
	v_add_co_ci_u32_e64 v6, null, 0, v6, vcc_lo
	v_add_f32_e32 v8, v8, v9
	v_and_b32_e32 v9, 0xffff0000, v11
	s_add_i32 s17, s17, 4
	s_add_i32 s16, s16, 16
	s_cmp_eq_u32 s8, s17
	v_add_f32_e32 v8, v8, v10
	v_and_b32_e32 v10, 0xffff0000, v12
	v_add_f32_e32 v8, v8, v9
	v_add_f32_e32 v8, v8, v10
	s_cbranch_scc1 .LBB689_56
.LBB689_40:                             ;   Parent Loop BB689_33 Depth=1
                                        ; =>  This Inner Loop Header: Depth=2
	flat_load_ushort v9, v[5:6]
	v_mov_b32_e32 v10, s16
	ds_read_b32 v10, v10
	s_waitcnt vmcnt(0) lgkmcnt(1)
	v_lshlrev_b32_e32 v9, 16, v9
	s_waitcnt lgkmcnt(0)
	v_mul_f32_e32 v10, v10, v9
	v_and_b32_e32 v9, 0x7f800000, v10
	v_cmp_ne_u32_e32 vcc_lo, 0x7f800000, v9
                                        ; implicit-def: $vgpr9
	s_and_saveexec_b32 s18, vcc_lo
	s_xor_b32 s18, exec_lo, s18
; %bb.41:                               ;   in Loop: Header=BB689_40 Depth=2
	v_bfe_u32 v9, v10, 16, 1
	v_add3_u32 v9, v10, v9, 0x7fff
                                        ; implicit-def: $vgpr10
; %bb.42:                               ;   in Loop: Header=BB689_40 Depth=2
	s_andn2_saveexec_b32 s18, s18
; %bb.43:                               ;   in Loop: Header=BB689_40 Depth=2
	v_or_b32_e32 v9, 0x10000, v10
	v_cmp_eq_u32_sdwa vcc_lo, v10, v7 src0_sel:WORD_0 src1_sel:DWORD
	v_cndmask_b32_e32 v9, v9, v10, vcc_lo
; %bb.44:                               ;   in Loop: Header=BB689_40 Depth=2
	s_or_b32 exec_lo, exec_lo, s18
	flat_load_ushort v10, v[5:6] offset:2
	v_mov_b32_e32 v11, s16
	ds_read_b32 v11, v11 offset:4
	s_waitcnt vmcnt(0) lgkmcnt(1)
	v_lshlrev_b32_e32 v10, 16, v10
	s_waitcnt lgkmcnt(0)
	v_mul_f32_e32 v11, v11, v10
	v_and_b32_e32 v10, 0x7f800000, v11
	v_cmp_ne_u32_e32 vcc_lo, 0x7f800000, v10
                                        ; implicit-def: $vgpr10
	s_and_saveexec_b32 s18, vcc_lo
	s_xor_b32 s18, exec_lo, s18
; %bb.45:                               ;   in Loop: Header=BB689_40 Depth=2
	v_bfe_u32 v10, v11, 16, 1
	v_add3_u32 v10, v11, v10, 0x7fff
                                        ; implicit-def: $vgpr11
; %bb.46:                               ;   in Loop: Header=BB689_40 Depth=2
	s_andn2_saveexec_b32 s18, s18
; %bb.47:                               ;   in Loop: Header=BB689_40 Depth=2
	v_or_b32_e32 v10, 0x10000, v11
	v_cmp_eq_u32_sdwa vcc_lo, v11, v7 src0_sel:WORD_0 src1_sel:DWORD
	v_cndmask_b32_e32 v10, v10, v11, vcc_lo
; %bb.48:                               ;   in Loop: Header=BB689_40 Depth=2
	s_or_b32 exec_lo, exec_lo, s18
	flat_load_ushort v11, v[5:6] offset:4
	v_mov_b32_e32 v12, s16
	ds_read_b32 v12, v12 offset:8
	s_waitcnt vmcnt(0) lgkmcnt(1)
	v_lshlrev_b32_e32 v11, 16, v11
	s_waitcnt lgkmcnt(0)
	v_mul_f32_e32 v12, v12, v11
	v_and_b32_e32 v11, 0x7f800000, v12
	v_cmp_ne_u32_e32 vcc_lo, 0x7f800000, v11
                                        ; implicit-def: $vgpr11
	s_and_saveexec_b32 s18, vcc_lo
	s_xor_b32 s18, exec_lo, s18
; %bb.49:                               ;   in Loop: Header=BB689_40 Depth=2
	v_bfe_u32 v11, v12, 16, 1
	v_add3_u32 v11, v12, v11, 0x7fff
                                        ; implicit-def: $vgpr12
; %bb.50:                               ;   in Loop: Header=BB689_40 Depth=2
	s_andn2_saveexec_b32 s18, s18
; %bb.51:                               ;   in Loop: Header=BB689_40 Depth=2
	v_or_b32_e32 v11, 0x10000, v12
	v_cmp_eq_u32_sdwa vcc_lo, v12, v7 src0_sel:WORD_0 src1_sel:DWORD
	v_cndmask_b32_e32 v11, v11, v12, vcc_lo
; %bb.52:                               ;   in Loop: Header=BB689_40 Depth=2
	s_or_b32 exec_lo, exec_lo, s18
	flat_load_ushort v12, v[5:6] offset:6
	v_mov_b32_e32 v13, s16
	ds_read_b32 v13, v13 offset:12
	s_waitcnt vmcnt(0) lgkmcnt(1)
	v_lshlrev_b32_e32 v12, 16, v12
	s_waitcnt lgkmcnt(0)
	v_mul_f32_e32 v13, v13, v12
	v_and_b32_e32 v12, 0x7f800000, v13
	v_cmp_ne_u32_e32 vcc_lo, 0x7f800000, v12
                                        ; implicit-def: $vgpr12
	s_and_saveexec_b32 s18, vcc_lo
	s_xor_b32 s18, exec_lo, s18
; %bb.53:                               ;   in Loop: Header=BB689_40 Depth=2
	v_bfe_u32 v12, v13, 16, 1
	v_add3_u32 v12, v13, v12, 0x7fff
                                        ; implicit-def: $vgpr13
; %bb.54:                               ;   in Loop: Header=BB689_40 Depth=2
	s_andn2_saveexec_b32 s18, s18
	s_cbranch_execz .LBB689_39
; %bb.55:                               ;   in Loop: Header=BB689_40 Depth=2
	v_or_b32_e32 v12, 0x10000, v13
	v_cmp_eq_u32_sdwa vcc_lo, v13, v7 src0_sel:WORD_0 src1_sel:DWORD
	v_cndmask_b32_e32 v12, v12, v13, vcc_lo
	s_branch .LBB689_39
.LBB689_56:                             ;   in Loop: Header=BB689_33 Depth=1
	s_mov_b32 s16, s8
.LBB689_57:                             ;   in Loop: Header=BB689_33 Depth=1
	s_andn2_b32 vcc_lo, exec_lo, s15
	s_cbranch_vccnz .LBB689_31
; %bb.58:                               ;   in Loop: Header=BB689_33 Depth=1
	s_lshl_b32 s17, s16, 1
	s_lshl_b32 s16, s16, 2
	v_add_co_u32 v5, vcc_lo, v1, s17
	v_add_co_ci_u32_e64 v6, null, 0, v2, vcc_lo
	s_mov_b32 s17, s10
	s_inst_prefetch 0x1
	s_branch .LBB689_60
	.p2align	6
.LBB689_59:                             ;   in Loop: Header=BB689_60 Depth=2
	s_or_b32 exec_lo, exec_lo, s18
	v_and_b32_e32 v9, 0xffff0000, v10
	v_add_co_u32 v5, vcc_lo, v5, 2
	v_add_co_ci_u32_e64 v6, null, 0, v6, vcc_lo
	v_add_f32_e32 v8, v8, v9
	s_add_i32 s17, s17, -1
	s_add_i32 s16, s16, 4
	s_cmp_lg_u32 s17, 0
	s_cbranch_scc0 .LBB689_31
.LBB689_60:                             ;   Parent Loop BB689_33 Depth=1
                                        ; =>  This Inner Loop Header: Depth=2
	flat_load_ushort v9, v[5:6]
	v_mov_b32_e32 v10, s16
	ds_read_b32 v10, v10
	s_waitcnt vmcnt(0) lgkmcnt(1)
	v_lshlrev_b32_e32 v9, 16, v9
	s_waitcnt lgkmcnt(0)
	v_mul_f32_e32 v9, v10, v9
	v_and_b32_e32 v10, 0x7f800000, v9
	v_cmp_ne_u32_e32 vcc_lo, 0x7f800000, v10
                                        ; implicit-def: $vgpr10
	s_and_saveexec_b32 s18, vcc_lo
	s_xor_b32 s18, exec_lo, s18
; %bb.61:                               ;   in Loop: Header=BB689_60 Depth=2
	v_bfe_u32 v10, v9, 16, 1
	v_add3_u32 v10, v9, v10, 0x7fff
                                        ; implicit-def: $vgpr9
; %bb.62:                               ;   in Loop: Header=BB689_60 Depth=2
	s_andn2_saveexec_b32 s18, s18
	s_cbranch_execz .LBB689_59
; %bb.63:                               ;   in Loop: Header=BB689_60 Depth=2
	v_or_b32_e32 v10, 0x10000, v9
	v_cmp_eq_u32_sdwa vcc_lo, v9, v7 src0_sel:WORD_0 src1_sel:DWORD
	v_cndmask_b32_e32 v10, v10, v9, vcc_lo
	s_branch .LBB689_59
.LBB689_64:
	s_endpgm
	.section	.rodata,"a",@progbits
	.p2align	6, 0x0
	.amdhsa_kernel _ZL22rocblas_gemvtsm_kernelILb1ELi256EPK16rocblas_bfloat16fKPfEviiT2_lPKT1_lilS8_lilS5_lPT3_lil
		.amdhsa_group_segment_fixed_size 256
		.amdhsa_private_segment_fixed_size 0
		.amdhsa_kernarg_size 136
		.amdhsa_user_sgpr_count 6
		.amdhsa_user_sgpr_private_segment_buffer 1
		.amdhsa_user_sgpr_dispatch_ptr 0
		.amdhsa_user_sgpr_queue_ptr 0
		.amdhsa_user_sgpr_kernarg_segment_ptr 1
		.amdhsa_user_sgpr_dispatch_id 0
		.amdhsa_user_sgpr_flat_scratch_init 0
		.amdhsa_user_sgpr_private_segment_size 0
		.amdhsa_wavefront_size32 1
		.amdhsa_uses_dynamic_stack 0
		.amdhsa_system_sgpr_private_segment_wavefront_offset 0
		.amdhsa_system_sgpr_workgroup_id_x 1
		.amdhsa_system_sgpr_workgroup_id_y 0
		.amdhsa_system_sgpr_workgroup_id_z 0
		.amdhsa_system_sgpr_workgroup_info 0
		.amdhsa_system_vgpr_workitem_id 0
		.amdhsa_next_free_vgpr 14
		.amdhsa_next_free_sgpr 24
		.amdhsa_reserve_vcc 1
		.amdhsa_reserve_flat_scratch 0
		.amdhsa_float_round_mode_32 0
		.amdhsa_float_round_mode_16_64 0
		.amdhsa_float_denorm_mode_32 3
		.amdhsa_float_denorm_mode_16_64 3
		.amdhsa_dx10_clamp 1
		.amdhsa_ieee_mode 1
		.amdhsa_fp16_overflow 0
		.amdhsa_workgroup_processor_mode 1
		.amdhsa_memory_ordered 1
		.amdhsa_forward_progress 1
		.amdhsa_shared_vgpr_count 0
		.amdhsa_exception_fp_ieee_invalid_op 0
		.amdhsa_exception_fp_denorm_src 0
		.amdhsa_exception_fp_ieee_div_zero 0
		.amdhsa_exception_fp_ieee_overflow 0
		.amdhsa_exception_fp_ieee_underflow 0
		.amdhsa_exception_fp_ieee_inexact 0
		.amdhsa_exception_int_div_zero 0
	.end_amdhsa_kernel
	.section	.text._ZL22rocblas_gemvtsm_kernelILb1ELi256EPK16rocblas_bfloat16fKPfEviiT2_lPKT1_lilS8_lilS5_lPT3_lil,"axG",@progbits,_ZL22rocblas_gemvtsm_kernelILb1ELi256EPK16rocblas_bfloat16fKPfEviiT2_lPKT1_lilS8_lilS5_lPT3_lil,comdat
.Lfunc_end689:
	.size	_ZL22rocblas_gemvtsm_kernelILb1ELi256EPK16rocblas_bfloat16fKPfEviiT2_lPKT1_lilS8_lilS5_lPT3_lil, .Lfunc_end689-_ZL22rocblas_gemvtsm_kernelILb1ELi256EPK16rocblas_bfloat16fKPfEviiT2_lPKT1_lilS8_lilS5_lPT3_lil
                                        ; -- End function
	.set _ZL22rocblas_gemvtsm_kernelILb1ELi256EPK16rocblas_bfloat16fKPfEviiT2_lPKT1_lilS8_lilS5_lPT3_lil.num_vgpr, 14
	.set _ZL22rocblas_gemvtsm_kernelILb1ELi256EPK16rocblas_bfloat16fKPfEviiT2_lPKT1_lilS8_lilS5_lPT3_lil.num_agpr, 0
	.set _ZL22rocblas_gemvtsm_kernelILb1ELi256EPK16rocblas_bfloat16fKPfEviiT2_lPKT1_lilS8_lilS5_lPT3_lil.numbered_sgpr, 24
	.set _ZL22rocblas_gemvtsm_kernelILb1ELi256EPK16rocblas_bfloat16fKPfEviiT2_lPKT1_lilS8_lilS5_lPT3_lil.num_named_barrier, 0
	.set _ZL22rocblas_gemvtsm_kernelILb1ELi256EPK16rocblas_bfloat16fKPfEviiT2_lPKT1_lilS8_lilS5_lPT3_lil.private_seg_size, 0
	.set _ZL22rocblas_gemvtsm_kernelILb1ELi256EPK16rocblas_bfloat16fKPfEviiT2_lPKT1_lilS8_lilS5_lPT3_lil.uses_vcc, 1
	.set _ZL22rocblas_gemvtsm_kernelILb1ELi256EPK16rocblas_bfloat16fKPfEviiT2_lPKT1_lilS8_lilS5_lPT3_lil.uses_flat_scratch, 0
	.set _ZL22rocblas_gemvtsm_kernelILb1ELi256EPK16rocblas_bfloat16fKPfEviiT2_lPKT1_lilS8_lilS5_lPT3_lil.has_dyn_sized_stack, 0
	.set _ZL22rocblas_gemvtsm_kernelILb1ELi256EPK16rocblas_bfloat16fKPfEviiT2_lPKT1_lilS8_lilS5_lPT3_lil.has_recursion, 0
	.set _ZL22rocblas_gemvtsm_kernelILb1ELi256EPK16rocblas_bfloat16fKPfEviiT2_lPKT1_lilS8_lilS5_lPT3_lil.has_indirect_call, 0
	.section	.AMDGPU.csdata,"",@progbits
; Kernel info:
; codeLenInByte = 1956
; TotalNumSgprs: 26
; NumVgprs: 14
; ScratchSize: 0
; MemoryBound: 0
; FloatMode: 240
; IeeeMode: 1
; LDSByteSize: 256 bytes/workgroup (compile time only)
; SGPRBlocks: 0
; VGPRBlocks: 1
; NumSGPRsForWavesPerEU: 26
; NumVGPRsForWavesPerEU: 14
; Occupancy: 16
; WaveLimiterHint : 1
; COMPUTE_PGM_RSRC2:SCRATCH_EN: 0
; COMPUTE_PGM_RSRC2:USER_SGPR: 6
; COMPUTE_PGM_RSRC2:TRAP_HANDLER: 0
; COMPUTE_PGM_RSRC2:TGID_X_EN: 1
; COMPUTE_PGM_RSRC2:TGID_Y_EN: 0
; COMPUTE_PGM_RSRC2:TGID_Z_EN: 0
; COMPUTE_PGM_RSRC2:TIDIG_COMP_CNT: 0
	.section	.text._ZL20rocblas_gemvt_kernelILb1ELi256EPK16rocblas_bfloat16PKfKPfEviiT2_lPKT1_lilSA_lilS7_lPT3_lili,"axG",@progbits,_ZL20rocblas_gemvt_kernelILb1ELi256EPK16rocblas_bfloat16PKfKPfEviiT2_lPKT1_lilSA_lilS7_lPT3_lili,comdat
	.globl	_ZL20rocblas_gemvt_kernelILb1ELi256EPK16rocblas_bfloat16PKfKPfEviiT2_lPKT1_lilSA_lilS7_lPT3_lili ; -- Begin function _ZL20rocblas_gemvt_kernelILb1ELi256EPK16rocblas_bfloat16PKfKPfEviiT2_lPKT1_lilSA_lilS7_lPT3_lili
	.p2align	8
	.type	_ZL20rocblas_gemvt_kernelILb1ELi256EPK16rocblas_bfloat16PKfKPfEviiT2_lPKT1_lilSA_lilS7_lPT3_lili,@function
_ZL20rocblas_gemvt_kernelILb1ELi256EPK16rocblas_bfloat16PKfKPfEviiT2_lPKT1_lilSA_lilS7_lPT3_lili: ; @_ZL20rocblas_gemvt_kernelILb1ELi256EPK16rocblas_bfloat16PKfKPfEviiT2_lPKT1_lilSA_lilS7_lPT3_lili
; %bb.0:
	s_clause 0x1
	s_load_dwordx8 s[16:23], s[4:5], 0x8
	s_load_dwordx8 s[8:15], s[4:5], 0x58
	s_mov_b32 s0, s7
	s_waitcnt lgkmcnt(0)
	s_mul_i32 s1, s19, s7
	s_mul_hi_u32 s3, s18, s7
	s_mul_i32 s2, s18, s7
	s_add_i32 s3, s3, s1
	s_mul_i32 s1, s11, s7
	s_lshl_b64 s[2:3], s[2:3], 2
	s_mul_hi_u32 s7, s10, s7
	s_add_u32 s2, s16, s2
	s_addc_u32 s3, s17, s3
	s_add_i32 s11, s7, s1
	s_mul_i32 s10, s10, s0
	s_lshl_b64 s[10:11], s[10:11], 2
	s_add_u32 s8, s8, s10
	s_addc_u32 s9, s9, s11
	s_load_dword s16, s[2:3], 0x0
	s_load_dword s7, s[8:9], 0x0
	s_waitcnt lgkmcnt(0)
	v_cmp_eq_f32_e64 s10, s16, 0
	v_cmp_eq_f32_e64 s1, s7, 1.0
	s_and_b32 s1, s10, s1
	s_and_b32 vcc_lo, exec_lo, s1
	s_mov_b32 s1, 0
	s_cbranch_vccnz .LBB690_48
; %bb.1:
	v_cmp_neq_f32_e64 s11, s16, 0
	s_mov_b64 s[2:3], 0
	s_and_b32 vcc_lo, exec_lo, s10
	s_mov_b64 s[8:9], 0
	s_cbranch_vccnz .LBB690_3
; %bb.2:
	s_lshl_b64 s[8:9], s[0:1], 3
	s_add_u32 s8, s20, s8
	s_addc_u32 s9, s21, s9
	s_lshl_b64 s[18:19], s[22:23], 1
	s_load_dwordx2 s[8:9], s[8:9], 0x0
	s_waitcnt lgkmcnt(0)
	s_add_u32 s8, s8, s18
	s_addc_u32 s9, s9, s19
.LBB690_3:
	s_andn2_b32 vcc_lo, exec_lo, s11
	s_cbranch_vccnz .LBB690_5
; %bb.4:
	s_load_dwordx4 s[20:23], s[4:5], 0x38
	s_lshl_b64 s[2:3], s[0:1], 3
	s_waitcnt lgkmcnt(0)
	s_add_u32 s2, s20, s2
	s_addc_u32 s3, s21, s3
	s_lshl_b64 s[18:19], s[22:23], 1
	s_load_dwordx2 s[2:3], s[2:3], 0x0
	s_waitcnt lgkmcnt(0)
	s_add_u32 s2, s2, s18
	s_addc_u32 s3, s3, s19
.LBB690_5:
	s_lshl_b64 s[0:1], s[0:1], 3
	s_add_u32 s0, s12, s0
	s_addc_u32 s1, s13, s1
	s_lshl_b64 s[14:15], s[14:15], 2
	s_load_dwordx2 s[12:13], s[0:1], 0x0
	s_load_dword s17, s[4:5], 0x78
	v_cmp_eq_u32_e64 s0, 0, v0
	s_waitcnt lgkmcnt(0)
	s_add_u32 s12, s12, s14
	s_addc_u32 s13, s13, s15
	s_andn2_b32 vcc_lo, exec_lo, s10
	s_cbranch_vccnz .LBB690_10
; %bb.6:
	s_mov_b32 s1, 0
	s_mov_b32 s14, 0
                                        ; implicit-def: $vgpr1
                                        ; implicit-def: $sgpr10_sgpr11
	s_and_saveexec_b32 s15, s0
	s_cbranch_execz .LBB690_11
; %bb.7:
	v_cmp_eq_f32_e64 s0, s7, 0
	v_mov_b32_e32 v1, 0
	s_mul_hi_i32 s11, s17, s6
	s_mul_i32 s10, s17, s6
	s_and_b32 vcc_lo, exec_lo, s0
	s_cbranch_vccnz .LBB690_9
; %bb.8:
	s_lshl_b64 s[18:19], s[10:11], 2
	s_add_u32 s18, s12, s18
	s_addc_u32 s19, s13, s19
	v_mov_b32_e32 v1, s18
	v_mov_b32_e32 v2, s19
	flat_load_dword v1, v[1:2]
	s_waitcnt vmcnt(0) lgkmcnt(0)
	v_mul_f32_e32 v1, s7, v1
.LBB690_9:
	s_mov_b32 s14, exec_lo
	s_or_b32 exec_lo, exec_lo, s15
	s_and_b32 vcc_lo, exec_lo, s1
	s_cbranch_vccnz .LBB690_12
	s_branch .LBB690_46
.LBB690_10:
	s_mov_b32 s14, 0
                                        ; implicit-def: $vgpr1
                                        ; implicit-def: $sgpr10_sgpr11
	s_cbranch_execnz .LBB690_12
	s_branch .LBB690_46
.LBB690_11:
	s_or_b32 exec_lo, exec_lo, s15
	s_and_b32 vcc_lo, exec_lo, s1
	s_cbranch_vccz .LBB690_46
.LBB690_12:
	s_clause 0x2
	s_load_dword s10, s[4:5], 0x0
	s_load_dword s1, s[4:5], 0x28
	;; [unrolled: 1-line block ×3, first 2 shown]
	v_mov_b32_e32 v7, 0
	s_waitcnt lgkmcnt(0)
	v_cmp_gt_i32_e32 vcc_lo, s10, v0
	s_mul_hi_i32 s5, s1, s6
	s_mul_i32 s4, s1, s6
	s_ashr_i32 s1, s10, 31
	s_lshl_b64 s[4:5], s[4:5], 1
	v_cndmask_b32_e32 v1, 0, v0, vcc_lo
	s_lshr_b32 s1, s1, 24
	s_add_i32 s1, s10, s1
	v_lshlrev_b32_e32 v1, 1, v1
	v_add_co_u32 v1, s8, s8, v1
	v_add_co_ci_u32_e64 v2, null, s9, 0, s8
	v_add_co_u32 v1, vcc_lo, v1, s4
	v_add_co_ci_u32_e64 v2, null, s5, v2, vcc_lo
	s_and_b32 s4, s1, 0xffffff00
	s_cmpk_lt_i32 s10, 0x100
	s_mov_b32 s5, 0
	s_cbranch_scc1 .LBB690_19
; %bb.13:
	v_mad_i64_i32 v[3:4], null, s0, v0, 0
	v_mov_b32_e32 v8, 0
	v_mov_b32_e32 v7, 0
	s_ashr_i32 s1, s0, 31
	s_lshl_b64 s[8:9], s[0:1], 9
	v_lshlrev_b64 v[5:6], 1, v[3:4]
	v_mov_b32_e32 v4, v2
	v_mov_b32_e32 v3, v1
	v_add_co_u32 v5, vcc_lo, s2, v5
	v_add_co_ci_u32_e64 v6, null, s3, v6, vcc_lo
	s_inst_prefetch 0x1
	s_branch .LBB690_15
	.p2align	6
.LBB690_14:                             ;   in Loop: Header=BB690_15 Depth=1
	s_or_b32 exec_lo, exec_lo, s1
	v_and_b32_e32 v9, 0xffff0000, v10
	v_add_co_u32 v5, vcc_lo, v5, s8
	v_add_co_ci_u32_e64 v6, null, s9, v6, vcc_lo
	v_add_co_u32 v3, vcc_lo, 0x200, v3
	v_add_f32_e32 v7, v7, v9
	v_add_co_ci_u32_e64 v4, null, 0, v4, vcc_lo
	s_addk_i32 s5, 0x100
	s_cmp_ge_i32 s5, s4
	s_cbranch_scc1 .LBB690_19
.LBB690_15:                             ; =>This Inner Loop Header: Depth=1
	flat_load_ushort v9, v[5:6]
	flat_load_ushort v10, v[3:4]
	s_waitcnt vmcnt(1) lgkmcnt(1)
	v_lshlrev_b32_e32 v9, 16, v9
	s_waitcnt vmcnt(0) lgkmcnt(0)
	v_lshlrev_b32_e32 v10, 16, v10
	v_mul_f32_e32 v9, v10, v9
	v_and_b32_e32 v10, 0x7f800000, v9
	v_cmp_ne_u32_e32 vcc_lo, 0x7f800000, v10
                                        ; implicit-def: $vgpr10
	s_and_saveexec_b32 s1, vcc_lo
	s_xor_b32 s1, exec_lo, s1
; %bb.16:                               ;   in Loop: Header=BB690_15 Depth=1
	v_bfe_u32 v10, v9, 16, 1
	v_add3_u32 v10, v9, v10, 0x7fff
                                        ; implicit-def: $vgpr9
; %bb.17:                               ;   in Loop: Header=BB690_15 Depth=1
	s_andn2_saveexec_b32 s1, s1
	s_cbranch_execz .LBB690_14
; %bb.18:                               ;   in Loop: Header=BB690_15 Depth=1
	v_or_b32_e32 v10, 0x10000, v9
	v_cmp_eq_u32_sdwa vcc_lo, v9, v8 src0_sel:WORD_0 src1_sel:DWORD
	v_cndmask_b32_e32 v10, v10, v9, vcc_lo
	s_branch .LBB690_14
.LBB690_19:
	s_inst_prefetch 0x2
	v_add_nc_u32_e32 v3, s4, v0
	s_mov_b32 s1, exec_lo
	v_cmpx_gt_i32_e64 s10, v3
	s_cbranch_execz .LBB690_25
; %bb.20:
	v_mad_i64_i32 v[3:4], null, s0, v3, 0
	s_ashr_i32 s5, s4, 31
	s_lshl_b64 s[4:5], s[4:5], 1
	v_lshlrev_b64 v[3:4], 1, v[3:4]
	v_add_co_u32 v3, vcc_lo, s2, v3
	v_add_co_ci_u32_e64 v4, null, s3, v4, vcc_lo
	v_add_co_u32 v1, vcc_lo, v1, s4
	v_add_co_ci_u32_e64 v2, null, s5, v2, vcc_lo
	flat_load_ushort v3, v[3:4]
	flat_load_ushort v1, v[1:2]
	s_waitcnt vmcnt(1) lgkmcnt(1)
	v_lshlrev_b32_e32 v2, 16, v3
	s_waitcnt vmcnt(0) lgkmcnt(0)
	v_lshlrev_b32_e32 v1, 16, v1
	v_mul_f32_e32 v1, v1, v2
	v_and_b32_e32 v2, 0x7f800000, v1
	v_cmp_ne_u32_e32 vcc_lo, 0x7f800000, v2
                                        ; implicit-def: $vgpr2
	s_and_saveexec_b32 s0, vcc_lo
	s_xor_b32 s0, exec_lo, s0
; %bb.21:
	v_bfe_u32 v2, v1, 16, 1
	v_add3_u32 v2, v1, v2, 0x7fff
                                        ; implicit-def: $vgpr1
; %bb.22:
	s_andn2_saveexec_b32 s0, s0
; %bb.23:
	v_mov_b32_e32 v2, 0
	v_or_b32_e32 v3, 0x10000, v1
	v_cmp_eq_u32_sdwa vcc_lo, v1, v2 src0_sel:WORD_0 src1_sel:DWORD
	v_cndmask_b32_e32 v2, v3, v1, vcc_lo
; %bb.24:
	s_or_b32 exec_lo, exec_lo, s0
	v_and_b32_e32 v1, 0xffff0000, v2
	v_add_f32_e32 v7, v7, v1
.LBB690_25:
	s_or_b32 exec_lo, exec_lo, s1
	v_lshlrev_b32_e32 v1, 2, v0
	s_mov_b32 s0, exec_lo
	ds_write_b32 v1, v7
	s_waitcnt lgkmcnt(0)
	s_barrier
	buffer_gl0_inv
	v_cmpx_gt_u32_e32 0x80, v0
	s_cbranch_execz .LBB690_27
; %bb.26:
	ds_read2st64_b32 v[2:3], v1 offset1:2
	s_waitcnt lgkmcnt(0)
	v_add_f32_e32 v2, v3, v2
	ds_write_b32 v1, v2
.LBB690_27:
	s_or_b32 exec_lo, exec_lo, s0
	s_mov_b32 s0, exec_lo
	s_waitcnt lgkmcnt(0)
	s_barrier
	buffer_gl0_inv
	v_cmpx_gt_u32_e32 64, v0
	s_cbranch_execz .LBB690_29
; %bb.28:
	ds_read2st64_b32 v[2:3], v1 offset1:1
	s_waitcnt lgkmcnt(0)
	v_add_f32_e32 v2, v3, v2
	ds_write_b32 v1, v2
.LBB690_29:
	s_or_b32 exec_lo, exec_lo, s0
	s_mov_b32 s0, exec_lo
	s_waitcnt lgkmcnt(0)
	s_barrier
	buffer_gl0_inv
	v_cmpx_gt_u32_e32 32, v0
	s_cbranch_execz .LBB690_31
; %bb.30:
	ds_read2_b32 v[2:3], v1 offset1:32
	s_waitcnt lgkmcnt(0)
	v_add_f32_e32 v2, v3, v2
	ds_write_b32 v1, v2
.LBB690_31:
	s_or_b32 exec_lo, exec_lo, s0
	s_mov_b32 s0, exec_lo
	s_waitcnt lgkmcnt(0)
	s_barrier
	buffer_gl0_inv
	v_cmpx_gt_u32_e32 16, v0
	s_cbranch_execz .LBB690_33
; %bb.32:
	ds_read2_b32 v[2:3], v1 offset1:16
	s_waitcnt lgkmcnt(0)
	v_add_f32_e32 v2, v3, v2
	ds_write_b32 v1, v2
.LBB690_33:
	;; [unrolled: 13-line block ×5, first 2 shown]
	s_or_b32 exec_lo, exec_lo, s0
	v_cmp_eq_u32_e32 vcc_lo, 0, v0
	s_waitcnt lgkmcnt(0)
	s_barrier
	buffer_gl0_inv
	s_and_saveexec_b32 s0, vcc_lo
	s_cbranch_execz .LBB690_41
; %bb.40:
	v_mov_b32_e32 v2, 0
	ds_read_b64 v[0:1], v2
	s_waitcnt lgkmcnt(0)
	v_add_f32_e32 v0, v1, v0
	ds_write_b32 v2, v0
.LBB690_41:
	s_or_b32 exec_lo, exec_lo, s0
	s_waitcnt lgkmcnt(0)
	s_barrier
	buffer_gl0_inv
                                        ; implicit-def: $vgpr1
                                        ; implicit-def: $sgpr10_sgpr11
	s_and_saveexec_b32 s0, vcc_lo
	s_cbranch_execz .LBB690_45
; %bb.42:
	v_mov_b32_e32 v0, 0
	v_cmp_eq_f32_e64 s1, s7, 0
	s_mul_hi_i32 s11, s17, s6
	s_mul_i32 s10, s17, s6
	ds_read_b32 v0, v0
	s_and_b32 vcc_lo, exec_lo, s1
	s_waitcnt lgkmcnt(0)
	v_mul_f32_e32 v1, s16, v0
	s_cbranch_vccnz .LBB690_44
; %bb.43:
	s_lshl_b64 s[2:3], s[10:11], 2
	s_add_u32 s2, s12, s2
	s_addc_u32 s3, s13, s3
	v_mov_b32_e32 v2, s2
	v_mov_b32_e32 v3, s3
	flat_load_dword v0, v[2:3]
	s_waitcnt vmcnt(0) lgkmcnt(0)
	v_fmac_f32_e32 v1, s7, v0
.LBB690_44:
	s_or_b32 s14, s14, exec_lo
.LBB690_45:
	s_or_b32 exec_lo, exec_lo, s0
.LBB690_46:
	s_and_saveexec_b32 s0, s14
	s_cbranch_execz .LBB690_48
; %bb.47:
	s_lshl_b64 s[0:1], s[10:11], 2
	s_add_u32 s0, s12, s0
	s_addc_u32 s1, s13, s1
	v_mov_b32_e32 v3, s1
	v_mov_b32_e32 v2, s0
	flat_store_dword v[2:3], v1
.LBB690_48:
	s_endpgm
	.section	.rodata,"a",@progbits
	.p2align	6, 0x0
	.amdhsa_kernel _ZL20rocblas_gemvt_kernelILb1ELi256EPK16rocblas_bfloat16PKfKPfEviiT2_lPKT1_lilSA_lilS7_lPT3_lili
		.amdhsa_group_segment_fixed_size 1024
		.amdhsa_private_segment_fixed_size 0
		.amdhsa_kernarg_size 140
		.amdhsa_user_sgpr_count 6
		.amdhsa_user_sgpr_private_segment_buffer 1
		.amdhsa_user_sgpr_dispatch_ptr 0
		.amdhsa_user_sgpr_queue_ptr 0
		.amdhsa_user_sgpr_kernarg_segment_ptr 1
		.amdhsa_user_sgpr_dispatch_id 0
		.amdhsa_user_sgpr_flat_scratch_init 0
		.amdhsa_user_sgpr_private_segment_size 0
		.amdhsa_wavefront_size32 1
		.amdhsa_uses_dynamic_stack 0
		.amdhsa_system_sgpr_private_segment_wavefront_offset 0
		.amdhsa_system_sgpr_workgroup_id_x 1
		.amdhsa_system_sgpr_workgroup_id_y 0
		.amdhsa_system_sgpr_workgroup_id_z 1
		.amdhsa_system_sgpr_workgroup_info 0
		.amdhsa_system_vgpr_workitem_id 0
		.amdhsa_next_free_vgpr 11
		.amdhsa_next_free_sgpr 24
		.amdhsa_reserve_vcc 1
		.amdhsa_reserve_flat_scratch 0
		.amdhsa_float_round_mode_32 0
		.amdhsa_float_round_mode_16_64 0
		.amdhsa_float_denorm_mode_32 3
		.amdhsa_float_denorm_mode_16_64 3
		.amdhsa_dx10_clamp 1
		.amdhsa_ieee_mode 1
		.amdhsa_fp16_overflow 0
		.amdhsa_workgroup_processor_mode 1
		.amdhsa_memory_ordered 1
		.amdhsa_forward_progress 1
		.amdhsa_shared_vgpr_count 0
		.amdhsa_exception_fp_ieee_invalid_op 0
		.amdhsa_exception_fp_denorm_src 0
		.amdhsa_exception_fp_ieee_div_zero 0
		.amdhsa_exception_fp_ieee_overflow 0
		.amdhsa_exception_fp_ieee_underflow 0
		.amdhsa_exception_fp_ieee_inexact 0
		.amdhsa_exception_int_div_zero 0
	.end_amdhsa_kernel
	.section	.text._ZL20rocblas_gemvt_kernelILb1ELi256EPK16rocblas_bfloat16PKfKPfEviiT2_lPKT1_lilSA_lilS7_lPT3_lili,"axG",@progbits,_ZL20rocblas_gemvt_kernelILb1ELi256EPK16rocblas_bfloat16PKfKPfEviiT2_lPKT1_lilSA_lilS7_lPT3_lili,comdat
.Lfunc_end690:
	.size	_ZL20rocblas_gemvt_kernelILb1ELi256EPK16rocblas_bfloat16PKfKPfEviiT2_lPKT1_lilSA_lilS7_lPT3_lili, .Lfunc_end690-_ZL20rocblas_gemvt_kernelILb1ELi256EPK16rocblas_bfloat16PKfKPfEviiT2_lPKT1_lilSA_lilS7_lPT3_lili
                                        ; -- End function
	.set _ZL20rocblas_gemvt_kernelILb1ELi256EPK16rocblas_bfloat16PKfKPfEviiT2_lPKT1_lilSA_lilS7_lPT3_lili.num_vgpr, 11
	.set _ZL20rocblas_gemvt_kernelILb1ELi256EPK16rocblas_bfloat16PKfKPfEviiT2_lPKT1_lilSA_lilS7_lPT3_lili.num_agpr, 0
	.set _ZL20rocblas_gemvt_kernelILb1ELi256EPK16rocblas_bfloat16PKfKPfEviiT2_lPKT1_lilSA_lilS7_lPT3_lili.numbered_sgpr, 24
	.set _ZL20rocblas_gemvt_kernelILb1ELi256EPK16rocblas_bfloat16PKfKPfEviiT2_lPKT1_lilSA_lilS7_lPT3_lili.num_named_barrier, 0
	.set _ZL20rocblas_gemvt_kernelILb1ELi256EPK16rocblas_bfloat16PKfKPfEviiT2_lPKT1_lilSA_lilS7_lPT3_lili.private_seg_size, 0
	.set _ZL20rocblas_gemvt_kernelILb1ELi256EPK16rocblas_bfloat16PKfKPfEviiT2_lPKT1_lilSA_lilS7_lPT3_lili.uses_vcc, 1
	.set _ZL20rocblas_gemvt_kernelILb1ELi256EPK16rocblas_bfloat16PKfKPfEviiT2_lPKT1_lilSA_lilS7_lPT3_lili.uses_flat_scratch, 0
	.set _ZL20rocblas_gemvt_kernelILb1ELi256EPK16rocblas_bfloat16PKfKPfEviiT2_lPKT1_lilSA_lilS7_lPT3_lili.has_dyn_sized_stack, 0
	.set _ZL20rocblas_gemvt_kernelILb1ELi256EPK16rocblas_bfloat16PKfKPfEviiT2_lPKT1_lilSA_lilS7_lPT3_lili.has_recursion, 0
	.set _ZL20rocblas_gemvt_kernelILb1ELi256EPK16rocblas_bfloat16PKfKPfEviiT2_lPKT1_lilSA_lilS7_lPT3_lili.has_indirect_call, 0
	.section	.AMDGPU.csdata,"",@progbits
; Kernel info:
; codeLenInByte = 1644
; TotalNumSgprs: 26
; NumVgprs: 11
; ScratchSize: 0
; MemoryBound: 0
; FloatMode: 240
; IeeeMode: 1
; LDSByteSize: 1024 bytes/workgroup (compile time only)
; SGPRBlocks: 0
; VGPRBlocks: 1
; NumSGPRsForWavesPerEU: 26
; NumVGPRsForWavesPerEU: 11
; Occupancy: 16
; WaveLimiterHint : 1
; COMPUTE_PGM_RSRC2:SCRATCH_EN: 0
; COMPUTE_PGM_RSRC2:USER_SGPR: 6
; COMPUTE_PGM_RSRC2:TRAP_HANDLER: 0
; COMPUTE_PGM_RSRC2:TGID_X_EN: 1
; COMPUTE_PGM_RSRC2:TGID_Y_EN: 0
; COMPUTE_PGM_RSRC2:TGID_Z_EN: 1
; COMPUTE_PGM_RSRC2:TIDIG_COMP_CNT: 0
	.section	.text._ZL20rocblas_gemvt_kernelILb1ELi256EPK16rocblas_bfloat16fKPfEviiT2_lPKT1_lilS8_lilS5_lPT3_lili,"axG",@progbits,_ZL20rocblas_gemvt_kernelILb1ELi256EPK16rocblas_bfloat16fKPfEviiT2_lPKT1_lilS8_lilS5_lPT3_lili,comdat
	.globl	_ZL20rocblas_gemvt_kernelILb1ELi256EPK16rocblas_bfloat16fKPfEviiT2_lPKT1_lilS8_lilS5_lPT3_lili ; -- Begin function _ZL20rocblas_gemvt_kernelILb1ELi256EPK16rocblas_bfloat16fKPfEviiT2_lPKT1_lilS8_lilS5_lPT3_lili
	.p2align	8
	.type	_ZL20rocblas_gemvt_kernelILb1ELi256EPK16rocblas_bfloat16fKPfEviiT2_lPKT1_lilS8_lilS5_lPT3_lili,@function
_ZL20rocblas_gemvt_kernelILb1ELi256EPK16rocblas_bfloat16fKPfEviiT2_lPKT1_lilS8_lilS5_lPT3_lili: ; @_ZL20rocblas_gemvt_kernelILb1ELi256EPK16rocblas_bfloat16fKPfEviiT2_lPKT1_lilS8_lilS5_lPT3_lili
; %bb.0:
	s_mov_b32 s10, s7
	s_clause 0x1
	s_load_dword s12, s[4:5], 0x8
	s_load_dword s7, s[4:5], 0x58
	s_mov_b32 s11, 0
	s_waitcnt lgkmcnt(0)
	v_cmp_eq_f32_e64 s16, s12, 0
	v_cmp_eq_f32_e64 s0, s7, 1.0
	s_and_b32 s0, s16, s0
	s_and_b32 vcc_lo, exec_lo, s0
	s_cbranch_vccnz .LBB691_50
; %bb.1:
	v_cmp_neq_f32_e64 s13, s12, 0
	s_and_b32 vcc_lo, exec_lo, s13
	s_cbranch_vccnz .LBB691_3
; %bb.2:
	s_mov_b32 s1, 0
	s_mov_b32 s0, s10
	;; [unrolled: 1-line block ×3, first 2 shown]
	s_mov_b64 s[2:3], 0
	s_andn2_b32 vcc_lo, exec_lo, s8
	s_mov_b64 s[8:9], 0
	s_cbranch_vccz .LBB691_4
	s_branch .LBB691_5
.LBB691_3:
	s_mov_b64 s[0:1], s[10:11]
	s_mov_b64 s[2:3], 0
	;; [unrolled: 1-line block ×3, first 2 shown]
.LBB691_4:
	s_load_dwordx4 s[20:23], s[4:5], 0x18
	s_lshl_b64 s[8:9], s[10:11], 3
	s_waitcnt lgkmcnt(0)
	s_add_u32 s8, s20, s8
	s_addc_u32 s9, s21, s9
	s_lshl_b64 s[10:11], s[22:23], 1
	s_load_dwordx2 s[8:9], s[8:9], 0x0
	s_waitcnt lgkmcnt(0)
	s_add_u32 s8, s8, s10
	s_addc_u32 s9, s9, s11
.LBB691_5:
	s_andn2_b32 vcc_lo, exec_lo, s13
	s_cbranch_vccnz .LBB691_7
; %bb.6:
	s_load_dwordx4 s[20:23], s[4:5], 0x38
	s_lshl_b64 s[2:3], s[0:1], 3
	s_waitcnt lgkmcnt(0)
	s_add_u32 s2, s20, s2
	s_addc_u32 s3, s21, s3
	s_lshl_b64 s[10:11], s[22:23], 1
	s_load_dwordx2 s[2:3], s[2:3], 0x0
	s_waitcnt lgkmcnt(0)
	s_add_u32 s2, s2, s10
	s_addc_u32 s3, s3, s11
.LBB691_7:
	s_clause 0x1
	s_load_dwordx4 s[20:23], s[4:5], 0x68
	s_load_dword s15, s[4:5], 0x78
	s_lshl_b64 s[0:1], s[0:1], 3
	s_waitcnt lgkmcnt(0)
	s_add_u32 s0, s20, s0
	s_addc_u32 s1, s21, s1
	s_lshl_b64 s[18:19], s[22:23], 2
	s_load_dwordx2 s[10:11], s[0:1], 0x0
	v_cmp_eq_u32_e64 s0, 0, v0
	s_waitcnt lgkmcnt(0)
	s_add_u32 s13, s10, s18
	s_addc_u32 s14, s11, s19
	s_andn2_b32 vcc_lo, exec_lo, s16
	s_cbranch_vccnz .LBB691_12
; %bb.8:
	s_mov_b32 s1, 0
	s_mov_b32 s16, 0
                                        ; implicit-def: $vgpr1
                                        ; implicit-def: $sgpr10_sgpr11
	s_and_saveexec_b32 s17, s0
	s_cbranch_execz .LBB691_13
; %bb.9:
	v_cmp_eq_f32_e64 s0, s7, 0
	v_mov_b32_e32 v1, 0
	s_mul_hi_i32 s11, s15, s6
	s_mul_i32 s10, s15, s6
	s_and_b32 vcc_lo, exec_lo, s0
	s_cbranch_vccnz .LBB691_11
; %bb.10:
	s_lshl_b64 s[18:19], s[10:11], 2
	s_add_u32 s18, s13, s18
	s_addc_u32 s19, s14, s19
	v_mov_b32_e32 v1, s18
	v_mov_b32_e32 v2, s19
	flat_load_dword v1, v[1:2]
	s_waitcnt vmcnt(0) lgkmcnt(0)
	v_mul_f32_e32 v1, s7, v1
.LBB691_11:
	s_mov_b32 s16, exec_lo
	s_or_b32 exec_lo, exec_lo, s17
	s_and_b32 vcc_lo, exec_lo, s1
	s_cbranch_vccnz .LBB691_14
	s_branch .LBB691_48
.LBB691_12:
	s_mov_b32 s16, 0
                                        ; implicit-def: $vgpr1
                                        ; implicit-def: $sgpr10_sgpr11
	s_cbranch_execnz .LBB691_14
	s_branch .LBB691_48
.LBB691_13:
	s_or_b32 exec_lo, exec_lo, s17
	s_and_b32 vcc_lo, exec_lo, s1
	s_cbranch_vccz .LBB691_48
.LBB691_14:
	s_clause 0x2
	s_load_dword s10, s[4:5], 0x0
	s_load_dword s1, s[4:5], 0x28
	;; [unrolled: 1-line block ×3, first 2 shown]
	v_mov_b32_e32 v7, 0
	s_waitcnt lgkmcnt(0)
	v_cmp_gt_i32_e32 vcc_lo, s10, v0
	s_mul_hi_i32 s5, s1, s6
	s_mul_i32 s4, s1, s6
	s_ashr_i32 s1, s10, 31
	s_lshl_b64 s[4:5], s[4:5], 1
	v_cndmask_b32_e32 v1, 0, v0, vcc_lo
	s_lshr_b32 s1, s1, 24
	s_add_i32 s1, s10, s1
	v_lshlrev_b32_e32 v1, 1, v1
	v_add_co_u32 v1, s8, s8, v1
	v_add_co_ci_u32_e64 v2, null, s9, 0, s8
	v_add_co_u32 v1, vcc_lo, v1, s4
	v_add_co_ci_u32_e64 v2, null, s5, v2, vcc_lo
	s_and_b32 s4, s1, 0xffffff00
	s_cmpk_lt_i32 s10, 0x100
	s_mov_b32 s5, 0
	s_cbranch_scc1 .LBB691_21
; %bb.15:
	v_mad_i64_i32 v[3:4], null, s0, v0, 0
	v_mov_b32_e32 v8, 0
	v_mov_b32_e32 v7, 0
	s_ashr_i32 s1, s0, 31
	s_lshl_b64 s[8:9], s[0:1], 9
	v_lshlrev_b64 v[5:6], 1, v[3:4]
	v_mov_b32_e32 v4, v2
	v_mov_b32_e32 v3, v1
	v_add_co_u32 v5, vcc_lo, s2, v5
	v_add_co_ci_u32_e64 v6, null, s3, v6, vcc_lo
	s_inst_prefetch 0x1
	s_branch .LBB691_17
	.p2align	6
.LBB691_16:                             ;   in Loop: Header=BB691_17 Depth=1
	s_or_b32 exec_lo, exec_lo, s1
	v_and_b32_e32 v9, 0xffff0000, v10
	v_add_co_u32 v5, vcc_lo, v5, s8
	v_add_co_ci_u32_e64 v6, null, s9, v6, vcc_lo
	v_add_co_u32 v3, vcc_lo, 0x200, v3
	v_add_f32_e32 v7, v7, v9
	v_add_co_ci_u32_e64 v4, null, 0, v4, vcc_lo
	s_addk_i32 s5, 0x100
	s_cmp_ge_i32 s5, s4
	s_cbranch_scc1 .LBB691_21
.LBB691_17:                             ; =>This Inner Loop Header: Depth=1
	flat_load_ushort v9, v[5:6]
	flat_load_ushort v10, v[3:4]
	s_waitcnt vmcnt(1) lgkmcnt(1)
	v_lshlrev_b32_e32 v9, 16, v9
	s_waitcnt vmcnt(0) lgkmcnt(0)
	v_lshlrev_b32_e32 v10, 16, v10
	v_mul_f32_e32 v9, v10, v9
	v_and_b32_e32 v10, 0x7f800000, v9
	v_cmp_ne_u32_e32 vcc_lo, 0x7f800000, v10
                                        ; implicit-def: $vgpr10
	s_and_saveexec_b32 s1, vcc_lo
	s_xor_b32 s1, exec_lo, s1
; %bb.18:                               ;   in Loop: Header=BB691_17 Depth=1
	v_bfe_u32 v10, v9, 16, 1
	v_add3_u32 v10, v9, v10, 0x7fff
                                        ; implicit-def: $vgpr9
; %bb.19:                               ;   in Loop: Header=BB691_17 Depth=1
	s_andn2_saveexec_b32 s1, s1
	s_cbranch_execz .LBB691_16
; %bb.20:                               ;   in Loop: Header=BB691_17 Depth=1
	v_or_b32_e32 v10, 0x10000, v9
	v_cmp_eq_u32_sdwa vcc_lo, v9, v8 src0_sel:WORD_0 src1_sel:DWORD
	v_cndmask_b32_e32 v10, v10, v9, vcc_lo
	s_branch .LBB691_16
.LBB691_21:
	s_inst_prefetch 0x2
	v_add_nc_u32_e32 v3, s4, v0
	s_mov_b32 s1, exec_lo
	v_cmpx_gt_i32_e64 s10, v3
	s_cbranch_execz .LBB691_27
; %bb.22:
	v_mad_i64_i32 v[3:4], null, s0, v3, 0
	s_ashr_i32 s5, s4, 31
	s_lshl_b64 s[4:5], s[4:5], 1
	v_lshlrev_b64 v[3:4], 1, v[3:4]
	v_add_co_u32 v3, vcc_lo, s2, v3
	v_add_co_ci_u32_e64 v4, null, s3, v4, vcc_lo
	v_add_co_u32 v1, vcc_lo, v1, s4
	v_add_co_ci_u32_e64 v2, null, s5, v2, vcc_lo
	flat_load_ushort v3, v[3:4]
	flat_load_ushort v1, v[1:2]
	s_waitcnt vmcnt(1) lgkmcnt(1)
	v_lshlrev_b32_e32 v2, 16, v3
	s_waitcnt vmcnt(0) lgkmcnt(0)
	v_lshlrev_b32_e32 v1, 16, v1
	v_mul_f32_e32 v1, v1, v2
	v_and_b32_e32 v2, 0x7f800000, v1
	v_cmp_ne_u32_e32 vcc_lo, 0x7f800000, v2
                                        ; implicit-def: $vgpr2
	s_and_saveexec_b32 s0, vcc_lo
	s_xor_b32 s0, exec_lo, s0
; %bb.23:
	v_bfe_u32 v2, v1, 16, 1
	v_add3_u32 v2, v1, v2, 0x7fff
                                        ; implicit-def: $vgpr1
; %bb.24:
	s_andn2_saveexec_b32 s0, s0
; %bb.25:
	v_mov_b32_e32 v2, 0
	v_or_b32_e32 v3, 0x10000, v1
	v_cmp_eq_u32_sdwa vcc_lo, v1, v2 src0_sel:WORD_0 src1_sel:DWORD
	v_cndmask_b32_e32 v2, v3, v1, vcc_lo
; %bb.26:
	s_or_b32 exec_lo, exec_lo, s0
	v_and_b32_e32 v1, 0xffff0000, v2
	v_add_f32_e32 v7, v7, v1
.LBB691_27:
	s_or_b32 exec_lo, exec_lo, s1
	v_lshlrev_b32_e32 v1, 2, v0
	s_mov_b32 s0, exec_lo
	ds_write_b32 v1, v7
	s_waitcnt lgkmcnt(0)
	s_barrier
	buffer_gl0_inv
	v_cmpx_gt_u32_e32 0x80, v0
	s_cbranch_execz .LBB691_29
; %bb.28:
	ds_read2st64_b32 v[2:3], v1 offset1:2
	s_waitcnt lgkmcnt(0)
	v_add_f32_e32 v2, v3, v2
	ds_write_b32 v1, v2
.LBB691_29:
	s_or_b32 exec_lo, exec_lo, s0
	s_mov_b32 s0, exec_lo
	s_waitcnt lgkmcnt(0)
	s_barrier
	buffer_gl0_inv
	v_cmpx_gt_u32_e32 64, v0
	s_cbranch_execz .LBB691_31
; %bb.30:
	ds_read2st64_b32 v[2:3], v1 offset1:1
	s_waitcnt lgkmcnt(0)
	v_add_f32_e32 v2, v3, v2
	ds_write_b32 v1, v2
.LBB691_31:
	s_or_b32 exec_lo, exec_lo, s0
	s_mov_b32 s0, exec_lo
	s_waitcnt lgkmcnt(0)
	s_barrier
	buffer_gl0_inv
	v_cmpx_gt_u32_e32 32, v0
	s_cbranch_execz .LBB691_33
; %bb.32:
	ds_read2_b32 v[2:3], v1 offset1:32
	s_waitcnt lgkmcnt(0)
	v_add_f32_e32 v2, v3, v2
	ds_write_b32 v1, v2
.LBB691_33:
	s_or_b32 exec_lo, exec_lo, s0
	s_mov_b32 s0, exec_lo
	s_waitcnt lgkmcnt(0)
	s_barrier
	buffer_gl0_inv
	v_cmpx_gt_u32_e32 16, v0
	s_cbranch_execz .LBB691_35
; %bb.34:
	ds_read2_b32 v[2:3], v1 offset1:16
	s_waitcnt lgkmcnt(0)
	v_add_f32_e32 v2, v3, v2
	ds_write_b32 v1, v2
.LBB691_35:
	;; [unrolled: 13-line block ×5, first 2 shown]
	s_or_b32 exec_lo, exec_lo, s0
	v_cmp_eq_u32_e32 vcc_lo, 0, v0
	s_waitcnt lgkmcnt(0)
	s_barrier
	buffer_gl0_inv
	s_and_saveexec_b32 s0, vcc_lo
	s_cbranch_execz .LBB691_43
; %bb.42:
	v_mov_b32_e32 v2, 0
	ds_read_b64 v[0:1], v2
	s_waitcnt lgkmcnt(0)
	v_add_f32_e32 v0, v1, v0
	ds_write_b32 v2, v0
.LBB691_43:
	s_or_b32 exec_lo, exec_lo, s0
	s_waitcnt lgkmcnt(0)
	s_barrier
	buffer_gl0_inv
                                        ; implicit-def: $vgpr1
                                        ; implicit-def: $sgpr10_sgpr11
	s_and_saveexec_b32 s0, vcc_lo
	s_cbranch_execz .LBB691_47
; %bb.44:
	v_mov_b32_e32 v0, 0
	v_cmp_eq_f32_e64 s1, s7, 0
	s_mul_hi_i32 s11, s15, s6
	s_mul_i32 s10, s15, s6
	ds_read_b32 v0, v0
	s_and_b32 vcc_lo, exec_lo, s1
	s_waitcnt lgkmcnt(0)
	v_mul_f32_e32 v1, s12, v0
	s_cbranch_vccnz .LBB691_46
; %bb.45:
	s_lshl_b64 s[2:3], s[10:11], 2
	s_add_u32 s2, s13, s2
	s_addc_u32 s3, s14, s3
	v_mov_b32_e32 v2, s2
	v_mov_b32_e32 v3, s3
	flat_load_dword v0, v[2:3]
	s_waitcnt vmcnt(0) lgkmcnt(0)
	v_fmac_f32_e32 v1, s7, v0
.LBB691_46:
	s_or_b32 s16, s16, exec_lo
.LBB691_47:
	s_or_b32 exec_lo, exec_lo, s0
.LBB691_48:
	s_and_saveexec_b32 s0, s16
	s_cbranch_execz .LBB691_50
; %bb.49:
	s_lshl_b64 s[0:1], s[10:11], 2
	s_add_u32 s0, s13, s0
	s_addc_u32 s1, s14, s1
	v_mov_b32_e32 v3, s1
	v_mov_b32_e32 v2, s0
	flat_store_dword v[2:3], v1
.LBB691_50:
	s_endpgm
	.section	.rodata,"a",@progbits
	.p2align	6, 0x0
	.amdhsa_kernel _ZL20rocblas_gemvt_kernelILb1ELi256EPK16rocblas_bfloat16fKPfEviiT2_lPKT1_lilS8_lilS5_lPT3_lili
		.amdhsa_group_segment_fixed_size 1024
		.amdhsa_private_segment_fixed_size 0
		.amdhsa_kernarg_size 140
		.amdhsa_user_sgpr_count 6
		.amdhsa_user_sgpr_private_segment_buffer 1
		.amdhsa_user_sgpr_dispatch_ptr 0
		.amdhsa_user_sgpr_queue_ptr 0
		.amdhsa_user_sgpr_kernarg_segment_ptr 1
		.amdhsa_user_sgpr_dispatch_id 0
		.amdhsa_user_sgpr_flat_scratch_init 0
		.amdhsa_user_sgpr_private_segment_size 0
		.amdhsa_wavefront_size32 1
		.amdhsa_uses_dynamic_stack 0
		.amdhsa_system_sgpr_private_segment_wavefront_offset 0
		.amdhsa_system_sgpr_workgroup_id_x 1
		.amdhsa_system_sgpr_workgroup_id_y 0
		.amdhsa_system_sgpr_workgroup_id_z 1
		.amdhsa_system_sgpr_workgroup_info 0
		.amdhsa_system_vgpr_workitem_id 0
		.amdhsa_next_free_vgpr 11
		.amdhsa_next_free_sgpr 24
		.amdhsa_reserve_vcc 1
		.amdhsa_reserve_flat_scratch 0
		.amdhsa_float_round_mode_32 0
		.amdhsa_float_round_mode_16_64 0
		.amdhsa_float_denorm_mode_32 3
		.amdhsa_float_denorm_mode_16_64 3
		.amdhsa_dx10_clamp 1
		.amdhsa_ieee_mode 1
		.amdhsa_fp16_overflow 0
		.amdhsa_workgroup_processor_mode 1
		.amdhsa_memory_ordered 1
		.amdhsa_forward_progress 1
		.amdhsa_shared_vgpr_count 0
		.amdhsa_exception_fp_ieee_invalid_op 0
		.amdhsa_exception_fp_denorm_src 0
		.amdhsa_exception_fp_ieee_div_zero 0
		.amdhsa_exception_fp_ieee_overflow 0
		.amdhsa_exception_fp_ieee_underflow 0
		.amdhsa_exception_fp_ieee_inexact 0
		.amdhsa_exception_int_div_zero 0
	.end_amdhsa_kernel
	.section	.text._ZL20rocblas_gemvt_kernelILb1ELi256EPK16rocblas_bfloat16fKPfEviiT2_lPKT1_lilS8_lilS5_lPT3_lili,"axG",@progbits,_ZL20rocblas_gemvt_kernelILb1ELi256EPK16rocblas_bfloat16fKPfEviiT2_lPKT1_lilS8_lilS5_lPT3_lili,comdat
.Lfunc_end691:
	.size	_ZL20rocblas_gemvt_kernelILb1ELi256EPK16rocblas_bfloat16fKPfEviiT2_lPKT1_lilS8_lilS5_lPT3_lili, .Lfunc_end691-_ZL20rocblas_gemvt_kernelILb1ELi256EPK16rocblas_bfloat16fKPfEviiT2_lPKT1_lilS8_lilS5_lPT3_lili
                                        ; -- End function
	.set _ZL20rocblas_gemvt_kernelILb1ELi256EPK16rocblas_bfloat16fKPfEviiT2_lPKT1_lilS8_lilS5_lPT3_lili.num_vgpr, 11
	.set _ZL20rocblas_gemvt_kernelILb1ELi256EPK16rocblas_bfloat16fKPfEviiT2_lPKT1_lilS8_lilS5_lPT3_lili.num_agpr, 0
	.set _ZL20rocblas_gemvt_kernelILb1ELi256EPK16rocblas_bfloat16fKPfEviiT2_lPKT1_lilS8_lilS5_lPT3_lili.numbered_sgpr, 24
	.set _ZL20rocblas_gemvt_kernelILb1ELi256EPK16rocblas_bfloat16fKPfEviiT2_lPKT1_lilS8_lilS5_lPT3_lili.num_named_barrier, 0
	.set _ZL20rocblas_gemvt_kernelILb1ELi256EPK16rocblas_bfloat16fKPfEviiT2_lPKT1_lilS8_lilS5_lPT3_lili.private_seg_size, 0
	.set _ZL20rocblas_gemvt_kernelILb1ELi256EPK16rocblas_bfloat16fKPfEviiT2_lPKT1_lilS8_lilS5_lPT3_lili.uses_vcc, 1
	.set _ZL20rocblas_gemvt_kernelILb1ELi256EPK16rocblas_bfloat16fKPfEviiT2_lPKT1_lilS8_lilS5_lPT3_lili.uses_flat_scratch, 0
	.set _ZL20rocblas_gemvt_kernelILb1ELi256EPK16rocblas_bfloat16fKPfEviiT2_lPKT1_lilS8_lilS5_lPT3_lili.has_dyn_sized_stack, 0
	.set _ZL20rocblas_gemvt_kernelILb1ELi256EPK16rocblas_bfloat16fKPfEviiT2_lPKT1_lilS8_lilS5_lPT3_lili.has_recursion, 0
	.set _ZL20rocblas_gemvt_kernelILb1ELi256EPK16rocblas_bfloat16fKPfEviiT2_lPKT1_lilS8_lilS5_lPT3_lili.has_indirect_call, 0
	.section	.AMDGPU.csdata,"",@progbits
; Kernel info:
; codeLenInByte = 1644
; TotalNumSgprs: 26
; NumVgprs: 11
; ScratchSize: 0
; MemoryBound: 0
; FloatMode: 240
; IeeeMode: 1
; LDSByteSize: 1024 bytes/workgroup (compile time only)
; SGPRBlocks: 0
; VGPRBlocks: 1
; NumSGPRsForWavesPerEU: 26
; NumVGPRsForWavesPerEU: 11
; Occupancy: 16
; WaveLimiterHint : 1
; COMPUTE_PGM_RSRC2:SCRATCH_EN: 0
; COMPUTE_PGM_RSRC2:USER_SGPR: 6
; COMPUTE_PGM_RSRC2:TRAP_HANDLER: 0
; COMPUTE_PGM_RSRC2:TGID_X_EN: 1
; COMPUTE_PGM_RSRC2:TGID_Y_EN: 0
; COMPUTE_PGM_RSRC2:TGID_Z_EN: 1
; COMPUTE_PGM_RSRC2:TIDIG_COMP_CNT: 0
	.section	.text._ZL32rocblas_gemvt_warp_reduce_kernelILb1ELi1024EiPK16rocblas_bfloat16PKfKPfEviiT3_lPKT2_lT1_lSA_lSB_lS7_lPT4_lSB_li,"axG",@progbits,_ZL32rocblas_gemvt_warp_reduce_kernelILb1ELi1024EiPK16rocblas_bfloat16PKfKPfEviiT3_lPKT2_lT1_lSA_lSB_lS7_lPT4_lSB_li,comdat
	.globl	_ZL32rocblas_gemvt_warp_reduce_kernelILb1ELi1024EiPK16rocblas_bfloat16PKfKPfEviiT3_lPKT2_lT1_lSA_lSB_lS7_lPT4_lSB_li ; -- Begin function _ZL32rocblas_gemvt_warp_reduce_kernelILb1ELi1024EiPK16rocblas_bfloat16PKfKPfEviiT3_lPKT2_lT1_lSA_lSB_lS7_lPT4_lSB_li
	.p2align	8
	.type	_ZL32rocblas_gemvt_warp_reduce_kernelILb1ELi1024EiPK16rocblas_bfloat16PKfKPfEviiT3_lPKT2_lT1_lSA_lSB_lS7_lPT4_lSB_li,@function
_ZL32rocblas_gemvt_warp_reduce_kernelILb1ELi1024EiPK16rocblas_bfloat16PKfKPfEviiT3_lPKT2_lT1_lSA_lSB_lS7_lPT4_lSB_li: ; @_ZL32rocblas_gemvt_warp_reduce_kernelILb1ELi1024EiPK16rocblas_bfloat16PKfKPfEviiT3_lPKT2_lT1_lSA_lSB_lS7_lPT4_lSB_li
; %bb.0:
	s_clause 0x1
	s_load_dwordx8 s[16:23], s[4:5], 0x8
	s_load_dwordx8 s[8:15], s[4:5], 0x58
	s_mov_b32 s0, s7
	s_waitcnt lgkmcnt(0)
	s_mul_i32 s1, s19, s7
	s_mul_hi_u32 s3, s18, s7
	s_mul_i32 s2, s18, s7
	s_add_i32 s3, s3, s1
	s_mul_i32 s1, s11, s7
	s_lshl_b64 s[2:3], s[2:3], 2
	s_mul_hi_u32 s7, s10, s7
	s_add_u32 s2, s16, s2
	s_addc_u32 s3, s17, s3
	s_add_i32 s11, s7, s1
	s_mul_i32 s10, s10, s0
	s_lshl_b64 s[10:11], s[10:11], 2
	s_add_u32 s8, s8, s10
	s_addc_u32 s9, s9, s11
	s_load_dword s16, s[2:3], 0x0
	s_load_dword s7, s[8:9], 0x0
	s_waitcnt lgkmcnt(0)
	v_cmp_eq_f32_e64 s10, s16, 0
	v_cmp_eq_f32_e64 s1, s7, 1.0
	s_and_b32 s1, s10, s1
	s_and_b32 vcc_lo, exec_lo, s1
	s_mov_b32 s1, 0
	s_cbranch_vccnz .LBB692_41
; %bb.1:
	v_cmp_neq_f32_e64 s11, s16, 0
	s_mov_b64 s[2:3], 0
	s_and_b32 vcc_lo, exec_lo, s10
	s_mov_b64 s[8:9], 0
	s_cbranch_vccnz .LBB692_3
; %bb.2:
	s_lshl_b64 s[8:9], s[0:1], 3
	s_add_u32 s8, s20, s8
	s_addc_u32 s9, s21, s9
	s_lshl_b64 s[18:19], s[22:23], 1
	s_load_dwordx2 s[8:9], s[8:9], 0x0
	s_waitcnt lgkmcnt(0)
	s_add_u32 s8, s8, s18
	s_addc_u32 s9, s9, s19
.LBB692_3:
	s_andn2_b32 vcc_lo, exec_lo, s11
	s_cbranch_vccnz .LBB692_5
; %bb.4:
	s_load_dwordx4 s[20:23], s[4:5], 0x38
	s_lshl_b64 s[2:3], s[0:1], 3
	s_waitcnt lgkmcnt(0)
	s_add_u32 s2, s20, s2
	s_addc_u32 s3, s21, s3
	s_lshl_b64 s[18:19], s[22:23], 1
	s_load_dwordx2 s[2:3], s[2:3], 0x0
	s_waitcnt lgkmcnt(0)
	s_add_u32 s2, s2, s18
	s_addc_u32 s3, s3, s19
.LBB692_5:
	s_lshl_b64 s[0:1], s[0:1], 3
	s_add_u32 s0, s12, s0
	s_addc_u32 s1, s13, s1
	s_lshl_b64 s[14:15], s[14:15], 2
	s_load_dwordx2 s[12:13], s[0:1], 0x0
	s_load_dword s17, s[4:5], 0x78
	v_cmp_eq_u32_e64 s0, 0, v0
	s_waitcnt lgkmcnt(0)
	s_add_u32 s1, s12, s14
	s_addc_u32 s12, s13, s15
	s_andn2_b32 vcc_lo, exec_lo, s10
	s_cbranch_vccnz .LBB692_10
; %bb.6:
	s_mov_b32 s14, 0
	s_mov_b32 s13, 0
                                        ; implicit-def: $vgpr1
                                        ; implicit-def: $sgpr10_sgpr11
	s_and_saveexec_b32 s15, s0
	s_cbranch_execz .LBB692_11
; %bb.7:
	v_cmp_eq_f32_e64 s0, s7, 0
	v_mov_b32_e32 v1, 0
	s_mul_i32 s10, s17, s6
	s_ashr_i32 s11, s10, 31
	s_and_b32 vcc_lo, exec_lo, s0
	s_cbranch_vccnz .LBB692_9
; %bb.8:
	s_lshl_b64 s[18:19], s[10:11], 2
	s_add_u32 s18, s1, s18
	s_addc_u32 s19, s12, s19
	v_mov_b32_e32 v1, s18
	v_mov_b32_e32 v2, s19
	flat_load_dword v1, v[1:2]
	s_waitcnt vmcnt(0) lgkmcnt(0)
	v_mul_f32_e32 v1, s7, v1
.LBB692_9:
	s_mov_b32 s13, exec_lo
	s_or_b32 exec_lo, exec_lo, s15
	s_and_b32 vcc_lo, exec_lo, s14
	s_cbranch_vccnz .LBB692_12
	s_branch .LBB692_39
.LBB692_10:
	s_mov_b32 s13, 0
                                        ; implicit-def: $vgpr1
                                        ; implicit-def: $sgpr10_sgpr11
	s_cbranch_execnz .LBB692_12
	s_branch .LBB692_39
.LBB692_11:
	s_or_b32 exec_lo, exec_lo, s15
	s_and_b32 vcc_lo, exec_lo, s14
	s_cbranch_vccz .LBB692_39
.LBB692_12:
	s_clause 0x2
	s_load_dword s10, s[4:5], 0x0
	s_load_dword s0, s[4:5], 0x28
	s_load_dword s5, s[4:5], 0x48
	v_mov_b32_e32 v7, 0
	s_waitcnt lgkmcnt(0)
	v_cmp_gt_i32_e32 vcc_lo, s10, v0
	s_mul_i32 s14, s0, s6
	s_ashr_i32 s0, s10, 31
	s_ashr_i32 s15, s14, 31
	s_lshr_b32 s0, s0, 22
	v_cndmask_b32_e32 v1, 0, v0, vcc_lo
	s_lshl_b64 s[14:15], s[14:15], 1
	s_add_i32 s0, s10, s0
	v_lshlrev_b32_e32 v1, 1, v1
	v_add_co_u32 v1, s4, s8, v1
	v_add_co_ci_u32_e64 v2, null, s9, 0, s4
	s_and_b32 s4, s0, 0xfffffc00
	v_add_co_u32 v1, vcc_lo, v1, s14
	v_add_co_ci_u32_e64 v2, null, s15, v2, vcc_lo
	s_mov_b32 s9, 0
	s_mov_b32 s8, exec_lo
	v_cmpx_gt_i32_e64 s4, v0
	s_cbranch_execz .LBB692_20
; %bb.13:
	v_mul_lo_u32 v3, v0, s5
	v_mov_b32_e32 v6, v2
	v_mov_b32_e32 v8, 0
	;; [unrolled: 1-line block ×5, first 2 shown]
	s_lshl_b32 s11, s5, 10
	s_branch .LBB692_15
.LBB692_14:                             ;   in Loop: Header=BB692_15 Depth=1
	s_or_b32 exec_lo, exec_lo, s0
	v_add_nc_u32_e32 v9, 0x400, v9
	v_and_b32_e32 v4, 0xffff0000, v10
	v_add_co_u32 v5, s0, 0x800, v5
	v_add_nc_u32_e32 v3, s11, v3
	v_cmp_le_i32_e32 vcc_lo, s4, v9
	v_add_f32_e32 v7, v7, v4
	v_add_co_ci_u32_e64 v6, null, 0, v6, s0
	s_or_b32 s9, vcc_lo, s9
	s_andn2_b32 exec_lo, exec_lo, s9
	s_cbranch_execz .LBB692_19
.LBB692_15:                             ; =>This Inner Loop Header: Depth=1
	v_ashrrev_i32_e32 v4, 31, v3
	v_lshlrev_b64 v[10:11], 1, v[3:4]
	v_add_co_u32 v10, vcc_lo, s2, v10
	v_add_co_ci_u32_e64 v11, null, s3, v11, vcc_lo
	flat_load_ushort v4, v[5:6]
	flat_load_ushort v10, v[10:11]
	s_waitcnt vmcnt(1) lgkmcnt(1)
	v_lshlrev_b32_e32 v4, 16, v4
	s_waitcnt vmcnt(0) lgkmcnt(0)
	v_lshlrev_b32_e32 v10, 16, v10
	v_mul_f32_e32 v4, v4, v10
	v_and_b32_e32 v10, 0x7f800000, v4
	v_cmp_ne_u32_e32 vcc_lo, 0x7f800000, v10
                                        ; implicit-def: $vgpr10
	s_and_saveexec_b32 s0, vcc_lo
	s_xor_b32 s0, exec_lo, s0
; %bb.16:                               ;   in Loop: Header=BB692_15 Depth=1
	v_bfe_u32 v10, v4, 16, 1
	v_add3_u32 v10, v4, v10, 0x7fff
                                        ; implicit-def: $vgpr4
; %bb.17:                               ;   in Loop: Header=BB692_15 Depth=1
	s_andn2_saveexec_b32 s0, s0
	s_cbranch_execz .LBB692_14
; %bb.18:                               ;   in Loop: Header=BB692_15 Depth=1
	v_or_b32_e32 v10, 0x10000, v4
	v_cmp_eq_u32_sdwa vcc_lo, v4, v8 src0_sel:WORD_0 src1_sel:DWORD
	v_cndmask_b32_e32 v10, v10, v4, vcc_lo
	s_branch .LBB692_14
.LBB692_19:
	s_or_b32 exec_lo, exec_lo, s9
.LBB692_20:
	s_or_b32 exec_lo, exec_lo, s8
	v_or_b32_e32 v3, s4, v0
	s_mov_b32 s0, exec_lo
	v_cmpx_gt_i32_e64 s10, v3
	s_cbranch_execz .LBB692_26
; %bb.21:
	v_mul_lo_u32 v3, s5, v3
	s_ashr_i32 s5, s4, 31
	s_lshl_b64 s[4:5], s[4:5], 1
	v_ashrrev_i32_e32 v4, 31, v3
	v_lshlrev_b64 v[3:4], 1, v[3:4]
	v_add_co_u32 v3, vcc_lo, s2, v3
	v_add_co_ci_u32_e64 v4, null, s3, v4, vcc_lo
	v_add_co_u32 v1, vcc_lo, v1, s4
	v_add_co_ci_u32_e64 v2, null, s5, v2, vcc_lo
	flat_load_ushort v3, v[3:4]
	flat_load_ushort v1, v[1:2]
	s_waitcnt vmcnt(1) lgkmcnt(1)
	v_lshlrev_b32_e32 v2, 16, v3
	s_waitcnt vmcnt(0) lgkmcnt(0)
	v_lshlrev_b32_e32 v1, 16, v1
	v_mul_f32_e32 v1, v1, v2
	v_and_b32_e32 v2, 0x7f800000, v1
	v_cmp_ne_u32_e32 vcc_lo, 0x7f800000, v2
                                        ; implicit-def: $vgpr2
	s_and_saveexec_b32 s2, vcc_lo
	s_xor_b32 s2, exec_lo, s2
; %bb.22:
	v_bfe_u32 v2, v1, 16, 1
	v_add3_u32 v2, v1, v2, 0x7fff
                                        ; implicit-def: $vgpr1
; %bb.23:
	s_andn2_saveexec_b32 s2, s2
; %bb.24:
	v_mov_b32_e32 v2, 0
	v_or_b32_e32 v3, 0x10000, v1
	v_cmp_eq_u32_sdwa vcc_lo, v1, v2 src0_sel:WORD_0 src1_sel:DWORD
	v_cndmask_b32_e32 v2, v3, v1, vcc_lo
; %bb.25:
	s_or_b32 exec_lo, exec_lo, s2
	v_and_b32_e32 v1, 0xffff0000, v2
	v_add_f32_e32 v7, v7, v1
.LBB692_26:
	s_or_b32 exec_lo, exec_lo, s0
	v_and_b32_e32 v8, 31, v0
	v_cmp_gt_u32_e32 vcc_lo, 32, v0
	v_lshlrev_b32_e32 v1, 2, v8
	s_and_saveexec_b32 s0, vcc_lo
; %bb.27:
	v_mov_b32_e32 v2, 0
	ds_write_b32 v1, v2
; %bb.28:
	s_or_b32 exec_lo, exec_lo, s0
	v_mbcnt_lo_u32_b32 v6, -1, 0
	s_mov_b32 s2, exec_lo
	s_waitcnt lgkmcnt(0)
	s_barrier
	buffer_gl0_inv
	v_lshl_or_b32 v2, v6, 2, 64
	v_cmp_gt_u32_e64 s0, 24, v6
	ds_bpermute_b32 v4, v2, v7
	v_cndmask_b32_e64 v3, 0, 8, s0
	v_cmp_gt_u32_e64 s0, 28, v6
	v_add_lshl_u32 v3, v3, v6, 2
	s_waitcnt lgkmcnt(0)
	v_add_f32_e32 v5, v7, v4
	v_cndmask_b32_e64 v4, 0, 4, s0
	v_cmp_gt_u32_e64 s0, 30, v6
	ds_bpermute_b32 v7, v3, v5
	v_add_lshl_u32 v4, v4, v6, 2
	s_waitcnt lgkmcnt(0)
	v_add_f32_e32 v7, v5, v7
	v_cndmask_b32_e64 v5, 0, 2, s0
	v_cmp_ne_u32_e64 s0, 31, v6
	ds_bpermute_b32 v9, v4, v7
	v_add_lshl_u32 v5, v5, v6, 2
	v_add_co_ci_u32_e64 v6, null, 0, v6, s0
	v_lshlrev_b32_e32 v6, 2, v6
	s_waitcnt lgkmcnt(0)
	v_add_f32_e32 v7, v7, v9
	ds_bpermute_b32 v9, v5, v7
	s_waitcnt lgkmcnt(0)
	v_add_f32_e32 v7, v7, v9
	ds_bpermute_b32 v9, v6, v7
	v_cmpx_eq_u32_e32 0, v8
	s_cbranch_execz .LBB692_30
; %bb.29:
	v_lshrrev_b32_e32 v8, 3, v0
	s_waitcnt lgkmcnt(0)
	v_add_f32_e32 v7, v7, v9
	v_and_b32_e32 v8, 0x7c, v8
	ds_write_b32 v8, v7
.LBB692_30:
	s_or_b32 exec_lo, exec_lo, s2
	v_mov_b32_e32 v7, 0
	s_waitcnt lgkmcnt(0)
	s_barrier
	buffer_gl0_inv
	s_and_saveexec_b32 s0, vcc_lo
; %bb.31:
	ds_read_b32 v7, v1
; %bb.32:
	s_or_b32 exec_lo, exec_lo, s0
	s_and_saveexec_b32 s0, vcc_lo
	s_cbranch_execz .LBB692_34
; %bb.33:
	s_waitcnt lgkmcnt(0)
	ds_bpermute_b32 v1, v2, v7
	s_waitcnt lgkmcnt(0)
	v_add_f32_e32 v1, v7, v1
	ds_bpermute_b32 v2, v3, v1
	s_waitcnt lgkmcnt(0)
	v_add_f32_e32 v1, v1, v2
	;; [unrolled: 3-line block ×5, first 2 shown]
.LBB692_34:
	s_or_b32 exec_lo, exec_lo, s0
	s_mov_b32 s0, exec_lo
                                        ; implicit-def: $vgpr1
                                        ; implicit-def: $sgpr10_sgpr11
	v_cmpx_eq_u32_e32 0, v0
	s_cbranch_execz .LBB692_38
; %bb.35:
	v_cmp_eq_f32_e64 s2, s7, 0
	s_waitcnt lgkmcnt(0)
	v_mul_f32_e32 v1, s16, v7
	s_mul_i32 s10, s17, s6
	s_ashr_i32 s11, s10, 31
	s_and_b32 vcc_lo, exec_lo, s2
	s_cbranch_vccnz .LBB692_37
; %bb.36:
	s_lshl_b64 s[2:3], s[10:11], 2
	s_add_u32 s2, s1, s2
	s_addc_u32 s3, s12, s3
	v_mov_b32_e32 v2, s2
	v_mov_b32_e32 v3, s3
	flat_load_dword v0, v[2:3]
	s_waitcnt vmcnt(0) lgkmcnt(0)
	v_fmac_f32_e32 v1, s7, v0
.LBB692_37:
	s_or_b32 s13, s13, exec_lo
.LBB692_38:
	s_or_b32 exec_lo, exec_lo, s0
.LBB692_39:
	s_and_saveexec_b32 s0, s13
	s_cbranch_execz .LBB692_41
; %bb.40:
	s_lshl_b64 s[2:3], s[10:11], 2
	s_add_u32 s0, s1, s2
	s_addc_u32 s1, s12, s3
	v_mov_b32_e32 v3, s1
	v_mov_b32_e32 v2, s0
	flat_store_dword v[2:3], v1
.LBB692_41:
	s_endpgm
	.section	.rodata,"a",@progbits
	.p2align	6, 0x0
	.amdhsa_kernel _ZL32rocblas_gemvt_warp_reduce_kernelILb1ELi1024EiPK16rocblas_bfloat16PKfKPfEviiT3_lPKT2_lT1_lSA_lSB_lS7_lPT4_lSB_li
		.amdhsa_group_segment_fixed_size 128
		.amdhsa_private_segment_fixed_size 0
		.amdhsa_kernarg_size 140
		.amdhsa_user_sgpr_count 6
		.amdhsa_user_sgpr_private_segment_buffer 1
		.amdhsa_user_sgpr_dispatch_ptr 0
		.amdhsa_user_sgpr_queue_ptr 0
		.amdhsa_user_sgpr_kernarg_segment_ptr 1
		.amdhsa_user_sgpr_dispatch_id 0
		.amdhsa_user_sgpr_flat_scratch_init 0
		.amdhsa_user_sgpr_private_segment_size 0
		.amdhsa_wavefront_size32 1
		.amdhsa_uses_dynamic_stack 0
		.amdhsa_system_sgpr_private_segment_wavefront_offset 0
		.amdhsa_system_sgpr_workgroup_id_x 1
		.amdhsa_system_sgpr_workgroup_id_y 0
		.amdhsa_system_sgpr_workgroup_id_z 1
		.amdhsa_system_sgpr_workgroup_info 0
		.amdhsa_system_vgpr_workitem_id 0
		.amdhsa_next_free_vgpr 12
		.amdhsa_next_free_sgpr 24
		.amdhsa_reserve_vcc 1
		.amdhsa_reserve_flat_scratch 0
		.amdhsa_float_round_mode_32 0
		.amdhsa_float_round_mode_16_64 0
		.amdhsa_float_denorm_mode_32 3
		.amdhsa_float_denorm_mode_16_64 3
		.amdhsa_dx10_clamp 1
		.amdhsa_ieee_mode 1
		.amdhsa_fp16_overflow 0
		.amdhsa_workgroup_processor_mode 1
		.amdhsa_memory_ordered 1
		.amdhsa_forward_progress 1
		.amdhsa_shared_vgpr_count 0
		.amdhsa_exception_fp_ieee_invalid_op 0
		.amdhsa_exception_fp_denorm_src 0
		.amdhsa_exception_fp_ieee_div_zero 0
		.amdhsa_exception_fp_ieee_overflow 0
		.amdhsa_exception_fp_ieee_underflow 0
		.amdhsa_exception_fp_ieee_inexact 0
		.amdhsa_exception_int_div_zero 0
	.end_amdhsa_kernel
	.section	.text._ZL32rocblas_gemvt_warp_reduce_kernelILb1ELi1024EiPK16rocblas_bfloat16PKfKPfEviiT3_lPKT2_lT1_lSA_lSB_lS7_lPT4_lSB_li,"axG",@progbits,_ZL32rocblas_gemvt_warp_reduce_kernelILb1ELi1024EiPK16rocblas_bfloat16PKfKPfEviiT3_lPKT2_lT1_lSA_lSB_lS7_lPT4_lSB_li,comdat
.Lfunc_end692:
	.size	_ZL32rocblas_gemvt_warp_reduce_kernelILb1ELi1024EiPK16rocblas_bfloat16PKfKPfEviiT3_lPKT2_lT1_lSA_lSB_lS7_lPT4_lSB_li, .Lfunc_end692-_ZL32rocblas_gemvt_warp_reduce_kernelILb1ELi1024EiPK16rocblas_bfloat16PKfKPfEviiT3_lPKT2_lT1_lSA_lSB_lS7_lPT4_lSB_li
                                        ; -- End function
	.set _ZL32rocblas_gemvt_warp_reduce_kernelILb1ELi1024EiPK16rocblas_bfloat16PKfKPfEviiT3_lPKT2_lT1_lSA_lSB_lS7_lPT4_lSB_li.num_vgpr, 12
	.set _ZL32rocblas_gemvt_warp_reduce_kernelILb1ELi1024EiPK16rocblas_bfloat16PKfKPfEviiT3_lPKT2_lT1_lSA_lSB_lS7_lPT4_lSB_li.num_agpr, 0
	.set _ZL32rocblas_gemvt_warp_reduce_kernelILb1ELi1024EiPK16rocblas_bfloat16PKfKPfEviiT3_lPKT2_lT1_lSA_lSB_lS7_lPT4_lSB_li.numbered_sgpr, 24
	.set _ZL32rocblas_gemvt_warp_reduce_kernelILb1ELi1024EiPK16rocblas_bfloat16PKfKPfEviiT3_lPKT2_lT1_lSA_lSB_lS7_lPT4_lSB_li.num_named_barrier, 0
	.set _ZL32rocblas_gemvt_warp_reduce_kernelILb1ELi1024EiPK16rocblas_bfloat16PKfKPfEviiT3_lPKT2_lT1_lSA_lSB_lS7_lPT4_lSB_li.private_seg_size, 0
	.set _ZL32rocblas_gemvt_warp_reduce_kernelILb1ELi1024EiPK16rocblas_bfloat16PKfKPfEviiT3_lPKT2_lT1_lSA_lSB_lS7_lPT4_lSB_li.uses_vcc, 1
	.set _ZL32rocblas_gemvt_warp_reduce_kernelILb1ELi1024EiPK16rocblas_bfloat16PKfKPfEviiT3_lPKT2_lT1_lSA_lSB_lS7_lPT4_lSB_li.uses_flat_scratch, 0
	.set _ZL32rocblas_gemvt_warp_reduce_kernelILb1ELi1024EiPK16rocblas_bfloat16PKfKPfEviiT3_lPKT2_lT1_lSA_lSB_lS7_lPT4_lSB_li.has_dyn_sized_stack, 0
	.set _ZL32rocblas_gemvt_warp_reduce_kernelILb1ELi1024EiPK16rocblas_bfloat16PKfKPfEviiT3_lPKT2_lT1_lSA_lSB_lS7_lPT4_lSB_li.has_recursion, 0
	.set _ZL32rocblas_gemvt_warp_reduce_kernelILb1ELi1024EiPK16rocblas_bfloat16PKfKPfEviiT3_lPKT2_lT1_lSA_lSB_lS7_lPT4_lSB_li.has_indirect_call, 0
	.section	.AMDGPU.csdata,"",@progbits
; Kernel info:
; codeLenInByte = 1556
; TotalNumSgprs: 26
; NumVgprs: 12
; ScratchSize: 0
; MemoryBound: 0
; FloatMode: 240
; IeeeMode: 1
; LDSByteSize: 128 bytes/workgroup (compile time only)
; SGPRBlocks: 0
; VGPRBlocks: 1
; NumSGPRsForWavesPerEU: 26
; NumVGPRsForWavesPerEU: 12
; Occupancy: 16
; WaveLimiterHint : 1
; COMPUTE_PGM_RSRC2:SCRATCH_EN: 0
; COMPUTE_PGM_RSRC2:USER_SGPR: 6
; COMPUTE_PGM_RSRC2:TRAP_HANDLER: 0
; COMPUTE_PGM_RSRC2:TGID_X_EN: 1
; COMPUTE_PGM_RSRC2:TGID_Y_EN: 0
; COMPUTE_PGM_RSRC2:TGID_Z_EN: 1
; COMPUTE_PGM_RSRC2:TIDIG_COMP_CNT: 0
	.section	.text._ZL32rocblas_gemvt_warp_reduce_kernelILb1ELi1024ElPK16rocblas_bfloat16PKfKPfEviiT3_lPKT2_lT1_lSA_lSB_lS7_lPT4_lSB_li,"axG",@progbits,_ZL32rocblas_gemvt_warp_reduce_kernelILb1ELi1024ElPK16rocblas_bfloat16PKfKPfEviiT3_lPKT2_lT1_lSA_lSB_lS7_lPT4_lSB_li,comdat
	.globl	_ZL32rocblas_gemvt_warp_reduce_kernelILb1ELi1024ElPK16rocblas_bfloat16PKfKPfEviiT3_lPKT2_lT1_lSA_lSB_lS7_lPT4_lSB_li ; -- Begin function _ZL32rocblas_gemvt_warp_reduce_kernelILb1ELi1024ElPK16rocblas_bfloat16PKfKPfEviiT3_lPKT2_lT1_lSA_lSB_lS7_lPT4_lSB_li
	.p2align	8
	.type	_ZL32rocblas_gemvt_warp_reduce_kernelILb1ELi1024ElPK16rocblas_bfloat16PKfKPfEviiT3_lPKT2_lT1_lSA_lSB_lS7_lPT4_lSB_li,@function
_ZL32rocblas_gemvt_warp_reduce_kernelILb1ELi1024ElPK16rocblas_bfloat16PKfKPfEviiT3_lPKT2_lT1_lSA_lSB_lS7_lPT4_lSB_li: ; @_ZL32rocblas_gemvt_warp_reduce_kernelILb1ELi1024ElPK16rocblas_bfloat16PKfKPfEviiT3_lPKT2_lT1_lSA_lSB_lS7_lPT4_lSB_li
; %bb.0:
	s_clause 0x1
	s_load_dwordx8 s[16:23], s[4:5], 0x8
	s_load_dwordx8 s[8:15], s[4:5], 0x58
	s_mov_b32 s26, s7
	s_mov_b32 s27, 0
	s_waitcnt lgkmcnt(0)
	s_mul_i32 s1, s19, s7
	s_mul_hi_u32 s2, s18, s7
	s_mul_i32 s0, s18, s7
	s_add_i32 s1, s2, s1
	s_mul_i32 s2, s11, s7
	s_lshl_b64 s[0:1], s[0:1], 2
	s_mul_hi_u32 s3, s10, s7
	s_add_u32 s0, s16, s0
	s_addc_u32 s1, s17, s1
	s_add_i32 s3, s3, s2
	s_mul_i32 s2, s10, s7
	s_lshl_b64 s[2:3], s[2:3], 2
	s_add_u32 s2, s8, s2
	s_addc_u32 s3, s9, s3
	s_load_dword s28, s[0:1], 0x0
	s_load_dword s7, s[2:3], 0x0
	s_waitcnt lgkmcnt(0)
	v_cmp_eq_f32_e64 s29, s28, 0
	v_cmp_eq_f32_e64 s0, s7, 1.0
	s_and_b32 s0, s29, s0
	s_and_b32 vcc_lo, exec_lo, s0
	s_cbranch_vccnz .LBB693_41
; %bb.1:
	s_clause 0x1
	s_load_dwordx2 s[18:19], s[4:5], 0x28
	s_load_dwordx2 s[8:9], s[4:5], 0x78
	v_cmp_neq_f32_e64 s30, s28, 0
	s_mov_b64 s[10:11], 0
	s_and_b32 vcc_lo, exec_lo, s29
	s_mov_b64 s[24:25], 0
	s_cbranch_vccnz .LBB693_3
; %bb.2:
	s_lshl_b64 s[0:1], s[26:27], 3
	s_add_u32 s0, s20, s0
	s_addc_u32 s1, s21, s1
	s_lshl_b64 s[2:3], s[22:23], 1
	s_load_dwordx2 s[0:1], s[0:1], 0x0
	s_waitcnt lgkmcnt(0)
	s_add_u32 s24, s0, s2
	s_addc_u32 s25, s1, s3
.LBB693_3:
	s_clause 0x1
	s_load_dwordx4 s[0:3], s[4:5], 0x38
	s_load_dwordx2 s[16:17], s[4:5], 0x48
	s_andn2_b32 vcc_lo, exec_lo, s30
	s_cbranch_vccnz .LBB693_5
; %bb.4:
	s_lshl_b64 s[10:11], s[26:27], 3
	s_waitcnt lgkmcnt(0)
	s_add_u32 s0, s0, s10
	s_addc_u32 s1, s1, s11
	s_lshl_b64 s[2:3], s[2:3], 1
	s_load_dwordx2 s[0:1], s[0:1], 0x0
	s_waitcnt lgkmcnt(0)
	s_add_u32 s10, s0, s2
	s_addc_u32 s11, s1, s3
.LBB693_5:
	s_waitcnt lgkmcnt(0)
	s_lshl_b64 s[0:1], s[26:27], 3
	s_add_u32 s0, s12, s0
	s_addc_u32 s1, s13, s1
	s_lshl_b64 s[12:13], s[14:15], 2
	s_load_dwordx2 s[2:3], s[0:1], 0x0
	v_cmp_eq_u32_e64 s0, 0, v0
	s_waitcnt lgkmcnt(0)
	s_add_u32 s1, s2, s12
	s_addc_u32 s12, s3, s13
	s_andn2_b32 vcc_lo, exec_lo, s29
	s_cbranch_vccnz .LBB693_10
; %bb.6:
	s_mov_b32 s14, 0
	s_mov_b32 s13, 0
                                        ; implicit-def: $vgpr1
                                        ; implicit-def: $sgpr2_sgpr3
	s_and_saveexec_b32 s15, s0
	s_cbranch_execz .LBB693_11
; %bb.7:
	s_ashr_i32 s0, s6, 31
	v_cmp_eq_f32_e64 s13, s7, 0
	s_mul_hi_u32 s2, s8, s6
	s_mul_i32 s0, s8, s0
	v_mov_b32_e32 v1, 0
	s_add_i32 s0, s2, s0
	s_mul_i32 s2, s9, s6
	s_and_b32 vcc_lo, exec_lo, s13
	s_add_i32 s3, s0, s2
	s_mul_i32 s2, s8, s6
	s_cbranch_vccnz .LBB693_9
; %bb.8:
	s_lshl_b64 s[20:21], s[2:3], 2
	s_add_u32 s20, s1, s20
	s_addc_u32 s21, s12, s21
	v_mov_b32_e32 v1, s20
	v_mov_b32_e32 v2, s21
	flat_load_dword v1, v[1:2]
	s_waitcnt vmcnt(0) lgkmcnt(0)
	v_mul_f32_e32 v1, s7, v1
.LBB693_9:
	s_mov_b32 s13, exec_lo
	s_or_b32 exec_lo, exec_lo, s15
	s_and_b32 vcc_lo, exec_lo, s14
	s_cbranch_vccnz .LBB693_12
	s_branch .LBB693_39
.LBB693_10:
	s_mov_b32 s13, 0
                                        ; implicit-def: $vgpr1
                                        ; implicit-def: $sgpr2_sgpr3
	s_cbranch_execnz .LBB693_12
	s_branch .LBB693_39
.LBB693_11:
	s_or_b32 exec_lo, exec_lo, s15
	s_and_b32 vcc_lo, exec_lo, s14
	s_cbranch_vccz .LBB693_39
.LBB693_12:
	s_load_dword s3, s[4:5], 0x0
	s_ashr_i32 s14, s6, 31
	s_mul_hi_u32 s0, s18, s6
	s_mul_i32 s4, s18, s14
	s_mul_i32 s2, s19, s6
	s_add_i32 s0, s0, s4
	s_mul_i32 s4, s18, s6
	s_add_i32 s5, s0, s2
	v_mov_b32_e32 v7, 0
	s_lshl_b64 s[4:5], s[4:5], 1
	s_mov_b32 s18, 0
	s_mov_b32 s15, exec_lo
	s_waitcnt lgkmcnt(0)
	v_cmp_gt_i32_e32 vcc_lo, s3, v0
	s_ashr_i32 s0, s3, 31
	s_lshr_b32 s0, s0, 22
	s_add_i32 s0, s3, s0
	v_cndmask_b32_e32 v1, 0, v0, vcc_lo
	v_lshlrev_b32_e32 v1, 1, v1
	v_add_co_u32 v1, s2, s24, v1
	v_add_co_ci_u32_e64 v2, null, s25, 0, s2
	s_and_b32 s2, s0, 0xfffffc00
	v_add_co_u32 v1, vcc_lo, v1, s4
	v_add_co_ci_u32_e64 v2, null, s5, v2, vcc_lo
	v_cmpx_gt_i32_e64 s2, v0
	s_cbranch_execz .LBB693_20
; %bb.13:
	v_mad_u64_u32 v[3:4], null, s16, v0, 0
	v_mov_b32_e32 v8, 0
	v_mov_b32_e32 v9, v0
	v_mov_b32_e32 v7, 0
	s_lshl_b64 s[4:5], s[16:17], 11
	v_mad_u64_u32 v[4:5], null, s17, v0, v[4:5]
	v_lshlrev_b64 v[5:6], 1, v[3:4]
	v_mov_b32_e32 v4, v2
	v_mov_b32_e32 v3, v1
	v_add_co_u32 v5, vcc_lo, s10, v5
	v_add_co_ci_u32_e64 v6, null, s11, v6, vcc_lo
	s_inst_prefetch 0x1
	s_branch .LBB693_15
	.p2align	6
.LBB693_14:                             ;   in Loop: Header=BB693_15 Depth=1
	s_or_b32 exec_lo, exec_lo, s0
	v_add_nc_u32_e32 v9, 0x400, v9
	v_and_b32_e32 v10, 0xffff0000, v11
	v_add_co_u32 v3, vcc_lo, 0x800, v3
	v_add_co_ci_u32_e64 v4, null, 0, v4, vcc_lo
	v_cmp_le_i32_e32 vcc_lo, s2, v9
	v_add_co_u32 v5, s0, v5, s4
	v_add_f32_e32 v7, v7, v10
	v_add_co_ci_u32_e64 v6, null, s5, v6, s0
	s_or_b32 s18, vcc_lo, s18
	s_andn2_b32 exec_lo, exec_lo, s18
	s_cbranch_execz .LBB693_19
.LBB693_15:                             ; =>This Inner Loop Header: Depth=1
	flat_load_ushort v10, v[5:6]
	flat_load_ushort v11, v[3:4]
	s_waitcnt vmcnt(1) lgkmcnt(1)
	v_lshlrev_b32_e32 v10, 16, v10
	s_waitcnt vmcnt(0) lgkmcnt(0)
	v_lshlrev_b32_e32 v11, 16, v11
	v_mul_f32_e32 v10, v11, v10
	v_and_b32_e32 v11, 0x7f800000, v10
	v_cmp_ne_u32_e32 vcc_lo, 0x7f800000, v11
                                        ; implicit-def: $vgpr11
	s_and_saveexec_b32 s0, vcc_lo
	s_xor_b32 s0, exec_lo, s0
; %bb.16:                               ;   in Loop: Header=BB693_15 Depth=1
	v_bfe_u32 v11, v10, 16, 1
	v_add3_u32 v11, v10, v11, 0x7fff
                                        ; implicit-def: $vgpr10
; %bb.17:                               ;   in Loop: Header=BB693_15 Depth=1
	s_andn2_saveexec_b32 s0, s0
	s_cbranch_execz .LBB693_14
; %bb.18:                               ;   in Loop: Header=BB693_15 Depth=1
	v_or_b32_e32 v11, 0x10000, v10
	v_cmp_eq_u32_sdwa vcc_lo, v10, v8 src0_sel:WORD_0 src1_sel:DWORD
	v_cndmask_b32_e32 v11, v11, v10, vcc_lo
	s_branch .LBB693_14
.LBB693_19:
	s_inst_prefetch 0x2
	s_or_b32 exec_lo, exec_lo, s18
.LBB693_20:
	s_or_b32 exec_lo, exec_lo, s15
	v_or_b32_e32 v3, s2, v0
	s_mov_b32 s0, exec_lo
	v_cmpx_gt_i32_e64 s3, v3
	s_cbranch_execz .LBB693_26
; %bb.21:
	v_ashrrev_i32_e32 v5, 31, v3
	v_mul_lo_u32 v6, s17, v3
	v_mad_u64_u32 v[3:4], null, s16, v3, 0
	s_ashr_i32 s3, s2, 31
	v_mul_lo_u32 v5, s16, v5
	s_lshl_b64 s[2:3], s[2:3], 1
	v_add3_u32 v4, v4, v5, v6
	v_lshlrev_b64 v[3:4], 1, v[3:4]
	v_add_co_u32 v3, vcc_lo, s10, v3
	v_add_co_ci_u32_e64 v4, null, s11, v4, vcc_lo
	v_add_co_u32 v1, vcc_lo, v1, s2
	v_add_co_ci_u32_e64 v2, null, s3, v2, vcc_lo
	flat_load_ushort v3, v[3:4]
	flat_load_ushort v1, v[1:2]
	s_waitcnt vmcnt(1) lgkmcnt(1)
	v_lshlrev_b32_e32 v2, 16, v3
	s_waitcnt vmcnt(0) lgkmcnt(0)
	v_lshlrev_b32_e32 v1, 16, v1
	v_mul_f32_e32 v1, v1, v2
	v_and_b32_e32 v2, 0x7f800000, v1
	v_cmp_ne_u32_e32 vcc_lo, 0x7f800000, v2
                                        ; implicit-def: $vgpr2
	s_and_saveexec_b32 s2, vcc_lo
	s_xor_b32 s2, exec_lo, s2
; %bb.22:
	v_bfe_u32 v2, v1, 16, 1
	v_add3_u32 v2, v1, v2, 0x7fff
                                        ; implicit-def: $vgpr1
; %bb.23:
	s_andn2_saveexec_b32 s2, s2
; %bb.24:
	v_mov_b32_e32 v2, 0
	v_or_b32_e32 v3, 0x10000, v1
	v_cmp_eq_u32_sdwa vcc_lo, v1, v2 src0_sel:WORD_0 src1_sel:DWORD
	v_cndmask_b32_e32 v2, v3, v1, vcc_lo
; %bb.25:
	s_or_b32 exec_lo, exec_lo, s2
	v_and_b32_e32 v1, 0xffff0000, v2
	v_add_f32_e32 v7, v7, v1
.LBB693_26:
	s_or_b32 exec_lo, exec_lo, s0
	v_and_b32_e32 v8, 31, v0
	v_cmp_gt_u32_e32 vcc_lo, 32, v0
	v_lshlrev_b32_e32 v1, 2, v8
	s_and_saveexec_b32 s0, vcc_lo
; %bb.27:
	v_mov_b32_e32 v2, 0
	ds_write_b32 v1, v2
; %bb.28:
	s_or_b32 exec_lo, exec_lo, s0
	v_mbcnt_lo_u32_b32 v6, -1, 0
	s_mov_b32 s2, exec_lo
	s_waitcnt lgkmcnt(0)
	s_barrier
	buffer_gl0_inv
	v_lshl_or_b32 v2, v6, 2, 64
	v_cmp_gt_u32_e64 s0, 24, v6
	ds_bpermute_b32 v4, v2, v7
	v_cndmask_b32_e64 v3, 0, 8, s0
	v_cmp_gt_u32_e64 s0, 28, v6
	v_add_lshl_u32 v3, v3, v6, 2
	s_waitcnt lgkmcnt(0)
	v_add_f32_e32 v5, v7, v4
	v_cndmask_b32_e64 v4, 0, 4, s0
	v_cmp_gt_u32_e64 s0, 30, v6
	ds_bpermute_b32 v7, v3, v5
	v_add_lshl_u32 v4, v4, v6, 2
	s_waitcnt lgkmcnt(0)
	v_add_f32_e32 v7, v5, v7
	v_cndmask_b32_e64 v5, 0, 2, s0
	v_cmp_ne_u32_e64 s0, 31, v6
	ds_bpermute_b32 v9, v4, v7
	v_add_lshl_u32 v5, v5, v6, 2
	v_add_co_ci_u32_e64 v6, null, 0, v6, s0
	v_lshlrev_b32_e32 v6, 2, v6
	s_waitcnt lgkmcnt(0)
	v_add_f32_e32 v7, v7, v9
	ds_bpermute_b32 v9, v5, v7
	s_waitcnt lgkmcnt(0)
	v_add_f32_e32 v7, v7, v9
	ds_bpermute_b32 v9, v6, v7
	v_cmpx_eq_u32_e32 0, v8
	s_cbranch_execz .LBB693_30
; %bb.29:
	v_lshrrev_b32_e32 v8, 3, v0
	s_waitcnt lgkmcnt(0)
	v_add_f32_e32 v7, v7, v9
	v_and_b32_e32 v8, 0x7c, v8
	ds_write_b32 v8, v7
.LBB693_30:
	s_or_b32 exec_lo, exec_lo, s2
	v_mov_b32_e32 v7, 0
	s_waitcnt lgkmcnt(0)
	s_barrier
	buffer_gl0_inv
	s_and_saveexec_b32 s0, vcc_lo
; %bb.31:
	ds_read_b32 v7, v1
; %bb.32:
	s_or_b32 exec_lo, exec_lo, s0
	s_and_saveexec_b32 s0, vcc_lo
	s_cbranch_execz .LBB693_34
; %bb.33:
	s_waitcnt lgkmcnt(0)
	ds_bpermute_b32 v1, v2, v7
	s_waitcnt lgkmcnt(0)
	v_add_f32_e32 v1, v7, v1
	ds_bpermute_b32 v2, v3, v1
	s_waitcnt lgkmcnt(0)
	v_add_f32_e32 v1, v1, v2
	;; [unrolled: 3-line block ×5, first 2 shown]
.LBB693_34:
	s_or_b32 exec_lo, exec_lo, s0
	s_mov_b32 s0, exec_lo
                                        ; implicit-def: $vgpr1
                                        ; implicit-def: $sgpr2_sgpr3
	v_cmpx_eq_u32_e32 0, v0
	s_cbranch_execz .LBB693_38
; %bb.35:
	v_cmp_eq_f32_e64 s4, s7, 0
	s_mul_i32 s2, s8, s14
	s_mul_hi_u32 s3, s8, s6
	s_waitcnt lgkmcnt(0)
	v_mul_f32_e32 v1, s28, v7
	s_add_i32 s2, s3, s2
	s_mul_i32 s3, s9, s6
	s_and_b32 vcc_lo, exec_lo, s4
	s_add_i32 s3, s2, s3
	s_mul_i32 s2, s8, s6
	s_cbranch_vccnz .LBB693_37
; %bb.36:
	s_lshl_b64 s[4:5], s[2:3], 2
	s_add_u32 s4, s1, s4
	s_addc_u32 s5, s12, s5
	v_mov_b32_e32 v2, s4
	v_mov_b32_e32 v3, s5
	flat_load_dword v0, v[2:3]
	s_waitcnt vmcnt(0) lgkmcnt(0)
	v_fmac_f32_e32 v1, s7, v0
.LBB693_37:
	s_or_b32 s13, s13, exec_lo
.LBB693_38:
	s_or_b32 exec_lo, exec_lo, s0
.LBB693_39:
	s_and_saveexec_b32 s0, s13
	s_cbranch_execz .LBB693_41
; %bb.40:
	s_lshl_b64 s[2:3], s[2:3], 2
	s_add_u32 s0, s1, s2
	s_addc_u32 s1, s12, s3
	v_mov_b32_e32 v3, s1
	v_mov_b32_e32 v2, s0
	flat_store_dword v[2:3], v1
.LBB693_41:
	s_endpgm
	.section	.rodata,"a",@progbits
	.p2align	6, 0x0
	.amdhsa_kernel _ZL32rocblas_gemvt_warp_reduce_kernelILb1ELi1024ElPK16rocblas_bfloat16PKfKPfEviiT3_lPKT2_lT1_lSA_lSB_lS7_lPT4_lSB_li
		.amdhsa_group_segment_fixed_size 128
		.amdhsa_private_segment_fixed_size 0
		.amdhsa_kernarg_size 140
		.amdhsa_user_sgpr_count 6
		.amdhsa_user_sgpr_private_segment_buffer 1
		.amdhsa_user_sgpr_dispatch_ptr 0
		.amdhsa_user_sgpr_queue_ptr 0
		.amdhsa_user_sgpr_kernarg_segment_ptr 1
		.amdhsa_user_sgpr_dispatch_id 0
		.amdhsa_user_sgpr_flat_scratch_init 0
		.amdhsa_user_sgpr_private_segment_size 0
		.amdhsa_wavefront_size32 1
		.amdhsa_uses_dynamic_stack 0
		.amdhsa_system_sgpr_private_segment_wavefront_offset 0
		.amdhsa_system_sgpr_workgroup_id_x 1
		.amdhsa_system_sgpr_workgroup_id_y 0
		.amdhsa_system_sgpr_workgroup_id_z 1
		.amdhsa_system_sgpr_workgroup_info 0
		.amdhsa_system_vgpr_workitem_id 0
		.amdhsa_next_free_vgpr 12
		.amdhsa_next_free_sgpr 31
		.amdhsa_reserve_vcc 1
		.amdhsa_reserve_flat_scratch 0
		.amdhsa_float_round_mode_32 0
		.amdhsa_float_round_mode_16_64 0
		.amdhsa_float_denorm_mode_32 3
		.amdhsa_float_denorm_mode_16_64 3
		.amdhsa_dx10_clamp 1
		.amdhsa_ieee_mode 1
		.amdhsa_fp16_overflow 0
		.amdhsa_workgroup_processor_mode 1
		.amdhsa_memory_ordered 1
		.amdhsa_forward_progress 1
		.amdhsa_shared_vgpr_count 0
		.amdhsa_exception_fp_ieee_invalid_op 0
		.amdhsa_exception_fp_denorm_src 0
		.amdhsa_exception_fp_ieee_div_zero 0
		.amdhsa_exception_fp_ieee_overflow 0
		.amdhsa_exception_fp_ieee_underflow 0
		.amdhsa_exception_fp_ieee_inexact 0
		.amdhsa_exception_int_div_zero 0
	.end_amdhsa_kernel
	.section	.text._ZL32rocblas_gemvt_warp_reduce_kernelILb1ELi1024ElPK16rocblas_bfloat16PKfKPfEviiT3_lPKT2_lT1_lSA_lSB_lS7_lPT4_lSB_li,"axG",@progbits,_ZL32rocblas_gemvt_warp_reduce_kernelILb1ELi1024ElPK16rocblas_bfloat16PKfKPfEviiT3_lPKT2_lT1_lSA_lSB_lS7_lPT4_lSB_li,comdat
.Lfunc_end693:
	.size	_ZL32rocblas_gemvt_warp_reduce_kernelILb1ELi1024ElPK16rocblas_bfloat16PKfKPfEviiT3_lPKT2_lT1_lSA_lSB_lS7_lPT4_lSB_li, .Lfunc_end693-_ZL32rocblas_gemvt_warp_reduce_kernelILb1ELi1024ElPK16rocblas_bfloat16PKfKPfEviiT3_lPKT2_lT1_lSA_lSB_lS7_lPT4_lSB_li
                                        ; -- End function
	.set _ZL32rocblas_gemvt_warp_reduce_kernelILb1ELi1024ElPK16rocblas_bfloat16PKfKPfEviiT3_lPKT2_lT1_lSA_lSB_lS7_lPT4_lSB_li.num_vgpr, 12
	.set _ZL32rocblas_gemvt_warp_reduce_kernelILb1ELi1024ElPK16rocblas_bfloat16PKfKPfEviiT3_lPKT2_lT1_lSA_lSB_lS7_lPT4_lSB_li.num_agpr, 0
	.set _ZL32rocblas_gemvt_warp_reduce_kernelILb1ELi1024ElPK16rocblas_bfloat16PKfKPfEviiT3_lPKT2_lT1_lSA_lSB_lS7_lPT4_lSB_li.numbered_sgpr, 31
	.set _ZL32rocblas_gemvt_warp_reduce_kernelILb1ELi1024ElPK16rocblas_bfloat16PKfKPfEviiT3_lPKT2_lT1_lSA_lSB_lS7_lPT4_lSB_li.num_named_barrier, 0
	.set _ZL32rocblas_gemvt_warp_reduce_kernelILb1ELi1024ElPK16rocblas_bfloat16PKfKPfEviiT3_lPKT2_lT1_lSA_lSB_lS7_lPT4_lSB_li.private_seg_size, 0
	.set _ZL32rocblas_gemvt_warp_reduce_kernelILb1ELi1024ElPK16rocblas_bfloat16PKfKPfEviiT3_lPKT2_lT1_lSA_lSB_lS7_lPT4_lSB_li.uses_vcc, 1
	.set _ZL32rocblas_gemvt_warp_reduce_kernelILb1ELi1024ElPK16rocblas_bfloat16PKfKPfEviiT3_lPKT2_lT1_lSA_lSB_lS7_lPT4_lSB_li.uses_flat_scratch, 0
	.set _ZL32rocblas_gemvt_warp_reduce_kernelILb1ELi1024ElPK16rocblas_bfloat16PKfKPfEviiT3_lPKT2_lT1_lSA_lSB_lS7_lPT4_lSB_li.has_dyn_sized_stack, 0
	.set _ZL32rocblas_gemvt_warp_reduce_kernelILb1ELi1024ElPK16rocblas_bfloat16PKfKPfEviiT3_lPKT2_lT1_lSA_lSB_lS7_lPT4_lSB_li.has_recursion, 0
	.set _ZL32rocblas_gemvt_warp_reduce_kernelILb1ELi1024ElPK16rocblas_bfloat16PKfKPfEviiT3_lPKT2_lT1_lSA_lSB_lS7_lPT4_lSB_li.has_indirect_call, 0
	.section	.AMDGPU.csdata,"",@progbits
; Kernel info:
; codeLenInByte = 1684
; TotalNumSgprs: 33
; NumVgprs: 12
; ScratchSize: 0
; MemoryBound: 0
; FloatMode: 240
; IeeeMode: 1
; LDSByteSize: 128 bytes/workgroup (compile time only)
; SGPRBlocks: 0
; VGPRBlocks: 1
; NumSGPRsForWavesPerEU: 33
; NumVGPRsForWavesPerEU: 12
; Occupancy: 16
; WaveLimiterHint : 1
; COMPUTE_PGM_RSRC2:SCRATCH_EN: 0
; COMPUTE_PGM_RSRC2:USER_SGPR: 6
; COMPUTE_PGM_RSRC2:TRAP_HANDLER: 0
; COMPUTE_PGM_RSRC2:TGID_X_EN: 1
; COMPUTE_PGM_RSRC2:TGID_Y_EN: 0
; COMPUTE_PGM_RSRC2:TGID_Z_EN: 1
; COMPUTE_PGM_RSRC2:TIDIG_COMP_CNT: 0
	.section	.text._ZL32rocblas_gemvt_warp_reduce_kernelILb1ELi1024EiPK16rocblas_bfloat16fKPfEviiT3_lPKT2_lT1_lS8_lS9_lS5_lPT4_lS9_li,"axG",@progbits,_ZL32rocblas_gemvt_warp_reduce_kernelILb1ELi1024EiPK16rocblas_bfloat16fKPfEviiT3_lPKT2_lT1_lS8_lS9_lS5_lPT4_lS9_li,comdat
	.globl	_ZL32rocblas_gemvt_warp_reduce_kernelILb1ELi1024EiPK16rocblas_bfloat16fKPfEviiT3_lPKT2_lT1_lS8_lS9_lS5_lPT4_lS9_li ; -- Begin function _ZL32rocblas_gemvt_warp_reduce_kernelILb1ELi1024EiPK16rocblas_bfloat16fKPfEviiT3_lPKT2_lT1_lS8_lS9_lS5_lPT4_lS9_li
	.p2align	8
	.type	_ZL32rocblas_gemvt_warp_reduce_kernelILb1ELi1024EiPK16rocblas_bfloat16fKPfEviiT3_lPKT2_lT1_lS8_lS9_lS5_lPT4_lS9_li,@function
_ZL32rocblas_gemvt_warp_reduce_kernelILb1ELi1024EiPK16rocblas_bfloat16fKPfEviiT3_lPKT2_lT1_lS8_lS9_lS5_lPT4_lS9_li: ; @_ZL32rocblas_gemvt_warp_reduce_kernelILb1ELi1024EiPK16rocblas_bfloat16fKPfEviiT3_lPKT2_lT1_lS8_lS9_lS5_lPT4_lS9_li
; %bb.0:
	s_mov_b32 s10, s7
	s_clause 0x1
	s_load_dword s12, s[4:5], 0x8
	s_load_dword s7, s[4:5], 0x58
	s_mov_b32 s11, 0
	s_waitcnt lgkmcnt(0)
	v_cmp_eq_f32_e64 s15, s12, 0
	v_cmp_eq_f32_e64 s0, s7, 1.0
	s_and_b32 s0, s15, s0
	s_and_b32 vcc_lo, exec_lo, s0
	s_cbranch_vccnz .LBB694_43
; %bb.1:
	v_cmp_neq_f32_e64 s13, s12, 0
	s_and_b32 vcc_lo, exec_lo, s13
	s_cbranch_vccnz .LBB694_3
; %bb.2:
	s_mov_b32 s1, 0
	s_mov_b32 s0, s10
	;; [unrolled: 1-line block ×3, first 2 shown]
	s_mov_b64 s[2:3], 0
	s_andn2_b32 vcc_lo, exec_lo, s8
	s_mov_b64 s[8:9], 0
	s_cbranch_vccz .LBB694_4
	s_branch .LBB694_5
.LBB694_3:
	s_mov_b64 s[0:1], s[10:11]
	s_mov_b64 s[2:3], 0
	;; [unrolled: 1-line block ×3, first 2 shown]
.LBB694_4:
	s_load_dwordx4 s[16:19], s[4:5], 0x18
	s_lshl_b64 s[8:9], s[10:11], 3
	s_waitcnt lgkmcnt(0)
	s_add_u32 s8, s16, s8
	s_addc_u32 s9, s17, s9
	s_lshl_b64 s[10:11], s[18:19], 1
	s_load_dwordx2 s[8:9], s[8:9], 0x0
	s_waitcnt lgkmcnt(0)
	s_add_u32 s8, s8, s10
	s_addc_u32 s9, s9, s11
.LBB694_5:
	s_andn2_b32 vcc_lo, exec_lo, s13
	s_cbranch_vccnz .LBB694_7
; %bb.6:
	s_load_dwordx4 s[16:19], s[4:5], 0x38
	s_lshl_b64 s[2:3], s[0:1], 3
	s_waitcnt lgkmcnt(0)
	s_add_u32 s2, s16, s2
	s_addc_u32 s3, s17, s3
	s_lshl_b64 s[10:11], s[18:19], 1
	s_load_dwordx2 s[2:3], s[2:3], 0x0
	s_waitcnt lgkmcnt(0)
	s_add_u32 s2, s2, s10
	s_addc_u32 s3, s3, s11
.LBB694_7:
	s_clause 0x1
	s_load_dwordx4 s[16:19], s[4:5], 0x68
	s_load_dword s14, s[4:5], 0x78
	s_lshl_b64 s[0:1], s[0:1], 3
	s_waitcnt lgkmcnt(0)
	s_add_u32 s0, s16, s0
	s_addc_u32 s1, s17, s1
	s_lshl_b64 s[16:17], s[18:19], 2
	s_load_dwordx2 s[10:11], s[0:1], 0x0
	v_cmp_eq_u32_e64 s0, 0, v0
	s_waitcnt lgkmcnt(0)
	s_add_u32 s1, s10, s16
	s_addc_u32 s13, s11, s17
	s_andn2_b32 vcc_lo, exec_lo, s15
	s_cbranch_vccnz .LBB694_12
; %bb.8:
	s_mov_b32 s16, 0
	s_mov_b32 s15, 0
                                        ; implicit-def: $vgpr1
                                        ; implicit-def: $sgpr10_sgpr11
	s_and_saveexec_b32 s17, s0
	s_cbranch_execz .LBB694_13
; %bb.9:
	v_cmp_eq_f32_e64 s0, s7, 0
	v_mov_b32_e32 v1, 0
	s_mul_i32 s10, s14, s6
	s_ashr_i32 s11, s10, 31
	s_and_b32 vcc_lo, exec_lo, s0
	s_cbranch_vccnz .LBB694_11
; %bb.10:
	s_lshl_b64 s[18:19], s[10:11], 2
	s_add_u32 s18, s1, s18
	s_addc_u32 s19, s13, s19
	v_mov_b32_e32 v1, s18
	v_mov_b32_e32 v2, s19
	flat_load_dword v1, v[1:2]
	s_waitcnt vmcnt(0) lgkmcnt(0)
	v_mul_f32_e32 v1, s7, v1
.LBB694_11:
	s_mov_b32 s15, exec_lo
	s_or_b32 exec_lo, exec_lo, s17
	s_and_b32 vcc_lo, exec_lo, s16
	s_cbranch_vccnz .LBB694_14
	s_branch .LBB694_41
.LBB694_12:
	s_mov_b32 s15, 0
                                        ; implicit-def: $vgpr1
                                        ; implicit-def: $sgpr10_sgpr11
	s_cbranch_execnz .LBB694_14
	s_branch .LBB694_41
.LBB694_13:
	s_or_b32 exec_lo, exec_lo, s17
	s_and_b32 vcc_lo, exec_lo, s16
	s_cbranch_vccz .LBB694_41
.LBB694_14:
	s_clause 0x2
	s_load_dword s10, s[4:5], 0x0
	s_load_dword s0, s[4:5], 0x28
	;; [unrolled: 1-line block ×3, first 2 shown]
	v_mov_b32_e32 v7, 0
	s_waitcnt lgkmcnt(0)
	v_cmp_gt_i32_e32 vcc_lo, s10, v0
	s_mul_i32 s16, s0, s6
	s_ashr_i32 s0, s10, 31
	s_ashr_i32 s17, s16, 31
	s_lshr_b32 s0, s0, 22
	v_cndmask_b32_e32 v1, 0, v0, vcc_lo
	s_lshl_b64 s[16:17], s[16:17], 1
	s_add_i32 s0, s10, s0
	v_lshlrev_b32_e32 v1, 1, v1
	v_add_co_u32 v1, s4, s8, v1
	v_add_co_ci_u32_e64 v2, null, s9, 0, s4
	s_and_b32 s4, s0, 0xfffffc00
	v_add_co_u32 v1, vcc_lo, v1, s16
	v_add_co_ci_u32_e64 v2, null, s17, v2, vcc_lo
	s_mov_b32 s9, 0
	s_mov_b32 s8, exec_lo
	v_cmpx_gt_i32_e64 s4, v0
	s_cbranch_execz .LBB694_22
; %bb.15:
	v_mul_lo_u32 v3, v0, s5
	v_mov_b32_e32 v6, v2
	v_mov_b32_e32 v8, 0
	;; [unrolled: 1-line block ×5, first 2 shown]
	s_lshl_b32 s11, s5, 10
	s_branch .LBB694_17
.LBB694_16:                             ;   in Loop: Header=BB694_17 Depth=1
	s_or_b32 exec_lo, exec_lo, s0
	v_add_nc_u32_e32 v9, 0x400, v9
	v_and_b32_e32 v4, 0xffff0000, v10
	v_add_co_u32 v5, s0, 0x800, v5
	v_add_nc_u32_e32 v3, s11, v3
	v_cmp_le_i32_e32 vcc_lo, s4, v9
	v_add_f32_e32 v7, v7, v4
	v_add_co_ci_u32_e64 v6, null, 0, v6, s0
	s_or_b32 s9, vcc_lo, s9
	s_andn2_b32 exec_lo, exec_lo, s9
	s_cbranch_execz .LBB694_21
.LBB694_17:                             ; =>This Inner Loop Header: Depth=1
	v_ashrrev_i32_e32 v4, 31, v3
	v_lshlrev_b64 v[10:11], 1, v[3:4]
	v_add_co_u32 v10, vcc_lo, s2, v10
	v_add_co_ci_u32_e64 v11, null, s3, v11, vcc_lo
	flat_load_ushort v4, v[5:6]
	flat_load_ushort v10, v[10:11]
	s_waitcnt vmcnt(1) lgkmcnt(1)
	v_lshlrev_b32_e32 v4, 16, v4
	s_waitcnt vmcnt(0) lgkmcnt(0)
	v_lshlrev_b32_e32 v10, 16, v10
	v_mul_f32_e32 v4, v4, v10
	v_and_b32_e32 v10, 0x7f800000, v4
	v_cmp_ne_u32_e32 vcc_lo, 0x7f800000, v10
                                        ; implicit-def: $vgpr10
	s_and_saveexec_b32 s0, vcc_lo
	s_xor_b32 s0, exec_lo, s0
; %bb.18:                               ;   in Loop: Header=BB694_17 Depth=1
	v_bfe_u32 v10, v4, 16, 1
	v_add3_u32 v10, v4, v10, 0x7fff
                                        ; implicit-def: $vgpr4
; %bb.19:                               ;   in Loop: Header=BB694_17 Depth=1
	s_andn2_saveexec_b32 s0, s0
	s_cbranch_execz .LBB694_16
; %bb.20:                               ;   in Loop: Header=BB694_17 Depth=1
	v_or_b32_e32 v10, 0x10000, v4
	v_cmp_eq_u32_sdwa vcc_lo, v4, v8 src0_sel:WORD_0 src1_sel:DWORD
	v_cndmask_b32_e32 v10, v10, v4, vcc_lo
	s_branch .LBB694_16
.LBB694_21:
	s_or_b32 exec_lo, exec_lo, s9
.LBB694_22:
	s_or_b32 exec_lo, exec_lo, s8
	v_or_b32_e32 v3, s4, v0
	s_mov_b32 s0, exec_lo
	v_cmpx_gt_i32_e64 s10, v3
	s_cbranch_execz .LBB694_28
; %bb.23:
	v_mul_lo_u32 v3, s5, v3
	s_ashr_i32 s5, s4, 31
	s_lshl_b64 s[4:5], s[4:5], 1
	v_ashrrev_i32_e32 v4, 31, v3
	v_lshlrev_b64 v[3:4], 1, v[3:4]
	v_add_co_u32 v3, vcc_lo, s2, v3
	v_add_co_ci_u32_e64 v4, null, s3, v4, vcc_lo
	v_add_co_u32 v1, vcc_lo, v1, s4
	v_add_co_ci_u32_e64 v2, null, s5, v2, vcc_lo
	flat_load_ushort v3, v[3:4]
	flat_load_ushort v1, v[1:2]
	s_waitcnt vmcnt(1) lgkmcnt(1)
	v_lshlrev_b32_e32 v2, 16, v3
	s_waitcnt vmcnt(0) lgkmcnt(0)
	v_lshlrev_b32_e32 v1, 16, v1
	v_mul_f32_e32 v1, v1, v2
	v_and_b32_e32 v2, 0x7f800000, v1
	v_cmp_ne_u32_e32 vcc_lo, 0x7f800000, v2
                                        ; implicit-def: $vgpr2
	s_and_saveexec_b32 s2, vcc_lo
	s_xor_b32 s2, exec_lo, s2
; %bb.24:
	v_bfe_u32 v2, v1, 16, 1
	v_add3_u32 v2, v1, v2, 0x7fff
                                        ; implicit-def: $vgpr1
; %bb.25:
	s_andn2_saveexec_b32 s2, s2
; %bb.26:
	v_mov_b32_e32 v2, 0
	v_or_b32_e32 v3, 0x10000, v1
	v_cmp_eq_u32_sdwa vcc_lo, v1, v2 src0_sel:WORD_0 src1_sel:DWORD
	v_cndmask_b32_e32 v2, v3, v1, vcc_lo
; %bb.27:
	s_or_b32 exec_lo, exec_lo, s2
	v_and_b32_e32 v1, 0xffff0000, v2
	v_add_f32_e32 v7, v7, v1
.LBB694_28:
	s_or_b32 exec_lo, exec_lo, s0
	v_and_b32_e32 v8, 31, v0
	v_cmp_gt_u32_e32 vcc_lo, 32, v0
	v_lshlrev_b32_e32 v1, 2, v8
	s_and_saveexec_b32 s0, vcc_lo
; %bb.29:
	v_mov_b32_e32 v2, 0
	ds_write_b32 v1, v2
; %bb.30:
	s_or_b32 exec_lo, exec_lo, s0
	v_mbcnt_lo_u32_b32 v6, -1, 0
	s_mov_b32 s2, exec_lo
	s_waitcnt lgkmcnt(0)
	s_barrier
	buffer_gl0_inv
	v_lshl_or_b32 v2, v6, 2, 64
	v_cmp_gt_u32_e64 s0, 24, v6
	ds_bpermute_b32 v4, v2, v7
	v_cndmask_b32_e64 v3, 0, 8, s0
	v_cmp_gt_u32_e64 s0, 28, v6
	v_add_lshl_u32 v3, v3, v6, 2
	s_waitcnt lgkmcnt(0)
	v_add_f32_e32 v5, v7, v4
	v_cndmask_b32_e64 v4, 0, 4, s0
	v_cmp_gt_u32_e64 s0, 30, v6
	ds_bpermute_b32 v7, v3, v5
	v_add_lshl_u32 v4, v4, v6, 2
	s_waitcnt lgkmcnt(0)
	v_add_f32_e32 v7, v5, v7
	v_cndmask_b32_e64 v5, 0, 2, s0
	v_cmp_ne_u32_e64 s0, 31, v6
	ds_bpermute_b32 v9, v4, v7
	v_add_lshl_u32 v5, v5, v6, 2
	v_add_co_ci_u32_e64 v6, null, 0, v6, s0
	v_lshlrev_b32_e32 v6, 2, v6
	s_waitcnt lgkmcnt(0)
	v_add_f32_e32 v7, v7, v9
	ds_bpermute_b32 v9, v5, v7
	s_waitcnt lgkmcnt(0)
	v_add_f32_e32 v7, v7, v9
	ds_bpermute_b32 v9, v6, v7
	v_cmpx_eq_u32_e32 0, v8
	s_cbranch_execz .LBB694_32
; %bb.31:
	v_lshrrev_b32_e32 v8, 3, v0
	s_waitcnt lgkmcnt(0)
	v_add_f32_e32 v7, v7, v9
	v_and_b32_e32 v8, 0x7c, v8
	ds_write_b32 v8, v7
.LBB694_32:
	s_or_b32 exec_lo, exec_lo, s2
	v_mov_b32_e32 v7, 0
	s_waitcnt lgkmcnt(0)
	s_barrier
	buffer_gl0_inv
	s_and_saveexec_b32 s0, vcc_lo
; %bb.33:
	ds_read_b32 v7, v1
; %bb.34:
	s_or_b32 exec_lo, exec_lo, s0
	s_and_saveexec_b32 s0, vcc_lo
	s_cbranch_execz .LBB694_36
; %bb.35:
	s_waitcnt lgkmcnt(0)
	ds_bpermute_b32 v1, v2, v7
	s_waitcnt lgkmcnt(0)
	v_add_f32_e32 v1, v7, v1
	ds_bpermute_b32 v2, v3, v1
	s_waitcnt lgkmcnt(0)
	v_add_f32_e32 v1, v1, v2
	;; [unrolled: 3-line block ×5, first 2 shown]
.LBB694_36:
	s_or_b32 exec_lo, exec_lo, s0
	s_mov_b32 s0, exec_lo
                                        ; implicit-def: $vgpr1
                                        ; implicit-def: $sgpr10_sgpr11
	v_cmpx_eq_u32_e32 0, v0
	s_cbranch_execz .LBB694_40
; %bb.37:
	v_cmp_eq_f32_e64 s2, s7, 0
	s_waitcnt lgkmcnt(0)
	v_mul_f32_e32 v1, s12, v7
	s_mul_i32 s10, s14, s6
	s_ashr_i32 s11, s10, 31
	s_and_b32 vcc_lo, exec_lo, s2
	s_cbranch_vccnz .LBB694_39
; %bb.38:
	s_lshl_b64 s[2:3], s[10:11], 2
	s_add_u32 s2, s1, s2
	s_addc_u32 s3, s13, s3
	v_mov_b32_e32 v2, s2
	v_mov_b32_e32 v3, s3
	flat_load_dword v0, v[2:3]
	s_waitcnt vmcnt(0) lgkmcnt(0)
	v_fmac_f32_e32 v1, s7, v0
.LBB694_39:
	s_or_b32 s15, s15, exec_lo
.LBB694_40:
	s_or_b32 exec_lo, exec_lo, s0
.LBB694_41:
	s_and_saveexec_b32 s0, s15
	s_cbranch_execz .LBB694_43
; %bb.42:
	s_lshl_b64 s[2:3], s[10:11], 2
	s_add_u32 s0, s1, s2
	s_addc_u32 s1, s13, s3
	v_mov_b32_e32 v3, s1
	v_mov_b32_e32 v2, s0
	flat_store_dword v[2:3], v1
.LBB694_43:
	s_endpgm
	.section	.rodata,"a",@progbits
	.p2align	6, 0x0
	.amdhsa_kernel _ZL32rocblas_gemvt_warp_reduce_kernelILb1ELi1024EiPK16rocblas_bfloat16fKPfEviiT3_lPKT2_lT1_lS8_lS9_lS5_lPT4_lS9_li
		.amdhsa_group_segment_fixed_size 128
		.amdhsa_private_segment_fixed_size 0
		.amdhsa_kernarg_size 140
		.amdhsa_user_sgpr_count 6
		.amdhsa_user_sgpr_private_segment_buffer 1
		.amdhsa_user_sgpr_dispatch_ptr 0
		.amdhsa_user_sgpr_queue_ptr 0
		.amdhsa_user_sgpr_kernarg_segment_ptr 1
		.amdhsa_user_sgpr_dispatch_id 0
		.amdhsa_user_sgpr_flat_scratch_init 0
		.amdhsa_user_sgpr_private_segment_size 0
		.amdhsa_wavefront_size32 1
		.amdhsa_uses_dynamic_stack 0
		.amdhsa_system_sgpr_private_segment_wavefront_offset 0
		.amdhsa_system_sgpr_workgroup_id_x 1
		.amdhsa_system_sgpr_workgroup_id_y 0
		.amdhsa_system_sgpr_workgroup_id_z 1
		.amdhsa_system_sgpr_workgroup_info 0
		.amdhsa_system_vgpr_workitem_id 0
		.amdhsa_next_free_vgpr 12
		.amdhsa_next_free_sgpr 20
		.amdhsa_reserve_vcc 1
		.amdhsa_reserve_flat_scratch 0
		.amdhsa_float_round_mode_32 0
		.amdhsa_float_round_mode_16_64 0
		.amdhsa_float_denorm_mode_32 3
		.amdhsa_float_denorm_mode_16_64 3
		.amdhsa_dx10_clamp 1
		.amdhsa_ieee_mode 1
		.amdhsa_fp16_overflow 0
		.amdhsa_workgroup_processor_mode 1
		.amdhsa_memory_ordered 1
		.amdhsa_forward_progress 1
		.amdhsa_shared_vgpr_count 0
		.amdhsa_exception_fp_ieee_invalid_op 0
		.amdhsa_exception_fp_denorm_src 0
		.amdhsa_exception_fp_ieee_div_zero 0
		.amdhsa_exception_fp_ieee_overflow 0
		.amdhsa_exception_fp_ieee_underflow 0
		.amdhsa_exception_fp_ieee_inexact 0
		.amdhsa_exception_int_div_zero 0
	.end_amdhsa_kernel
	.section	.text._ZL32rocblas_gemvt_warp_reduce_kernelILb1ELi1024EiPK16rocblas_bfloat16fKPfEviiT3_lPKT2_lT1_lS8_lS9_lS5_lPT4_lS9_li,"axG",@progbits,_ZL32rocblas_gemvt_warp_reduce_kernelILb1ELi1024EiPK16rocblas_bfloat16fKPfEviiT3_lPKT2_lT1_lS8_lS9_lS5_lPT4_lS9_li,comdat
.Lfunc_end694:
	.size	_ZL32rocblas_gemvt_warp_reduce_kernelILb1ELi1024EiPK16rocblas_bfloat16fKPfEviiT3_lPKT2_lT1_lS8_lS9_lS5_lPT4_lS9_li, .Lfunc_end694-_ZL32rocblas_gemvt_warp_reduce_kernelILb1ELi1024EiPK16rocblas_bfloat16fKPfEviiT3_lPKT2_lT1_lS8_lS9_lS5_lPT4_lS9_li
                                        ; -- End function
	.set _ZL32rocblas_gemvt_warp_reduce_kernelILb1ELi1024EiPK16rocblas_bfloat16fKPfEviiT3_lPKT2_lT1_lS8_lS9_lS5_lPT4_lS9_li.num_vgpr, 12
	.set _ZL32rocblas_gemvt_warp_reduce_kernelILb1ELi1024EiPK16rocblas_bfloat16fKPfEviiT3_lPKT2_lT1_lS8_lS9_lS5_lPT4_lS9_li.num_agpr, 0
	.set _ZL32rocblas_gemvt_warp_reduce_kernelILb1ELi1024EiPK16rocblas_bfloat16fKPfEviiT3_lPKT2_lT1_lS8_lS9_lS5_lPT4_lS9_li.numbered_sgpr, 20
	.set _ZL32rocblas_gemvt_warp_reduce_kernelILb1ELi1024EiPK16rocblas_bfloat16fKPfEviiT3_lPKT2_lT1_lS8_lS9_lS5_lPT4_lS9_li.num_named_barrier, 0
	.set _ZL32rocblas_gemvt_warp_reduce_kernelILb1ELi1024EiPK16rocblas_bfloat16fKPfEviiT3_lPKT2_lT1_lS8_lS9_lS5_lPT4_lS9_li.private_seg_size, 0
	.set _ZL32rocblas_gemvt_warp_reduce_kernelILb1ELi1024EiPK16rocblas_bfloat16fKPfEviiT3_lPKT2_lT1_lS8_lS9_lS5_lPT4_lS9_li.uses_vcc, 1
	.set _ZL32rocblas_gemvt_warp_reduce_kernelILb1ELi1024EiPK16rocblas_bfloat16fKPfEviiT3_lPKT2_lT1_lS8_lS9_lS5_lPT4_lS9_li.uses_flat_scratch, 0
	.set _ZL32rocblas_gemvt_warp_reduce_kernelILb1ELi1024EiPK16rocblas_bfloat16fKPfEviiT3_lPKT2_lT1_lS8_lS9_lS5_lPT4_lS9_li.has_dyn_sized_stack, 0
	.set _ZL32rocblas_gemvt_warp_reduce_kernelILb1ELi1024EiPK16rocblas_bfloat16fKPfEviiT3_lPKT2_lT1_lS8_lS9_lS5_lPT4_lS9_li.has_recursion, 0
	.set _ZL32rocblas_gemvt_warp_reduce_kernelILb1ELi1024EiPK16rocblas_bfloat16fKPfEviiT3_lPKT2_lT1_lS8_lS9_lS5_lPT4_lS9_li.has_indirect_call, 0
	.section	.AMDGPU.csdata,"",@progbits
; Kernel info:
; codeLenInByte = 1544
; TotalNumSgprs: 22
; NumVgprs: 12
; ScratchSize: 0
; MemoryBound: 0
; FloatMode: 240
; IeeeMode: 1
; LDSByteSize: 128 bytes/workgroup (compile time only)
; SGPRBlocks: 0
; VGPRBlocks: 1
; NumSGPRsForWavesPerEU: 22
; NumVGPRsForWavesPerEU: 12
; Occupancy: 16
; WaveLimiterHint : 1
; COMPUTE_PGM_RSRC2:SCRATCH_EN: 0
; COMPUTE_PGM_RSRC2:USER_SGPR: 6
; COMPUTE_PGM_RSRC2:TRAP_HANDLER: 0
; COMPUTE_PGM_RSRC2:TGID_X_EN: 1
; COMPUTE_PGM_RSRC2:TGID_Y_EN: 0
; COMPUTE_PGM_RSRC2:TGID_Z_EN: 1
; COMPUTE_PGM_RSRC2:TIDIG_COMP_CNT: 0
	.section	.text._ZL32rocblas_gemvt_warp_reduce_kernelILb1ELi1024ElPK16rocblas_bfloat16fKPfEviiT3_lPKT2_lT1_lS8_lS9_lS5_lPT4_lS9_li,"axG",@progbits,_ZL32rocblas_gemvt_warp_reduce_kernelILb1ELi1024ElPK16rocblas_bfloat16fKPfEviiT3_lPKT2_lT1_lS8_lS9_lS5_lPT4_lS9_li,comdat
	.globl	_ZL32rocblas_gemvt_warp_reduce_kernelILb1ELi1024ElPK16rocblas_bfloat16fKPfEviiT3_lPKT2_lT1_lS8_lS9_lS5_lPT4_lS9_li ; -- Begin function _ZL32rocblas_gemvt_warp_reduce_kernelILb1ELi1024ElPK16rocblas_bfloat16fKPfEviiT3_lPKT2_lT1_lS8_lS9_lS5_lPT4_lS9_li
	.p2align	8
	.type	_ZL32rocblas_gemvt_warp_reduce_kernelILb1ELi1024ElPK16rocblas_bfloat16fKPfEviiT3_lPKT2_lT1_lS8_lS9_lS5_lPT4_lS9_li,@function
_ZL32rocblas_gemvt_warp_reduce_kernelILb1ELi1024ElPK16rocblas_bfloat16fKPfEviiT3_lPKT2_lT1_lS8_lS9_lS5_lPT4_lS9_li: ; @_ZL32rocblas_gemvt_warp_reduce_kernelILb1ELi1024ElPK16rocblas_bfloat16fKPfEviiT3_lPKT2_lT1_lS8_lS9_lS5_lPT4_lS9_li
; %bb.0:
	s_mov_b32 s10, s7
	s_clause 0x1
	s_load_dword s18, s[4:5], 0x8
	s_load_dword s7, s[4:5], 0x58
	s_mov_b32 s11, 0
	s_waitcnt lgkmcnt(0)
	v_cmp_eq_f32_e64 s20, s18, 0
	v_cmp_eq_f32_e64 s0, s7, 1.0
	s_and_b32 s0, s20, s0
	s_and_b32 vcc_lo, exec_lo, s0
	s_cbranch_vccnz .LBB695_43
; %bb.1:
	s_clause 0x1
	s_load_dwordx4 s[0:3], s[4:5], 0x18
	s_load_dwordx2 s[12:13], s[4:5], 0x28
	v_cmp_neq_f32_e64 s19, s18, 0
	s_and_b32 vcc_lo, exec_lo, s19
	s_cbranch_vccnz .LBB695_3
; %bb.2:
	s_mov_b32 s17, 0
	s_mov_b32 s16, s10
	s_mov_b32 s14, s17
	s_mov_b64 s[8:9], 0
	s_andn2_b32 vcc_lo, exec_lo, s14
	s_mov_b64 s[14:15], 0
	s_cbranch_vccz .LBB695_4
	s_branch .LBB695_5
.LBB695_3:
	s_mov_b64 s[16:17], s[10:11]
	s_mov_b64 s[8:9], 0
	;; [unrolled: 1-line block ×3, first 2 shown]
.LBB695_4:
	s_lshl_b64 s[10:11], s[10:11], 3
	s_waitcnt lgkmcnt(0)
	s_add_u32 s0, s0, s10
	s_addc_u32 s1, s1, s11
	s_lshl_b64 s[2:3], s[2:3], 1
	s_load_dwordx2 s[0:1], s[0:1], 0x0
	s_waitcnt lgkmcnt(0)
	s_add_u32 s14, s0, s2
	s_addc_u32 s15, s1, s3
.LBB695_5:
	s_waitcnt lgkmcnt(0)
	s_clause 0x1
	s_load_dwordx4 s[0:3], s[4:5], 0x38
	s_load_dwordx2 s[10:11], s[4:5], 0x48
	s_andn2_b32 vcc_lo, exec_lo, s19
	s_cbranch_vccnz .LBB695_7
; %bb.6:
	s_lshl_b64 s[8:9], s[16:17], 3
	s_waitcnt lgkmcnt(0)
	s_add_u32 s0, s0, s8
	s_addc_u32 s1, s1, s9
	s_lshl_b64 s[2:3], s[2:3], 1
	s_load_dwordx2 s[0:1], s[0:1], 0x0
	s_waitcnt lgkmcnt(0)
	s_add_u32 s8, s0, s2
	s_addc_u32 s9, s1, s3
.LBB695_7:
	s_load_dwordx4 s[24:27], s[4:5], 0x68
	s_waitcnt lgkmcnt(0)
	s_load_dwordx2 s[2:3], s[4:5], 0x78
	s_lshl_b64 s[0:1], s[16:17], 3
	s_add_u32 s0, s24, s0
	s_addc_u32 s1, s25, s1
	s_lshl_b64 s[22:23], s[26:27], 2
	s_load_dwordx2 s[16:17], s[0:1], 0x0
	v_cmp_eq_u32_e64 s0, 0, v0
	s_waitcnt lgkmcnt(0)
	s_add_u32 s1, s16, s22
	s_addc_u32 s19, s17, s23
	s_andn2_b32 vcc_lo, exec_lo, s20
	s_cbranch_vccnz .LBB695_12
; %bb.8:
	s_mov_b32 s21, 0
	s_mov_b32 s20, 0
                                        ; implicit-def: $vgpr1
                                        ; implicit-def: $sgpr16_sgpr17
	s_and_saveexec_b32 s22, s0
	s_cbranch_execz .LBB695_13
; %bb.9:
	s_ashr_i32 s0, s6, 31
	v_cmp_eq_f32_e64 s20, s7, 0
	s_mul_hi_u32 s16, s2, s6
	s_mul_i32 s0, s2, s0
	v_mov_b32_e32 v1, 0
	s_add_i32 s0, s16, s0
	s_mul_i32 s16, s3, s6
	s_and_b32 vcc_lo, exec_lo, s20
	s_add_i32 s17, s0, s16
	s_mul_i32 s16, s2, s6
	s_cbranch_vccnz .LBB695_11
; %bb.10:
	s_lshl_b64 s[24:25], s[16:17], 2
	s_add_u32 s24, s1, s24
	s_addc_u32 s25, s19, s25
	v_mov_b32_e32 v1, s24
	v_mov_b32_e32 v2, s25
	flat_load_dword v1, v[1:2]
	s_waitcnt vmcnt(0) lgkmcnt(0)
	v_mul_f32_e32 v1, s7, v1
.LBB695_11:
	s_mov_b32 s20, exec_lo
	s_or_b32 exec_lo, exec_lo, s22
	s_and_b32 vcc_lo, exec_lo, s21
	s_cbranch_vccnz .LBB695_14
	s_branch .LBB695_41
.LBB695_12:
	s_mov_b32 s20, 0
                                        ; implicit-def: $vgpr1
                                        ; implicit-def: $sgpr16_sgpr17
	s_cbranch_execnz .LBB695_14
	s_branch .LBB695_41
.LBB695_13:
	s_or_b32 exec_lo, exec_lo, s22
	s_and_b32 vcc_lo, exec_lo, s21
	s_cbranch_vccz .LBB695_41
.LBB695_14:
	s_load_dword s5, s[4:5], 0x0
	s_ashr_i32 s21, s6, 31
	s_mul_hi_u32 s0, s12, s6
	s_mul_i32 s4, s13, s6
	s_mul_i32 s13, s12, s21
	;; [unrolled: 1-line block ×3, first 2 shown]
	s_add_i32 s0, s0, s13
	v_mov_b32_e32 v7, 0
	s_add_i32 s13, s0, s4
	s_lshl_b64 s[12:13], s[12:13], 1
	s_waitcnt lgkmcnt(0)
	v_cmp_gt_i32_e32 vcc_lo, s5, v0
	s_ashr_i32 s0, s5, 31
	s_lshr_b32 s0, s0, 22
	s_add_i32 s0, s5, s0
	v_cndmask_b32_e32 v1, 0, v0, vcc_lo
	v_lshlrev_b32_e32 v1, 1, v1
	v_add_co_u32 v1, s4, s14, v1
	v_add_co_ci_u32_e64 v2, null, s15, 0, s4
	s_and_b32 s4, s0, 0xfffffc00
	v_add_co_u32 v1, vcc_lo, v1, s12
	v_add_co_ci_u32_e64 v2, null, s13, v2, vcc_lo
	s_mov_b32 s15, 0
	s_mov_b32 s14, exec_lo
	v_cmpx_gt_i32_e64 s4, v0
	s_cbranch_execz .LBB695_22
; %bb.15:
	v_mad_u64_u32 v[3:4], null, s10, v0, 0
	v_mov_b32_e32 v8, 0
	v_mov_b32_e32 v9, v0
	;; [unrolled: 1-line block ×3, first 2 shown]
	s_lshl_b64 s[12:13], s[10:11], 11
	v_mad_u64_u32 v[4:5], null, s11, v0, v[4:5]
	v_lshlrev_b64 v[5:6], 1, v[3:4]
	v_mov_b32_e32 v4, v2
	v_mov_b32_e32 v3, v1
	v_add_co_u32 v5, vcc_lo, s8, v5
	v_add_co_ci_u32_e64 v6, null, s9, v6, vcc_lo
	s_inst_prefetch 0x1
	s_branch .LBB695_17
	.p2align	6
.LBB695_16:                             ;   in Loop: Header=BB695_17 Depth=1
	s_or_b32 exec_lo, exec_lo, s0
	v_add_nc_u32_e32 v9, 0x400, v9
	v_and_b32_e32 v10, 0xffff0000, v11
	v_add_co_u32 v3, vcc_lo, 0x800, v3
	v_add_co_ci_u32_e64 v4, null, 0, v4, vcc_lo
	v_cmp_le_i32_e32 vcc_lo, s4, v9
	v_add_co_u32 v5, s0, v5, s12
	v_add_f32_e32 v7, v7, v10
	v_add_co_ci_u32_e64 v6, null, s13, v6, s0
	s_or_b32 s15, vcc_lo, s15
	s_andn2_b32 exec_lo, exec_lo, s15
	s_cbranch_execz .LBB695_21
.LBB695_17:                             ; =>This Inner Loop Header: Depth=1
	flat_load_ushort v10, v[5:6]
	flat_load_ushort v11, v[3:4]
	s_waitcnt vmcnt(1) lgkmcnt(1)
	v_lshlrev_b32_e32 v10, 16, v10
	s_waitcnt vmcnt(0) lgkmcnt(0)
	v_lshlrev_b32_e32 v11, 16, v11
	v_mul_f32_e32 v10, v11, v10
	v_and_b32_e32 v11, 0x7f800000, v10
	v_cmp_ne_u32_e32 vcc_lo, 0x7f800000, v11
                                        ; implicit-def: $vgpr11
	s_and_saveexec_b32 s0, vcc_lo
	s_xor_b32 s0, exec_lo, s0
; %bb.18:                               ;   in Loop: Header=BB695_17 Depth=1
	v_bfe_u32 v11, v10, 16, 1
	v_add3_u32 v11, v10, v11, 0x7fff
                                        ; implicit-def: $vgpr10
; %bb.19:                               ;   in Loop: Header=BB695_17 Depth=1
	s_andn2_saveexec_b32 s0, s0
	s_cbranch_execz .LBB695_16
; %bb.20:                               ;   in Loop: Header=BB695_17 Depth=1
	v_or_b32_e32 v11, 0x10000, v10
	v_cmp_eq_u32_sdwa vcc_lo, v10, v8 src0_sel:WORD_0 src1_sel:DWORD
	v_cndmask_b32_e32 v11, v11, v10, vcc_lo
	s_branch .LBB695_16
.LBB695_21:
	s_inst_prefetch 0x2
	s_or_b32 exec_lo, exec_lo, s15
.LBB695_22:
	s_or_b32 exec_lo, exec_lo, s14
	v_or_b32_e32 v3, s4, v0
	s_mov_b32 s0, exec_lo
	v_cmpx_gt_i32_e64 s5, v3
	s_cbranch_execz .LBB695_28
; %bb.23:
	v_ashrrev_i32_e32 v5, 31, v3
	v_mul_lo_u32 v6, s11, v3
	v_mad_u64_u32 v[3:4], null, s10, v3, 0
	s_ashr_i32 s5, s4, 31
	v_mul_lo_u32 v5, s10, v5
	s_lshl_b64 s[4:5], s[4:5], 1
	v_add3_u32 v4, v4, v5, v6
	v_lshlrev_b64 v[3:4], 1, v[3:4]
	v_add_co_u32 v3, vcc_lo, s8, v3
	v_add_co_ci_u32_e64 v4, null, s9, v4, vcc_lo
	v_add_co_u32 v1, vcc_lo, v1, s4
	v_add_co_ci_u32_e64 v2, null, s5, v2, vcc_lo
	flat_load_ushort v3, v[3:4]
	flat_load_ushort v1, v[1:2]
	s_waitcnt vmcnt(1) lgkmcnt(1)
	v_lshlrev_b32_e32 v2, 16, v3
	s_waitcnt vmcnt(0) lgkmcnt(0)
	v_lshlrev_b32_e32 v1, 16, v1
	v_mul_f32_e32 v1, v1, v2
	v_and_b32_e32 v2, 0x7f800000, v1
	v_cmp_ne_u32_e32 vcc_lo, 0x7f800000, v2
                                        ; implicit-def: $vgpr2
	s_and_saveexec_b32 s4, vcc_lo
	s_xor_b32 s4, exec_lo, s4
; %bb.24:
	v_bfe_u32 v2, v1, 16, 1
	v_add3_u32 v2, v1, v2, 0x7fff
                                        ; implicit-def: $vgpr1
; %bb.25:
	s_andn2_saveexec_b32 s4, s4
; %bb.26:
	v_mov_b32_e32 v2, 0
	v_or_b32_e32 v3, 0x10000, v1
	v_cmp_eq_u32_sdwa vcc_lo, v1, v2 src0_sel:WORD_0 src1_sel:DWORD
	v_cndmask_b32_e32 v2, v3, v1, vcc_lo
; %bb.27:
	s_or_b32 exec_lo, exec_lo, s4
	v_and_b32_e32 v1, 0xffff0000, v2
	v_add_f32_e32 v7, v7, v1
.LBB695_28:
	s_or_b32 exec_lo, exec_lo, s0
	v_and_b32_e32 v8, 31, v0
	v_cmp_gt_u32_e32 vcc_lo, 32, v0
	v_lshlrev_b32_e32 v1, 2, v8
	s_and_saveexec_b32 s0, vcc_lo
; %bb.29:
	v_mov_b32_e32 v2, 0
	ds_write_b32 v1, v2
; %bb.30:
	s_or_b32 exec_lo, exec_lo, s0
	v_mbcnt_lo_u32_b32 v6, -1, 0
	s_mov_b32 s4, exec_lo
	s_waitcnt lgkmcnt(0)
	s_barrier
	buffer_gl0_inv
	v_lshl_or_b32 v2, v6, 2, 64
	v_cmp_gt_u32_e64 s0, 24, v6
	ds_bpermute_b32 v4, v2, v7
	v_cndmask_b32_e64 v3, 0, 8, s0
	v_cmp_gt_u32_e64 s0, 28, v6
	v_add_lshl_u32 v3, v3, v6, 2
	s_waitcnt lgkmcnt(0)
	v_add_f32_e32 v5, v7, v4
	v_cndmask_b32_e64 v4, 0, 4, s0
	v_cmp_gt_u32_e64 s0, 30, v6
	ds_bpermute_b32 v7, v3, v5
	v_add_lshl_u32 v4, v4, v6, 2
	s_waitcnt lgkmcnt(0)
	v_add_f32_e32 v7, v5, v7
	v_cndmask_b32_e64 v5, 0, 2, s0
	v_cmp_ne_u32_e64 s0, 31, v6
	ds_bpermute_b32 v9, v4, v7
	v_add_lshl_u32 v5, v5, v6, 2
	v_add_co_ci_u32_e64 v6, null, 0, v6, s0
	v_lshlrev_b32_e32 v6, 2, v6
	s_waitcnt lgkmcnt(0)
	v_add_f32_e32 v7, v7, v9
	ds_bpermute_b32 v9, v5, v7
	s_waitcnt lgkmcnt(0)
	v_add_f32_e32 v7, v7, v9
	ds_bpermute_b32 v9, v6, v7
	v_cmpx_eq_u32_e32 0, v8
	s_cbranch_execz .LBB695_32
; %bb.31:
	v_lshrrev_b32_e32 v8, 3, v0
	s_waitcnt lgkmcnt(0)
	v_add_f32_e32 v7, v7, v9
	v_and_b32_e32 v8, 0x7c, v8
	ds_write_b32 v8, v7
.LBB695_32:
	s_or_b32 exec_lo, exec_lo, s4
	v_mov_b32_e32 v7, 0
	s_waitcnt lgkmcnt(0)
	s_barrier
	buffer_gl0_inv
	s_and_saveexec_b32 s0, vcc_lo
; %bb.33:
	ds_read_b32 v7, v1
; %bb.34:
	s_or_b32 exec_lo, exec_lo, s0
	s_and_saveexec_b32 s0, vcc_lo
	s_cbranch_execz .LBB695_36
; %bb.35:
	s_waitcnt lgkmcnt(0)
	ds_bpermute_b32 v1, v2, v7
	s_waitcnt lgkmcnt(0)
	v_add_f32_e32 v1, v7, v1
	ds_bpermute_b32 v2, v3, v1
	s_waitcnt lgkmcnt(0)
	v_add_f32_e32 v1, v1, v2
	;; [unrolled: 3-line block ×5, first 2 shown]
.LBB695_36:
	s_or_b32 exec_lo, exec_lo, s0
	s_mov_b32 s0, exec_lo
                                        ; implicit-def: $vgpr1
                                        ; implicit-def: $sgpr16_sgpr17
	v_cmpx_eq_u32_e32 0, v0
	s_cbranch_execz .LBB695_40
; %bb.37:
	v_cmp_eq_f32_e64 s8, s7, 0
	s_mul_i32 s4, s2, s21
	s_mul_hi_u32 s5, s2, s6
	s_waitcnt lgkmcnt(0)
	v_mul_f32_e32 v1, s18, v7
	s_add_i32 s4, s5, s4
	s_mul_i32 s3, s3, s6
	s_and_b32 vcc_lo, exec_lo, s8
	s_add_i32 s17, s4, s3
	s_mul_i32 s16, s2, s6
	s_cbranch_vccnz .LBB695_39
; %bb.38:
	s_lshl_b64 s[2:3], s[16:17], 2
	s_add_u32 s2, s1, s2
	s_addc_u32 s3, s19, s3
	v_mov_b32_e32 v2, s2
	v_mov_b32_e32 v3, s3
	flat_load_dword v0, v[2:3]
	s_waitcnt vmcnt(0) lgkmcnt(0)
	v_fmac_f32_e32 v1, s7, v0
.LBB695_39:
	s_or_b32 s20, s20, exec_lo
.LBB695_40:
	s_or_b32 exec_lo, exec_lo, s0
.LBB695_41:
	s_and_saveexec_b32 s0, s20
	s_cbranch_execz .LBB695_43
; %bb.42:
	s_lshl_b64 s[2:3], s[16:17], 2
	s_add_u32 s0, s1, s2
	s_addc_u32 s1, s19, s3
	v_mov_b32_e32 v3, s1
	v_mov_b32_e32 v2, s0
	flat_store_dword v[2:3], v1
.LBB695_43:
	s_endpgm
	.section	.rodata,"a",@progbits
	.p2align	6, 0x0
	.amdhsa_kernel _ZL32rocblas_gemvt_warp_reduce_kernelILb1ELi1024ElPK16rocblas_bfloat16fKPfEviiT3_lPKT2_lT1_lS8_lS9_lS5_lPT4_lS9_li
		.amdhsa_group_segment_fixed_size 128
		.amdhsa_private_segment_fixed_size 0
		.amdhsa_kernarg_size 140
		.amdhsa_user_sgpr_count 6
		.amdhsa_user_sgpr_private_segment_buffer 1
		.amdhsa_user_sgpr_dispatch_ptr 0
		.amdhsa_user_sgpr_queue_ptr 0
		.amdhsa_user_sgpr_kernarg_segment_ptr 1
		.amdhsa_user_sgpr_dispatch_id 0
		.amdhsa_user_sgpr_flat_scratch_init 0
		.amdhsa_user_sgpr_private_segment_size 0
		.amdhsa_wavefront_size32 1
		.amdhsa_uses_dynamic_stack 0
		.amdhsa_system_sgpr_private_segment_wavefront_offset 0
		.amdhsa_system_sgpr_workgroup_id_x 1
		.amdhsa_system_sgpr_workgroup_id_y 0
		.amdhsa_system_sgpr_workgroup_id_z 1
		.amdhsa_system_sgpr_workgroup_info 0
		.amdhsa_system_vgpr_workitem_id 0
		.amdhsa_next_free_vgpr 12
		.amdhsa_next_free_sgpr 28
		.amdhsa_reserve_vcc 1
		.amdhsa_reserve_flat_scratch 0
		.amdhsa_float_round_mode_32 0
		.amdhsa_float_round_mode_16_64 0
		.amdhsa_float_denorm_mode_32 3
		.amdhsa_float_denorm_mode_16_64 3
		.amdhsa_dx10_clamp 1
		.amdhsa_ieee_mode 1
		.amdhsa_fp16_overflow 0
		.amdhsa_workgroup_processor_mode 1
		.amdhsa_memory_ordered 1
		.amdhsa_forward_progress 1
		.amdhsa_shared_vgpr_count 0
		.amdhsa_exception_fp_ieee_invalid_op 0
		.amdhsa_exception_fp_denorm_src 0
		.amdhsa_exception_fp_ieee_div_zero 0
		.amdhsa_exception_fp_ieee_overflow 0
		.amdhsa_exception_fp_ieee_underflow 0
		.amdhsa_exception_fp_ieee_inexact 0
		.amdhsa_exception_int_div_zero 0
	.end_amdhsa_kernel
	.section	.text._ZL32rocblas_gemvt_warp_reduce_kernelILb1ELi1024ElPK16rocblas_bfloat16fKPfEviiT3_lPKT2_lT1_lS8_lS9_lS5_lPT4_lS9_li,"axG",@progbits,_ZL32rocblas_gemvt_warp_reduce_kernelILb1ELi1024ElPK16rocblas_bfloat16fKPfEviiT3_lPKT2_lT1_lS8_lS9_lS5_lPT4_lS9_li,comdat
.Lfunc_end695:
	.size	_ZL32rocblas_gemvt_warp_reduce_kernelILb1ELi1024ElPK16rocblas_bfloat16fKPfEviiT3_lPKT2_lT1_lS8_lS9_lS5_lPT4_lS9_li, .Lfunc_end695-_ZL32rocblas_gemvt_warp_reduce_kernelILb1ELi1024ElPK16rocblas_bfloat16fKPfEviiT3_lPKT2_lT1_lS8_lS9_lS5_lPT4_lS9_li
                                        ; -- End function
	.set _ZL32rocblas_gemvt_warp_reduce_kernelILb1ELi1024ElPK16rocblas_bfloat16fKPfEviiT3_lPKT2_lT1_lS8_lS9_lS5_lPT4_lS9_li.num_vgpr, 12
	.set _ZL32rocblas_gemvt_warp_reduce_kernelILb1ELi1024ElPK16rocblas_bfloat16fKPfEviiT3_lPKT2_lT1_lS8_lS9_lS5_lPT4_lS9_li.num_agpr, 0
	.set _ZL32rocblas_gemvt_warp_reduce_kernelILb1ELi1024ElPK16rocblas_bfloat16fKPfEviiT3_lPKT2_lT1_lS8_lS9_lS5_lPT4_lS9_li.numbered_sgpr, 28
	.set _ZL32rocblas_gemvt_warp_reduce_kernelILb1ELi1024ElPK16rocblas_bfloat16fKPfEviiT3_lPKT2_lT1_lS8_lS9_lS5_lPT4_lS9_li.num_named_barrier, 0
	.set _ZL32rocblas_gemvt_warp_reduce_kernelILb1ELi1024ElPK16rocblas_bfloat16fKPfEviiT3_lPKT2_lT1_lS8_lS9_lS5_lPT4_lS9_li.private_seg_size, 0
	.set _ZL32rocblas_gemvt_warp_reduce_kernelILb1ELi1024ElPK16rocblas_bfloat16fKPfEviiT3_lPKT2_lT1_lS8_lS9_lS5_lPT4_lS9_li.uses_vcc, 1
	.set _ZL32rocblas_gemvt_warp_reduce_kernelILb1ELi1024ElPK16rocblas_bfloat16fKPfEviiT3_lPKT2_lT1_lS8_lS9_lS5_lPT4_lS9_li.uses_flat_scratch, 0
	.set _ZL32rocblas_gemvt_warp_reduce_kernelILb1ELi1024ElPK16rocblas_bfloat16fKPfEviiT3_lPKT2_lT1_lS8_lS9_lS5_lPT4_lS9_li.has_dyn_sized_stack, 0
	.set _ZL32rocblas_gemvt_warp_reduce_kernelILb1ELi1024ElPK16rocblas_bfloat16fKPfEviiT3_lPKT2_lT1_lS8_lS9_lS5_lPT4_lS9_li.has_recursion, 0
	.set _ZL32rocblas_gemvt_warp_reduce_kernelILb1ELi1024ElPK16rocblas_bfloat16fKPfEviiT3_lPKT2_lT1_lS8_lS9_lS5_lPT4_lS9_li.has_indirect_call, 0
	.section	.AMDGPU.csdata,"",@progbits
; Kernel info:
; codeLenInByte = 1684
; TotalNumSgprs: 30
; NumVgprs: 12
; ScratchSize: 0
; MemoryBound: 0
; FloatMode: 240
; IeeeMode: 1
; LDSByteSize: 128 bytes/workgroup (compile time only)
; SGPRBlocks: 0
; VGPRBlocks: 1
; NumSGPRsForWavesPerEU: 30
; NumVGPRsForWavesPerEU: 12
; Occupancy: 16
; WaveLimiterHint : 1
; COMPUTE_PGM_RSRC2:SCRATCH_EN: 0
; COMPUTE_PGM_RSRC2:USER_SGPR: 6
; COMPUTE_PGM_RSRC2:TRAP_HANDLER: 0
; COMPUTE_PGM_RSRC2:TGID_X_EN: 1
; COMPUTE_PGM_RSRC2:TGID_Y_EN: 0
; COMPUTE_PGM_RSRC2:TGID_Z_EN: 1
; COMPUTE_PGM_RSRC2:TIDIG_COMP_CNT: 0
	.section	.AMDGPU.gpr_maximums,"",@progbits
	.set amdgpu.max_num_vgpr, 0
	.set amdgpu.max_num_agpr, 0
	.set amdgpu.max_num_sgpr, 0
	.section	.AMDGPU.csdata,"",@progbits
	.type	__hip_cuid_ec55c6ef6bb0d27d,@object ; @__hip_cuid_ec55c6ef6bb0d27d
	.section	.bss,"aw",@nobits
	.globl	__hip_cuid_ec55c6ef6bb0d27d
__hip_cuid_ec55c6ef6bb0d27d:
	.byte	0                               ; 0x0
	.size	__hip_cuid_ec55c6ef6bb0d27d, 1

	.ident	"AMD clang version 22.0.0git (https://github.com/RadeonOpenCompute/llvm-project roc-7.2.4 26084 f58b06dce1f9c15707c5f808fd002e18c2accf7e)"
	.section	".note.GNU-stack","",@progbits
	.addrsig
	.addrsig_sym __hip_cuid_ec55c6ef6bb0d27d
	.amdgpu_metadata
---
amdhsa.kernels:
  - .args:
      - .offset:         0
        .size:           4
        .value_kind:     by_value
      - .offset:         4
        .size:           4
        .value_kind:     by_value
      - .address_space:  global
        .offset:         8
        .size:           8
        .value_kind:     global_buffer
      - .offset:         16
        .size:           8
        .value_kind:     by_value
      - .address_space:  global
        .offset:         24
        .size:           8
        .value_kind:     global_buffer
      - .offset:         32
        .size:           8
        .value_kind:     by_value
      - .offset:         40
        .size:           4
        .value_kind:     by_value
      - .offset:         48
        .size:           8
        .value_kind:     by_value
      - .address_space:  global
        .offset:         56
        .size:           8
        .value_kind:     global_buffer
      - .offset:         64
        .size:           8
        .value_kind:     by_value
      - .offset:         72
        .size:           4
        .value_kind:     by_value
      - .offset:         80
        .size:           8
        .value_kind:     by_value
      - .address_space:  global
        .offset:         88
        .size:           8
        .value_kind:     global_buffer
      - .offset:         96
        .size:           8
        .value_kind:     by_value
      - .address_space:  global
        .offset:         104
        .size:           8
        .value_kind:     global_buffer
      - .offset:         112
        .size:           8
        .value_kind:     by_value
      - .offset:         120
        .size:           4
        .value_kind:     by_value
      - .offset:         128
        .size:           8
        .value_kind:     by_value
      - .offset:         136
        .size:           4
        .value_kind:     by_value
    .group_segment_fixed_size: 0
    .kernarg_segment_align: 8
    .kernarg_segment_size: 140
    .language:       OpenCL C
    .language_version:
      - 2
      - 0
    .max_flat_workgroup_size: 768
    .name:           _ZL34rocblas_gemvn_sm_mn_batched_kernelILi32ELi24EfPKffEviiT2_lPKT1_lilS5_lilS2_lPT3_lili
    .private_segment_fixed_size: 0
    .sgpr_count:     0
    .sgpr_spill_count: 0
    .symbol:         _ZL34rocblas_gemvn_sm_mn_batched_kernelILi32ELi24EfPKffEviiT2_lPKT1_lilS5_lilS2_lPT3_lili.kd
    .uniform_work_group_size: 1
    .uses_dynamic_stack: false
    .vgpr_count:     0
    .vgpr_spill_count: 0
    .wavefront_size: 32
    .workgroup_processor_mode: 1
  - .args:
      - .offset:         0
        .size:           4
        .value_kind:     by_value
      - .offset:         4
        .size:           4
        .value_kind:     by_value
      - .offset:         8
        .size:           4
        .value_kind:     by_value
      - .offset:         16
        .size:           8
        .value_kind:     by_value
      - .address_space:  global
        .offset:         24
        .size:           8
        .value_kind:     global_buffer
      - .offset:         32
        .size:           8
        .value_kind:     by_value
      - .offset:         40
        .size:           4
        .value_kind:     by_value
      - .offset:         48
        .size:           8
        .value_kind:     by_value
      - .address_space:  global
        .offset:         56
        .size:           8
        .value_kind:     global_buffer
      - .offset:         64
        .size:           8
        .value_kind:     by_value
      - .offset:         72
        .size:           4
        .value_kind:     by_value
      - .offset:         80
        .size:           8
        .value_kind:     by_value
      - .offset:         88
        .size:           4
        .value_kind:     by_value
      - .offset:         96
        .size:           8
        .value_kind:     by_value
      - .address_space:  global
        .offset:         104
        .size:           8
        .value_kind:     global_buffer
      - .offset:         112
        .size:           8
        .value_kind:     by_value
      - .offset:         120
        .size:           4
        .value_kind:     by_value
      - .offset:         128
        .size:           8
        .value_kind:     by_value
      - .offset:         136
        .size:           4
        .value_kind:     by_value
    .group_segment_fixed_size: 0
    .kernarg_segment_align: 8
    .kernarg_segment_size: 140
    .language:       OpenCL C
    .language_version:
      - 2
      - 0
    .max_flat_workgroup_size: 768
    .name:           _ZL34rocblas_gemvn_sm_mn_batched_kernelILi32ELi24EfffEviiT2_lPKT1_lilS3_lilS0_lPT3_lili
    .private_segment_fixed_size: 0
    .sgpr_count:     0
    .sgpr_spill_count: 0
    .symbol:         _ZL34rocblas_gemvn_sm_mn_batched_kernelILi32ELi24EfffEviiT2_lPKT1_lilS3_lilS0_lPT3_lili.kd
    .uniform_work_group_size: 1
    .uses_dynamic_stack: false
    .vgpr_count:     0
    .vgpr_spill_count: 0
    .wavefront_size: 32
    .workgroup_processor_mode: 1
  - .args:
      - .offset:         0
        .size:           4
        .value_kind:     by_value
      - .offset:         4
        .size:           4
        .value_kind:     by_value
      - .address_space:  global
        .offset:         8
        .size:           8
        .value_kind:     global_buffer
      - .offset:         16
        .size:           8
        .value_kind:     by_value
      - .address_space:  global
        .offset:         24
        .size:           8
        .value_kind:     global_buffer
      - .offset:         32
        .size:           8
        .value_kind:     by_value
      - .offset:         40
        .size:           4
        .value_kind:     by_value
      - .offset:         48
        .size:           8
        .value_kind:     by_value
      - .address_space:  global
        .offset:         56
        .size:           8
        .value_kind:     global_buffer
      - .offset:         64
        .size:           8
        .value_kind:     by_value
      - .offset:         72
        .size:           4
        .value_kind:     by_value
      - .offset:         80
        .size:           8
        .value_kind:     by_value
      - .address_space:  global
        .offset:         88
        .size:           8
        .value_kind:     global_buffer
      - .offset:         96
        .size:           8
        .value_kind:     by_value
      - .address_space:  global
        .offset:         104
        .size:           8
        .value_kind:     global_buffer
      - .offset:         112
        .size:           8
        .value_kind:     by_value
      - .offset:         120
        .size:           4
        .value_kind:     by_value
      - .offset:         128
        .size:           8
        .value_kind:     by_value
      - .offset:         136
        .size:           4
        .value_kind:     by_value
      - .offset:         144
        .size:           4
        .value_kind:     hidden_block_count_x
      - .offset:         148
        .size:           4
        .value_kind:     hidden_block_count_y
      - .offset:         152
        .size:           4
        .value_kind:     hidden_block_count_z
      - .offset:         156
        .size:           2
        .value_kind:     hidden_group_size_x
      - .offset:         158
        .size:           2
        .value_kind:     hidden_group_size_y
      - .offset:         160
        .size:           2
        .value_kind:     hidden_group_size_z
      - .offset:         162
        .size:           2
        .value_kind:     hidden_remainder_x
      - .offset:         164
        .size:           2
        .value_kind:     hidden_remainder_y
      - .offset:         166
        .size:           2
        .value_kind:     hidden_remainder_z
      - .offset:         184
        .size:           8
        .value_kind:     hidden_global_offset_x
      - .offset:         192
        .size:           8
        .value_kind:     hidden_global_offset_y
      - .offset:         200
        .size:           8
        .value_kind:     hidden_global_offset_z
      - .offset:         208
        .size:           2
        .value_kind:     hidden_grid_dims
    .group_segment_fixed_size: 4096
    .kernarg_segment_align: 8
    .kernarg_segment_size: 400
    .language:       OpenCL C
    .language_version:
      - 2
      - 0
    .max_flat_workgroup_size: 256
    .name:           _ZL20rocblas_gemvn_kernelILi64ELi4EifPKffEviiT3_lPKT2_lT1_lS5_lS6_lS2_lPT4_lS6_li
    .private_segment_fixed_size: 0
    .sgpr_count:     30
    .sgpr_spill_count: 0
    .symbol:         _ZL20rocblas_gemvn_kernelILi64ELi4EifPKffEviiT3_lPKT2_lT1_lS5_lS6_lS2_lPT4_lS6_li.kd
    .uniform_work_group_size: 1
    .uses_dynamic_stack: false
    .vgpr_count:     42
    .vgpr_spill_count: 0
    .wavefront_size: 32
    .workgroup_processor_mode: 1
  - .args:
      - .offset:         0
        .size:           4
        .value_kind:     by_value
      - .offset:         4
        .size:           4
        .value_kind:     by_value
      - .address_space:  global
        .offset:         8
        .size:           8
        .value_kind:     global_buffer
      - .offset:         16
        .size:           8
        .value_kind:     by_value
      - .address_space:  global
        .offset:         24
        .size:           8
        .value_kind:     global_buffer
      - .offset:         32
        .size:           8
        .value_kind:     by_value
      - .offset:         40
        .size:           8
        .value_kind:     by_value
      - .offset:         48
        .size:           8
        .value_kind:     by_value
      - .address_space:  global
        .offset:         56
        .size:           8
        .value_kind:     global_buffer
      - .offset:         64
        .size:           8
        .value_kind:     by_value
      - .offset:         72
        .size:           8
        .value_kind:     by_value
      - .offset:         80
        .size:           8
        .value_kind:     by_value
      - .address_space:  global
        .offset:         88
        .size:           8
        .value_kind:     global_buffer
      - .offset:         96
        .size:           8
        .value_kind:     by_value
      - .address_space:  global
        .offset:         104
        .size:           8
        .value_kind:     global_buffer
      - .offset:         112
        .size:           8
        .value_kind:     by_value
      - .offset:         120
        .size:           8
        .value_kind:     by_value
      - .offset:         128
        .size:           8
        .value_kind:     by_value
      - .offset:         136
        .size:           4
        .value_kind:     by_value
      - .offset:         144
        .size:           4
        .value_kind:     hidden_block_count_x
      - .offset:         148
        .size:           4
        .value_kind:     hidden_block_count_y
      - .offset:         152
        .size:           4
        .value_kind:     hidden_block_count_z
      - .offset:         156
        .size:           2
        .value_kind:     hidden_group_size_x
      - .offset:         158
        .size:           2
        .value_kind:     hidden_group_size_y
      - .offset:         160
        .size:           2
        .value_kind:     hidden_group_size_z
      - .offset:         162
        .size:           2
        .value_kind:     hidden_remainder_x
      - .offset:         164
        .size:           2
        .value_kind:     hidden_remainder_y
      - .offset:         166
        .size:           2
        .value_kind:     hidden_remainder_z
      - .offset:         184
        .size:           8
        .value_kind:     hidden_global_offset_x
      - .offset:         192
        .size:           8
        .value_kind:     hidden_global_offset_y
      - .offset:         200
        .size:           8
        .value_kind:     hidden_global_offset_z
      - .offset:         208
        .size:           2
        .value_kind:     hidden_grid_dims
    .group_segment_fixed_size: 4096
    .kernarg_segment_align: 8
    .kernarg_segment_size: 400
    .language:       OpenCL C
    .language_version:
      - 2
      - 0
    .max_flat_workgroup_size: 256
    .name:           _ZL20rocblas_gemvn_kernelILi64ELi4ElfPKffEviiT3_lPKT2_lT1_lS5_lS6_lS2_lPT4_lS6_li
    .private_segment_fixed_size: 0
    .sgpr_count:     54
    .sgpr_spill_count: 0
    .symbol:         _ZL20rocblas_gemvn_kernelILi64ELi4ElfPKffEviiT3_lPKT2_lT1_lS5_lS6_lS2_lPT4_lS6_li.kd
    .uniform_work_group_size: 1
    .uses_dynamic_stack: false
    .vgpr_count:     52
    .vgpr_spill_count: 0
    .wavefront_size: 32
    .workgroup_processor_mode: 1
  - .args:
      - .offset:         0
        .size:           4
        .value_kind:     by_value
      - .offset:         4
        .size:           4
        .value_kind:     by_value
      - .offset:         8
        .size:           4
        .value_kind:     by_value
      - .offset:         16
        .size:           8
        .value_kind:     by_value
      - .address_space:  global
        .offset:         24
        .size:           8
        .value_kind:     global_buffer
      - .offset:         32
        .size:           8
        .value_kind:     by_value
      - .offset:         40
        .size:           4
        .value_kind:     by_value
      - .offset:         48
        .size:           8
        .value_kind:     by_value
      - .address_space:  global
        .offset:         56
        .size:           8
        .value_kind:     global_buffer
      - .offset:         64
        .size:           8
        .value_kind:     by_value
      - .offset:         72
        .size:           4
        .value_kind:     by_value
      - .offset:         80
        .size:           8
        .value_kind:     by_value
      - .offset:         88
        .size:           4
        .value_kind:     by_value
      - .offset:         96
        .size:           8
        .value_kind:     by_value
      - .address_space:  global
        .offset:         104
        .size:           8
        .value_kind:     global_buffer
      - .offset:         112
        .size:           8
        .value_kind:     by_value
      - .offset:         120
        .size:           4
        .value_kind:     by_value
      - .offset:         128
        .size:           8
        .value_kind:     by_value
      - .offset:         136
        .size:           4
        .value_kind:     by_value
      - .offset:         144
        .size:           4
        .value_kind:     hidden_block_count_x
      - .offset:         148
        .size:           4
        .value_kind:     hidden_block_count_y
      - .offset:         152
        .size:           4
        .value_kind:     hidden_block_count_z
      - .offset:         156
        .size:           2
        .value_kind:     hidden_group_size_x
      - .offset:         158
        .size:           2
        .value_kind:     hidden_group_size_y
      - .offset:         160
        .size:           2
        .value_kind:     hidden_group_size_z
      - .offset:         162
        .size:           2
        .value_kind:     hidden_remainder_x
      - .offset:         164
        .size:           2
        .value_kind:     hidden_remainder_y
      - .offset:         166
        .size:           2
        .value_kind:     hidden_remainder_z
      - .offset:         184
        .size:           8
        .value_kind:     hidden_global_offset_x
      - .offset:         192
        .size:           8
        .value_kind:     hidden_global_offset_y
      - .offset:         200
        .size:           8
        .value_kind:     hidden_global_offset_z
      - .offset:         208
        .size:           2
        .value_kind:     hidden_grid_dims
    .group_segment_fixed_size: 4096
    .kernarg_segment_align: 8
    .kernarg_segment_size: 400
    .language:       OpenCL C
    .language_version:
      - 2
      - 0
    .max_flat_workgroup_size: 256
    .name:           _ZL20rocblas_gemvn_kernelILi64ELi4EifffEviiT3_lPKT2_lT1_lS3_lS4_lS0_lPT4_lS4_li
    .private_segment_fixed_size: 0
    .sgpr_count:     30
    .sgpr_spill_count: 0
    .symbol:         _ZL20rocblas_gemvn_kernelILi64ELi4EifffEviiT3_lPKT2_lT1_lS3_lS4_lS0_lPT4_lS4_li.kd
    .uniform_work_group_size: 1
    .uses_dynamic_stack: false
    .vgpr_count:     42
    .vgpr_spill_count: 0
    .wavefront_size: 32
    .workgroup_processor_mode: 1
  - .args:
      - .offset:         0
        .size:           4
        .value_kind:     by_value
      - .offset:         4
        .size:           4
        .value_kind:     by_value
      - .offset:         8
        .size:           4
        .value_kind:     by_value
      - .offset:         16
        .size:           8
        .value_kind:     by_value
      - .address_space:  global
        .offset:         24
        .size:           8
        .value_kind:     global_buffer
      - .offset:         32
        .size:           8
        .value_kind:     by_value
      - .offset:         40
        .size:           8
        .value_kind:     by_value
      - .offset:         48
        .size:           8
        .value_kind:     by_value
      - .address_space:  global
        .offset:         56
        .size:           8
        .value_kind:     global_buffer
      - .offset:         64
        .size:           8
        .value_kind:     by_value
      - .offset:         72
        .size:           8
        .value_kind:     by_value
      - .offset:         80
        .size:           8
        .value_kind:     by_value
      - .offset:         88
        .size:           4
        .value_kind:     by_value
      - .offset:         96
        .size:           8
        .value_kind:     by_value
      - .address_space:  global
        .offset:         104
        .size:           8
        .value_kind:     global_buffer
      - .offset:         112
        .size:           8
        .value_kind:     by_value
      - .offset:         120
        .size:           8
        .value_kind:     by_value
      - .offset:         128
        .size:           8
        .value_kind:     by_value
      - .offset:         136
        .size:           4
        .value_kind:     by_value
      - .offset:         144
        .size:           4
        .value_kind:     hidden_block_count_x
      - .offset:         148
        .size:           4
        .value_kind:     hidden_block_count_y
      - .offset:         152
        .size:           4
        .value_kind:     hidden_block_count_z
      - .offset:         156
        .size:           2
        .value_kind:     hidden_group_size_x
      - .offset:         158
        .size:           2
        .value_kind:     hidden_group_size_y
      - .offset:         160
        .size:           2
        .value_kind:     hidden_group_size_z
      - .offset:         162
        .size:           2
        .value_kind:     hidden_remainder_x
      - .offset:         164
        .size:           2
        .value_kind:     hidden_remainder_y
      - .offset:         166
        .size:           2
        .value_kind:     hidden_remainder_z
      - .offset:         184
        .size:           8
        .value_kind:     hidden_global_offset_x
      - .offset:         192
        .size:           8
        .value_kind:     hidden_global_offset_y
      - .offset:         200
        .size:           8
        .value_kind:     hidden_global_offset_z
      - .offset:         208
        .size:           2
        .value_kind:     hidden_grid_dims
    .group_segment_fixed_size: 4096
    .kernarg_segment_align: 8
    .kernarg_segment_size: 400
    .language:       OpenCL C
    .language_version:
      - 2
      - 0
    .max_flat_workgroup_size: 256
    .name:           _ZL20rocblas_gemvn_kernelILi64ELi4ElfffEviiT3_lPKT2_lT1_lS3_lS4_lS0_lPT4_lS4_li
    .private_segment_fixed_size: 0
    .sgpr_count:     45
    .sgpr_spill_count: 0
    .symbol:         _ZL20rocblas_gemvn_kernelILi64ELi4ElfffEviiT3_lPKT2_lT1_lS3_lS4_lS0_lPT4_lS4_li.kd
    .uniform_work_group_size: 1
    .uses_dynamic_stack: false
    .vgpr_count:     52
    .vgpr_spill_count: 0
    .wavefront_size: 32
    .workgroup_processor_mode: 1
  - .args:
      - .offset:         0
        .size:           4
        .value_kind:     by_value
      - .address_space:  global
        .offset:         8
        .size:           8
        .value_kind:     global_buffer
      - .offset:         16
        .size:           8
        .value_kind:     by_value
      - .address_space:  global
        .offset:         24
        .size:           8
        .value_kind:     global_buffer
      - .offset:         32
        .size:           8
        .value_kind:     by_value
      - .offset:         40
        .size:           4
        .value_kind:     by_value
      - .offset:         48
        .size:           8
        .value_kind:     by_value
      - .offset:         56
        .size:           4
        .value_kind:     by_value
      - .offset:         64
        .size:           4
        .value_kind:     hidden_block_count_x
      - .offset:         68
        .size:           4
        .value_kind:     hidden_block_count_y
      - .offset:         72
        .size:           4
        .value_kind:     hidden_block_count_z
      - .offset:         76
        .size:           2
        .value_kind:     hidden_group_size_x
      - .offset:         78
        .size:           2
        .value_kind:     hidden_group_size_y
      - .offset:         80
        .size:           2
        .value_kind:     hidden_group_size_z
      - .offset:         82
        .size:           2
        .value_kind:     hidden_remainder_x
      - .offset:         84
        .size:           2
        .value_kind:     hidden_remainder_y
      - .offset:         86
        .size:           2
        .value_kind:     hidden_remainder_z
      - .offset:         104
        .size:           8
        .value_kind:     hidden_global_offset_x
      - .offset:         112
        .size:           8
        .value_kind:     hidden_global_offset_y
      - .offset:         120
        .size:           8
        .value_kind:     hidden_global_offset_z
      - .offset:         128
        .size:           2
        .value_kind:     hidden_grid_dims
    .group_segment_fixed_size: 0
    .kernarg_segment_align: 8
    .kernarg_segment_size: 320
    .language:       OpenCL C
    .language_version:
      - 2
      - 0
    .max_flat_workgroup_size: 256
    .name:           _ZL24rocblas_gemv_scal_kernelILi256EPKfPfEviT0_lT1_lili
    .private_segment_fixed_size: 0
    .sgpr_count:     18
    .sgpr_spill_count: 0
    .symbol:         _ZL24rocblas_gemv_scal_kernelILi256EPKfPfEviT0_lT1_lili.kd
    .uniform_work_group_size: 1
    .uses_dynamic_stack: false
    .vgpr_count:     5
    .vgpr_spill_count: 0
    .wavefront_size: 32
    .workgroup_processor_mode: 1
  - .args:
      - .offset:         0
        .size:           4
        .value_kind:     by_value
      - .offset:         4
        .size:           4
        .value_kind:     by_value
      - .offset:         8
        .size:           8
        .value_kind:     by_value
      - .address_space:  global
        .offset:         16
        .size:           8
        .value_kind:     global_buffer
      - .offset:         24
        .size:           8
        .value_kind:     by_value
      - .offset:         32
        .size:           4
        .value_kind:     by_value
      - .offset:         40
        .size:           8
        .value_kind:     by_value
      - .offset:         48
        .size:           4
        .value_kind:     by_value
      - .offset:         56
        .size:           4
        .value_kind:     hidden_block_count_x
      - .offset:         60
        .size:           4
        .value_kind:     hidden_block_count_y
      - .offset:         64
        .size:           4
        .value_kind:     hidden_block_count_z
      - .offset:         68
        .size:           2
        .value_kind:     hidden_group_size_x
      - .offset:         70
        .size:           2
        .value_kind:     hidden_group_size_y
      - .offset:         72
        .size:           2
        .value_kind:     hidden_group_size_z
      - .offset:         74
        .size:           2
        .value_kind:     hidden_remainder_x
      - .offset:         76
        .size:           2
        .value_kind:     hidden_remainder_y
      - .offset:         78
        .size:           2
        .value_kind:     hidden_remainder_z
      - .offset:         96
        .size:           8
        .value_kind:     hidden_global_offset_x
      - .offset:         104
        .size:           8
        .value_kind:     hidden_global_offset_y
      - .offset:         112
        .size:           8
        .value_kind:     hidden_global_offset_z
      - .offset:         120
        .size:           2
        .value_kind:     hidden_grid_dims
    .group_segment_fixed_size: 0
    .kernarg_segment_align: 8
    .kernarg_segment_size: 312
    .language:       OpenCL C
    .language_version:
      - 2
      - 0
    .max_flat_workgroup_size: 256
    .name:           _ZL24rocblas_gemv_scal_kernelILi256EfPfEviT0_lT1_lili
    .private_segment_fixed_size: 0
    .sgpr_count:     14
    .sgpr_spill_count: 0
    .symbol:         _ZL24rocblas_gemv_scal_kernelILi256EfPfEviT0_lT1_lili.kd
    .uniform_work_group_size: 1
    .uses_dynamic_stack: false
    .vgpr_count:     5
    .vgpr_spill_count: 0
    .wavefront_size: 32
    .workgroup_processor_mode: 1
  - .args:
      - .offset:         0
        .size:           4
        .value_kind:     by_value
      - .offset:         4
        .size:           4
        .value_kind:     by_value
      - .address_space:  global
        .offset:         8
        .size:           8
        .value_kind:     global_buffer
      - .offset:         16
        .size:           8
        .value_kind:     by_value
      - .address_space:  global
        .offset:         24
        .size:           8
        .value_kind:     global_buffer
      - .offset:         32
        .size:           8
        .value_kind:     by_value
      - .offset:         40
        .size:           4
        .value_kind:     by_value
      - .offset:         48
        .size:           8
        .value_kind:     by_value
      - .address_space:  global
        .offset:         56
        .size:           8
        .value_kind:     global_buffer
      - .offset:         64
        .size:           8
        .value_kind:     by_value
      - .offset:         72
        .size:           4
        .value_kind:     by_value
      - .offset:         80
        .size:           8
        .value_kind:     by_value
      - .address_space:  global
        .offset:         88
        .size:           8
        .value_kind:     global_buffer
      - .offset:         96
        .size:           8
        .value_kind:     by_value
      - .offset:         104
        .size:           4
        .value_kind:     by_value
      - .offset:         112
        .size:           8
        .value_kind:     by_value
      - .offset:         120
        .size:           4
        .value_kind:     by_value
      - .offset:         128
        .size:           4
        .value_kind:     hidden_block_count_x
      - .offset:         132
        .size:           4
        .value_kind:     hidden_block_count_y
      - .offset:         136
        .size:           4
        .value_kind:     hidden_block_count_z
      - .offset:         140
        .size:           2
        .value_kind:     hidden_group_size_x
      - .offset:         142
        .size:           2
        .value_kind:     hidden_group_size_y
      - .offset:         144
        .size:           2
        .value_kind:     hidden_group_size_z
      - .offset:         146
        .size:           2
        .value_kind:     hidden_remainder_x
      - .offset:         148
        .size:           2
        .value_kind:     hidden_remainder_y
      - .offset:         150
        .size:           2
        .value_kind:     hidden_remainder_z
      - .offset:         168
        .size:           8
        .value_kind:     hidden_global_offset_x
      - .offset:         176
        .size:           8
        .value_kind:     hidden_global_offset_y
      - .offset:         184
        .size:           8
        .value_kind:     hidden_global_offset_z
      - .offset:         192
        .size:           2
        .value_kind:     hidden_grid_dims
    .group_segment_fixed_size: 8192
    .kernarg_segment_align: 8
    .kernarg_segment_size: 384
    .language:       OpenCL C
    .language_version:
      - 2
      - 0
    .max_flat_workgroup_size: 1024
    .name:           _ZL36rocblas_gemvn_double_buffered_kernelILi128ELi8ELi8EfPKffEviiT3_lPKT2_lilS5_lilPT4_lili
    .private_segment_fixed_size: 0
    .sgpr_count:     40
    .sgpr_spill_count: 0
    .symbol:         _ZL36rocblas_gemvn_double_buffered_kernelILi128ELi8ELi8EfPKffEviiT3_lPKT2_lilS5_lilPT4_lili.kd
    .uniform_work_group_size: 1
    .uses_dynamic_stack: false
    .vgpr_count:     64
    .vgpr_spill_count: 0
    .wavefront_size: 32
    .workgroup_processor_mode: 1
  - .args:
      - .offset:         0
        .size:           4
        .value_kind:     by_value
      - .offset:         4
        .size:           4
        .value_kind:     by_value
      - .offset:         8
        .size:           4
        .value_kind:     by_value
      - .offset:         16
        .size:           8
        .value_kind:     by_value
      - .address_space:  global
        .offset:         24
        .size:           8
        .value_kind:     global_buffer
      - .offset:         32
        .size:           8
        .value_kind:     by_value
      - .offset:         40
        .size:           4
        .value_kind:     by_value
      - .offset:         48
        .size:           8
        .value_kind:     by_value
      - .address_space:  global
        .offset:         56
        .size:           8
        .value_kind:     global_buffer
      - .offset:         64
        .size:           8
        .value_kind:     by_value
      - .offset:         72
        .size:           4
        .value_kind:     by_value
      - .offset:         80
        .size:           8
        .value_kind:     by_value
      - .address_space:  global
        .offset:         88
        .size:           8
        .value_kind:     global_buffer
      - .offset:         96
        .size:           8
        .value_kind:     by_value
      - .offset:         104
        .size:           4
        .value_kind:     by_value
      - .offset:         112
        .size:           8
        .value_kind:     by_value
      - .offset:         120
        .size:           4
        .value_kind:     by_value
      - .offset:         128
        .size:           4
        .value_kind:     hidden_block_count_x
      - .offset:         132
        .size:           4
        .value_kind:     hidden_block_count_y
      - .offset:         136
        .size:           4
        .value_kind:     hidden_block_count_z
      - .offset:         140
        .size:           2
        .value_kind:     hidden_group_size_x
      - .offset:         142
        .size:           2
        .value_kind:     hidden_group_size_y
      - .offset:         144
        .size:           2
        .value_kind:     hidden_group_size_z
      - .offset:         146
        .size:           2
        .value_kind:     hidden_remainder_x
      - .offset:         148
        .size:           2
        .value_kind:     hidden_remainder_y
      - .offset:         150
        .size:           2
        .value_kind:     hidden_remainder_z
      - .offset:         168
        .size:           8
        .value_kind:     hidden_global_offset_x
      - .offset:         176
        .size:           8
        .value_kind:     hidden_global_offset_y
      - .offset:         184
        .size:           8
        .value_kind:     hidden_global_offset_z
      - .offset:         192
        .size:           2
        .value_kind:     hidden_grid_dims
    .group_segment_fixed_size: 8192
    .kernarg_segment_align: 8
    .kernarg_segment_size: 384
    .language:       OpenCL C
    .language_version:
      - 2
      - 0
    .max_flat_workgroup_size: 1024
    .name:           _ZL36rocblas_gemvn_double_buffered_kernelILi128ELi8ELi8EfffEviiT3_lPKT2_lilS3_lilPT4_lili
    .private_segment_fixed_size: 0
    .sgpr_count:     42
    .sgpr_spill_count: 0
    .symbol:         _ZL36rocblas_gemvn_double_buffered_kernelILi128ELi8ELi8EfffEviiT3_lPKT2_lilS3_lilPT4_lili.kd
    .uniform_work_group_size: 1
    .uses_dynamic_stack: false
    .vgpr_count:     64
    .vgpr_spill_count: 0
    .wavefront_size: 32
    .workgroup_processor_mode: 1
  - .args:
      - .offset:         0
        .size:           4
        .value_kind:     by_value
      - .offset:         4
        .size:           4
        .value_kind:     by_value
      - .address_space:  global
        .offset:         8
        .size:           8
        .value_kind:     global_buffer
      - .offset:         16
        .size:           8
        .value_kind:     by_value
      - .address_space:  global
        .offset:         24
        .size:           8
        .value_kind:     global_buffer
      - .offset:         32
        .size:           8
        .value_kind:     by_value
      - .offset:         40
        .size:           4
        .value_kind:     by_value
      - .offset:         48
        .size:           8
        .value_kind:     by_value
      - .address_space:  global
        .offset:         56
        .size:           8
        .value_kind:     global_buffer
      - .offset:         64
        .size:           8
        .value_kind:     by_value
      - .offset:         72
        .size:           4
        .value_kind:     by_value
      - .offset:         80
        .size:           8
        .value_kind:     by_value
      - .address_space:  global
        .offset:         88
        .size:           8
        .value_kind:     global_buffer
      - .offset:         96
        .size:           8
        .value_kind:     by_value
      - .address_space:  global
        .offset:         104
        .size:           8
        .value_kind:     global_buffer
      - .offset:         112
        .size:           8
        .value_kind:     by_value
      - .offset:         120
        .size:           4
        .value_kind:     by_value
      - .offset:         128
        .size:           8
        .value_kind:     by_value
      - .offset:         136
        .size:           4
        .value_kind:     by_value
      - .offset:         144
        .size:           4
        .value_kind:     hidden_block_count_x
      - .offset:         148
        .size:           4
        .value_kind:     hidden_block_count_y
      - .offset:         152
        .size:           4
        .value_kind:     hidden_block_count_z
      - .offset:         156
        .size:           2
        .value_kind:     hidden_group_size_x
      - .offset:         158
        .size:           2
        .value_kind:     hidden_group_size_y
      - .offset:         160
        .size:           2
        .value_kind:     hidden_group_size_z
      - .offset:         162
        .size:           2
        .value_kind:     hidden_remainder_x
      - .offset:         164
        .size:           2
        .value_kind:     hidden_remainder_y
      - .offset:         166
        .size:           2
        .value_kind:     hidden_remainder_z
      - .offset:         184
        .size:           8
        .value_kind:     hidden_global_offset_x
      - .offset:         192
        .size:           8
        .value_kind:     hidden_global_offset_y
      - .offset:         200
        .size:           8
        .value_kind:     hidden_global_offset_z
      - .offset:         208
        .size:           2
        .value_kind:     hidden_grid_dims
    .group_segment_fixed_size: 8192
    .kernarg_segment_align: 8
    .kernarg_segment_size: 400
    .language:       OpenCL C
    .language_version:
      - 2
      - 0
    .max_flat_workgroup_size: 512
    .name:           _ZL20rocblas_gemvn_kernelILi32ELi16EifPKffEviiT3_lPKT2_lT1_lS5_lS6_lS2_lPT4_lS6_li
    .private_segment_fixed_size: 0
    .sgpr_count:     30
    .sgpr_spill_count: 0
    .symbol:         _ZL20rocblas_gemvn_kernelILi32ELi16EifPKffEviiT3_lPKT2_lT1_lS5_lS6_lS2_lPT4_lS6_li.kd
    .uniform_work_group_size: 1
    .uses_dynamic_stack: false
    .vgpr_count:     42
    .vgpr_spill_count: 0
    .wavefront_size: 32
    .workgroup_processor_mode: 1
  - .args:
      - .offset:         0
        .size:           4
        .value_kind:     by_value
      - .offset:         4
        .size:           4
        .value_kind:     by_value
      - .address_space:  global
        .offset:         8
        .size:           8
        .value_kind:     global_buffer
      - .offset:         16
        .size:           8
        .value_kind:     by_value
      - .address_space:  global
        .offset:         24
        .size:           8
        .value_kind:     global_buffer
      - .offset:         32
        .size:           8
        .value_kind:     by_value
      - .offset:         40
        .size:           8
        .value_kind:     by_value
      - .offset:         48
        .size:           8
        .value_kind:     by_value
      - .address_space:  global
        .offset:         56
        .size:           8
        .value_kind:     global_buffer
      - .offset:         64
        .size:           8
        .value_kind:     by_value
      - .offset:         72
        .size:           8
        .value_kind:     by_value
      - .offset:         80
        .size:           8
        .value_kind:     by_value
      - .address_space:  global
        .offset:         88
        .size:           8
        .value_kind:     global_buffer
      - .offset:         96
        .size:           8
        .value_kind:     by_value
      - .address_space:  global
        .offset:         104
        .size:           8
        .value_kind:     global_buffer
      - .offset:         112
        .size:           8
        .value_kind:     by_value
      - .offset:         120
        .size:           8
        .value_kind:     by_value
      - .offset:         128
        .size:           8
        .value_kind:     by_value
      - .offset:         136
        .size:           4
        .value_kind:     by_value
      - .offset:         144
        .size:           4
        .value_kind:     hidden_block_count_x
      - .offset:         148
        .size:           4
        .value_kind:     hidden_block_count_y
      - .offset:         152
        .size:           4
        .value_kind:     hidden_block_count_z
      - .offset:         156
        .size:           2
        .value_kind:     hidden_group_size_x
      - .offset:         158
        .size:           2
        .value_kind:     hidden_group_size_y
      - .offset:         160
        .size:           2
        .value_kind:     hidden_group_size_z
      - .offset:         162
        .size:           2
        .value_kind:     hidden_remainder_x
      - .offset:         164
        .size:           2
        .value_kind:     hidden_remainder_y
      - .offset:         166
        .size:           2
        .value_kind:     hidden_remainder_z
      - .offset:         184
        .size:           8
        .value_kind:     hidden_global_offset_x
      - .offset:         192
        .size:           8
        .value_kind:     hidden_global_offset_y
      - .offset:         200
        .size:           8
        .value_kind:     hidden_global_offset_z
      - .offset:         208
        .size:           2
        .value_kind:     hidden_grid_dims
    .group_segment_fixed_size: 8192
    .kernarg_segment_align: 8
    .kernarg_segment_size: 400
    .language:       OpenCL C
    .language_version:
      - 2
      - 0
    .max_flat_workgroup_size: 512
    .name:           _ZL20rocblas_gemvn_kernelILi32ELi16ElfPKffEviiT3_lPKT2_lT1_lS5_lS6_lS2_lPT4_lS6_li
    .private_segment_fixed_size: 0
    .sgpr_count:     54
    .sgpr_spill_count: 0
    .symbol:         _ZL20rocblas_gemvn_kernelILi32ELi16ElfPKffEviiT3_lPKT2_lT1_lS5_lS6_lS2_lPT4_lS6_li.kd
    .uniform_work_group_size: 1
    .uses_dynamic_stack: false
    .vgpr_count:     52
    .vgpr_spill_count: 0
    .wavefront_size: 32
    .workgroup_processor_mode: 1
  - .args:
      - .offset:         0
        .size:           4
        .value_kind:     by_value
      - .offset:         4
        .size:           4
        .value_kind:     by_value
      - .offset:         8
        .size:           4
        .value_kind:     by_value
      - .offset:         16
        .size:           8
        .value_kind:     by_value
      - .address_space:  global
        .offset:         24
        .size:           8
        .value_kind:     global_buffer
      - .offset:         32
        .size:           8
        .value_kind:     by_value
      - .offset:         40
        .size:           4
        .value_kind:     by_value
      - .offset:         48
        .size:           8
        .value_kind:     by_value
      - .address_space:  global
        .offset:         56
        .size:           8
        .value_kind:     global_buffer
      - .offset:         64
        .size:           8
        .value_kind:     by_value
      - .offset:         72
        .size:           4
        .value_kind:     by_value
      - .offset:         80
        .size:           8
        .value_kind:     by_value
      - .offset:         88
        .size:           4
        .value_kind:     by_value
      - .offset:         96
        .size:           8
        .value_kind:     by_value
      - .address_space:  global
        .offset:         104
        .size:           8
        .value_kind:     global_buffer
      - .offset:         112
        .size:           8
        .value_kind:     by_value
      - .offset:         120
        .size:           4
        .value_kind:     by_value
      - .offset:         128
        .size:           8
        .value_kind:     by_value
      - .offset:         136
        .size:           4
        .value_kind:     by_value
      - .offset:         144
        .size:           4
        .value_kind:     hidden_block_count_x
      - .offset:         148
        .size:           4
        .value_kind:     hidden_block_count_y
      - .offset:         152
        .size:           4
        .value_kind:     hidden_block_count_z
      - .offset:         156
        .size:           2
        .value_kind:     hidden_group_size_x
      - .offset:         158
        .size:           2
        .value_kind:     hidden_group_size_y
      - .offset:         160
        .size:           2
        .value_kind:     hidden_group_size_z
      - .offset:         162
        .size:           2
        .value_kind:     hidden_remainder_x
      - .offset:         164
        .size:           2
        .value_kind:     hidden_remainder_y
      - .offset:         166
        .size:           2
        .value_kind:     hidden_remainder_z
      - .offset:         184
        .size:           8
        .value_kind:     hidden_global_offset_x
      - .offset:         192
        .size:           8
        .value_kind:     hidden_global_offset_y
      - .offset:         200
        .size:           8
        .value_kind:     hidden_global_offset_z
      - .offset:         208
        .size:           2
        .value_kind:     hidden_grid_dims
    .group_segment_fixed_size: 8192
    .kernarg_segment_align: 8
    .kernarg_segment_size: 400
    .language:       OpenCL C
    .language_version:
      - 2
      - 0
    .max_flat_workgroup_size: 512
    .name:           _ZL20rocblas_gemvn_kernelILi32ELi16EifffEviiT3_lPKT2_lT1_lS3_lS4_lS0_lPT4_lS4_li
    .private_segment_fixed_size: 0
    .sgpr_count:     30
    .sgpr_spill_count: 0
    .symbol:         _ZL20rocblas_gemvn_kernelILi32ELi16EifffEviiT3_lPKT2_lT1_lS3_lS4_lS0_lPT4_lS4_li.kd
    .uniform_work_group_size: 1
    .uses_dynamic_stack: false
    .vgpr_count:     42
    .vgpr_spill_count: 0
    .wavefront_size: 32
    .workgroup_processor_mode: 1
  - .args:
      - .offset:         0
        .size:           4
        .value_kind:     by_value
      - .offset:         4
        .size:           4
        .value_kind:     by_value
      - .offset:         8
        .size:           4
        .value_kind:     by_value
      - .offset:         16
        .size:           8
        .value_kind:     by_value
      - .address_space:  global
        .offset:         24
        .size:           8
        .value_kind:     global_buffer
      - .offset:         32
        .size:           8
        .value_kind:     by_value
      - .offset:         40
        .size:           8
        .value_kind:     by_value
      - .offset:         48
        .size:           8
        .value_kind:     by_value
      - .address_space:  global
        .offset:         56
        .size:           8
        .value_kind:     global_buffer
      - .offset:         64
        .size:           8
        .value_kind:     by_value
      - .offset:         72
        .size:           8
        .value_kind:     by_value
      - .offset:         80
        .size:           8
        .value_kind:     by_value
      - .offset:         88
        .size:           4
        .value_kind:     by_value
      - .offset:         96
        .size:           8
        .value_kind:     by_value
      - .address_space:  global
        .offset:         104
        .size:           8
        .value_kind:     global_buffer
      - .offset:         112
        .size:           8
        .value_kind:     by_value
      - .offset:         120
        .size:           8
        .value_kind:     by_value
      - .offset:         128
        .size:           8
        .value_kind:     by_value
      - .offset:         136
        .size:           4
        .value_kind:     by_value
      - .offset:         144
        .size:           4
        .value_kind:     hidden_block_count_x
      - .offset:         148
        .size:           4
        .value_kind:     hidden_block_count_y
      - .offset:         152
        .size:           4
        .value_kind:     hidden_block_count_z
      - .offset:         156
        .size:           2
        .value_kind:     hidden_group_size_x
      - .offset:         158
        .size:           2
        .value_kind:     hidden_group_size_y
      - .offset:         160
        .size:           2
        .value_kind:     hidden_group_size_z
      - .offset:         162
        .size:           2
        .value_kind:     hidden_remainder_x
      - .offset:         164
        .size:           2
        .value_kind:     hidden_remainder_y
      - .offset:         166
        .size:           2
        .value_kind:     hidden_remainder_z
      - .offset:         184
        .size:           8
        .value_kind:     hidden_global_offset_x
      - .offset:         192
        .size:           8
        .value_kind:     hidden_global_offset_y
      - .offset:         200
        .size:           8
        .value_kind:     hidden_global_offset_z
      - .offset:         208
        .size:           2
        .value_kind:     hidden_grid_dims
    .group_segment_fixed_size: 8192
    .kernarg_segment_align: 8
    .kernarg_segment_size: 400
    .language:       OpenCL C
    .language_version:
      - 2
      - 0
    .max_flat_workgroup_size: 512
    .name:           _ZL20rocblas_gemvn_kernelILi32ELi16ElfffEviiT3_lPKT2_lT1_lS3_lS4_lS0_lPT4_lS4_li
    .private_segment_fixed_size: 0
    .sgpr_count:     45
    .sgpr_spill_count: 0
    .symbol:         _ZL20rocblas_gemvn_kernelILi32ELi16ElfffEviiT3_lPKT2_lT1_lS3_lS4_lS0_lPT4_lS4_li.kd
    .uniform_work_group_size: 1
    .uses_dynamic_stack: false
    .vgpr_count:     52
    .vgpr_spill_count: 0
    .wavefront_size: 32
    .workgroup_processor_mode: 1
  - .args:
      - .offset:         0
        .size:           4
        .value_kind:     by_value
      - .offset:         4
        .size:           4
        .value_kind:     by_value
      - .address_space:  global
        .offset:         8
        .size:           8
        .value_kind:     global_buffer
      - .offset:         16
        .size:           8
        .value_kind:     by_value
      - .address_space:  global
        .offset:         24
        .size:           8
        .value_kind:     global_buffer
      - .offset:         32
        .size:           8
        .value_kind:     by_value
      - .offset:         40
        .size:           4
        .value_kind:     by_value
      - .offset:         48
        .size:           8
        .value_kind:     by_value
      - .address_space:  global
        .offset:         56
        .size:           8
        .value_kind:     global_buffer
      - .offset:         64
        .size:           8
        .value_kind:     by_value
      - .offset:         72
        .size:           4
        .value_kind:     by_value
      - .offset:         80
        .size:           8
        .value_kind:     by_value
      - .address_space:  global
        .offset:         88
        .size:           8
        .value_kind:     global_buffer
      - .offset:         96
        .size:           8
        .value_kind:     by_value
      - .address_space:  global
        .offset:         104
        .size:           8
        .value_kind:     global_buffer
      - .offset:         112
        .size:           8
        .value_kind:     by_value
      - .offset:         120
        .size:           4
        .value_kind:     by_value
      - .offset:         128
        .size:           8
        .value_kind:     by_value
      - .offset:         136
        .size:           4
        .value_kind:     by_value
      - .offset:         144
        .size:           4
        .value_kind:     hidden_block_count_x
      - .offset:         148
        .size:           4
        .value_kind:     hidden_block_count_y
      - .offset:         152
        .size:           4
        .value_kind:     hidden_block_count_z
      - .offset:         156
        .size:           2
        .value_kind:     hidden_group_size_x
      - .offset:         158
        .size:           2
        .value_kind:     hidden_group_size_y
      - .offset:         160
        .size:           2
        .value_kind:     hidden_group_size_z
      - .offset:         162
        .size:           2
        .value_kind:     hidden_remainder_x
      - .offset:         164
        .size:           2
        .value_kind:     hidden_remainder_y
      - .offset:         166
        .size:           2
        .value_kind:     hidden_remainder_z
      - .offset:         184
        .size:           8
        .value_kind:     hidden_global_offset_x
      - .offset:         192
        .size:           8
        .value_kind:     hidden_global_offset_y
      - .offset:         200
        .size:           8
        .value_kind:     hidden_global_offset_z
      - .offset:         208
        .size:           2
        .value_kind:     hidden_grid_dims
    .group_segment_fixed_size: 16384
    .kernarg_segment_align: 8
    .kernarg_segment_size: 400
    .language:       OpenCL C
    .language_version:
      - 2
      - 0
    .max_flat_workgroup_size: 1024
    .name:           _ZL20rocblas_gemvn_kernelILi64ELi16EifPKffEviiT3_lPKT2_lT1_lS5_lS6_lS2_lPT4_lS6_li
    .private_segment_fixed_size: 0
    .sgpr_count:     30
    .sgpr_spill_count: 0
    .symbol:         _ZL20rocblas_gemvn_kernelILi64ELi16EifPKffEviiT3_lPKT2_lT1_lS5_lS6_lS2_lPT4_lS6_li.kd
    .uniform_work_group_size: 1
    .uses_dynamic_stack: false
    .vgpr_count:     42
    .vgpr_spill_count: 0
    .wavefront_size: 32
    .workgroup_processor_mode: 1
  - .args:
      - .offset:         0
        .size:           4
        .value_kind:     by_value
      - .offset:         4
        .size:           4
        .value_kind:     by_value
      - .address_space:  global
        .offset:         8
        .size:           8
        .value_kind:     global_buffer
      - .offset:         16
        .size:           8
        .value_kind:     by_value
      - .address_space:  global
        .offset:         24
        .size:           8
        .value_kind:     global_buffer
      - .offset:         32
        .size:           8
        .value_kind:     by_value
      - .offset:         40
        .size:           8
        .value_kind:     by_value
      - .offset:         48
        .size:           8
        .value_kind:     by_value
      - .address_space:  global
        .offset:         56
        .size:           8
        .value_kind:     global_buffer
      - .offset:         64
        .size:           8
        .value_kind:     by_value
      - .offset:         72
        .size:           8
        .value_kind:     by_value
      - .offset:         80
        .size:           8
        .value_kind:     by_value
      - .address_space:  global
        .offset:         88
        .size:           8
        .value_kind:     global_buffer
      - .offset:         96
        .size:           8
        .value_kind:     by_value
      - .address_space:  global
        .offset:         104
        .size:           8
        .value_kind:     global_buffer
      - .offset:         112
        .size:           8
        .value_kind:     by_value
      - .offset:         120
        .size:           8
        .value_kind:     by_value
      - .offset:         128
        .size:           8
        .value_kind:     by_value
      - .offset:         136
        .size:           4
        .value_kind:     by_value
      - .offset:         144
        .size:           4
        .value_kind:     hidden_block_count_x
      - .offset:         148
        .size:           4
        .value_kind:     hidden_block_count_y
      - .offset:         152
        .size:           4
        .value_kind:     hidden_block_count_z
      - .offset:         156
        .size:           2
        .value_kind:     hidden_group_size_x
      - .offset:         158
        .size:           2
        .value_kind:     hidden_group_size_y
      - .offset:         160
        .size:           2
        .value_kind:     hidden_group_size_z
      - .offset:         162
        .size:           2
        .value_kind:     hidden_remainder_x
      - .offset:         164
        .size:           2
        .value_kind:     hidden_remainder_y
      - .offset:         166
        .size:           2
        .value_kind:     hidden_remainder_z
      - .offset:         184
        .size:           8
        .value_kind:     hidden_global_offset_x
      - .offset:         192
        .size:           8
        .value_kind:     hidden_global_offset_y
      - .offset:         200
        .size:           8
        .value_kind:     hidden_global_offset_z
      - .offset:         208
        .size:           2
        .value_kind:     hidden_grid_dims
    .group_segment_fixed_size: 16384
    .kernarg_segment_align: 8
    .kernarg_segment_size: 400
    .language:       OpenCL C
    .language_version:
      - 2
      - 0
    .max_flat_workgroup_size: 1024
    .name:           _ZL20rocblas_gemvn_kernelILi64ELi16ElfPKffEviiT3_lPKT2_lT1_lS5_lS6_lS2_lPT4_lS6_li
    .private_segment_fixed_size: 0
    .sgpr_count:     54
    .sgpr_spill_count: 0
    .symbol:         _ZL20rocblas_gemvn_kernelILi64ELi16ElfPKffEviiT3_lPKT2_lT1_lS5_lS6_lS2_lPT4_lS6_li.kd
    .uniform_work_group_size: 1
    .uses_dynamic_stack: false
    .vgpr_count:     52
    .vgpr_spill_count: 0
    .wavefront_size: 32
    .workgroup_processor_mode: 1
  - .args:
      - .offset:         0
        .size:           4
        .value_kind:     by_value
      - .offset:         4
        .size:           4
        .value_kind:     by_value
      - .offset:         8
        .size:           4
        .value_kind:     by_value
      - .offset:         16
        .size:           8
        .value_kind:     by_value
      - .address_space:  global
        .offset:         24
        .size:           8
        .value_kind:     global_buffer
      - .offset:         32
        .size:           8
        .value_kind:     by_value
      - .offset:         40
        .size:           4
        .value_kind:     by_value
      - .offset:         48
        .size:           8
        .value_kind:     by_value
      - .address_space:  global
        .offset:         56
        .size:           8
        .value_kind:     global_buffer
      - .offset:         64
        .size:           8
        .value_kind:     by_value
      - .offset:         72
        .size:           4
        .value_kind:     by_value
      - .offset:         80
        .size:           8
        .value_kind:     by_value
      - .offset:         88
        .size:           4
        .value_kind:     by_value
      - .offset:         96
        .size:           8
        .value_kind:     by_value
      - .address_space:  global
        .offset:         104
        .size:           8
        .value_kind:     global_buffer
      - .offset:         112
        .size:           8
        .value_kind:     by_value
      - .offset:         120
        .size:           4
        .value_kind:     by_value
      - .offset:         128
        .size:           8
        .value_kind:     by_value
      - .offset:         136
        .size:           4
        .value_kind:     by_value
      - .offset:         144
        .size:           4
        .value_kind:     hidden_block_count_x
      - .offset:         148
        .size:           4
        .value_kind:     hidden_block_count_y
      - .offset:         152
        .size:           4
        .value_kind:     hidden_block_count_z
      - .offset:         156
        .size:           2
        .value_kind:     hidden_group_size_x
      - .offset:         158
        .size:           2
        .value_kind:     hidden_group_size_y
      - .offset:         160
        .size:           2
        .value_kind:     hidden_group_size_z
      - .offset:         162
        .size:           2
        .value_kind:     hidden_remainder_x
      - .offset:         164
        .size:           2
        .value_kind:     hidden_remainder_y
      - .offset:         166
        .size:           2
        .value_kind:     hidden_remainder_z
      - .offset:         184
        .size:           8
        .value_kind:     hidden_global_offset_x
      - .offset:         192
        .size:           8
        .value_kind:     hidden_global_offset_y
      - .offset:         200
        .size:           8
        .value_kind:     hidden_global_offset_z
      - .offset:         208
        .size:           2
        .value_kind:     hidden_grid_dims
    .group_segment_fixed_size: 16384
    .kernarg_segment_align: 8
    .kernarg_segment_size: 400
    .language:       OpenCL C
    .language_version:
      - 2
      - 0
    .max_flat_workgroup_size: 1024
    .name:           _ZL20rocblas_gemvn_kernelILi64ELi16EifffEviiT3_lPKT2_lT1_lS3_lS4_lS0_lPT4_lS4_li
    .private_segment_fixed_size: 0
    .sgpr_count:     30
    .sgpr_spill_count: 0
    .symbol:         _ZL20rocblas_gemvn_kernelILi64ELi16EifffEviiT3_lPKT2_lT1_lS3_lS4_lS0_lPT4_lS4_li.kd
    .uniform_work_group_size: 1
    .uses_dynamic_stack: false
    .vgpr_count:     42
    .vgpr_spill_count: 0
    .wavefront_size: 32
    .workgroup_processor_mode: 1
  - .args:
      - .offset:         0
        .size:           4
        .value_kind:     by_value
      - .offset:         4
        .size:           4
        .value_kind:     by_value
      - .offset:         8
        .size:           4
        .value_kind:     by_value
      - .offset:         16
        .size:           8
        .value_kind:     by_value
      - .address_space:  global
        .offset:         24
        .size:           8
        .value_kind:     global_buffer
      - .offset:         32
        .size:           8
        .value_kind:     by_value
      - .offset:         40
        .size:           8
        .value_kind:     by_value
      - .offset:         48
        .size:           8
        .value_kind:     by_value
      - .address_space:  global
        .offset:         56
        .size:           8
        .value_kind:     global_buffer
      - .offset:         64
        .size:           8
        .value_kind:     by_value
      - .offset:         72
        .size:           8
        .value_kind:     by_value
      - .offset:         80
        .size:           8
        .value_kind:     by_value
      - .offset:         88
        .size:           4
        .value_kind:     by_value
      - .offset:         96
        .size:           8
        .value_kind:     by_value
      - .address_space:  global
        .offset:         104
        .size:           8
        .value_kind:     global_buffer
      - .offset:         112
        .size:           8
        .value_kind:     by_value
      - .offset:         120
        .size:           8
        .value_kind:     by_value
      - .offset:         128
        .size:           8
        .value_kind:     by_value
      - .offset:         136
        .size:           4
        .value_kind:     by_value
      - .offset:         144
        .size:           4
        .value_kind:     hidden_block_count_x
      - .offset:         148
        .size:           4
        .value_kind:     hidden_block_count_y
      - .offset:         152
        .size:           4
        .value_kind:     hidden_block_count_z
      - .offset:         156
        .size:           2
        .value_kind:     hidden_group_size_x
      - .offset:         158
        .size:           2
        .value_kind:     hidden_group_size_y
      - .offset:         160
        .size:           2
        .value_kind:     hidden_group_size_z
      - .offset:         162
        .size:           2
        .value_kind:     hidden_remainder_x
      - .offset:         164
        .size:           2
        .value_kind:     hidden_remainder_y
      - .offset:         166
        .size:           2
        .value_kind:     hidden_remainder_z
      - .offset:         184
        .size:           8
        .value_kind:     hidden_global_offset_x
      - .offset:         192
        .size:           8
        .value_kind:     hidden_global_offset_y
      - .offset:         200
        .size:           8
        .value_kind:     hidden_global_offset_z
      - .offset:         208
        .size:           2
        .value_kind:     hidden_grid_dims
    .group_segment_fixed_size: 16384
    .kernarg_segment_align: 8
    .kernarg_segment_size: 400
    .language:       OpenCL C
    .language_version:
      - 2
      - 0
    .max_flat_workgroup_size: 1024
    .name:           _ZL20rocblas_gemvn_kernelILi64ELi16ElfffEviiT3_lPKT2_lT1_lS3_lS4_lS0_lPT4_lS4_li
    .private_segment_fixed_size: 0
    .sgpr_count:     45
    .sgpr_spill_count: 0
    .symbol:         _ZL20rocblas_gemvn_kernelILi64ELi16ElfffEviiT3_lPKT2_lT1_lS3_lS4_lS0_lPT4_lS4_li.kd
    .uniform_work_group_size: 1
    .uses_dynamic_stack: false
    .vgpr_count:     52
    .vgpr_spill_count: 0
    .wavefront_size: 32
    .workgroup_processor_mode: 1
  - .args:
      - .offset:         0
        .size:           4
        .value_kind:     by_value
      - .offset:         4
        .size:           4
        .value_kind:     by_value
      - .address_space:  global
        .offset:         8
        .size:           8
        .value_kind:     global_buffer
      - .offset:         16
        .size:           8
        .value_kind:     by_value
      - .address_space:  global
        .offset:         24
        .size:           8
        .value_kind:     global_buffer
      - .offset:         32
        .size:           8
        .value_kind:     by_value
      - .offset:         40
        .size:           4
        .value_kind:     by_value
      - .offset:         48
        .size:           8
        .value_kind:     by_value
      - .address_space:  global
        .offset:         56
        .size:           8
        .value_kind:     global_buffer
      - .offset:         64
        .size:           8
        .value_kind:     by_value
      - .offset:         72
        .size:           4
        .value_kind:     by_value
      - .offset:         80
        .size:           8
        .value_kind:     by_value
      - .address_space:  global
        .offset:         88
        .size:           8
        .value_kind:     global_buffer
      - .offset:         96
        .size:           8
        .value_kind:     by_value
      - .address_space:  global
        .offset:         104
        .size:           8
        .value_kind:     global_buffer
      - .offset:         112
        .size:           8
        .value_kind:     by_value
      - .offset:         120
        .size:           4
        .value_kind:     by_value
      - .offset:         128
        .size:           8
        .value_kind:     by_value
    .group_segment_fixed_size: 256
    .kernarg_segment_align: 8
    .kernarg_segment_size: 136
    .language:       OpenCL C
    .language_version:
      - 2
      - 0
    .max_flat_workgroup_size: 256
    .name:           _ZL22rocblas_gemvtsm_kernelILb0ELi256EfPKffEviiT2_lPKT1_lilS5_lilS2_lPT3_lil
    .private_segment_fixed_size: 0
    .sgpr_count:     31
    .sgpr_spill_count: 0
    .symbol:         _ZL22rocblas_gemvtsm_kernelILb0ELi256EfPKffEviiT2_lPKT1_lilS5_lilS2_lPT3_lil.kd
    .uniform_work_group_size: 1
    .uses_dynamic_stack: false
    .vgpr_count:     26
    .vgpr_spill_count: 0
    .wavefront_size: 32
    .workgroup_processor_mode: 1
  - .args:
      - .offset:         0
        .size:           4
        .value_kind:     by_value
      - .offset:         4
        .size:           4
        .value_kind:     by_value
      - .offset:         8
        .size:           4
        .value_kind:     by_value
      - .offset:         16
        .size:           8
        .value_kind:     by_value
      - .address_space:  global
        .offset:         24
        .size:           8
        .value_kind:     global_buffer
      - .offset:         32
        .size:           8
        .value_kind:     by_value
      - .offset:         40
        .size:           4
        .value_kind:     by_value
      - .offset:         48
        .size:           8
        .value_kind:     by_value
      - .address_space:  global
        .offset:         56
        .size:           8
        .value_kind:     global_buffer
      - .offset:         64
        .size:           8
        .value_kind:     by_value
      - .offset:         72
        .size:           4
        .value_kind:     by_value
      - .offset:         80
        .size:           8
        .value_kind:     by_value
      - .offset:         88
        .size:           4
        .value_kind:     by_value
      - .offset:         96
        .size:           8
        .value_kind:     by_value
      - .address_space:  global
        .offset:         104
        .size:           8
        .value_kind:     global_buffer
      - .offset:         112
        .size:           8
        .value_kind:     by_value
      - .offset:         120
        .size:           4
        .value_kind:     by_value
      - .offset:         128
        .size:           8
        .value_kind:     by_value
    .group_segment_fixed_size: 256
    .kernarg_segment_align: 8
    .kernarg_segment_size: 136
    .language:       OpenCL C
    .language_version:
      - 2
      - 0
    .max_flat_workgroup_size: 256
    .name:           _ZL22rocblas_gemvtsm_kernelILb0ELi256EfffEviiT2_lPKT1_lilS3_lilS0_lPT3_lil
    .private_segment_fixed_size: 0
    .sgpr_count:     27
    .sgpr_spill_count: 0
    .symbol:         _ZL22rocblas_gemvtsm_kernelILb0ELi256EfffEviiT2_lPKT1_lilS3_lilS0_lPT3_lil.kd
    .uniform_work_group_size: 1
    .uses_dynamic_stack: false
    .vgpr_count:     26
    .vgpr_spill_count: 0
    .wavefront_size: 32
    .workgroup_processor_mode: 1
  - .args:
      - .offset:         0
        .size:           4
        .value_kind:     by_value
      - .offset:         4
        .size:           4
        .value_kind:     by_value
      - .address_space:  global
        .offset:         8
        .size:           8
        .value_kind:     global_buffer
      - .offset:         16
        .size:           8
        .value_kind:     by_value
      - .address_space:  global
        .offset:         24
        .size:           8
        .value_kind:     global_buffer
      - .offset:         32
        .size:           8
        .value_kind:     by_value
      - .offset:         40
        .size:           4
        .value_kind:     by_value
      - .offset:         48
        .size:           8
        .value_kind:     by_value
      - .address_space:  global
        .offset:         56
        .size:           8
        .value_kind:     global_buffer
      - .offset:         64
        .size:           8
        .value_kind:     by_value
      - .offset:         72
        .size:           4
        .value_kind:     by_value
      - .offset:         80
        .size:           8
        .value_kind:     by_value
      - .address_space:  global
        .offset:         88
        .size:           8
        .value_kind:     global_buffer
      - .offset:         96
        .size:           4
        .value_kind:     by_value
      - .offset:         104
        .size:           4
        .value_kind:     hidden_block_count_x
      - .offset:         108
        .size:           4
        .value_kind:     hidden_block_count_y
      - .offset:         112
        .size:           4
        .value_kind:     hidden_block_count_z
      - .offset:         116
        .size:           2
        .value_kind:     hidden_group_size_x
      - .offset:         118
        .size:           2
        .value_kind:     hidden_group_size_y
      - .offset:         120
        .size:           2
        .value_kind:     hidden_group_size_z
      - .offset:         122
        .size:           2
        .value_kind:     hidden_remainder_x
      - .offset:         124
        .size:           2
        .value_kind:     hidden_remainder_y
      - .offset:         126
        .size:           2
        .value_kind:     hidden_remainder_z
      - .offset:         144
        .size:           8
        .value_kind:     hidden_global_offset_x
      - .offset:         152
        .size:           8
        .value_kind:     hidden_global_offset_y
      - .offset:         160
        .size:           8
        .value_kind:     hidden_global_offset_z
      - .offset:         168
        .size:           2
        .value_kind:     hidden_grid_dims
    .group_segment_fixed_size: 128
    .kernarg_segment_align: 8
    .kernarg_segment_size: 360
    .language:       OpenCL C
    .language_version:
      - 2
      - 0
    .max_flat_workgroup_size: 256
    .name:           _ZL23rocblas_gemvt_sn_kernelILb0ELi256ELi4EifPKffEviiT4_lPKT3_lilS5_lilPT5_i
    .private_segment_fixed_size: 0
    .sgpr_count:     52
    .sgpr_spill_count: 0
    .symbol:         _ZL23rocblas_gemvt_sn_kernelILb0ELi256ELi4EifPKffEviiT4_lPKT3_lilS5_lilPT5_i.kd
    .uniform_work_group_size: 1
    .uses_dynamic_stack: false
    .vgpr_count:     55
    .vgpr_spill_count: 0
    .wavefront_size: 32
    .workgroup_processor_mode: 1
  - .args:
      - .offset:         0
        .size:           4
        .value_kind:     by_value
      - .offset:         4
        .size:           4
        .value_kind:     by_value
      - .address_space:  global
        .offset:         8
        .size:           8
        .value_kind:     global_buffer
      - .offset:         16
        .size:           8
        .value_kind:     by_value
      - .address_space:  global
        .offset:         24
        .size:           8
        .value_kind:     global_buffer
      - .offset:         32
        .size:           8
        .value_kind:     by_value
      - .offset:         40
        .size:           4
        .value_kind:     by_value
      - .offset:         48
        .size:           8
        .value_kind:     by_value
      - .address_space:  global
        .offset:         56
        .size:           8
        .value_kind:     global_buffer
      - .offset:         64
        .size:           8
        .value_kind:     by_value
      - .offset:         72
        .size:           4
        .value_kind:     by_value
      - .offset:         80
        .size:           8
        .value_kind:     by_value
      - .address_space:  global
        .offset:         88
        .size:           8
        .value_kind:     global_buffer
      - .offset:         96
        .size:           4
        .value_kind:     by_value
      - .offset:         104
        .size:           4
        .value_kind:     hidden_block_count_x
      - .offset:         108
        .size:           4
        .value_kind:     hidden_block_count_y
      - .offset:         112
        .size:           4
        .value_kind:     hidden_block_count_z
      - .offset:         116
        .size:           2
        .value_kind:     hidden_group_size_x
      - .offset:         118
        .size:           2
        .value_kind:     hidden_group_size_y
      - .offset:         120
        .size:           2
        .value_kind:     hidden_group_size_z
      - .offset:         122
        .size:           2
        .value_kind:     hidden_remainder_x
      - .offset:         124
        .size:           2
        .value_kind:     hidden_remainder_y
      - .offset:         126
        .size:           2
        .value_kind:     hidden_remainder_z
      - .offset:         144
        .size:           8
        .value_kind:     hidden_global_offset_x
      - .offset:         152
        .size:           8
        .value_kind:     hidden_global_offset_y
      - .offset:         160
        .size:           8
        .value_kind:     hidden_global_offset_z
      - .offset:         168
        .size:           2
        .value_kind:     hidden_grid_dims
    .group_segment_fixed_size: 128
    .kernarg_segment_align: 8
    .kernarg_segment_size: 360
    .language:       OpenCL C
    .language_version:
      - 2
      - 0
    .max_flat_workgroup_size: 256
    .name:           _ZL23rocblas_gemvt_sn_kernelILb0ELi256ELi4ElfPKffEviiT4_lPKT3_lilS5_lilPT5_i
    .private_segment_fixed_size: 0
    .sgpr_count:     58
    .sgpr_spill_count: 0
    .symbol:         _ZL23rocblas_gemvt_sn_kernelILb0ELi256ELi4ElfPKffEviiT4_lPKT3_lilS5_lilPT5_i.kd
    .uniform_work_group_size: 1
    .uses_dynamic_stack: false
    .vgpr_count:     59
    .vgpr_spill_count: 0
    .wavefront_size: 32
    .workgroup_processor_mode: 1
  - .args:
      - .offset:         0
        .size:           4
        .value_kind:     by_value
      - .offset:         4
        .size:           4
        .value_kind:     by_value
      - .offset:         8
        .size:           4
        .value_kind:     by_value
      - .offset:         16
        .size:           8
        .value_kind:     by_value
      - .address_space:  global
        .offset:         24
        .size:           8
        .value_kind:     global_buffer
      - .offset:         32
        .size:           8
        .value_kind:     by_value
      - .offset:         40
        .size:           4
        .value_kind:     by_value
      - .offset:         48
        .size:           8
        .value_kind:     by_value
      - .address_space:  global
        .offset:         56
        .size:           8
        .value_kind:     global_buffer
      - .offset:         64
        .size:           8
        .value_kind:     by_value
      - .offset:         72
        .size:           4
        .value_kind:     by_value
      - .offset:         80
        .size:           8
        .value_kind:     by_value
      - .address_space:  global
        .offset:         88
        .size:           8
        .value_kind:     global_buffer
      - .offset:         96
        .size:           4
        .value_kind:     by_value
      - .offset:         104
        .size:           4
        .value_kind:     hidden_block_count_x
      - .offset:         108
        .size:           4
        .value_kind:     hidden_block_count_y
      - .offset:         112
        .size:           4
        .value_kind:     hidden_block_count_z
      - .offset:         116
        .size:           2
        .value_kind:     hidden_group_size_x
      - .offset:         118
        .size:           2
        .value_kind:     hidden_group_size_y
      - .offset:         120
        .size:           2
        .value_kind:     hidden_group_size_z
      - .offset:         122
        .size:           2
        .value_kind:     hidden_remainder_x
      - .offset:         124
        .size:           2
        .value_kind:     hidden_remainder_y
      - .offset:         126
        .size:           2
        .value_kind:     hidden_remainder_z
      - .offset:         144
        .size:           8
        .value_kind:     hidden_global_offset_x
      - .offset:         152
        .size:           8
        .value_kind:     hidden_global_offset_y
      - .offset:         160
        .size:           8
        .value_kind:     hidden_global_offset_z
      - .offset:         168
        .size:           2
        .value_kind:     hidden_grid_dims
    .group_segment_fixed_size: 128
    .kernarg_segment_align: 8
    .kernarg_segment_size: 360
    .language:       OpenCL C
    .language_version:
      - 2
      - 0
    .max_flat_workgroup_size: 256
    .name:           _ZL23rocblas_gemvt_sn_kernelILb0ELi256ELi4EifffEviiT4_lPKT3_lilS3_lilPT5_i
    .private_segment_fixed_size: 0
    .sgpr_count:     52
    .sgpr_spill_count: 0
    .symbol:         _ZL23rocblas_gemvt_sn_kernelILb0ELi256ELi4EifffEviiT4_lPKT3_lilS3_lilPT5_i.kd
    .uniform_work_group_size: 1
    .uses_dynamic_stack: false
    .vgpr_count:     55
    .vgpr_spill_count: 0
    .wavefront_size: 32
    .workgroup_processor_mode: 1
  - .args:
      - .offset:         0
        .size:           4
        .value_kind:     by_value
      - .offset:         4
        .size:           4
        .value_kind:     by_value
      - .offset:         8
        .size:           4
        .value_kind:     by_value
      - .offset:         16
        .size:           8
        .value_kind:     by_value
      - .address_space:  global
        .offset:         24
        .size:           8
        .value_kind:     global_buffer
      - .offset:         32
        .size:           8
        .value_kind:     by_value
      - .offset:         40
        .size:           4
        .value_kind:     by_value
      - .offset:         48
        .size:           8
        .value_kind:     by_value
      - .address_space:  global
        .offset:         56
        .size:           8
        .value_kind:     global_buffer
      - .offset:         64
        .size:           8
        .value_kind:     by_value
      - .offset:         72
        .size:           4
        .value_kind:     by_value
      - .offset:         80
        .size:           8
        .value_kind:     by_value
      - .address_space:  global
        .offset:         88
        .size:           8
        .value_kind:     global_buffer
      - .offset:         96
        .size:           4
        .value_kind:     by_value
      - .offset:         104
        .size:           4
        .value_kind:     hidden_block_count_x
      - .offset:         108
        .size:           4
        .value_kind:     hidden_block_count_y
      - .offset:         112
        .size:           4
        .value_kind:     hidden_block_count_z
      - .offset:         116
        .size:           2
        .value_kind:     hidden_group_size_x
      - .offset:         118
        .size:           2
        .value_kind:     hidden_group_size_y
      - .offset:         120
        .size:           2
        .value_kind:     hidden_group_size_z
      - .offset:         122
        .size:           2
        .value_kind:     hidden_remainder_x
      - .offset:         124
        .size:           2
        .value_kind:     hidden_remainder_y
      - .offset:         126
        .size:           2
        .value_kind:     hidden_remainder_z
      - .offset:         144
        .size:           8
        .value_kind:     hidden_global_offset_x
      - .offset:         152
        .size:           8
        .value_kind:     hidden_global_offset_y
      - .offset:         160
        .size:           8
        .value_kind:     hidden_global_offset_z
      - .offset:         168
        .size:           2
        .value_kind:     hidden_grid_dims
    .group_segment_fixed_size: 128
    .kernarg_segment_align: 8
    .kernarg_segment_size: 360
    .language:       OpenCL C
    .language_version:
      - 2
      - 0
    .max_flat_workgroup_size: 256
    .name:           _ZL23rocblas_gemvt_sn_kernelILb0ELi256ELi4ElfffEviiT4_lPKT3_lilS3_lilPT5_i
    .private_segment_fixed_size: 0
    .sgpr_count:     58
    .sgpr_spill_count: 0
    .symbol:         _ZL23rocblas_gemvt_sn_kernelILb0ELi256ELi4ElfffEviiT4_lPKT3_lilS3_lilPT5_i.kd
    .uniform_work_group_size: 1
    .uses_dynamic_stack: false
    .vgpr_count:     59
    .vgpr_spill_count: 0
    .wavefront_size: 32
    .workgroup_processor_mode: 1
  - .args:
      - .offset:         0
        .size:           4
        .value_kind:     by_value
      - .offset:         4
        .size:           4
        .value_kind:     by_value
      - .address_space:  global
        .offset:         8
        .size:           8
        .value_kind:     global_buffer
      - .offset:         16
        .size:           8
        .value_kind:     by_value
      - .address_space:  global
        .offset:         24
        .size:           8
        .value_kind:     global_buffer
      - .offset:         32
        .size:           8
        .value_kind:     by_value
      - .offset:         40
        .size:           4
        .value_kind:     by_value
      - .offset:         48
        .size:           8
        .value_kind:     by_value
      - .address_space:  global
        .offset:         56
        .size:           8
        .value_kind:     global_buffer
      - .offset:         64
        .size:           8
        .value_kind:     by_value
      - .offset:         72
        .size:           4
        .value_kind:     by_value
      - .offset:         80
        .size:           8
        .value_kind:     by_value
      - .address_space:  global
        .offset:         88
        .size:           8
        .value_kind:     global_buffer
      - .offset:         96
        .size:           8
        .value_kind:     by_value
      - .offset:         104
        .size:           4
        .value_kind:     by_value
      - .offset:         112
        .size:           8
        .value_kind:     by_value
      - .offset:         120
        .size:           4
        .value_kind:     by_value
      - .offset:         128
        .size:           4
        .value_kind:     hidden_block_count_x
      - .offset:         132
        .size:           4
        .value_kind:     hidden_block_count_y
      - .offset:         136
        .size:           4
        .value_kind:     hidden_block_count_z
      - .offset:         140
        .size:           2
        .value_kind:     hidden_group_size_x
      - .offset:         142
        .size:           2
        .value_kind:     hidden_group_size_y
      - .offset:         144
        .size:           2
        .value_kind:     hidden_group_size_z
      - .offset:         146
        .size:           2
        .value_kind:     hidden_remainder_x
      - .offset:         148
        .size:           2
        .value_kind:     hidden_remainder_y
      - .offset:         150
        .size:           2
        .value_kind:     hidden_remainder_z
      - .offset:         168
        .size:           8
        .value_kind:     hidden_global_offset_x
      - .offset:         176
        .size:           8
        .value_kind:     hidden_global_offset_y
      - .offset:         184
        .size:           8
        .value_kind:     hidden_global_offset_z
      - .offset:         192
        .size:           2
        .value_kind:     hidden_grid_dims
    .group_segment_fixed_size: 32768
    .kernarg_segment_align: 8
    .kernarg_segment_size: 384
    .language:       OpenCL C
    .language_version:
      - 2
      - 0
    .max_flat_workgroup_size: 1024
    .name:           _ZL36rocblas_gemvt_double_buffered_kernelILb0ELi128ELi8ELi8EfPKffEviiT4_lPKT3_lilS5_lilPT5_lili
    .private_segment_fixed_size: 0
    .sgpr_count:     36
    .sgpr_spill_count: 0
    .symbol:         _ZL36rocblas_gemvt_double_buffered_kernelILb0ELi128ELi8ELi8EfPKffEviiT4_lPKT3_lilS5_lilPT5_lili.kd
    .uniform_work_group_size: 1
    .uses_dynamic_stack: false
    .vgpr_count:     62
    .vgpr_spill_count: 0
    .wavefront_size: 32
    .workgroup_processor_mode: 1
  - .args:
      - .offset:         0
        .size:           4
        .value_kind:     by_value
      - .offset:         4
        .size:           4
        .value_kind:     by_value
      - .offset:         8
        .size:           4
        .value_kind:     by_value
      - .offset:         16
        .size:           8
        .value_kind:     by_value
      - .address_space:  global
        .offset:         24
        .size:           8
        .value_kind:     global_buffer
      - .offset:         32
        .size:           8
        .value_kind:     by_value
      - .offset:         40
        .size:           4
        .value_kind:     by_value
      - .offset:         48
        .size:           8
        .value_kind:     by_value
      - .address_space:  global
        .offset:         56
        .size:           8
        .value_kind:     global_buffer
      - .offset:         64
        .size:           8
        .value_kind:     by_value
      - .offset:         72
        .size:           4
        .value_kind:     by_value
      - .offset:         80
        .size:           8
        .value_kind:     by_value
      - .address_space:  global
        .offset:         88
        .size:           8
        .value_kind:     global_buffer
      - .offset:         96
        .size:           8
        .value_kind:     by_value
      - .offset:         104
        .size:           4
        .value_kind:     by_value
      - .offset:         112
        .size:           8
        .value_kind:     by_value
      - .offset:         120
        .size:           4
        .value_kind:     by_value
      - .offset:         128
        .size:           4
        .value_kind:     hidden_block_count_x
      - .offset:         132
        .size:           4
        .value_kind:     hidden_block_count_y
      - .offset:         136
        .size:           4
        .value_kind:     hidden_block_count_z
      - .offset:         140
        .size:           2
        .value_kind:     hidden_group_size_x
      - .offset:         142
        .size:           2
        .value_kind:     hidden_group_size_y
      - .offset:         144
        .size:           2
        .value_kind:     hidden_group_size_z
      - .offset:         146
        .size:           2
        .value_kind:     hidden_remainder_x
      - .offset:         148
        .size:           2
        .value_kind:     hidden_remainder_y
      - .offset:         150
        .size:           2
        .value_kind:     hidden_remainder_z
      - .offset:         168
        .size:           8
        .value_kind:     hidden_global_offset_x
      - .offset:         176
        .size:           8
        .value_kind:     hidden_global_offset_y
      - .offset:         184
        .size:           8
        .value_kind:     hidden_global_offset_z
      - .offset:         192
        .size:           2
        .value_kind:     hidden_grid_dims
    .group_segment_fixed_size: 32768
    .kernarg_segment_align: 8
    .kernarg_segment_size: 384
    .language:       OpenCL C
    .language_version:
      - 2
      - 0
    .max_flat_workgroup_size: 1024
    .name:           _ZL36rocblas_gemvt_double_buffered_kernelILb0ELi128ELi8ELi8EfffEviiT4_lPKT3_lilS3_lilPT5_lili
    .private_segment_fixed_size: 0
    .sgpr_count:     38
    .sgpr_spill_count: 0
    .symbol:         _ZL36rocblas_gemvt_double_buffered_kernelILb0ELi128ELi8ELi8EfffEviiT4_lPKT3_lilS3_lilPT5_lili.kd
    .uniform_work_group_size: 1
    .uses_dynamic_stack: false
    .vgpr_count:     62
    .vgpr_spill_count: 0
    .wavefront_size: 32
    .workgroup_processor_mode: 1
  - .args:
      - .offset:         0
        .size:           4
        .value_kind:     by_value
      - .offset:         4
        .size:           4
        .value_kind:     by_value
      - .address_space:  global
        .offset:         8
        .size:           8
        .value_kind:     global_buffer
      - .offset:         16
        .size:           8
        .value_kind:     by_value
      - .address_space:  global
        .offset:         24
        .size:           8
        .value_kind:     global_buffer
      - .offset:         32
        .size:           8
        .value_kind:     by_value
      - .offset:         40
        .size:           4
        .value_kind:     by_value
      - .offset:         48
        .size:           8
        .value_kind:     by_value
      - .address_space:  global
        .offset:         56
        .size:           8
        .value_kind:     global_buffer
      - .offset:         64
        .size:           8
        .value_kind:     by_value
      - .offset:         72
        .size:           4
        .value_kind:     by_value
      - .offset:         80
        .size:           8
        .value_kind:     by_value
      - .address_space:  global
        .offset:         88
        .size:           8
        .value_kind:     global_buffer
      - .offset:         96
        .size:           8
        .value_kind:     by_value
      - .address_space:  global
        .offset:         104
        .size:           8
        .value_kind:     global_buffer
      - .offset:         112
        .size:           8
        .value_kind:     by_value
      - .offset:         120
        .size:           4
        .value_kind:     by_value
      - .offset:         128
        .size:           8
        .value_kind:     by_value
      - .offset:         136
        .size:           4
        .value_kind:     by_value
    .group_segment_fixed_size: 128
    .kernarg_segment_align: 8
    .kernarg_segment_size: 140
    .language:       OpenCL C
    .language_version:
      - 2
      - 0
    .max_flat_workgroup_size: 256
    .name:           _ZL32rocblas_gemvt_warp_reduce_kernelILb0ELi256EifPKffEviiT3_lPKT2_lT1_lS5_lS6_lS2_lPT4_lS6_li
    .private_segment_fixed_size: 0
    .sgpr_count:     28
    .sgpr_spill_count: 0
    .symbol:         _ZL32rocblas_gemvt_warp_reduce_kernelILb0ELi256EifPKffEviiT3_lPKT2_lT1_lS5_lS6_lS2_lPT4_lS6_li.kd
    .uniform_work_group_size: 1
    .uses_dynamic_stack: false
    .vgpr_count:     11
    .vgpr_spill_count: 0
    .wavefront_size: 32
    .workgroup_processor_mode: 1
  - .args:
      - .offset:         0
        .size:           4
        .value_kind:     by_value
      - .offset:         4
        .size:           4
        .value_kind:     by_value
      - .address_space:  global
        .offset:         8
        .size:           8
        .value_kind:     global_buffer
      - .offset:         16
        .size:           8
        .value_kind:     by_value
      - .address_space:  global
        .offset:         24
        .size:           8
        .value_kind:     global_buffer
      - .offset:         32
        .size:           8
        .value_kind:     by_value
      - .offset:         40
        .size:           8
        .value_kind:     by_value
      - .offset:         48
        .size:           8
        .value_kind:     by_value
      - .address_space:  global
        .offset:         56
        .size:           8
        .value_kind:     global_buffer
      - .offset:         64
        .size:           8
        .value_kind:     by_value
      - .offset:         72
        .size:           8
        .value_kind:     by_value
      - .offset:         80
        .size:           8
        .value_kind:     by_value
      - .address_space:  global
        .offset:         88
        .size:           8
        .value_kind:     global_buffer
      - .offset:         96
        .size:           8
        .value_kind:     by_value
      - .address_space:  global
        .offset:         104
        .size:           8
        .value_kind:     global_buffer
      - .offset:         112
        .size:           8
        .value_kind:     by_value
      - .offset:         120
        .size:           8
        .value_kind:     by_value
      - .offset:         128
        .size:           8
        .value_kind:     by_value
      - .offset:         136
        .size:           4
        .value_kind:     by_value
    .group_segment_fixed_size: 128
    .kernarg_segment_align: 8
    .kernarg_segment_size: 140
    .language:       OpenCL C
    .language_version:
      - 2
      - 0
    .max_flat_workgroup_size: 256
    .name:           _ZL32rocblas_gemvt_warp_reduce_kernelILb0ELi256ElfPKffEviiT3_lPKT2_lT1_lS5_lS6_lS2_lPT4_lS6_li
    .private_segment_fixed_size: 0
    .sgpr_count:     54
    .sgpr_spill_count: 0
    .symbol:         _ZL32rocblas_gemvt_warp_reduce_kernelILb0ELi256ElfPKffEviiT3_lPKT2_lT1_lS5_lS6_lS2_lPT4_lS6_li.kd
    .uniform_work_group_size: 1
    .uses_dynamic_stack: false
    .vgpr_count:     11
    .vgpr_spill_count: 0
    .wavefront_size: 32
    .workgroup_processor_mode: 1
  - .args:
      - .offset:         0
        .size:           4
        .value_kind:     by_value
      - .offset:         4
        .size:           4
        .value_kind:     by_value
      - .offset:         8
        .size:           4
        .value_kind:     by_value
      - .offset:         16
        .size:           8
        .value_kind:     by_value
      - .address_space:  global
        .offset:         24
        .size:           8
        .value_kind:     global_buffer
      - .offset:         32
        .size:           8
        .value_kind:     by_value
      - .offset:         40
        .size:           4
        .value_kind:     by_value
      - .offset:         48
        .size:           8
        .value_kind:     by_value
      - .address_space:  global
        .offset:         56
        .size:           8
        .value_kind:     global_buffer
      - .offset:         64
        .size:           8
        .value_kind:     by_value
      - .offset:         72
        .size:           4
        .value_kind:     by_value
      - .offset:         80
        .size:           8
        .value_kind:     by_value
      - .offset:         88
        .size:           4
        .value_kind:     by_value
      - .offset:         96
        .size:           8
        .value_kind:     by_value
      - .address_space:  global
        .offset:         104
        .size:           8
        .value_kind:     global_buffer
      - .offset:         112
        .size:           8
        .value_kind:     by_value
      - .offset:         120
        .size:           4
        .value_kind:     by_value
      - .offset:         128
        .size:           8
        .value_kind:     by_value
      - .offset:         136
        .size:           4
        .value_kind:     by_value
    .group_segment_fixed_size: 128
    .kernarg_segment_align: 8
    .kernarg_segment_size: 140
    .language:       OpenCL C
    .language_version:
      - 2
      - 0
    .max_flat_workgroup_size: 256
    .name:           _ZL32rocblas_gemvt_warp_reduce_kernelILb0ELi256EifffEviiT3_lPKT2_lT1_lS3_lS4_lS0_lPT4_lS4_li
    .private_segment_fixed_size: 0
    .sgpr_count:     27
    .sgpr_spill_count: 0
    .symbol:         _ZL32rocblas_gemvt_warp_reduce_kernelILb0ELi256EifffEviiT3_lPKT2_lT1_lS3_lS4_lS0_lPT4_lS4_li.kd
    .uniform_work_group_size: 1
    .uses_dynamic_stack: false
    .vgpr_count:     11
    .vgpr_spill_count: 0
    .wavefront_size: 32
    .workgroup_processor_mode: 1
  - .args:
      - .offset:         0
        .size:           4
        .value_kind:     by_value
      - .offset:         4
        .size:           4
        .value_kind:     by_value
      - .offset:         8
        .size:           4
        .value_kind:     by_value
      - .offset:         16
        .size:           8
        .value_kind:     by_value
      - .address_space:  global
        .offset:         24
        .size:           8
        .value_kind:     global_buffer
      - .offset:         32
        .size:           8
        .value_kind:     by_value
      - .offset:         40
        .size:           8
        .value_kind:     by_value
      - .offset:         48
        .size:           8
        .value_kind:     by_value
      - .address_space:  global
        .offset:         56
        .size:           8
        .value_kind:     global_buffer
      - .offset:         64
        .size:           8
        .value_kind:     by_value
      - .offset:         72
        .size:           8
        .value_kind:     by_value
      - .offset:         80
        .size:           8
        .value_kind:     by_value
      - .offset:         88
        .size:           4
        .value_kind:     by_value
      - .offset:         96
        .size:           8
        .value_kind:     by_value
      - .address_space:  global
        .offset:         104
        .size:           8
        .value_kind:     global_buffer
      - .offset:         112
        .size:           8
        .value_kind:     by_value
      - .offset:         120
        .size:           8
        .value_kind:     by_value
      - .offset:         128
        .size:           8
        .value_kind:     by_value
      - .offset:         136
        .size:           4
        .value_kind:     by_value
    .group_segment_fixed_size: 128
    .kernarg_segment_align: 8
    .kernarg_segment_size: 140
    .language:       OpenCL C
    .language_version:
      - 2
      - 0
    .max_flat_workgroup_size: 256
    .name:           _ZL32rocblas_gemvt_warp_reduce_kernelILb0ELi256ElfffEviiT3_lPKT2_lT1_lS3_lS4_lS0_lPT4_lS4_li
    .private_segment_fixed_size: 0
    .sgpr_count:     38
    .sgpr_spill_count: 0
    .symbol:         _ZL32rocblas_gemvt_warp_reduce_kernelILb0ELi256ElfffEviiT3_lPKT2_lT1_lS3_lS4_lS0_lPT4_lS4_li.kd
    .uniform_work_group_size: 1
    .uses_dynamic_stack: false
    .vgpr_count:     11
    .vgpr_spill_count: 0
    .wavefront_size: 32
    .workgroup_processor_mode: 1
  - .args:
      - .offset:         0
        .size:           4
        .value_kind:     by_value
      - .offset:         4
        .size:           4
        .value_kind:     by_value
      - .address_space:  global
        .offset:         8
        .size:           8
        .value_kind:     global_buffer
      - .offset:         16
        .size:           8
        .value_kind:     by_value
      - .address_space:  global
        .offset:         24
        .size:           8
        .value_kind:     global_buffer
      - .offset:         32
        .size:           8
        .value_kind:     by_value
      - .offset:         40
        .size:           4
        .value_kind:     by_value
      - .offset:         48
        .size:           8
        .value_kind:     by_value
      - .address_space:  global
        .offset:         56
        .size:           8
        .value_kind:     global_buffer
      - .offset:         64
        .size:           8
        .value_kind:     by_value
      - .offset:         72
        .size:           4
        .value_kind:     by_value
      - .offset:         80
        .size:           8
        .value_kind:     by_value
      - .address_space:  global
        .offset:         88
        .size:           8
        .value_kind:     global_buffer
      - .offset:         96
        .size:           8
        .value_kind:     by_value
      - .address_space:  global
        .offset:         104
        .size:           8
        .value_kind:     global_buffer
      - .offset:         112
        .size:           8
        .value_kind:     by_value
      - .offset:         120
        .size:           4
        .value_kind:     by_value
      - .offset:         128
        .size:           8
        .value_kind:     by_value
      - .offset:         136
        .size:           4
        .value_kind:     by_value
    .group_segment_fixed_size: 1024
    .kernarg_segment_align: 8
    .kernarg_segment_size: 140
    .language:       OpenCL C
    .language_version:
      - 2
      - 0
    .max_flat_workgroup_size: 256
    .name:           _ZL20rocblas_gemvt_kernelILb0ELi256EfPKffEviiT2_lPKT1_lilS5_lilS2_lPT3_lili
    .private_segment_fixed_size: 0
    .sgpr_count:     28
    .sgpr_spill_count: 0
    .symbol:         _ZL20rocblas_gemvt_kernelILb0ELi256EfPKffEviiT2_lPKT1_lilS5_lilS2_lPT3_lili.kd
    .uniform_work_group_size: 1
    .uses_dynamic_stack: false
    .vgpr_count:     10
    .vgpr_spill_count: 0
    .wavefront_size: 32
    .workgroup_processor_mode: 1
  - .args:
      - .offset:         0
        .size:           4
        .value_kind:     by_value
      - .offset:         4
        .size:           4
        .value_kind:     by_value
      - .offset:         8
        .size:           4
        .value_kind:     by_value
      - .offset:         16
        .size:           8
        .value_kind:     by_value
      - .address_space:  global
        .offset:         24
        .size:           8
        .value_kind:     global_buffer
      - .offset:         32
        .size:           8
        .value_kind:     by_value
      - .offset:         40
        .size:           4
        .value_kind:     by_value
      - .offset:         48
        .size:           8
        .value_kind:     by_value
      - .address_space:  global
        .offset:         56
        .size:           8
        .value_kind:     global_buffer
      - .offset:         64
        .size:           8
        .value_kind:     by_value
      - .offset:         72
        .size:           4
        .value_kind:     by_value
      - .offset:         80
        .size:           8
        .value_kind:     by_value
      - .offset:         88
        .size:           4
        .value_kind:     by_value
      - .offset:         96
        .size:           8
        .value_kind:     by_value
      - .address_space:  global
        .offset:         104
        .size:           8
        .value_kind:     global_buffer
      - .offset:         112
        .size:           8
        .value_kind:     by_value
      - .offset:         120
        .size:           4
        .value_kind:     by_value
      - .offset:         128
        .size:           8
        .value_kind:     by_value
      - .offset:         136
        .size:           4
        .value_kind:     by_value
    .group_segment_fixed_size: 1024
    .kernarg_segment_align: 8
    .kernarg_segment_size: 140
    .language:       OpenCL C
    .language_version:
      - 2
      - 0
    .max_flat_workgroup_size: 256
    .name:           _ZL20rocblas_gemvt_kernelILb0ELi256EfffEviiT2_lPKT1_lilS3_lilS0_lPT3_lili
    .private_segment_fixed_size: 0
    .sgpr_count:     30
    .sgpr_spill_count: 0
    .symbol:         _ZL20rocblas_gemvt_kernelILb0ELi256EfffEviiT2_lPKT1_lilS3_lilS0_lPT3_lili.kd
    .uniform_work_group_size: 1
    .uses_dynamic_stack: false
    .vgpr_count:     10
    .vgpr_spill_count: 0
    .wavefront_size: 32
    .workgroup_processor_mode: 1
  - .args:
      - .offset:         0
        .size:           4
        .value_kind:     by_value
      - .offset:         4
        .size:           4
        .value_kind:     by_value
      - .address_space:  global
        .offset:         8
        .size:           8
        .value_kind:     global_buffer
      - .offset:         16
        .size:           8
        .value_kind:     by_value
      - .address_space:  global
        .offset:         24
        .size:           8
        .value_kind:     global_buffer
      - .offset:         32
        .size:           8
        .value_kind:     by_value
      - .offset:         40
        .size:           4
        .value_kind:     by_value
      - .offset:         48
        .size:           8
        .value_kind:     by_value
      - .address_space:  global
        .offset:         56
        .size:           8
        .value_kind:     global_buffer
      - .offset:         64
        .size:           8
        .value_kind:     by_value
      - .offset:         72
        .size:           4
        .value_kind:     by_value
      - .offset:         80
        .size:           8
        .value_kind:     by_value
      - .address_space:  global
        .offset:         88
        .size:           8
        .value_kind:     global_buffer
      - .offset:         96
        .size:           8
        .value_kind:     by_value
      - .address_space:  global
        .offset:         104
        .size:           8
        .value_kind:     global_buffer
      - .offset:         112
        .size:           8
        .value_kind:     by_value
      - .offset:         120
        .size:           4
        .value_kind:     by_value
      - .offset:         128
        .size:           8
        .value_kind:     by_value
      - .offset:         136
        .size:           4
        .value_kind:     by_value
    .group_segment_fixed_size: 128
    .kernarg_segment_align: 8
    .kernarg_segment_size: 140
    .language:       OpenCL C
    .language_version:
      - 2
      - 0
    .max_flat_workgroup_size: 1024
    .name:           _ZL32rocblas_gemvt_warp_reduce_kernelILb0ELi1024EifPKffEviiT3_lPKT2_lT1_lS5_lS6_lS2_lPT4_lS6_li
    .private_segment_fixed_size: 0
    .sgpr_count:     28
    .sgpr_spill_count: 0
    .symbol:         _ZL32rocblas_gemvt_warp_reduce_kernelILb0ELi1024EifPKffEviiT3_lPKT2_lT1_lS5_lS6_lS2_lPT4_lS6_li.kd
    .uniform_work_group_size: 1
    .uses_dynamic_stack: false
    .vgpr_count:     11
    .vgpr_spill_count: 0
    .wavefront_size: 32
    .workgroup_processor_mode: 1
  - .args:
      - .offset:         0
        .size:           4
        .value_kind:     by_value
      - .offset:         4
        .size:           4
        .value_kind:     by_value
      - .address_space:  global
        .offset:         8
        .size:           8
        .value_kind:     global_buffer
      - .offset:         16
        .size:           8
        .value_kind:     by_value
      - .address_space:  global
        .offset:         24
        .size:           8
        .value_kind:     global_buffer
      - .offset:         32
        .size:           8
        .value_kind:     by_value
      - .offset:         40
        .size:           8
        .value_kind:     by_value
      - .offset:         48
        .size:           8
        .value_kind:     by_value
      - .address_space:  global
        .offset:         56
        .size:           8
        .value_kind:     global_buffer
      - .offset:         64
        .size:           8
        .value_kind:     by_value
      - .offset:         72
        .size:           8
        .value_kind:     by_value
      - .offset:         80
        .size:           8
        .value_kind:     by_value
      - .address_space:  global
        .offset:         88
        .size:           8
        .value_kind:     global_buffer
      - .offset:         96
        .size:           8
        .value_kind:     by_value
      - .address_space:  global
        .offset:         104
        .size:           8
        .value_kind:     global_buffer
      - .offset:         112
        .size:           8
        .value_kind:     by_value
      - .offset:         120
        .size:           8
        .value_kind:     by_value
      - .offset:         128
        .size:           8
        .value_kind:     by_value
      - .offset:         136
        .size:           4
        .value_kind:     by_value
    .group_segment_fixed_size: 128
    .kernarg_segment_align: 8
    .kernarg_segment_size: 140
    .language:       OpenCL C
    .language_version:
      - 2
      - 0
    .max_flat_workgroup_size: 1024
    .name:           _ZL32rocblas_gemvt_warp_reduce_kernelILb0ELi1024ElfPKffEviiT3_lPKT2_lT1_lS5_lS6_lS2_lPT4_lS6_li
    .private_segment_fixed_size: 0
    .sgpr_count:     54
    .sgpr_spill_count: 0
    .symbol:         _ZL32rocblas_gemvt_warp_reduce_kernelILb0ELi1024ElfPKffEviiT3_lPKT2_lT1_lS5_lS6_lS2_lPT4_lS6_li.kd
    .uniform_work_group_size: 1
    .uses_dynamic_stack: false
    .vgpr_count:     11
    .vgpr_spill_count: 0
    .wavefront_size: 32
    .workgroup_processor_mode: 1
  - .args:
      - .offset:         0
        .size:           4
        .value_kind:     by_value
      - .offset:         4
        .size:           4
        .value_kind:     by_value
      - .offset:         8
        .size:           4
        .value_kind:     by_value
      - .offset:         16
        .size:           8
        .value_kind:     by_value
      - .address_space:  global
        .offset:         24
        .size:           8
        .value_kind:     global_buffer
      - .offset:         32
        .size:           8
        .value_kind:     by_value
      - .offset:         40
        .size:           4
        .value_kind:     by_value
      - .offset:         48
        .size:           8
        .value_kind:     by_value
      - .address_space:  global
        .offset:         56
        .size:           8
        .value_kind:     global_buffer
      - .offset:         64
        .size:           8
        .value_kind:     by_value
      - .offset:         72
        .size:           4
        .value_kind:     by_value
      - .offset:         80
        .size:           8
        .value_kind:     by_value
      - .offset:         88
        .size:           4
        .value_kind:     by_value
      - .offset:         96
        .size:           8
        .value_kind:     by_value
      - .address_space:  global
        .offset:         104
        .size:           8
        .value_kind:     global_buffer
      - .offset:         112
        .size:           8
        .value_kind:     by_value
      - .offset:         120
        .size:           4
        .value_kind:     by_value
      - .offset:         128
        .size:           8
        .value_kind:     by_value
      - .offset:         136
        .size:           4
        .value_kind:     by_value
    .group_segment_fixed_size: 128
    .kernarg_segment_align: 8
    .kernarg_segment_size: 140
    .language:       OpenCL C
    .language_version:
      - 2
      - 0
    .max_flat_workgroup_size: 1024
    .name:           _ZL32rocblas_gemvt_warp_reduce_kernelILb0ELi1024EifffEviiT3_lPKT2_lT1_lS3_lS4_lS0_lPT4_lS4_li
    .private_segment_fixed_size: 0
    .sgpr_count:     27
    .sgpr_spill_count: 0
    .symbol:         _ZL32rocblas_gemvt_warp_reduce_kernelILb0ELi1024EifffEviiT3_lPKT2_lT1_lS3_lS4_lS0_lPT4_lS4_li.kd
    .uniform_work_group_size: 1
    .uses_dynamic_stack: false
    .vgpr_count:     11
    .vgpr_spill_count: 0
    .wavefront_size: 32
    .workgroup_processor_mode: 1
  - .args:
      - .offset:         0
        .size:           4
        .value_kind:     by_value
      - .offset:         4
        .size:           4
        .value_kind:     by_value
      - .offset:         8
        .size:           4
        .value_kind:     by_value
      - .offset:         16
        .size:           8
        .value_kind:     by_value
      - .address_space:  global
        .offset:         24
        .size:           8
        .value_kind:     global_buffer
      - .offset:         32
        .size:           8
        .value_kind:     by_value
      - .offset:         40
        .size:           8
        .value_kind:     by_value
      - .offset:         48
        .size:           8
        .value_kind:     by_value
      - .address_space:  global
        .offset:         56
        .size:           8
        .value_kind:     global_buffer
      - .offset:         64
        .size:           8
        .value_kind:     by_value
      - .offset:         72
        .size:           8
        .value_kind:     by_value
      - .offset:         80
        .size:           8
        .value_kind:     by_value
      - .offset:         88
        .size:           4
        .value_kind:     by_value
      - .offset:         96
        .size:           8
        .value_kind:     by_value
      - .address_space:  global
        .offset:         104
        .size:           8
        .value_kind:     global_buffer
      - .offset:         112
        .size:           8
        .value_kind:     by_value
      - .offset:         120
        .size:           8
        .value_kind:     by_value
      - .offset:         128
        .size:           8
        .value_kind:     by_value
      - .offset:         136
        .size:           4
        .value_kind:     by_value
    .group_segment_fixed_size: 128
    .kernarg_segment_align: 8
    .kernarg_segment_size: 140
    .language:       OpenCL C
    .language_version:
      - 2
      - 0
    .max_flat_workgroup_size: 1024
    .name:           _ZL32rocblas_gemvt_warp_reduce_kernelILb0ELi1024ElfffEviiT3_lPKT2_lT1_lS3_lS4_lS0_lPT4_lS4_li
    .private_segment_fixed_size: 0
    .sgpr_count:     38
    .sgpr_spill_count: 0
    .symbol:         _ZL32rocblas_gemvt_warp_reduce_kernelILb0ELi1024ElfffEviiT3_lPKT2_lT1_lS3_lS4_lS0_lPT4_lS4_li.kd
    .uniform_work_group_size: 1
    .uses_dynamic_stack: false
    .vgpr_count:     11
    .vgpr_spill_count: 0
    .wavefront_size: 32
    .workgroup_processor_mode: 1
  - .args:
      - .offset:         0
        .size:           4
        .value_kind:     by_value
      - .offset:         4
        .size:           4
        .value_kind:     by_value
      - .address_space:  global
        .offset:         8
        .size:           8
        .value_kind:     global_buffer
      - .offset:         16
        .size:           8
        .value_kind:     by_value
      - .address_space:  global
        .offset:         24
        .size:           8
        .value_kind:     global_buffer
      - .offset:         32
        .size:           8
        .value_kind:     by_value
      - .offset:         40
        .size:           4
        .value_kind:     by_value
      - .offset:         48
        .size:           8
        .value_kind:     by_value
      - .address_space:  global
        .offset:         56
        .size:           8
        .value_kind:     global_buffer
      - .offset:         64
        .size:           8
        .value_kind:     by_value
      - .offset:         72
        .size:           4
        .value_kind:     by_value
      - .offset:         80
        .size:           8
        .value_kind:     by_value
      - .address_space:  global
        .offset:         88
        .size:           8
        .value_kind:     global_buffer
      - .offset:         96
        .size:           8
        .value_kind:     by_value
      - .address_space:  global
        .offset:         104
        .size:           8
        .value_kind:     global_buffer
      - .offset:         112
        .size:           8
        .value_kind:     by_value
      - .offset:         120
        .size:           4
        .value_kind:     by_value
      - .offset:         128
        .size:           8
        .value_kind:     by_value
    .group_segment_fixed_size: 256
    .kernarg_segment_align: 8
    .kernarg_segment_size: 136
    .language:       OpenCL C
    .language_version:
      - 2
      - 0
    .max_flat_workgroup_size: 256
    .name:           _ZL22rocblas_gemvtsm_kernelILb1ELi256EfPKffEviiT2_lPKT1_lilS5_lilS2_lPT3_lil
    .private_segment_fixed_size: 0
    .sgpr_count:     31
    .sgpr_spill_count: 0
    .symbol:         _ZL22rocblas_gemvtsm_kernelILb1ELi256EfPKffEviiT2_lPKT1_lilS5_lilS2_lPT3_lil.kd
    .uniform_work_group_size: 1
    .uses_dynamic_stack: false
    .vgpr_count:     26
    .vgpr_spill_count: 0
    .wavefront_size: 32
    .workgroup_processor_mode: 1
  - .args:
      - .offset:         0
        .size:           4
        .value_kind:     by_value
      - .offset:         4
        .size:           4
        .value_kind:     by_value
      - .offset:         8
        .size:           4
        .value_kind:     by_value
      - .offset:         16
        .size:           8
        .value_kind:     by_value
      - .address_space:  global
        .offset:         24
        .size:           8
        .value_kind:     global_buffer
      - .offset:         32
        .size:           8
        .value_kind:     by_value
      - .offset:         40
        .size:           4
        .value_kind:     by_value
      - .offset:         48
        .size:           8
        .value_kind:     by_value
      - .address_space:  global
        .offset:         56
        .size:           8
        .value_kind:     global_buffer
      - .offset:         64
        .size:           8
        .value_kind:     by_value
      - .offset:         72
        .size:           4
        .value_kind:     by_value
      - .offset:         80
        .size:           8
        .value_kind:     by_value
      - .offset:         88
        .size:           4
        .value_kind:     by_value
      - .offset:         96
        .size:           8
        .value_kind:     by_value
      - .address_space:  global
        .offset:         104
        .size:           8
        .value_kind:     global_buffer
      - .offset:         112
        .size:           8
        .value_kind:     by_value
      - .offset:         120
        .size:           4
        .value_kind:     by_value
      - .offset:         128
        .size:           8
        .value_kind:     by_value
    .group_segment_fixed_size: 256
    .kernarg_segment_align: 8
    .kernarg_segment_size: 136
    .language:       OpenCL C
    .language_version:
      - 2
      - 0
    .max_flat_workgroup_size: 256
    .name:           _ZL22rocblas_gemvtsm_kernelILb1ELi256EfffEviiT2_lPKT1_lilS3_lilS0_lPT3_lil
    .private_segment_fixed_size: 0
    .sgpr_count:     27
    .sgpr_spill_count: 0
    .symbol:         _ZL22rocblas_gemvtsm_kernelILb1ELi256EfffEviiT2_lPKT1_lilS3_lilS0_lPT3_lil.kd
    .uniform_work_group_size: 1
    .uses_dynamic_stack: false
    .vgpr_count:     26
    .vgpr_spill_count: 0
    .wavefront_size: 32
    .workgroup_processor_mode: 1
  - .args:
      - .offset:         0
        .size:           4
        .value_kind:     by_value
      - .offset:         4
        .size:           4
        .value_kind:     by_value
      - .address_space:  global
        .offset:         8
        .size:           8
        .value_kind:     global_buffer
      - .offset:         16
        .size:           8
        .value_kind:     by_value
      - .address_space:  global
        .offset:         24
        .size:           8
        .value_kind:     global_buffer
      - .offset:         32
        .size:           8
        .value_kind:     by_value
      - .offset:         40
        .size:           4
        .value_kind:     by_value
      - .offset:         48
        .size:           8
        .value_kind:     by_value
      - .address_space:  global
        .offset:         56
        .size:           8
        .value_kind:     global_buffer
      - .offset:         64
        .size:           8
        .value_kind:     by_value
      - .offset:         72
        .size:           4
        .value_kind:     by_value
      - .offset:         80
        .size:           8
        .value_kind:     by_value
      - .address_space:  global
        .offset:         88
        .size:           8
        .value_kind:     global_buffer
      - .offset:         96
        .size:           4
        .value_kind:     by_value
      - .offset:         104
        .size:           4
        .value_kind:     hidden_block_count_x
      - .offset:         108
        .size:           4
        .value_kind:     hidden_block_count_y
      - .offset:         112
        .size:           4
        .value_kind:     hidden_block_count_z
      - .offset:         116
        .size:           2
        .value_kind:     hidden_group_size_x
      - .offset:         118
        .size:           2
        .value_kind:     hidden_group_size_y
      - .offset:         120
        .size:           2
        .value_kind:     hidden_group_size_z
      - .offset:         122
        .size:           2
        .value_kind:     hidden_remainder_x
      - .offset:         124
        .size:           2
        .value_kind:     hidden_remainder_y
      - .offset:         126
        .size:           2
        .value_kind:     hidden_remainder_z
      - .offset:         144
        .size:           8
        .value_kind:     hidden_global_offset_x
      - .offset:         152
        .size:           8
        .value_kind:     hidden_global_offset_y
      - .offset:         160
        .size:           8
        .value_kind:     hidden_global_offset_z
      - .offset:         168
        .size:           2
        .value_kind:     hidden_grid_dims
    .group_segment_fixed_size: 128
    .kernarg_segment_align: 8
    .kernarg_segment_size: 360
    .language:       OpenCL C
    .language_version:
      - 2
      - 0
    .max_flat_workgroup_size: 256
    .name:           _ZL23rocblas_gemvt_sn_kernelILb1ELi256ELi4EifPKffEviiT4_lPKT3_lilS5_lilPT5_i
    .private_segment_fixed_size: 0
    .sgpr_count:     52
    .sgpr_spill_count: 0
    .symbol:         _ZL23rocblas_gemvt_sn_kernelILb1ELi256ELi4EifPKffEviiT4_lPKT3_lilS5_lilPT5_i.kd
    .uniform_work_group_size: 1
    .uses_dynamic_stack: false
    .vgpr_count:     55
    .vgpr_spill_count: 0
    .wavefront_size: 32
    .workgroup_processor_mode: 1
  - .args:
      - .offset:         0
        .size:           4
        .value_kind:     by_value
      - .offset:         4
        .size:           4
        .value_kind:     by_value
      - .address_space:  global
        .offset:         8
        .size:           8
        .value_kind:     global_buffer
      - .offset:         16
        .size:           8
        .value_kind:     by_value
      - .address_space:  global
        .offset:         24
        .size:           8
        .value_kind:     global_buffer
      - .offset:         32
        .size:           8
        .value_kind:     by_value
      - .offset:         40
        .size:           4
        .value_kind:     by_value
      - .offset:         48
        .size:           8
        .value_kind:     by_value
      - .address_space:  global
        .offset:         56
        .size:           8
        .value_kind:     global_buffer
      - .offset:         64
        .size:           8
        .value_kind:     by_value
      - .offset:         72
        .size:           4
        .value_kind:     by_value
      - .offset:         80
        .size:           8
        .value_kind:     by_value
      - .address_space:  global
        .offset:         88
        .size:           8
        .value_kind:     global_buffer
      - .offset:         96
        .size:           4
        .value_kind:     by_value
      - .offset:         104
        .size:           4
        .value_kind:     hidden_block_count_x
      - .offset:         108
        .size:           4
        .value_kind:     hidden_block_count_y
      - .offset:         112
        .size:           4
        .value_kind:     hidden_block_count_z
      - .offset:         116
        .size:           2
        .value_kind:     hidden_group_size_x
      - .offset:         118
        .size:           2
        .value_kind:     hidden_group_size_y
      - .offset:         120
        .size:           2
        .value_kind:     hidden_group_size_z
      - .offset:         122
        .size:           2
        .value_kind:     hidden_remainder_x
      - .offset:         124
        .size:           2
        .value_kind:     hidden_remainder_y
      - .offset:         126
        .size:           2
        .value_kind:     hidden_remainder_z
      - .offset:         144
        .size:           8
        .value_kind:     hidden_global_offset_x
      - .offset:         152
        .size:           8
        .value_kind:     hidden_global_offset_y
      - .offset:         160
        .size:           8
        .value_kind:     hidden_global_offset_z
      - .offset:         168
        .size:           2
        .value_kind:     hidden_grid_dims
    .group_segment_fixed_size: 128
    .kernarg_segment_align: 8
    .kernarg_segment_size: 360
    .language:       OpenCL C
    .language_version:
      - 2
      - 0
    .max_flat_workgroup_size: 256
    .name:           _ZL23rocblas_gemvt_sn_kernelILb1ELi256ELi4ElfPKffEviiT4_lPKT3_lilS5_lilPT5_i
    .private_segment_fixed_size: 0
    .sgpr_count:     58
    .sgpr_spill_count: 0
    .symbol:         _ZL23rocblas_gemvt_sn_kernelILb1ELi256ELi4ElfPKffEviiT4_lPKT3_lilS5_lilPT5_i.kd
    .uniform_work_group_size: 1
    .uses_dynamic_stack: false
    .vgpr_count:     59
    .vgpr_spill_count: 0
    .wavefront_size: 32
    .workgroup_processor_mode: 1
  - .args:
      - .offset:         0
        .size:           4
        .value_kind:     by_value
      - .offset:         4
        .size:           4
        .value_kind:     by_value
      - .offset:         8
        .size:           4
        .value_kind:     by_value
      - .offset:         16
        .size:           8
        .value_kind:     by_value
      - .address_space:  global
        .offset:         24
        .size:           8
        .value_kind:     global_buffer
      - .offset:         32
        .size:           8
        .value_kind:     by_value
      - .offset:         40
        .size:           4
        .value_kind:     by_value
      - .offset:         48
        .size:           8
        .value_kind:     by_value
      - .address_space:  global
        .offset:         56
        .size:           8
        .value_kind:     global_buffer
      - .offset:         64
        .size:           8
        .value_kind:     by_value
      - .offset:         72
        .size:           4
        .value_kind:     by_value
      - .offset:         80
        .size:           8
        .value_kind:     by_value
      - .address_space:  global
        .offset:         88
        .size:           8
        .value_kind:     global_buffer
      - .offset:         96
        .size:           4
        .value_kind:     by_value
      - .offset:         104
        .size:           4
        .value_kind:     hidden_block_count_x
      - .offset:         108
        .size:           4
        .value_kind:     hidden_block_count_y
      - .offset:         112
        .size:           4
        .value_kind:     hidden_block_count_z
      - .offset:         116
        .size:           2
        .value_kind:     hidden_group_size_x
      - .offset:         118
        .size:           2
        .value_kind:     hidden_group_size_y
      - .offset:         120
        .size:           2
        .value_kind:     hidden_group_size_z
      - .offset:         122
        .size:           2
        .value_kind:     hidden_remainder_x
      - .offset:         124
        .size:           2
        .value_kind:     hidden_remainder_y
      - .offset:         126
        .size:           2
        .value_kind:     hidden_remainder_z
      - .offset:         144
        .size:           8
        .value_kind:     hidden_global_offset_x
      - .offset:         152
        .size:           8
        .value_kind:     hidden_global_offset_y
      - .offset:         160
        .size:           8
        .value_kind:     hidden_global_offset_z
      - .offset:         168
        .size:           2
        .value_kind:     hidden_grid_dims
    .group_segment_fixed_size: 128
    .kernarg_segment_align: 8
    .kernarg_segment_size: 360
    .language:       OpenCL C
    .language_version:
      - 2
      - 0
    .max_flat_workgroup_size: 256
    .name:           _ZL23rocblas_gemvt_sn_kernelILb1ELi256ELi4EifffEviiT4_lPKT3_lilS3_lilPT5_i
    .private_segment_fixed_size: 0
    .sgpr_count:     52
    .sgpr_spill_count: 0
    .symbol:         _ZL23rocblas_gemvt_sn_kernelILb1ELi256ELi4EifffEviiT4_lPKT3_lilS3_lilPT5_i.kd
    .uniform_work_group_size: 1
    .uses_dynamic_stack: false
    .vgpr_count:     55
    .vgpr_spill_count: 0
    .wavefront_size: 32
    .workgroup_processor_mode: 1
  - .args:
      - .offset:         0
        .size:           4
        .value_kind:     by_value
      - .offset:         4
        .size:           4
        .value_kind:     by_value
      - .offset:         8
        .size:           4
        .value_kind:     by_value
      - .offset:         16
        .size:           8
        .value_kind:     by_value
      - .address_space:  global
        .offset:         24
        .size:           8
        .value_kind:     global_buffer
      - .offset:         32
        .size:           8
        .value_kind:     by_value
      - .offset:         40
        .size:           4
        .value_kind:     by_value
      - .offset:         48
        .size:           8
        .value_kind:     by_value
      - .address_space:  global
        .offset:         56
        .size:           8
        .value_kind:     global_buffer
      - .offset:         64
        .size:           8
        .value_kind:     by_value
      - .offset:         72
        .size:           4
        .value_kind:     by_value
      - .offset:         80
        .size:           8
        .value_kind:     by_value
      - .address_space:  global
        .offset:         88
        .size:           8
        .value_kind:     global_buffer
      - .offset:         96
        .size:           4
        .value_kind:     by_value
      - .offset:         104
        .size:           4
        .value_kind:     hidden_block_count_x
      - .offset:         108
        .size:           4
        .value_kind:     hidden_block_count_y
      - .offset:         112
        .size:           4
        .value_kind:     hidden_block_count_z
      - .offset:         116
        .size:           2
        .value_kind:     hidden_group_size_x
      - .offset:         118
        .size:           2
        .value_kind:     hidden_group_size_y
      - .offset:         120
        .size:           2
        .value_kind:     hidden_group_size_z
      - .offset:         122
        .size:           2
        .value_kind:     hidden_remainder_x
      - .offset:         124
        .size:           2
        .value_kind:     hidden_remainder_y
      - .offset:         126
        .size:           2
        .value_kind:     hidden_remainder_z
      - .offset:         144
        .size:           8
        .value_kind:     hidden_global_offset_x
      - .offset:         152
        .size:           8
        .value_kind:     hidden_global_offset_y
      - .offset:         160
        .size:           8
        .value_kind:     hidden_global_offset_z
      - .offset:         168
        .size:           2
        .value_kind:     hidden_grid_dims
    .group_segment_fixed_size: 128
    .kernarg_segment_align: 8
    .kernarg_segment_size: 360
    .language:       OpenCL C
    .language_version:
      - 2
      - 0
    .max_flat_workgroup_size: 256
    .name:           _ZL23rocblas_gemvt_sn_kernelILb1ELi256ELi4ElfffEviiT4_lPKT3_lilS3_lilPT5_i
    .private_segment_fixed_size: 0
    .sgpr_count:     58
    .sgpr_spill_count: 0
    .symbol:         _ZL23rocblas_gemvt_sn_kernelILb1ELi256ELi4ElfffEviiT4_lPKT3_lilS3_lilPT5_i.kd
    .uniform_work_group_size: 1
    .uses_dynamic_stack: false
    .vgpr_count:     59
    .vgpr_spill_count: 0
    .wavefront_size: 32
    .workgroup_processor_mode: 1
  - .args:
      - .offset:         0
        .size:           4
        .value_kind:     by_value
      - .offset:         4
        .size:           4
        .value_kind:     by_value
      - .address_space:  global
        .offset:         8
        .size:           8
        .value_kind:     global_buffer
      - .offset:         16
        .size:           8
        .value_kind:     by_value
      - .address_space:  global
        .offset:         24
        .size:           8
        .value_kind:     global_buffer
      - .offset:         32
        .size:           8
        .value_kind:     by_value
      - .offset:         40
        .size:           4
        .value_kind:     by_value
      - .offset:         48
        .size:           8
        .value_kind:     by_value
      - .address_space:  global
        .offset:         56
        .size:           8
        .value_kind:     global_buffer
      - .offset:         64
        .size:           8
        .value_kind:     by_value
      - .offset:         72
        .size:           4
        .value_kind:     by_value
      - .offset:         80
        .size:           8
        .value_kind:     by_value
      - .address_space:  global
        .offset:         88
        .size:           8
        .value_kind:     global_buffer
      - .offset:         96
        .size:           8
        .value_kind:     by_value
      - .offset:         104
        .size:           4
        .value_kind:     by_value
      - .offset:         112
        .size:           8
        .value_kind:     by_value
      - .offset:         120
        .size:           4
        .value_kind:     by_value
      - .offset:         128
        .size:           4
        .value_kind:     hidden_block_count_x
      - .offset:         132
        .size:           4
        .value_kind:     hidden_block_count_y
      - .offset:         136
        .size:           4
        .value_kind:     hidden_block_count_z
      - .offset:         140
        .size:           2
        .value_kind:     hidden_group_size_x
      - .offset:         142
        .size:           2
        .value_kind:     hidden_group_size_y
      - .offset:         144
        .size:           2
        .value_kind:     hidden_group_size_z
      - .offset:         146
        .size:           2
        .value_kind:     hidden_remainder_x
      - .offset:         148
        .size:           2
        .value_kind:     hidden_remainder_y
      - .offset:         150
        .size:           2
        .value_kind:     hidden_remainder_z
      - .offset:         168
        .size:           8
        .value_kind:     hidden_global_offset_x
      - .offset:         176
        .size:           8
        .value_kind:     hidden_global_offset_y
      - .offset:         184
        .size:           8
        .value_kind:     hidden_global_offset_z
      - .offset:         192
        .size:           2
        .value_kind:     hidden_grid_dims
    .group_segment_fixed_size: 32768
    .kernarg_segment_align: 8
    .kernarg_segment_size: 384
    .language:       OpenCL C
    .language_version:
      - 2
      - 0
    .max_flat_workgroup_size: 1024
    .name:           _ZL36rocblas_gemvt_double_buffered_kernelILb1ELi128ELi8ELi8EfPKffEviiT4_lPKT3_lilS5_lilPT5_lili
    .private_segment_fixed_size: 0
    .sgpr_count:     36
    .sgpr_spill_count: 0
    .symbol:         _ZL36rocblas_gemvt_double_buffered_kernelILb1ELi128ELi8ELi8EfPKffEviiT4_lPKT3_lilS5_lilPT5_lili.kd
    .uniform_work_group_size: 1
    .uses_dynamic_stack: false
    .vgpr_count:     62
    .vgpr_spill_count: 0
    .wavefront_size: 32
    .workgroup_processor_mode: 1
  - .args:
      - .offset:         0
        .size:           4
        .value_kind:     by_value
      - .offset:         4
        .size:           4
        .value_kind:     by_value
      - .offset:         8
        .size:           4
        .value_kind:     by_value
      - .offset:         16
        .size:           8
        .value_kind:     by_value
      - .address_space:  global
        .offset:         24
        .size:           8
        .value_kind:     global_buffer
      - .offset:         32
        .size:           8
        .value_kind:     by_value
      - .offset:         40
        .size:           4
        .value_kind:     by_value
      - .offset:         48
        .size:           8
        .value_kind:     by_value
      - .address_space:  global
        .offset:         56
        .size:           8
        .value_kind:     global_buffer
      - .offset:         64
        .size:           8
        .value_kind:     by_value
      - .offset:         72
        .size:           4
        .value_kind:     by_value
      - .offset:         80
        .size:           8
        .value_kind:     by_value
      - .address_space:  global
        .offset:         88
        .size:           8
        .value_kind:     global_buffer
      - .offset:         96
        .size:           8
        .value_kind:     by_value
      - .offset:         104
        .size:           4
        .value_kind:     by_value
      - .offset:         112
        .size:           8
        .value_kind:     by_value
      - .offset:         120
        .size:           4
        .value_kind:     by_value
      - .offset:         128
        .size:           4
        .value_kind:     hidden_block_count_x
      - .offset:         132
        .size:           4
        .value_kind:     hidden_block_count_y
      - .offset:         136
        .size:           4
        .value_kind:     hidden_block_count_z
      - .offset:         140
        .size:           2
        .value_kind:     hidden_group_size_x
      - .offset:         142
        .size:           2
        .value_kind:     hidden_group_size_y
      - .offset:         144
        .size:           2
        .value_kind:     hidden_group_size_z
      - .offset:         146
        .size:           2
        .value_kind:     hidden_remainder_x
      - .offset:         148
        .size:           2
        .value_kind:     hidden_remainder_y
      - .offset:         150
        .size:           2
        .value_kind:     hidden_remainder_z
      - .offset:         168
        .size:           8
        .value_kind:     hidden_global_offset_x
      - .offset:         176
        .size:           8
        .value_kind:     hidden_global_offset_y
      - .offset:         184
        .size:           8
        .value_kind:     hidden_global_offset_z
      - .offset:         192
        .size:           2
        .value_kind:     hidden_grid_dims
    .group_segment_fixed_size: 32768
    .kernarg_segment_align: 8
    .kernarg_segment_size: 384
    .language:       OpenCL C
    .language_version:
      - 2
      - 0
    .max_flat_workgroup_size: 1024
    .name:           _ZL36rocblas_gemvt_double_buffered_kernelILb1ELi128ELi8ELi8EfffEviiT4_lPKT3_lilS3_lilPT5_lili
    .private_segment_fixed_size: 0
    .sgpr_count:     38
    .sgpr_spill_count: 0
    .symbol:         _ZL36rocblas_gemvt_double_buffered_kernelILb1ELi128ELi8ELi8EfffEviiT4_lPKT3_lilS3_lilPT5_lili.kd
    .uniform_work_group_size: 1
    .uses_dynamic_stack: false
    .vgpr_count:     62
    .vgpr_spill_count: 0
    .wavefront_size: 32
    .workgroup_processor_mode: 1
  - .args:
      - .offset:         0
        .size:           4
        .value_kind:     by_value
      - .offset:         4
        .size:           4
        .value_kind:     by_value
      - .address_space:  global
        .offset:         8
        .size:           8
        .value_kind:     global_buffer
      - .offset:         16
        .size:           8
        .value_kind:     by_value
      - .address_space:  global
        .offset:         24
        .size:           8
        .value_kind:     global_buffer
      - .offset:         32
        .size:           8
        .value_kind:     by_value
      - .offset:         40
        .size:           4
        .value_kind:     by_value
      - .offset:         48
        .size:           8
        .value_kind:     by_value
      - .address_space:  global
        .offset:         56
        .size:           8
        .value_kind:     global_buffer
      - .offset:         64
        .size:           8
        .value_kind:     by_value
      - .offset:         72
        .size:           4
        .value_kind:     by_value
      - .offset:         80
        .size:           8
        .value_kind:     by_value
      - .address_space:  global
        .offset:         88
        .size:           8
        .value_kind:     global_buffer
      - .offset:         96
        .size:           8
        .value_kind:     by_value
      - .address_space:  global
        .offset:         104
        .size:           8
        .value_kind:     global_buffer
      - .offset:         112
        .size:           8
        .value_kind:     by_value
      - .offset:         120
        .size:           4
        .value_kind:     by_value
      - .offset:         128
        .size:           8
        .value_kind:     by_value
      - .offset:         136
        .size:           4
        .value_kind:     by_value
    .group_segment_fixed_size: 1024
    .kernarg_segment_align: 8
    .kernarg_segment_size: 140
    .language:       OpenCL C
    .language_version:
      - 2
      - 0
    .max_flat_workgroup_size: 256
    .name:           _ZL20rocblas_gemvt_kernelILb1ELi256EfPKffEviiT2_lPKT1_lilS5_lilS2_lPT3_lili
    .private_segment_fixed_size: 0
    .sgpr_count:     28
    .sgpr_spill_count: 0
    .symbol:         _ZL20rocblas_gemvt_kernelILb1ELi256EfPKffEviiT2_lPKT1_lilS5_lilS2_lPT3_lili.kd
    .uniform_work_group_size: 1
    .uses_dynamic_stack: false
    .vgpr_count:     10
    .vgpr_spill_count: 0
    .wavefront_size: 32
    .workgroup_processor_mode: 1
  - .args:
      - .offset:         0
        .size:           4
        .value_kind:     by_value
      - .offset:         4
        .size:           4
        .value_kind:     by_value
      - .offset:         8
        .size:           4
        .value_kind:     by_value
      - .offset:         16
        .size:           8
        .value_kind:     by_value
      - .address_space:  global
        .offset:         24
        .size:           8
        .value_kind:     global_buffer
      - .offset:         32
        .size:           8
        .value_kind:     by_value
      - .offset:         40
        .size:           4
        .value_kind:     by_value
      - .offset:         48
        .size:           8
        .value_kind:     by_value
      - .address_space:  global
        .offset:         56
        .size:           8
        .value_kind:     global_buffer
      - .offset:         64
        .size:           8
        .value_kind:     by_value
      - .offset:         72
        .size:           4
        .value_kind:     by_value
      - .offset:         80
        .size:           8
        .value_kind:     by_value
      - .offset:         88
        .size:           4
        .value_kind:     by_value
      - .offset:         96
        .size:           8
        .value_kind:     by_value
      - .address_space:  global
        .offset:         104
        .size:           8
        .value_kind:     global_buffer
      - .offset:         112
        .size:           8
        .value_kind:     by_value
      - .offset:         120
        .size:           4
        .value_kind:     by_value
      - .offset:         128
        .size:           8
        .value_kind:     by_value
      - .offset:         136
        .size:           4
        .value_kind:     by_value
    .group_segment_fixed_size: 1024
    .kernarg_segment_align: 8
    .kernarg_segment_size: 140
    .language:       OpenCL C
    .language_version:
      - 2
      - 0
    .max_flat_workgroup_size: 256
    .name:           _ZL20rocblas_gemvt_kernelILb1ELi256EfffEviiT2_lPKT1_lilS3_lilS0_lPT3_lili
    .private_segment_fixed_size: 0
    .sgpr_count:     30
    .sgpr_spill_count: 0
    .symbol:         _ZL20rocblas_gemvt_kernelILb1ELi256EfffEviiT2_lPKT1_lilS3_lilS0_lPT3_lili.kd
    .uniform_work_group_size: 1
    .uses_dynamic_stack: false
    .vgpr_count:     10
    .vgpr_spill_count: 0
    .wavefront_size: 32
    .workgroup_processor_mode: 1
  - .args:
      - .offset:         0
        .size:           4
        .value_kind:     by_value
      - .offset:         4
        .size:           4
        .value_kind:     by_value
      - .address_space:  global
        .offset:         8
        .size:           8
        .value_kind:     global_buffer
      - .offset:         16
        .size:           8
        .value_kind:     by_value
      - .address_space:  global
        .offset:         24
        .size:           8
        .value_kind:     global_buffer
      - .offset:         32
        .size:           8
        .value_kind:     by_value
      - .offset:         40
        .size:           4
        .value_kind:     by_value
      - .offset:         48
        .size:           8
        .value_kind:     by_value
      - .address_space:  global
        .offset:         56
        .size:           8
        .value_kind:     global_buffer
      - .offset:         64
        .size:           8
        .value_kind:     by_value
      - .offset:         72
        .size:           4
        .value_kind:     by_value
      - .offset:         80
        .size:           8
        .value_kind:     by_value
      - .address_space:  global
        .offset:         88
        .size:           8
        .value_kind:     global_buffer
      - .offset:         96
        .size:           8
        .value_kind:     by_value
      - .address_space:  global
        .offset:         104
        .size:           8
        .value_kind:     global_buffer
      - .offset:         112
        .size:           8
        .value_kind:     by_value
      - .offset:         120
        .size:           4
        .value_kind:     by_value
      - .offset:         128
        .size:           8
        .value_kind:     by_value
      - .offset:         136
        .size:           4
        .value_kind:     by_value
    .group_segment_fixed_size: 128
    .kernarg_segment_align: 8
    .kernarg_segment_size: 140
    .language:       OpenCL C
    .language_version:
      - 2
      - 0
    .max_flat_workgroup_size: 1024
    .name:           _ZL32rocblas_gemvt_warp_reduce_kernelILb1ELi1024EifPKffEviiT3_lPKT2_lT1_lS5_lS6_lS2_lPT4_lS6_li
    .private_segment_fixed_size: 0
    .sgpr_count:     28
    .sgpr_spill_count: 0
    .symbol:         _ZL32rocblas_gemvt_warp_reduce_kernelILb1ELi1024EifPKffEviiT3_lPKT2_lT1_lS5_lS6_lS2_lPT4_lS6_li.kd
    .uniform_work_group_size: 1
    .uses_dynamic_stack: false
    .vgpr_count:     11
    .vgpr_spill_count: 0
    .wavefront_size: 32
    .workgroup_processor_mode: 1
  - .args:
      - .offset:         0
        .size:           4
        .value_kind:     by_value
      - .offset:         4
        .size:           4
        .value_kind:     by_value
      - .address_space:  global
        .offset:         8
        .size:           8
        .value_kind:     global_buffer
      - .offset:         16
        .size:           8
        .value_kind:     by_value
      - .address_space:  global
        .offset:         24
        .size:           8
        .value_kind:     global_buffer
      - .offset:         32
        .size:           8
        .value_kind:     by_value
      - .offset:         40
        .size:           8
        .value_kind:     by_value
      - .offset:         48
        .size:           8
        .value_kind:     by_value
      - .address_space:  global
        .offset:         56
        .size:           8
        .value_kind:     global_buffer
      - .offset:         64
        .size:           8
        .value_kind:     by_value
      - .offset:         72
        .size:           8
        .value_kind:     by_value
      - .offset:         80
        .size:           8
        .value_kind:     by_value
      - .address_space:  global
        .offset:         88
        .size:           8
        .value_kind:     global_buffer
      - .offset:         96
        .size:           8
        .value_kind:     by_value
      - .address_space:  global
        .offset:         104
        .size:           8
        .value_kind:     global_buffer
      - .offset:         112
        .size:           8
        .value_kind:     by_value
      - .offset:         120
        .size:           8
        .value_kind:     by_value
      - .offset:         128
        .size:           8
        .value_kind:     by_value
      - .offset:         136
        .size:           4
        .value_kind:     by_value
    .group_segment_fixed_size: 128
    .kernarg_segment_align: 8
    .kernarg_segment_size: 140
    .language:       OpenCL C
    .language_version:
      - 2
      - 0
    .max_flat_workgroup_size: 1024
    .name:           _ZL32rocblas_gemvt_warp_reduce_kernelILb1ELi1024ElfPKffEviiT3_lPKT2_lT1_lS5_lS6_lS2_lPT4_lS6_li
    .private_segment_fixed_size: 0
    .sgpr_count:     54
    .sgpr_spill_count: 0
    .symbol:         _ZL32rocblas_gemvt_warp_reduce_kernelILb1ELi1024ElfPKffEviiT3_lPKT2_lT1_lS5_lS6_lS2_lPT4_lS6_li.kd
    .uniform_work_group_size: 1
    .uses_dynamic_stack: false
    .vgpr_count:     11
    .vgpr_spill_count: 0
    .wavefront_size: 32
    .workgroup_processor_mode: 1
  - .args:
      - .offset:         0
        .size:           4
        .value_kind:     by_value
      - .offset:         4
        .size:           4
        .value_kind:     by_value
      - .offset:         8
        .size:           4
        .value_kind:     by_value
      - .offset:         16
        .size:           8
        .value_kind:     by_value
      - .address_space:  global
        .offset:         24
        .size:           8
        .value_kind:     global_buffer
      - .offset:         32
        .size:           8
        .value_kind:     by_value
      - .offset:         40
        .size:           4
        .value_kind:     by_value
      - .offset:         48
        .size:           8
        .value_kind:     by_value
      - .address_space:  global
        .offset:         56
        .size:           8
        .value_kind:     global_buffer
      - .offset:         64
        .size:           8
        .value_kind:     by_value
      - .offset:         72
        .size:           4
        .value_kind:     by_value
      - .offset:         80
        .size:           8
        .value_kind:     by_value
      - .offset:         88
        .size:           4
        .value_kind:     by_value
      - .offset:         96
        .size:           8
        .value_kind:     by_value
      - .address_space:  global
        .offset:         104
        .size:           8
        .value_kind:     global_buffer
      - .offset:         112
        .size:           8
        .value_kind:     by_value
      - .offset:         120
        .size:           4
        .value_kind:     by_value
      - .offset:         128
        .size:           8
        .value_kind:     by_value
      - .offset:         136
        .size:           4
        .value_kind:     by_value
    .group_segment_fixed_size: 128
    .kernarg_segment_align: 8
    .kernarg_segment_size: 140
    .language:       OpenCL C
    .language_version:
      - 2
      - 0
    .max_flat_workgroup_size: 1024
    .name:           _ZL32rocblas_gemvt_warp_reduce_kernelILb1ELi1024EifffEviiT3_lPKT2_lT1_lS3_lS4_lS0_lPT4_lS4_li
    .private_segment_fixed_size: 0
    .sgpr_count:     27
    .sgpr_spill_count: 0
    .symbol:         _ZL32rocblas_gemvt_warp_reduce_kernelILb1ELi1024EifffEviiT3_lPKT2_lT1_lS3_lS4_lS0_lPT4_lS4_li.kd
    .uniform_work_group_size: 1
    .uses_dynamic_stack: false
    .vgpr_count:     11
    .vgpr_spill_count: 0
    .wavefront_size: 32
    .workgroup_processor_mode: 1
  - .args:
      - .offset:         0
        .size:           4
        .value_kind:     by_value
      - .offset:         4
        .size:           4
        .value_kind:     by_value
      - .offset:         8
        .size:           4
        .value_kind:     by_value
      - .offset:         16
        .size:           8
        .value_kind:     by_value
      - .address_space:  global
        .offset:         24
        .size:           8
        .value_kind:     global_buffer
      - .offset:         32
        .size:           8
        .value_kind:     by_value
      - .offset:         40
        .size:           8
        .value_kind:     by_value
      - .offset:         48
        .size:           8
        .value_kind:     by_value
      - .address_space:  global
        .offset:         56
        .size:           8
        .value_kind:     global_buffer
      - .offset:         64
        .size:           8
        .value_kind:     by_value
      - .offset:         72
        .size:           8
        .value_kind:     by_value
      - .offset:         80
        .size:           8
        .value_kind:     by_value
      - .offset:         88
        .size:           4
        .value_kind:     by_value
      - .offset:         96
        .size:           8
        .value_kind:     by_value
      - .address_space:  global
        .offset:         104
        .size:           8
        .value_kind:     global_buffer
      - .offset:         112
        .size:           8
        .value_kind:     by_value
      - .offset:         120
        .size:           8
        .value_kind:     by_value
      - .offset:         128
        .size:           8
        .value_kind:     by_value
      - .offset:         136
        .size:           4
        .value_kind:     by_value
    .group_segment_fixed_size: 128
    .kernarg_segment_align: 8
    .kernarg_segment_size: 140
    .language:       OpenCL C
    .language_version:
      - 2
      - 0
    .max_flat_workgroup_size: 1024
    .name:           _ZL32rocblas_gemvt_warp_reduce_kernelILb1ELi1024ElfffEviiT3_lPKT2_lT1_lS3_lS4_lS0_lPT4_lS4_li
    .private_segment_fixed_size: 0
    .sgpr_count:     38
    .sgpr_spill_count: 0
    .symbol:         _ZL32rocblas_gemvt_warp_reduce_kernelILb1ELi1024ElfffEviiT3_lPKT2_lT1_lS3_lS4_lS0_lPT4_lS4_li.kd
    .uniform_work_group_size: 1
    .uses_dynamic_stack: false
    .vgpr_count:     11
    .vgpr_spill_count: 0
    .wavefront_size: 32
    .workgroup_processor_mode: 1
  - .args:
      - .offset:         0
        .size:           4
        .value_kind:     by_value
      - .offset:         4
        .size:           4
        .value_kind:     by_value
      - .address_space:  global
        .offset:         8
        .size:           8
        .value_kind:     global_buffer
      - .offset:         16
        .size:           8
        .value_kind:     by_value
      - .address_space:  global
        .offset:         24
        .size:           8
        .value_kind:     global_buffer
      - .offset:         32
        .size:           8
        .value_kind:     by_value
      - .offset:         40
        .size:           4
        .value_kind:     by_value
      - .offset:         48
        .size:           8
        .value_kind:     by_value
      - .address_space:  global
        .offset:         56
        .size:           8
        .value_kind:     global_buffer
      - .offset:         64
        .size:           8
        .value_kind:     by_value
      - .offset:         72
        .size:           4
        .value_kind:     by_value
      - .offset:         80
        .size:           8
        .value_kind:     by_value
      - .address_space:  global
        .offset:         88
        .size:           8
        .value_kind:     global_buffer
      - .offset:         96
        .size:           8
        .value_kind:     by_value
      - .address_space:  global
        .offset:         104
        .size:           8
        .value_kind:     global_buffer
      - .offset:         112
        .size:           8
        .value_kind:     by_value
      - .offset:         120
        .size:           4
        .value_kind:     by_value
      - .offset:         128
        .size:           8
        .value_kind:     by_value
      - .offset:         136
        .size:           4
        .value_kind:     by_value
    .group_segment_fixed_size: 0
    .kernarg_segment_align: 8
    .kernarg_segment_size: 140
    .language:       OpenCL C
    .language_version:
      - 2
      - 0
    .max_flat_workgroup_size: 768
    .name:           _ZL34rocblas_gemvn_sm_mn_batched_kernelILi32ELi24EdPKddEviiT2_lPKT1_lilS5_lilS2_lPT3_lili
    .private_segment_fixed_size: 0
    .sgpr_count:     0
    .sgpr_spill_count: 0
    .symbol:         _ZL34rocblas_gemvn_sm_mn_batched_kernelILi32ELi24EdPKddEviiT2_lPKT1_lilS5_lilS2_lPT3_lili.kd
    .uniform_work_group_size: 1
    .uses_dynamic_stack: false
    .vgpr_count:     0
    .vgpr_spill_count: 0
    .wavefront_size: 32
    .workgroup_processor_mode: 1
  - .args:
      - .offset:         0
        .size:           4
        .value_kind:     by_value
      - .offset:         4
        .size:           4
        .value_kind:     by_value
      - .offset:         8
        .size:           8
        .value_kind:     by_value
      - .offset:         16
        .size:           8
        .value_kind:     by_value
      - .address_space:  global
        .offset:         24
        .size:           8
        .value_kind:     global_buffer
      - .offset:         32
        .size:           8
        .value_kind:     by_value
      - .offset:         40
        .size:           4
        .value_kind:     by_value
      - .offset:         48
        .size:           8
        .value_kind:     by_value
      - .address_space:  global
        .offset:         56
        .size:           8
        .value_kind:     global_buffer
      - .offset:         64
        .size:           8
        .value_kind:     by_value
      - .offset:         72
        .size:           4
        .value_kind:     by_value
      - .offset:         80
        .size:           8
        .value_kind:     by_value
      - .offset:         88
        .size:           8
        .value_kind:     by_value
      - .offset:         96
        .size:           8
        .value_kind:     by_value
      - .address_space:  global
        .offset:         104
        .size:           8
        .value_kind:     global_buffer
      - .offset:         112
        .size:           8
        .value_kind:     by_value
      - .offset:         120
        .size:           4
        .value_kind:     by_value
      - .offset:         128
        .size:           8
        .value_kind:     by_value
      - .offset:         136
        .size:           4
        .value_kind:     by_value
    .group_segment_fixed_size: 0
    .kernarg_segment_align: 8
    .kernarg_segment_size: 140
    .language:       OpenCL C
    .language_version:
      - 2
      - 0
    .max_flat_workgroup_size: 768
    .name:           _ZL34rocblas_gemvn_sm_mn_batched_kernelILi32ELi24EdddEviiT2_lPKT1_lilS3_lilS0_lPT3_lili
    .private_segment_fixed_size: 0
    .sgpr_count:     0
    .sgpr_spill_count: 0
    .symbol:         _ZL34rocblas_gemvn_sm_mn_batched_kernelILi32ELi24EdddEviiT2_lPKT1_lilS3_lilS0_lPT3_lili.kd
    .uniform_work_group_size: 1
    .uses_dynamic_stack: false
    .vgpr_count:     0
    .vgpr_spill_count: 0
    .wavefront_size: 32
    .workgroup_processor_mode: 1
  - .args:
      - .offset:         0
        .size:           4
        .value_kind:     by_value
      - .offset:         4
        .size:           4
        .value_kind:     by_value
      - .address_space:  global
        .offset:         8
        .size:           8
        .value_kind:     global_buffer
      - .offset:         16
        .size:           8
        .value_kind:     by_value
      - .address_space:  global
        .offset:         24
        .size:           8
        .value_kind:     global_buffer
      - .offset:         32
        .size:           8
        .value_kind:     by_value
      - .offset:         40
        .size:           4
        .value_kind:     by_value
      - .offset:         48
        .size:           8
        .value_kind:     by_value
      - .address_space:  global
        .offset:         56
        .size:           8
        .value_kind:     global_buffer
      - .offset:         64
        .size:           8
        .value_kind:     by_value
      - .offset:         72
        .size:           4
        .value_kind:     by_value
      - .offset:         80
        .size:           8
        .value_kind:     by_value
      - .address_space:  global
        .offset:         88
        .size:           8
        .value_kind:     global_buffer
      - .offset:         96
        .size:           8
        .value_kind:     by_value
      - .address_space:  global
        .offset:         104
        .size:           8
        .value_kind:     global_buffer
      - .offset:         112
        .size:           8
        .value_kind:     by_value
      - .offset:         120
        .size:           4
        .value_kind:     by_value
      - .offset:         128
        .size:           8
        .value_kind:     by_value
      - .offset:         136
        .size:           4
        .value_kind:     by_value
      - .offset:         144
        .size:           4
        .value_kind:     hidden_block_count_x
      - .offset:         148
        .size:           4
        .value_kind:     hidden_block_count_y
      - .offset:         152
        .size:           4
        .value_kind:     hidden_block_count_z
      - .offset:         156
        .size:           2
        .value_kind:     hidden_group_size_x
      - .offset:         158
        .size:           2
        .value_kind:     hidden_group_size_y
      - .offset:         160
        .size:           2
        .value_kind:     hidden_group_size_z
      - .offset:         162
        .size:           2
        .value_kind:     hidden_remainder_x
      - .offset:         164
        .size:           2
        .value_kind:     hidden_remainder_y
      - .offset:         166
        .size:           2
        .value_kind:     hidden_remainder_z
      - .offset:         184
        .size:           8
        .value_kind:     hidden_global_offset_x
      - .offset:         192
        .size:           8
        .value_kind:     hidden_global_offset_y
      - .offset:         200
        .size:           8
        .value_kind:     hidden_global_offset_z
      - .offset:         208
        .size:           2
        .value_kind:     hidden_grid_dims
    .group_segment_fixed_size: 8192
    .kernarg_segment_align: 8
    .kernarg_segment_size: 400
    .language:       OpenCL C
    .language_version:
      - 2
      - 0
    .max_flat_workgroup_size: 256
    .name:           _ZL20rocblas_gemvn_kernelILi64ELi4EidPKddEviiT3_lPKT2_lT1_lS5_lS6_lS2_lPT4_lS6_li
    .private_segment_fixed_size: 0
    .sgpr_count:     32
    .sgpr_spill_count: 0
    .symbol:         _ZL20rocblas_gemvn_kernelILi64ELi4EidPKddEviiT3_lPKT2_lT1_lS5_lS6_lS2_lPT4_lS6_li.kd
    .uniform_work_group_size: 1
    .uses_dynamic_stack: false
    .vgpr_count:     62
    .vgpr_spill_count: 0
    .wavefront_size: 32
    .workgroup_processor_mode: 1
  - .args:
      - .offset:         0
        .size:           4
        .value_kind:     by_value
      - .offset:         4
        .size:           4
        .value_kind:     by_value
      - .address_space:  global
        .offset:         8
        .size:           8
        .value_kind:     global_buffer
      - .offset:         16
        .size:           8
        .value_kind:     by_value
      - .address_space:  global
        .offset:         24
        .size:           8
        .value_kind:     global_buffer
      - .offset:         32
        .size:           8
        .value_kind:     by_value
      - .offset:         40
        .size:           8
        .value_kind:     by_value
      - .offset:         48
        .size:           8
        .value_kind:     by_value
      - .address_space:  global
        .offset:         56
        .size:           8
        .value_kind:     global_buffer
      - .offset:         64
        .size:           8
        .value_kind:     by_value
      - .offset:         72
        .size:           8
        .value_kind:     by_value
      - .offset:         80
        .size:           8
        .value_kind:     by_value
      - .address_space:  global
        .offset:         88
        .size:           8
        .value_kind:     global_buffer
      - .offset:         96
        .size:           8
        .value_kind:     by_value
      - .address_space:  global
        .offset:         104
        .size:           8
        .value_kind:     global_buffer
      - .offset:         112
        .size:           8
        .value_kind:     by_value
      - .offset:         120
        .size:           8
        .value_kind:     by_value
      - .offset:         128
        .size:           8
        .value_kind:     by_value
      - .offset:         136
        .size:           4
        .value_kind:     by_value
      - .offset:         144
        .size:           4
        .value_kind:     hidden_block_count_x
      - .offset:         148
        .size:           4
        .value_kind:     hidden_block_count_y
      - .offset:         152
        .size:           4
        .value_kind:     hidden_block_count_z
      - .offset:         156
        .size:           2
        .value_kind:     hidden_group_size_x
      - .offset:         158
        .size:           2
        .value_kind:     hidden_group_size_y
      - .offset:         160
        .size:           2
        .value_kind:     hidden_group_size_z
      - .offset:         162
        .size:           2
        .value_kind:     hidden_remainder_x
      - .offset:         164
        .size:           2
        .value_kind:     hidden_remainder_y
      - .offset:         166
        .size:           2
        .value_kind:     hidden_remainder_z
      - .offset:         184
        .size:           8
        .value_kind:     hidden_global_offset_x
      - .offset:         192
        .size:           8
        .value_kind:     hidden_global_offset_y
      - .offset:         200
        .size:           8
        .value_kind:     hidden_global_offset_z
      - .offset:         208
        .size:           2
        .value_kind:     hidden_grid_dims
    .group_segment_fixed_size: 8192
    .kernarg_segment_align: 8
    .kernarg_segment_size: 400
    .language:       OpenCL C
    .language_version:
      - 2
      - 0
    .max_flat_workgroup_size: 256
    .name:           _ZL20rocblas_gemvn_kernelILi64ELi4EldPKddEviiT3_lPKT2_lT1_lS5_lS6_lS2_lPT4_lS6_li
    .private_segment_fixed_size: 0
    .sgpr_count:     54
    .sgpr_spill_count: 0
    .symbol:         _ZL20rocblas_gemvn_kernelILi64ELi4EldPKddEviiT3_lPKT2_lT1_lS5_lS6_lS2_lPT4_lS6_li.kd
    .uniform_work_group_size: 1
    .uses_dynamic_stack: false
    .vgpr_count:     72
    .vgpr_spill_count: 0
    .wavefront_size: 32
    .workgroup_processor_mode: 1
  - .args:
      - .offset:         0
        .size:           4
        .value_kind:     by_value
      - .offset:         4
        .size:           4
        .value_kind:     by_value
      - .offset:         8
        .size:           8
        .value_kind:     by_value
      - .offset:         16
        .size:           8
        .value_kind:     by_value
      - .address_space:  global
        .offset:         24
        .size:           8
        .value_kind:     global_buffer
      - .offset:         32
        .size:           8
        .value_kind:     by_value
      - .offset:         40
        .size:           4
        .value_kind:     by_value
      - .offset:         48
        .size:           8
        .value_kind:     by_value
      - .address_space:  global
        .offset:         56
        .size:           8
        .value_kind:     global_buffer
      - .offset:         64
        .size:           8
        .value_kind:     by_value
      - .offset:         72
        .size:           4
        .value_kind:     by_value
      - .offset:         80
        .size:           8
        .value_kind:     by_value
      - .offset:         88
        .size:           8
        .value_kind:     by_value
      - .offset:         96
        .size:           8
        .value_kind:     by_value
      - .address_space:  global
        .offset:         104
        .size:           8
        .value_kind:     global_buffer
      - .offset:         112
        .size:           8
        .value_kind:     by_value
      - .offset:         120
        .size:           4
        .value_kind:     by_value
      - .offset:         128
        .size:           8
        .value_kind:     by_value
      - .offset:         136
        .size:           4
        .value_kind:     by_value
      - .offset:         144
        .size:           4
        .value_kind:     hidden_block_count_x
      - .offset:         148
        .size:           4
        .value_kind:     hidden_block_count_y
      - .offset:         152
        .size:           4
        .value_kind:     hidden_block_count_z
      - .offset:         156
        .size:           2
        .value_kind:     hidden_group_size_x
      - .offset:         158
        .size:           2
        .value_kind:     hidden_group_size_y
      - .offset:         160
        .size:           2
        .value_kind:     hidden_group_size_z
      - .offset:         162
        .size:           2
        .value_kind:     hidden_remainder_x
      - .offset:         164
        .size:           2
        .value_kind:     hidden_remainder_y
      - .offset:         166
        .size:           2
        .value_kind:     hidden_remainder_z
      - .offset:         184
        .size:           8
        .value_kind:     hidden_global_offset_x
      - .offset:         192
        .size:           8
        .value_kind:     hidden_global_offset_y
      - .offset:         200
        .size:           8
        .value_kind:     hidden_global_offset_z
      - .offset:         208
        .size:           2
        .value_kind:     hidden_grid_dims
    .group_segment_fixed_size: 8192
    .kernarg_segment_align: 8
    .kernarg_segment_size: 400
    .language:       OpenCL C
    .language_version:
      - 2
      - 0
    .max_flat_workgroup_size: 256
    .name:           _ZL20rocblas_gemvn_kernelILi64ELi4EidddEviiT3_lPKT2_lT1_lS3_lS4_lS0_lPT4_lS4_li
    .private_segment_fixed_size: 0
    .sgpr_count:     32
    .sgpr_spill_count: 0
    .symbol:         _ZL20rocblas_gemvn_kernelILi64ELi4EidddEviiT3_lPKT2_lT1_lS3_lS4_lS0_lPT4_lS4_li.kd
    .uniform_work_group_size: 1
    .uses_dynamic_stack: false
    .vgpr_count:     62
    .vgpr_spill_count: 0
    .wavefront_size: 32
    .workgroup_processor_mode: 1
  - .args:
      - .offset:         0
        .size:           4
        .value_kind:     by_value
      - .offset:         4
        .size:           4
        .value_kind:     by_value
      - .offset:         8
        .size:           8
        .value_kind:     by_value
      - .offset:         16
        .size:           8
        .value_kind:     by_value
      - .address_space:  global
        .offset:         24
        .size:           8
        .value_kind:     global_buffer
      - .offset:         32
        .size:           8
        .value_kind:     by_value
      - .offset:         40
        .size:           8
        .value_kind:     by_value
      - .offset:         48
        .size:           8
        .value_kind:     by_value
      - .address_space:  global
        .offset:         56
        .size:           8
        .value_kind:     global_buffer
      - .offset:         64
        .size:           8
        .value_kind:     by_value
      - .offset:         72
        .size:           8
        .value_kind:     by_value
      - .offset:         80
        .size:           8
        .value_kind:     by_value
      - .offset:         88
        .size:           8
        .value_kind:     by_value
      - .offset:         96
        .size:           8
        .value_kind:     by_value
      - .address_space:  global
        .offset:         104
        .size:           8
        .value_kind:     global_buffer
      - .offset:         112
        .size:           8
        .value_kind:     by_value
      - .offset:         120
        .size:           8
        .value_kind:     by_value
      - .offset:         128
        .size:           8
        .value_kind:     by_value
      - .offset:         136
        .size:           4
        .value_kind:     by_value
      - .offset:         144
        .size:           4
        .value_kind:     hidden_block_count_x
      - .offset:         148
        .size:           4
        .value_kind:     hidden_block_count_y
      - .offset:         152
        .size:           4
        .value_kind:     hidden_block_count_z
      - .offset:         156
        .size:           2
        .value_kind:     hidden_group_size_x
      - .offset:         158
        .size:           2
        .value_kind:     hidden_group_size_y
      - .offset:         160
        .size:           2
        .value_kind:     hidden_group_size_z
      - .offset:         162
        .size:           2
        .value_kind:     hidden_remainder_x
      - .offset:         164
        .size:           2
        .value_kind:     hidden_remainder_y
      - .offset:         166
        .size:           2
        .value_kind:     hidden_remainder_z
      - .offset:         184
        .size:           8
        .value_kind:     hidden_global_offset_x
      - .offset:         192
        .size:           8
        .value_kind:     hidden_global_offset_y
      - .offset:         200
        .size:           8
        .value_kind:     hidden_global_offset_z
      - .offset:         208
        .size:           2
        .value_kind:     hidden_grid_dims
    .group_segment_fixed_size: 8192
    .kernarg_segment_align: 8
    .kernarg_segment_size: 400
    .language:       OpenCL C
    .language_version:
      - 2
      - 0
    .max_flat_workgroup_size: 256
    .name:           _ZL20rocblas_gemvn_kernelILi64ELi4EldddEviiT3_lPKT2_lT1_lS3_lS4_lS0_lPT4_lS4_li
    .private_segment_fixed_size: 0
    .sgpr_count:     47
    .sgpr_spill_count: 0
    .symbol:         _ZL20rocblas_gemvn_kernelILi64ELi4EldddEviiT3_lPKT2_lT1_lS3_lS4_lS0_lPT4_lS4_li.kd
    .uniform_work_group_size: 1
    .uses_dynamic_stack: false
    .vgpr_count:     72
    .vgpr_spill_count: 0
    .wavefront_size: 32
    .workgroup_processor_mode: 1
  - .args:
      - .offset:         0
        .size:           4
        .value_kind:     by_value
      - .address_space:  global
        .offset:         8
        .size:           8
        .value_kind:     global_buffer
      - .offset:         16
        .size:           8
        .value_kind:     by_value
      - .address_space:  global
        .offset:         24
        .size:           8
        .value_kind:     global_buffer
      - .offset:         32
        .size:           8
        .value_kind:     by_value
      - .offset:         40
        .size:           4
        .value_kind:     by_value
      - .offset:         48
        .size:           8
        .value_kind:     by_value
      - .offset:         56
        .size:           4
        .value_kind:     by_value
      - .offset:         64
        .size:           4
        .value_kind:     hidden_block_count_x
      - .offset:         68
        .size:           4
        .value_kind:     hidden_block_count_y
      - .offset:         72
        .size:           4
        .value_kind:     hidden_block_count_z
      - .offset:         76
        .size:           2
        .value_kind:     hidden_group_size_x
      - .offset:         78
        .size:           2
        .value_kind:     hidden_group_size_y
      - .offset:         80
        .size:           2
        .value_kind:     hidden_group_size_z
      - .offset:         82
        .size:           2
        .value_kind:     hidden_remainder_x
      - .offset:         84
        .size:           2
        .value_kind:     hidden_remainder_y
      - .offset:         86
        .size:           2
        .value_kind:     hidden_remainder_z
      - .offset:         104
        .size:           8
        .value_kind:     hidden_global_offset_x
      - .offset:         112
        .size:           8
        .value_kind:     hidden_global_offset_y
      - .offset:         120
        .size:           8
        .value_kind:     hidden_global_offset_z
      - .offset:         128
        .size:           2
        .value_kind:     hidden_grid_dims
    .group_segment_fixed_size: 0
    .kernarg_segment_align: 8
    .kernarg_segment_size: 320
    .language:       OpenCL C
    .language_version:
      - 2
      - 0
    .max_flat_workgroup_size: 256
    .name:           _ZL24rocblas_gemv_scal_kernelILi256EPKdPdEviT0_lT1_lili
    .private_segment_fixed_size: 0
    .sgpr_count:     18
    .sgpr_spill_count: 0
    .symbol:         _ZL24rocblas_gemv_scal_kernelILi256EPKdPdEviT0_lT1_lili.kd
    .uniform_work_group_size: 1
    .uses_dynamic_stack: false
    .vgpr_count:     4
    .vgpr_spill_count: 0
    .wavefront_size: 32
    .workgroup_processor_mode: 1
  - .args:
      - .offset:         0
        .size:           4
        .value_kind:     by_value
      - .offset:         8
        .size:           8
        .value_kind:     by_value
      - .offset:         16
        .size:           8
        .value_kind:     by_value
      - .address_space:  global
        .offset:         24
        .size:           8
        .value_kind:     global_buffer
      - .offset:         32
        .size:           8
        .value_kind:     by_value
      - .offset:         40
        .size:           4
        .value_kind:     by_value
      - .offset:         48
        .size:           8
        .value_kind:     by_value
      - .offset:         56
        .size:           4
        .value_kind:     by_value
      - .offset:         64
        .size:           4
        .value_kind:     hidden_block_count_x
      - .offset:         68
        .size:           4
        .value_kind:     hidden_block_count_y
      - .offset:         72
        .size:           4
        .value_kind:     hidden_block_count_z
      - .offset:         76
        .size:           2
        .value_kind:     hidden_group_size_x
      - .offset:         78
        .size:           2
        .value_kind:     hidden_group_size_y
      - .offset:         80
        .size:           2
        .value_kind:     hidden_group_size_z
      - .offset:         82
        .size:           2
        .value_kind:     hidden_remainder_x
      - .offset:         84
        .size:           2
        .value_kind:     hidden_remainder_y
      - .offset:         86
        .size:           2
        .value_kind:     hidden_remainder_z
      - .offset:         104
        .size:           8
        .value_kind:     hidden_global_offset_x
      - .offset:         112
        .size:           8
        .value_kind:     hidden_global_offset_y
      - .offset:         120
        .size:           8
        .value_kind:     hidden_global_offset_z
      - .offset:         128
        .size:           2
        .value_kind:     hidden_grid_dims
    .group_segment_fixed_size: 0
    .kernarg_segment_align: 8
    .kernarg_segment_size: 320
    .language:       OpenCL C
    .language_version:
      - 2
      - 0
    .max_flat_workgroup_size: 256
    .name:           _ZL24rocblas_gemv_scal_kernelILi256EdPdEviT0_lT1_lili
    .private_segment_fixed_size: 0
    .sgpr_count:     14
    .sgpr_spill_count: 0
    .symbol:         _ZL24rocblas_gemv_scal_kernelILi256EdPdEviT0_lT1_lili.kd
    .uniform_work_group_size: 1
    .uses_dynamic_stack: false
    .vgpr_count:     4
    .vgpr_spill_count: 0
    .wavefront_size: 32
    .workgroup_processor_mode: 1
  - .args:
      - .offset:         0
        .size:           4
        .value_kind:     by_value
      - .offset:         4
        .size:           4
        .value_kind:     by_value
      - .address_space:  global
        .offset:         8
        .size:           8
        .value_kind:     global_buffer
      - .offset:         16
        .size:           8
        .value_kind:     by_value
      - .address_space:  global
        .offset:         24
        .size:           8
        .value_kind:     global_buffer
      - .offset:         32
        .size:           8
        .value_kind:     by_value
      - .offset:         40
        .size:           4
        .value_kind:     by_value
      - .offset:         48
        .size:           8
        .value_kind:     by_value
      - .address_space:  global
        .offset:         56
        .size:           8
        .value_kind:     global_buffer
      - .offset:         64
        .size:           8
        .value_kind:     by_value
      - .offset:         72
        .size:           4
        .value_kind:     by_value
      - .offset:         80
        .size:           8
        .value_kind:     by_value
      - .address_space:  global
        .offset:         88
        .size:           8
        .value_kind:     global_buffer
      - .offset:         96
        .size:           8
        .value_kind:     by_value
      - .offset:         104
        .size:           4
        .value_kind:     by_value
      - .offset:         112
        .size:           8
        .value_kind:     by_value
      - .offset:         120
        .size:           4
        .value_kind:     by_value
      - .offset:         128
        .size:           4
        .value_kind:     hidden_block_count_x
      - .offset:         132
        .size:           4
        .value_kind:     hidden_block_count_y
      - .offset:         136
        .size:           4
        .value_kind:     hidden_block_count_z
      - .offset:         140
        .size:           2
        .value_kind:     hidden_group_size_x
      - .offset:         142
        .size:           2
        .value_kind:     hidden_group_size_y
      - .offset:         144
        .size:           2
        .value_kind:     hidden_group_size_z
      - .offset:         146
        .size:           2
        .value_kind:     hidden_remainder_x
      - .offset:         148
        .size:           2
        .value_kind:     hidden_remainder_y
      - .offset:         150
        .size:           2
        .value_kind:     hidden_remainder_z
      - .offset:         168
        .size:           8
        .value_kind:     hidden_global_offset_x
      - .offset:         176
        .size:           8
        .value_kind:     hidden_global_offset_y
      - .offset:         184
        .size:           8
        .value_kind:     hidden_global_offset_z
      - .offset:         192
        .size:           2
        .value_kind:     hidden_grid_dims
    .group_segment_fixed_size: 8192
    .kernarg_segment_align: 8
    .kernarg_segment_size: 384
    .language:       OpenCL C
    .language_version:
      - 2
      - 0
    .max_flat_workgroup_size: 512
    .name:           _ZL36rocblas_gemvn_double_buffered_kernelILi128ELi4ELi16EdPKddEviiT3_lPKT2_lilS5_lilPT4_lili
    .private_segment_fixed_size: 0
    .sgpr_count:     42
    .sgpr_spill_count: 0
    .symbol:         _ZL36rocblas_gemvn_double_buffered_kernelILi128ELi4ELi16EdPKddEviiT3_lPKT2_lilS5_lilPT4_lili.kd
    .uniform_work_group_size: 1
    .uses_dynamic_stack: false
    .vgpr_count:     178
    .vgpr_spill_count: 0
    .wavefront_size: 32
    .workgroup_processor_mode: 1
  - .args:
      - .offset:         0
        .size:           4
        .value_kind:     by_value
      - .offset:         4
        .size:           4
        .value_kind:     by_value
      - .offset:         8
        .size:           8
        .value_kind:     by_value
      - .offset:         16
        .size:           8
        .value_kind:     by_value
      - .address_space:  global
        .offset:         24
        .size:           8
        .value_kind:     global_buffer
      - .offset:         32
        .size:           8
        .value_kind:     by_value
      - .offset:         40
        .size:           4
        .value_kind:     by_value
      - .offset:         48
        .size:           8
        .value_kind:     by_value
      - .address_space:  global
        .offset:         56
        .size:           8
        .value_kind:     global_buffer
      - .offset:         64
        .size:           8
        .value_kind:     by_value
      - .offset:         72
        .size:           4
        .value_kind:     by_value
      - .offset:         80
        .size:           8
        .value_kind:     by_value
      - .address_space:  global
        .offset:         88
        .size:           8
        .value_kind:     global_buffer
      - .offset:         96
        .size:           8
        .value_kind:     by_value
      - .offset:         104
        .size:           4
        .value_kind:     by_value
      - .offset:         112
        .size:           8
        .value_kind:     by_value
      - .offset:         120
        .size:           4
        .value_kind:     by_value
      - .offset:         128
        .size:           4
        .value_kind:     hidden_block_count_x
      - .offset:         132
        .size:           4
        .value_kind:     hidden_block_count_y
      - .offset:         136
        .size:           4
        .value_kind:     hidden_block_count_z
      - .offset:         140
        .size:           2
        .value_kind:     hidden_group_size_x
      - .offset:         142
        .size:           2
        .value_kind:     hidden_group_size_y
      - .offset:         144
        .size:           2
        .value_kind:     hidden_group_size_z
      - .offset:         146
        .size:           2
        .value_kind:     hidden_remainder_x
      - .offset:         148
        .size:           2
        .value_kind:     hidden_remainder_y
      - .offset:         150
        .size:           2
        .value_kind:     hidden_remainder_z
      - .offset:         168
        .size:           8
        .value_kind:     hidden_global_offset_x
      - .offset:         176
        .size:           8
        .value_kind:     hidden_global_offset_y
      - .offset:         184
        .size:           8
        .value_kind:     hidden_global_offset_z
      - .offset:         192
        .size:           2
        .value_kind:     hidden_grid_dims
    .group_segment_fixed_size: 8192
    .kernarg_segment_align: 8
    .kernarg_segment_size: 384
    .language:       OpenCL C
    .language_version:
      - 2
      - 0
    .max_flat_workgroup_size: 512
    .name:           _ZL36rocblas_gemvn_double_buffered_kernelILi128ELi4ELi16EdddEviiT3_lPKT2_lilS3_lilPT4_lili
    .private_segment_fixed_size: 0
    .sgpr_count:     42
    .sgpr_spill_count: 0
    .symbol:         _ZL36rocblas_gemvn_double_buffered_kernelILi128ELi4ELi16EdddEviiT3_lPKT2_lilS3_lilPT4_lili.kd
    .uniform_work_group_size: 1
    .uses_dynamic_stack: false
    .vgpr_count:     178
    .vgpr_spill_count: 0
    .wavefront_size: 32
    .workgroup_processor_mode: 1
  - .args:
      - .offset:         0
        .size:           4
        .value_kind:     by_value
      - .offset:         4
        .size:           4
        .value_kind:     by_value
      - .address_space:  global
        .offset:         8
        .size:           8
        .value_kind:     global_buffer
      - .offset:         16
        .size:           8
        .value_kind:     by_value
      - .address_space:  global
        .offset:         24
        .size:           8
        .value_kind:     global_buffer
      - .offset:         32
        .size:           8
        .value_kind:     by_value
      - .offset:         40
        .size:           4
        .value_kind:     by_value
      - .offset:         48
        .size:           8
        .value_kind:     by_value
      - .address_space:  global
        .offset:         56
        .size:           8
        .value_kind:     global_buffer
      - .offset:         64
        .size:           8
        .value_kind:     by_value
      - .offset:         72
        .size:           4
        .value_kind:     by_value
      - .offset:         80
        .size:           8
        .value_kind:     by_value
      - .address_space:  global
        .offset:         88
        .size:           8
        .value_kind:     global_buffer
      - .offset:         96
        .size:           8
        .value_kind:     by_value
      - .address_space:  global
        .offset:         104
        .size:           8
        .value_kind:     global_buffer
      - .offset:         112
        .size:           8
        .value_kind:     by_value
      - .offset:         120
        .size:           4
        .value_kind:     by_value
      - .offset:         128
        .size:           8
        .value_kind:     by_value
      - .offset:         136
        .size:           4
        .value_kind:     by_value
      - .offset:         144
        .size:           4
        .value_kind:     hidden_block_count_x
      - .offset:         148
        .size:           4
        .value_kind:     hidden_block_count_y
      - .offset:         152
        .size:           4
        .value_kind:     hidden_block_count_z
      - .offset:         156
        .size:           2
        .value_kind:     hidden_group_size_x
      - .offset:         158
        .size:           2
        .value_kind:     hidden_group_size_y
      - .offset:         160
        .size:           2
        .value_kind:     hidden_group_size_z
      - .offset:         162
        .size:           2
        .value_kind:     hidden_remainder_x
      - .offset:         164
        .size:           2
        .value_kind:     hidden_remainder_y
      - .offset:         166
        .size:           2
        .value_kind:     hidden_remainder_z
      - .offset:         184
        .size:           8
        .value_kind:     hidden_global_offset_x
      - .offset:         192
        .size:           8
        .value_kind:     hidden_global_offset_y
      - .offset:         200
        .size:           8
        .value_kind:     hidden_global_offset_z
      - .offset:         208
        .size:           2
        .value_kind:     hidden_grid_dims
    .group_segment_fixed_size: 16384
    .kernarg_segment_align: 8
    .kernarg_segment_size: 400
    .language:       OpenCL C
    .language_version:
      - 2
      - 0
    .max_flat_workgroup_size: 512
    .name:           _ZL20rocblas_gemvn_kernelILi32ELi16EidPKddEviiT3_lPKT2_lT1_lS5_lS6_lS2_lPT4_lS6_li
    .private_segment_fixed_size: 0
    .sgpr_count:     32
    .sgpr_spill_count: 0
    .symbol:         _ZL20rocblas_gemvn_kernelILi32ELi16EidPKddEviiT3_lPKT2_lT1_lS5_lS6_lS2_lPT4_lS6_li.kd
    .uniform_work_group_size: 1
    .uses_dynamic_stack: false
    .vgpr_count:     62
    .vgpr_spill_count: 0
    .wavefront_size: 32
    .workgroup_processor_mode: 1
  - .args:
      - .offset:         0
        .size:           4
        .value_kind:     by_value
      - .offset:         4
        .size:           4
        .value_kind:     by_value
      - .address_space:  global
        .offset:         8
        .size:           8
        .value_kind:     global_buffer
      - .offset:         16
        .size:           8
        .value_kind:     by_value
      - .address_space:  global
        .offset:         24
        .size:           8
        .value_kind:     global_buffer
      - .offset:         32
        .size:           8
        .value_kind:     by_value
      - .offset:         40
        .size:           8
        .value_kind:     by_value
      - .offset:         48
        .size:           8
        .value_kind:     by_value
      - .address_space:  global
        .offset:         56
        .size:           8
        .value_kind:     global_buffer
      - .offset:         64
        .size:           8
        .value_kind:     by_value
      - .offset:         72
        .size:           8
        .value_kind:     by_value
      - .offset:         80
        .size:           8
        .value_kind:     by_value
      - .address_space:  global
        .offset:         88
        .size:           8
        .value_kind:     global_buffer
      - .offset:         96
        .size:           8
        .value_kind:     by_value
      - .address_space:  global
        .offset:         104
        .size:           8
        .value_kind:     global_buffer
      - .offset:         112
        .size:           8
        .value_kind:     by_value
      - .offset:         120
        .size:           8
        .value_kind:     by_value
      - .offset:         128
        .size:           8
        .value_kind:     by_value
      - .offset:         136
        .size:           4
        .value_kind:     by_value
      - .offset:         144
        .size:           4
        .value_kind:     hidden_block_count_x
      - .offset:         148
        .size:           4
        .value_kind:     hidden_block_count_y
      - .offset:         152
        .size:           4
        .value_kind:     hidden_block_count_z
      - .offset:         156
        .size:           2
        .value_kind:     hidden_group_size_x
      - .offset:         158
        .size:           2
        .value_kind:     hidden_group_size_y
      - .offset:         160
        .size:           2
        .value_kind:     hidden_group_size_z
      - .offset:         162
        .size:           2
        .value_kind:     hidden_remainder_x
      - .offset:         164
        .size:           2
        .value_kind:     hidden_remainder_y
      - .offset:         166
        .size:           2
        .value_kind:     hidden_remainder_z
      - .offset:         184
        .size:           8
        .value_kind:     hidden_global_offset_x
      - .offset:         192
        .size:           8
        .value_kind:     hidden_global_offset_y
      - .offset:         200
        .size:           8
        .value_kind:     hidden_global_offset_z
      - .offset:         208
        .size:           2
        .value_kind:     hidden_grid_dims
    .group_segment_fixed_size: 16384
    .kernarg_segment_align: 8
    .kernarg_segment_size: 400
    .language:       OpenCL C
    .language_version:
      - 2
      - 0
    .max_flat_workgroup_size: 512
    .name:           _ZL20rocblas_gemvn_kernelILi32ELi16EldPKddEviiT3_lPKT2_lT1_lS5_lS6_lS2_lPT4_lS6_li
    .private_segment_fixed_size: 0
    .sgpr_count:     54
    .sgpr_spill_count: 0
    .symbol:         _ZL20rocblas_gemvn_kernelILi32ELi16EldPKddEviiT3_lPKT2_lT1_lS5_lS6_lS2_lPT4_lS6_li.kd
    .uniform_work_group_size: 1
    .uses_dynamic_stack: false
    .vgpr_count:     72
    .vgpr_spill_count: 0
    .wavefront_size: 32
    .workgroup_processor_mode: 1
  - .args:
      - .offset:         0
        .size:           4
        .value_kind:     by_value
      - .offset:         4
        .size:           4
        .value_kind:     by_value
      - .offset:         8
        .size:           8
        .value_kind:     by_value
      - .offset:         16
        .size:           8
        .value_kind:     by_value
      - .address_space:  global
        .offset:         24
        .size:           8
        .value_kind:     global_buffer
      - .offset:         32
        .size:           8
        .value_kind:     by_value
      - .offset:         40
        .size:           4
        .value_kind:     by_value
      - .offset:         48
        .size:           8
        .value_kind:     by_value
      - .address_space:  global
        .offset:         56
        .size:           8
        .value_kind:     global_buffer
      - .offset:         64
        .size:           8
        .value_kind:     by_value
      - .offset:         72
        .size:           4
        .value_kind:     by_value
      - .offset:         80
        .size:           8
        .value_kind:     by_value
      - .offset:         88
        .size:           8
        .value_kind:     by_value
      - .offset:         96
        .size:           8
        .value_kind:     by_value
      - .address_space:  global
        .offset:         104
        .size:           8
        .value_kind:     global_buffer
      - .offset:         112
        .size:           8
        .value_kind:     by_value
      - .offset:         120
        .size:           4
        .value_kind:     by_value
      - .offset:         128
        .size:           8
        .value_kind:     by_value
      - .offset:         136
        .size:           4
        .value_kind:     by_value
      - .offset:         144
        .size:           4
        .value_kind:     hidden_block_count_x
      - .offset:         148
        .size:           4
        .value_kind:     hidden_block_count_y
      - .offset:         152
        .size:           4
        .value_kind:     hidden_block_count_z
      - .offset:         156
        .size:           2
        .value_kind:     hidden_group_size_x
      - .offset:         158
        .size:           2
        .value_kind:     hidden_group_size_y
      - .offset:         160
        .size:           2
        .value_kind:     hidden_group_size_z
      - .offset:         162
        .size:           2
        .value_kind:     hidden_remainder_x
      - .offset:         164
        .size:           2
        .value_kind:     hidden_remainder_y
      - .offset:         166
        .size:           2
        .value_kind:     hidden_remainder_z
      - .offset:         184
        .size:           8
        .value_kind:     hidden_global_offset_x
      - .offset:         192
        .size:           8
        .value_kind:     hidden_global_offset_y
      - .offset:         200
        .size:           8
        .value_kind:     hidden_global_offset_z
      - .offset:         208
        .size:           2
        .value_kind:     hidden_grid_dims
    .group_segment_fixed_size: 16384
    .kernarg_segment_align: 8
    .kernarg_segment_size: 400
    .language:       OpenCL C
    .language_version:
      - 2
      - 0
    .max_flat_workgroup_size: 512
    .name:           _ZL20rocblas_gemvn_kernelILi32ELi16EidddEviiT3_lPKT2_lT1_lS3_lS4_lS0_lPT4_lS4_li
    .private_segment_fixed_size: 0
    .sgpr_count:     32
    .sgpr_spill_count: 0
    .symbol:         _ZL20rocblas_gemvn_kernelILi32ELi16EidddEviiT3_lPKT2_lT1_lS3_lS4_lS0_lPT4_lS4_li.kd
    .uniform_work_group_size: 1
    .uses_dynamic_stack: false
    .vgpr_count:     62
    .vgpr_spill_count: 0
    .wavefront_size: 32
    .workgroup_processor_mode: 1
  - .args:
      - .offset:         0
        .size:           4
        .value_kind:     by_value
      - .offset:         4
        .size:           4
        .value_kind:     by_value
      - .offset:         8
        .size:           8
        .value_kind:     by_value
      - .offset:         16
        .size:           8
        .value_kind:     by_value
      - .address_space:  global
        .offset:         24
        .size:           8
        .value_kind:     global_buffer
      - .offset:         32
        .size:           8
        .value_kind:     by_value
      - .offset:         40
        .size:           8
        .value_kind:     by_value
      - .offset:         48
        .size:           8
        .value_kind:     by_value
      - .address_space:  global
        .offset:         56
        .size:           8
        .value_kind:     global_buffer
      - .offset:         64
        .size:           8
        .value_kind:     by_value
      - .offset:         72
        .size:           8
        .value_kind:     by_value
      - .offset:         80
        .size:           8
        .value_kind:     by_value
      - .offset:         88
        .size:           8
        .value_kind:     by_value
      - .offset:         96
        .size:           8
        .value_kind:     by_value
      - .address_space:  global
        .offset:         104
        .size:           8
        .value_kind:     global_buffer
      - .offset:         112
        .size:           8
        .value_kind:     by_value
      - .offset:         120
        .size:           8
        .value_kind:     by_value
      - .offset:         128
        .size:           8
        .value_kind:     by_value
      - .offset:         136
        .size:           4
        .value_kind:     by_value
      - .offset:         144
        .size:           4
        .value_kind:     hidden_block_count_x
      - .offset:         148
        .size:           4
        .value_kind:     hidden_block_count_y
      - .offset:         152
        .size:           4
        .value_kind:     hidden_block_count_z
      - .offset:         156
        .size:           2
        .value_kind:     hidden_group_size_x
      - .offset:         158
        .size:           2
        .value_kind:     hidden_group_size_y
      - .offset:         160
        .size:           2
        .value_kind:     hidden_group_size_z
      - .offset:         162
        .size:           2
        .value_kind:     hidden_remainder_x
      - .offset:         164
        .size:           2
        .value_kind:     hidden_remainder_y
      - .offset:         166
        .size:           2
        .value_kind:     hidden_remainder_z
      - .offset:         184
        .size:           8
        .value_kind:     hidden_global_offset_x
      - .offset:         192
        .size:           8
        .value_kind:     hidden_global_offset_y
      - .offset:         200
        .size:           8
        .value_kind:     hidden_global_offset_z
      - .offset:         208
        .size:           2
        .value_kind:     hidden_grid_dims
    .group_segment_fixed_size: 16384
    .kernarg_segment_align: 8
    .kernarg_segment_size: 400
    .language:       OpenCL C
    .language_version:
      - 2
      - 0
    .max_flat_workgroup_size: 512
    .name:           _ZL20rocblas_gemvn_kernelILi32ELi16EldddEviiT3_lPKT2_lT1_lS3_lS4_lS0_lPT4_lS4_li
    .private_segment_fixed_size: 0
    .sgpr_count:     47
    .sgpr_spill_count: 0
    .symbol:         _ZL20rocblas_gemvn_kernelILi32ELi16EldddEviiT3_lPKT2_lT1_lS3_lS4_lS0_lPT4_lS4_li.kd
    .uniform_work_group_size: 1
    .uses_dynamic_stack: false
    .vgpr_count:     72
    .vgpr_spill_count: 0
    .wavefront_size: 32
    .workgroup_processor_mode: 1
  - .args:
      - .offset:         0
        .size:           4
        .value_kind:     by_value
      - .offset:         4
        .size:           4
        .value_kind:     by_value
      - .address_space:  global
        .offset:         8
        .size:           8
        .value_kind:     global_buffer
      - .offset:         16
        .size:           8
        .value_kind:     by_value
      - .address_space:  global
        .offset:         24
        .size:           8
        .value_kind:     global_buffer
      - .offset:         32
        .size:           8
        .value_kind:     by_value
      - .offset:         40
        .size:           4
        .value_kind:     by_value
      - .offset:         48
        .size:           8
        .value_kind:     by_value
      - .address_space:  global
        .offset:         56
        .size:           8
        .value_kind:     global_buffer
      - .offset:         64
        .size:           8
        .value_kind:     by_value
      - .offset:         72
        .size:           4
        .value_kind:     by_value
      - .offset:         80
        .size:           8
        .value_kind:     by_value
      - .address_space:  global
        .offset:         88
        .size:           8
        .value_kind:     global_buffer
      - .offset:         96
        .size:           8
        .value_kind:     by_value
      - .address_space:  global
        .offset:         104
        .size:           8
        .value_kind:     global_buffer
      - .offset:         112
        .size:           8
        .value_kind:     by_value
      - .offset:         120
        .size:           4
        .value_kind:     by_value
      - .offset:         128
        .size:           8
        .value_kind:     by_value
      - .offset:         136
        .size:           4
        .value_kind:     by_value
      - .offset:         144
        .size:           4
        .value_kind:     hidden_block_count_x
      - .offset:         148
        .size:           4
        .value_kind:     hidden_block_count_y
      - .offset:         152
        .size:           4
        .value_kind:     hidden_block_count_z
      - .offset:         156
        .size:           2
        .value_kind:     hidden_group_size_x
      - .offset:         158
        .size:           2
        .value_kind:     hidden_group_size_y
      - .offset:         160
        .size:           2
        .value_kind:     hidden_group_size_z
      - .offset:         162
        .size:           2
        .value_kind:     hidden_remainder_x
      - .offset:         164
        .size:           2
        .value_kind:     hidden_remainder_y
      - .offset:         166
        .size:           2
        .value_kind:     hidden_remainder_z
      - .offset:         184
        .size:           8
        .value_kind:     hidden_global_offset_x
      - .offset:         192
        .size:           8
        .value_kind:     hidden_global_offset_y
      - .offset:         200
        .size:           8
        .value_kind:     hidden_global_offset_z
      - .offset:         208
        .size:           2
        .value_kind:     hidden_grid_dims
    .group_segment_fixed_size: 32768
    .kernarg_segment_align: 8
    .kernarg_segment_size: 400
    .language:       OpenCL C
    .language_version:
      - 2
      - 0
    .max_flat_workgroup_size: 1024
    .name:           _ZL20rocblas_gemvn_kernelILi64ELi16EidPKddEviiT3_lPKT2_lT1_lS5_lS6_lS2_lPT4_lS6_li
    .private_segment_fixed_size: 0
    .sgpr_count:     32
    .sgpr_spill_count: 0
    .symbol:         _ZL20rocblas_gemvn_kernelILi64ELi16EidPKddEviiT3_lPKT2_lT1_lS5_lS6_lS2_lPT4_lS6_li.kd
    .uniform_work_group_size: 1
    .uses_dynamic_stack: false
    .vgpr_count:     62
    .vgpr_spill_count: 0
    .wavefront_size: 32
    .workgroup_processor_mode: 1
  - .args:
      - .offset:         0
        .size:           4
        .value_kind:     by_value
      - .offset:         4
        .size:           4
        .value_kind:     by_value
      - .address_space:  global
        .offset:         8
        .size:           8
        .value_kind:     global_buffer
      - .offset:         16
        .size:           8
        .value_kind:     by_value
      - .address_space:  global
        .offset:         24
        .size:           8
        .value_kind:     global_buffer
      - .offset:         32
        .size:           8
        .value_kind:     by_value
      - .offset:         40
        .size:           8
        .value_kind:     by_value
      - .offset:         48
        .size:           8
        .value_kind:     by_value
      - .address_space:  global
        .offset:         56
        .size:           8
        .value_kind:     global_buffer
      - .offset:         64
        .size:           8
        .value_kind:     by_value
      - .offset:         72
        .size:           8
        .value_kind:     by_value
      - .offset:         80
        .size:           8
        .value_kind:     by_value
      - .address_space:  global
        .offset:         88
        .size:           8
        .value_kind:     global_buffer
      - .offset:         96
        .size:           8
        .value_kind:     by_value
      - .address_space:  global
        .offset:         104
        .size:           8
        .value_kind:     global_buffer
      - .offset:         112
        .size:           8
        .value_kind:     by_value
      - .offset:         120
        .size:           8
        .value_kind:     by_value
      - .offset:         128
        .size:           8
        .value_kind:     by_value
      - .offset:         136
        .size:           4
        .value_kind:     by_value
      - .offset:         144
        .size:           4
        .value_kind:     hidden_block_count_x
      - .offset:         148
        .size:           4
        .value_kind:     hidden_block_count_y
      - .offset:         152
        .size:           4
        .value_kind:     hidden_block_count_z
      - .offset:         156
        .size:           2
        .value_kind:     hidden_group_size_x
      - .offset:         158
        .size:           2
        .value_kind:     hidden_group_size_y
      - .offset:         160
        .size:           2
        .value_kind:     hidden_group_size_z
      - .offset:         162
        .size:           2
        .value_kind:     hidden_remainder_x
      - .offset:         164
        .size:           2
        .value_kind:     hidden_remainder_y
      - .offset:         166
        .size:           2
        .value_kind:     hidden_remainder_z
      - .offset:         184
        .size:           8
        .value_kind:     hidden_global_offset_x
      - .offset:         192
        .size:           8
        .value_kind:     hidden_global_offset_y
      - .offset:         200
        .size:           8
        .value_kind:     hidden_global_offset_z
      - .offset:         208
        .size:           2
        .value_kind:     hidden_grid_dims
    .group_segment_fixed_size: 32768
    .kernarg_segment_align: 8
    .kernarg_segment_size: 400
    .language:       OpenCL C
    .language_version:
      - 2
      - 0
    .max_flat_workgroup_size: 1024
    .name:           _ZL20rocblas_gemvn_kernelILi64ELi16EldPKddEviiT3_lPKT2_lT1_lS5_lS6_lS2_lPT4_lS6_li
    .private_segment_fixed_size: 0
    .sgpr_count:     54
    .sgpr_spill_count: 0
    .symbol:         _ZL20rocblas_gemvn_kernelILi64ELi16EldPKddEviiT3_lPKT2_lT1_lS5_lS6_lS2_lPT4_lS6_li.kd
    .uniform_work_group_size: 1
    .uses_dynamic_stack: false
    .vgpr_count:     72
    .vgpr_spill_count: 0
    .wavefront_size: 32
    .workgroup_processor_mode: 1
  - .args:
      - .offset:         0
        .size:           4
        .value_kind:     by_value
      - .offset:         4
        .size:           4
        .value_kind:     by_value
      - .offset:         8
        .size:           8
        .value_kind:     by_value
      - .offset:         16
        .size:           8
        .value_kind:     by_value
      - .address_space:  global
        .offset:         24
        .size:           8
        .value_kind:     global_buffer
      - .offset:         32
        .size:           8
        .value_kind:     by_value
      - .offset:         40
        .size:           4
        .value_kind:     by_value
      - .offset:         48
        .size:           8
        .value_kind:     by_value
      - .address_space:  global
        .offset:         56
        .size:           8
        .value_kind:     global_buffer
      - .offset:         64
        .size:           8
        .value_kind:     by_value
      - .offset:         72
        .size:           4
        .value_kind:     by_value
      - .offset:         80
        .size:           8
        .value_kind:     by_value
      - .offset:         88
        .size:           8
        .value_kind:     by_value
      - .offset:         96
        .size:           8
        .value_kind:     by_value
      - .address_space:  global
        .offset:         104
        .size:           8
        .value_kind:     global_buffer
      - .offset:         112
        .size:           8
        .value_kind:     by_value
      - .offset:         120
        .size:           4
        .value_kind:     by_value
      - .offset:         128
        .size:           8
        .value_kind:     by_value
      - .offset:         136
        .size:           4
        .value_kind:     by_value
      - .offset:         144
        .size:           4
        .value_kind:     hidden_block_count_x
      - .offset:         148
        .size:           4
        .value_kind:     hidden_block_count_y
      - .offset:         152
        .size:           4
        .value_kind:     hidden_block_count_z
      - .offset:         156
        .size:           2
        .value_kind:     hidden_group_size_x
      - .offset:         158
        .size:           2
        .value_kind:     hidden_group_size_y
      - .offset:         160
        .size:           2
        .value_kind:     hidden_group_size_z
      - .offset:         162
        .size:           2
        .value_kind:     hidden_remainder_x
      - .offset:         164
        .size:           2
        .value_kind:     hidden_remainder_y
      - .offset:         166
        .size:           2
        .value_kind:     hidden_remainder_z
      - .offset:         184
        .size:           8
        .value_kind:     hidden_global_offset_x
      - .offset:         192
        .size:           8
        .value_kind:     hidden_global_offset_y
      - .offset:         200
        .size:           8
        .value_kind:     hidden_global_offset_z
      - .offset:         208
        .size:           2
        .value_kind:     hidden_grid_dims
    .group_segment_fixed_size: 32768
    .kernarg_segment_align: 8
    .kernarg_segment_size: 400
    .language:       OpenCL C
    .language_version:
      - 2
      - 0
    .max_flat_workgroup_size: 1024
    .name:           _ZL20rocblas_gemvn_kernelILi64ELi16EidddEviiT3_lPKT2_lT1_lS3_lS4_lS0_lPT4_lS4_li
    .private_segment_fixed_size: 0
    .sgpr_count:     32
    .sgpr_spill_count: 0
    .symbol:         _ZL20rocblas_gemvn_kernelILi64ELi16EidddEviiT3_lPKT2_lT1_lS3_lS4_lS0_lPT4_lS4_li.kd
    .uniform_work_group_size: 1
    .uses_dynamic_stack: false
    .vgpr_count:     62
    .vgpr_spill_count: 0
    .wavefront_size: 32
    .workgroup_processor_mode: 1
  - .args:
      - .offset:         0
        .size:           4
        .value_kind:     by_value
      - .offset:         4
        .size:           4
        .value_kind:     by_value
      - .offset:         8
        .size:           8
        .value_kind:     by_value
      - .offset:         16
        .size:           8
        .value_kind:     by_value
      - .address_space:  global
        .offset:         24
        .size:           8
        .value_kind:     global_buffer
      - .offset:         32
        .size:           8
        .value_kind:     by_value
      - .offset:         40
        .size:           8
        .value_kind:     by_value
      - .offset:         48
        .size:           8
        .value_kind:     by_value
      - .address_space:  global
        .offset:         56
        .size:           8
        .value_kind:     global_buffer
      - .offset:         64
        .size:           8
        .value_kind:     by_value
      - .offset:         72
        .size:           8
        .value_kind:     by_value
      - .offset:         80
        .size:           8
        .value_kind:     by_value
      - .offset:         88
        .size:           8
        .value_kind:     by_value
      - .offset:         96
        .size:           8
        .value_kind:     by_value
      - .address_space:  global
        .offset:         104
        .size:           8
        .value_kind:     global_buffer
      - .offset:         112
        .size:           8
        .value_kind:     by_value
      - .offset:         120
        .size:           8
        .value_kind:     by_value
      - .offset:         128
        .size:           8
        .value_kind:     by_value
      - .offset:         136
        .size:           4
        .value_kind:     by_value
      - .offset:         144
        .size:           4
        .value_kind:     hidden_block_count_x
      - .offset:         148
        .size:           4
        .value_kind:     hidden_block_count_y
      - .offset:         152
        .size:           4
        .value_kind:     hidden_block_count_z
      - .offset:         156
        .size:           2
        .value_kind:     hidden_group_size_x
      - .offset:         158
        .size:           2
        .value_kind:     hidden_group_size_y
      - .offset:         160
        .size:           2
        .value_kind:     hidden_group_size_z
      - .offset:         162
        .size:           2
        .value_kind:     hidden_remainder_x
      - .offset:         164
        .size:           2
        .value_kind:     hidden_remainder_y
      - .offset:         166
        .size:           2
        .value_kind:     hidden_remainder_z
      - .offset:         184
        .size:           8
        .value_kind:     hidden_global_offset_x
      - .offset:         192
        .size:           8
        .value_kind:     hidden_global_offset_y
      - .offset:         200
        .size:           8
        .value_kind:     hidden_global_offset_z
      - .offset:         208
        .size:           2
        .value_kind:     hidden_grid_dims
    .group_segment_fixed_size: 32768
    .kernarg_segment_align: 8
    .kernarg_segment_size: 400
    .language:       OpenCL C
    .language_version:
      - 2
      - 0
    .max_flat_workgroup_size: 1024
    .name:           _ZL20rocblas_gemvn_kernelILi64ELi16EldddEviiT3_lPKT2_lT1_lS3_lS4_lS0_lPT4_lS4_li
    .private_segment_fixed_size: 0
    .sgpr_count:     47
    .sgpr_spill_count: 0
    .symbol:         _ZL20rocblas_gemvn_kernelILi64ELi16EldddEviiT3_lPKT2_lT1_lS3_lS4_lS0_lPT4_lS4_li.kd
    .uniform_work_group_size: 1
    .uses_dynamic_stack: false
    .vgpr_count:     72
    .vgpr_spill_count: 0
    .wavefront_size: 32
    .workgroup_processor_mode: 1
  - .args:
      - .offset:         0
        .size:           4
        .value_kind:     by_value
      - .offset:         4
        .size:           4
        .value_kind:     by_value
      - .address_space:  global
        .offset:         8
        .size:           8
        .value_kind:     global_buffer
      - .offset:         16
        .size:           8
        .value_kind:     by_value
      - .address_space:  global
        .offset:         24
        .size:           8
        .value_kind:     global_buffer
      - .offset:         32
        .size:           8
        .value_kind:     by_value
      - .offset:         40
        .size:           4
        .value_kind:     by_value
      - .offset:         48
        .size:           8
        .value_kind:     by_value
      - .address_space:  global
        .offset:         56
        .size:           8
        .value_kind:     global_buffer
      - .offset:         64
        .size:           8
        .value_kind:     by_value
      - .offset:         72
        .size:           4
        .value_kind:     by_value
      - .offset:         80
        .size:           8
        .value_kind:     by_value
      - .address_space:  global
        .offset:         88
        .size:           8
        .value_kind:     global_buffer
      - .offset:         96
        .size:           8
        .value_kind:     by_value
      - .address_space:  global
        .offset:         104
        .size:           8
        .value_kind:     global_buffer
      - .offset:         112
        .size:           8
        .value_kind:     by_value
      - .offset:         120
        .size:           4
        .value_kind:     by_value
      - .offset:         128
        .size:           8
        .value_kind:     by_value
    .group_segment_fixed_size: 512
    .kernarg_segment_align: 8
    .kernarg_segment_size: 136
    .language:       OpenCL C
    .language_version:
      - 2
      - 0
    .max_flat_workgroup_size: 256
    .name:           _ZL22rocblas_gemvtsm_kernelILb0ELi256EdPKddEviiT2_lPKT1_lilS5_lilS2_lPT3_lil
    .private_segment_fixed_size: 0
    .sgpr_count:     33
    .sgpr_spill_count: 0
    .symbol:         _ZL22rocblas_gemvtsm_kernelILb0ELi256EdPKddEviiT2_lPKT1_lilS5_lilS2_lPT3_lil.kd
    .uniform_work_group_size: 1
    .uses_dynamic_stack: false
    .vgpr_count:     36
    .vgpr_spill_count: 0
    .wavefront_size: 32
    .workgroup_processor_mode: 1
  - .args:
      - .offset:         0
        .size:           4
        .value_kind:     by_value
      - .offset:         4
        .size:           4
        .value_kind:     by_value
      - .offset:         8
        .size:           8
        .value_kind:     by_value
      - .offset:         16
        .size:           8
        .value_kind:     by_value
      - .address_space:  global
        .offset:         24
        .size:           8
        .value_kind:     global_buffer
      - .offset:         32
        .size:           8
        .value_kind:     by_value
      - .offset:         40
        .size:           4
        .value_kind:     by_value
      - .offset:         48
        .size:           8
        .value_kind:     by_value
      - .address_space:  global
        .offset:         56
        .size:           8
        .value_kind:     global_buffer
      - .offset:         64
        .size:           8
        .value_kind:     by_value
      - .offset:         72
        .size:           4
        .value_kind:     by_value
      - .offset:         80
        .size:           8
        .value_kind:     by_value
      - .offset:         88
        .size:           8
        .value_kind:     by_value
      - .offset:         96
        .size:           8
        .value_kind:     by_value
      - .address_space:  global
        .offset:         104
        .size:           8
        .value_kind:     global_buffer
      - .offset:         112
        .size:           8
        .value_kind:     by_value
      - .offset:         120
        .size:           4
        .value_kind:     by_value
      - .offset:         128
        .size:           8
        .value_kind:     by_value
    .group_segment_fixed_size: 512
    .kernarg_segment_align: 8
    .kernarg_segment_size: 136
    .language:       OpenCL C
    .language_version:
      - 2
      - 0
    .max_flat_workgroup_size: 256
    .name:           _ZL22rocblas_gemvtsm_kernelILb0ELi256EdddEviiT2_lPKT1_lilS3_lilS0_lPT3_lil
    .private_segment_fixed_size: 0
    .sgpr_count:     29
    .sgpr_spill_count: 0
    .symbol:         _ZL22rocblas_gemvtsm_kernelILb0ELi256EdddEviiT2_lPKT1_lilS3_lilS0_lPT3_lil.kd
    .uniform_work_group_size: 1
    .uses_dynamic_stack: false
    .vgpr_count:     36
    .vgpr_spill_count: 0
    .wavefront_size: 32
    .workgroup_processor_mode: 1
  - .args:
      - .offset:         0
        .size:           4
        .value_kind:     by_value
      - .offset:         4
        .size:           4
        .value_kind:     by_value
      - .address_space:  global
        .offset:         8
        .size:           8
        .value_kind:     global_buffer
      - .offset:         16
        .size:           8
        .value_kind:     by_value
      - .address_space:  global
        .offset:         24
        .size:           8
        .value_kind:     global_buffer
      - .offset:         32
        .size:           8
        .value_kind:     by_value
      - .offset:         40
        .size:           4
        .value_kind:     by_value
      - .offset:         48
        .size:           8
        .value_kind:     by_value
      - .address_space:  global
        .offset:         56
        .size:           8
        .value_kind:     global_buffer
      - .offset:         64
        .size:           8
        .value_kind:     by_value
      - .offset:         72
        .size:           4
        .value_kind:     by_value
      - .offset:         80
        .size:           8
        .value_kind:     by_value
      - .address_space:  global
        .offset:         88
        .size:           8
        .value_kind:     global_buffer
      - .offset:         96
        .size:           4
        .value_kind:     by_value
      - .offset:         104
        .size:           4
        .value_kind:     hidden_block_count_x
      - .offset:         108
        .size:           4
        .value_kind:     hidden_block_count_y
      - .offset:         112
        .size:           4
        .value_kind:     hidden_block_count_z
      - .offset:         116
        .size:           2
        .value_kind:     hidden_group_size_x
      - .offset:         118
        .size:           2
        .value_kind:     hidden_group_size_y
      - .offset:         120
        .size:           2
        .value_kind:     hidden_group_size_z
      - .offset:         122
        .size:           2
        .value_kind:     hidden_remainder_x
      - .offset:         124
        .size:           2
        .value_kind:     hidden_remainder_y
      - .offset:         126
        .size:           2
        .value_kind:     hidden_remainder_z
      - .offset:         144
        .size:           8
        .value_kind:     hidden_global_offset_x
      - .offset:         152
        .size:           8
        .value_kind:     hidden_global_offset_y
      - .offset:         160
        .size:           8
        .value_kind:     hidden_global_offset_z
      - .offset:         168
        .size:           2
        .value_kind:     hidden_grid_dims
    .group_segment_fixed_size: 256
    .kernarg_segment_align: 8
    .kernarg_segment_size: 360
    .language:       OpenCL C
    .language_version:
      - 2
      - 0
    .max_flat_workgroup_size: 256
    .name:           _ZL23rocblas_gemvt_sn_kernelILb0ELi256ELi4EidPKddEviiT4_lPKT3_lilS5_lilPT5_i
    .private_segment_fixed_size: 0
    .sgpr_count:     54
    .sgpr_spill_count: 0
    .symbol:         _ZL23rocblas_gemvt_sn_kernelILb0ELi256ELi4EidPKddEviiT4_lPKT3_lilS5_lilPT5_i.kd
    .uniform_work_group_size: 1
    .uses_dynamic_stack: false
    .vgpr_count:     71
    .vgpr_spill_count: 0
    .wavefront_size: 32
    .workgroup_processor_mode: 1
  - .args:
      - .offset:         0
        .size:           4
        .value_kind:     by_value
      - .offset:         4
        .size:           4
        .value_kind:     by_value
      - .address_space:  global
        .offset:         8
        .size:           8
        .value_kind:     global_buffer
      - .offset:         16
        .size:           8
        .value_kind:     by_value
      - .address_space:  global
        .offset:         24
        .size:           8
        .value_kind:     global_buffer
      - .offset:         32
        .size:           8
        .value_kind:     by_value
      - .offset:         40
        .size:           4
        .value_kind:     by_value
      - .offset:         48
        .size:           8
        .value_kind:     by_value
      - .address_space:  global
        .offset:         56
        .size:           8
        .value_kind:     global_buffer
      - .offset:         64
        .size:           8
        .value_kind:     by_value
      - .offset:         72
        .size:           4
        .value_kind:     by_value
      - .offset:         80
        .size:           8
        .value_kind:     by_value
      - .address_space:  global
        .offset:         88
        .size:           8
        .value_kind:     global_buffer
      - .offset:         96
        .size:           4
        .value_kind:     by_value
      - .offset:         104
        .size:           4
        .value_kind:     hidden_block_count_x
      - .offset:         108
        .size:           4
        .value_kind:     hidden_block_count_y
      - .offset:         112
        .size:           4
        .value_kind:     hidden_block_count_z
      - .offset:         116
        .size:           2
        .value_kind:     hidden_group_size_x
      - .offset:         118
        .size:           2
        .value_kind:     hidden_group_size_y
      - .offset:         120
        .size:           2
        .value_kind:     hidden_group_size_z
      - .offset:         122
        .size:           2
        .value_kind:     hidden_remainder_x
      - .offset:         124
        .size:           2
        .value_kind:     hidden_remainder_y
      - .offset:         126
        .size:           2
        .value_kind:     hidden_remainder_z
      - .offset:         144
        .size:           8
        .value_kind:     hidden_global_offset_x
      - .offset:         152
        .size:           8
        .value_kind:     hidden_global_offset_y
      - .offset:         160
        .size:           8
        .value_kind:     hidden_global_offset_z
      - .offset:         168
        .size:           2
        .value_kind:     hidden_grid_dims
    .group_segment_fixed_size: 256
    .kernarg_segment_align: 8
    .kernarg_segment_size: 360
    .language:       OpenCL C
    .language_version:
      - 2
      - 0
    .max_flat_workgroup_size: 256
    .name:           _ZL23rocblas_gemvt_sn_kernelILb0ELi256ELi4EldPKddEviiT4_lPKT3_lilS5_lilPT5_i
    .private_segment_fixed_size: 0
    .sgpr_count:     62
    .sgpr_spill_count: 0
    .symbol:         _ZL23rocblas_gemvt_sn_kernelILb0ELi256ELi4EldPKddEviiT4_lPKT3_lilS5_lilPT5_i.kd
    .uniform_work_group_size: 1
    .uses_dynamic_stack: false
    .vgpr_count:     75
    .vgpr_spill_count: 0
    .wavefront_size: 32
    .workgroup_processor_mode: 1
  - .args:
      - .offset:         0
        .size:           4
        .value_kind:     by_value
      - .address_space:  global
        .offset:         8
        .size:           8
        .value_kind:     global_buffer
      - .offset:         16
        .size:           8
        .value_kind:     by_value
      - .address_space:  global
        .offset:         24
        .size:           8
        .value_kind:     global_buffer
      - .offset:         32
        .size:           8
        .value_kind:     by_value
      - .offset:         40
        .size:           4
        .value_kind:     by_value
      - .offset:         48
        .size:           8
        .value_kind:     by_value
      - .actual_access:  read_only
        .address_space:  global
        .offset:         56
        .size:           8
        .value_kind:     global_buffer
      - .offset:         64
        .size:           4
        .value_kind:     by_value
      - .offset:         72
        .size:           4
        .value_kind:     hidden_block_count_x
      - .offset:         76
        .size:           4
        .value_kind:     hidden_block_count_y
      - .offset:         80
        .size:           4
        .value_kind:     hidden_block_count_z
      - .offset:         84
        .size:           2
        .value_kind:     hidden_group_size_x
      - .offset:         86
        .size:           2
        .value_kind:     hidden_group_size_y
      - .offset:         88
        .size:           2
        .value_kind:     hidden_group_size_z
      - .offset:         90
        .size:           2
        .value_kind:     hidden_remainder_x
      - .offset:         92
        .size:           2
        .value_kind:     hidden_remainder_y
      - .offset:         94
        .size:           2
        .value_kind:     hidden_remainder_z
      - .offset:         112
        .size:           8
        .value_kind:     hidden_global_offset_x
      - .offset:         120
        .size:           8
        .value_kind:     hidden_global_offset_y
      - .offset:         128
        .size:           8
        .value_kind:     hidden_global_offset_z
      - .offset:         136
        .size:           2
        .value_kind:     hidden_grid_dims
    .group_segment_fixed_size: 256
    .kernarg_segment_align: 8
    .kernarg_segment_size: 328
    .language:       OpenCL C
    .language_version:
      - 2
      - 0
    .max_flat_workgroup_size: 256
    .name:           _ZL23rocblas_gemvt_sn_reduceILi256ELi8EdPKddEviT2_lPT3_lilPT1_i
    .private_segment_fixed_size: 0
    .sgpr_count:     24
    .sgpr_spill_count: 0
    .symbol:         _ZL23rocblas_gemvt_sn_reduceILi256ELi8EdPKddEviT2_lPT3_lilPT1_i.kd
    .uniform_work_group_size: 1
    .uses_dynamic_stack: false
    .vgpr_count:     22
    .vgpr_spill_count: 0
    .wavefront_size: 32
    .workgroup_processor_mode: 1
  - .args:
      - .offset:         0
        .size:           4
        .value_kind:     by_value
      - .offset:         4
        .size:           4
        .value_kind:     by_value
      - .offset:         8
        .size:           8
        .value_kind:     by_value
      - .offset:         16
        .size:           8
        .value_kind:     by_value
      - .address_space:  global
        .offset:         24
        .size:           8
        .value_kind:     global_buffer
      - .offset:         32
        .size:           8
        .value_kind:     by_value
      - .offset:         40
        .size:           4
        .value_kind:     by_value
      - .offset:         48
        .size:           8
        .value_kind:     by_value
      - .address_space:  global
        .offset:         56
        .size:           8
        .value_kind:     global_buffer
      - .offset:         64
        .size:           8
        .value_kind:     by_value
      - .offset:         72
        .size:           4
        .value_kind:     by_value
      - .offset:         80
        .size:           8
        .value_kind:     by_value
      - .address_space:  global
        .offset:         88
        .size:           8
        .value_kind:     global_buffer
      - .offset:         96
        .size:           4
        .value_kind:     by_value
      - .offset:         104
        .size:           4
        .value_kind:     hidden_block_count_x
      - .offset:         108
        .size:           4
        .value_kind:     hidden_block_count_y
      - .offset:         112
        .size:           4
        .value_kind:     hidden_block_count_z
      - .offset:         116
        .size:           2
        .value_kind:     hidden_group_size_x
      - .offset:         118
        .size:           2
        .value_kind:     hidden_group_size_y
      - .offset:         120
        .size:           2
        .value_kind:     hidden_group_size_z
      - .offset:         122
        .size:           2
        .value_kind:     hidden_remainder_x
      - .offset:         124
        .size:           2
        .value_kind:     hidden_remainder_y
      - .offset:         126
        .size:           2
        .value_kind:     hidden_remainder_z
      - .offset:         144
        .size:           8
        .value_kind:     hidden_global_offset_x
      - .offset:         152
        .size:           8
        .value_kind:     hidden_global_offset_y
      - .offset:         160
        .size:           8
        .value_kind:     hidden_global_offset_z
      - .offset:         168
        .size:           2
        .value_kind:     hidden_grid_dims
    .group_segment_fixed_size: 256
    .kernarg_segment_align: 8
    .kernarg_segment_size: 360
    .language:       OpenCL C
    .language_version:
      - 2
      - 0
    .max_flat_workgroup_size: 256
    .name:           _ZL23rocblas_gemvt_sn_kernelILb0ELi256ELi4EidddEviiT4_lPKT3_lilS3_lilPT5_i
    .private_segment_fixed_size: 0
    .sgpr_count:     54
    .sgpr_spill_count: 0
    .symbol:         _ZL23rocblas_gemvt_sn_kernelILb0ELi256ELi4EidddEviiT4_lPKT3_lilS3_lilPT5_i.kd
    .uniform_work_group_size: 1
    .uses_dynamic_stack: false
    .vgpr_count:     71
    .vgpr_spill_count: 0
    .wavefront_size: 32
    .workgroup_processor_mode: 1
  - .args:
      - .offset:         0
        .size:           4
        .value_kind:     by_value
      - .offset:         4
        .size:           4
        .value_kind:     by_value
      - .offset:         8
        .size:           8
        .value_kind:     by_value
      - .offset:         16
        .size:           8
        .value_kind:     by_value
      - .address_space:  global
        .offset:         24
        .size:           8
        .value_kind:     global_buffer
      - .offset:         32
        .size:           8
        .value_kind:     by_value
      - .offset:         40
        .size:           4
        .value_kind:     by_value
      - .offset:         48
        .size:           8
        .value_kind:     by_value
      - .address_space:  global
        .offset:         56
        .size:           8
        .value_kind:     global_buffer
      - .offset:         64
        .size:           8
        .value_kind:     by_value
      - .offset:         72
        .size:           4
        .value_kind:     by_value
      - .offset:         80
        .size:           8
        .value_kind:     by_value
      - .address_space:  global
        .offset:         88
        .size:           8
        .value_kind:     global_buffer
      - .offset:         96
        .size:           4
        .value_kind:     by_value
      - .offset:         104
        .size:           4
        .value_kind:     hidden_block_count_x
      - .offset:         108
        .size:           4
        .value_kind:     hidden_block_count_y
      - .offset:         112
        .size:           4
        .value_kind:     hidden_block_count_z
      - .offset:         116
        .size:           2
        .value_kind:     hidden_group_size_x
      - .offset:         118
        .size:           2
        .value_kind:     hidden_group_size_y
      - .offset:         120
        .size:           2
        .value_kind:     hidden_group_size_z
      - .offset:         122
        .size:           2
        .value_kind:     hidden_remainder_x
      - .offset:         124
        .size:           2
        .value_kind:     hidden_remainder_y
      - .offset:         126
        .size:           2
        .value_kind:     hidden_remainder_z
      - .offset:         144
        .size:           8
        .value_kind:     hidden_global_offset_x
      - .offset:         152
        .size:           8
        .value_kind:     hidden_global_offset_y
      - .offset:         160
        .size:           8
        .value_kind:     hidden_global_offset_z
      - .offset:         168
        .size:           2
        .value_kind:     hidden_grid_dims
    .group_segment_fixed_size: 256
    .kernarg_segment_align: 8
    .kernarg_segment_size: 360
    .language:       OpenCL C
    .language_version:
      - 2
      - 0
    .max_flat_workgroup_size: 256
    .name:           _ZL23rocblas_gemvt_sn_kernelILb0ELi256ELi4EldddEviiT4_lPKT3_lilS3_lilPT5_i
    .private_segment_fixed_size: 0
    .sgpr_count:     62
    .sgpr_spill_count: 0
    .symbol:         _ZL23rocblas_gemvt_sn_kernelILb0ELi256ELi4EldddEviiT4_lPKT3_lilS3_lilPT5_i.kd
    .uniform_work_group_size: 1
    .uses_dynamic_stack: false
    .vgpr_count:     75
    .vgpr_spill_count: 0
    .wavefront_size: 32
    .workgroup_processor_mode: 1
  - .args:
      - .offset:         0
        .size:           4
        .value_kind:     by_value
      - .offset:         8
        .size:           8
        .value_kind:     by_value
      - .offset:         16
        .size:           8
        .value_kind:     by_value
      - .address_space:  global
        .offset:         24
        .size:           8
        .value_kind:     global_buffer
      - .offset:         32
        .size:           8
        .value_kind:     by_value
      - .offset:         40
        .size:           4
        .value_kind:     by_value
      - .offset:         48
        .size:           8
        .value_kind:     by_value
      - .actual_access:  read_only
        .address_space:  global
        .offset:         56
        .size:           8
        .value_kind:     global_buffer
      - .offset:         64
        .size:           4
        .value_kind:     by_value
      - .offset:         72
        .size:           4
        .value_kind:     hidden_block_count_x
      - .offset:         76
        .size:           4
        .value_kind:     hidden_block_count_y
      - .offset:         80
        .size:           4
        .value_kind:     hidden_block_count_z
      - .offset:         84
        .size:           2
        .value_kind:     hidden_group_size_x
      - .offset:         86
        .size:           2
        .value_kind:     hidden_group_size_y
      - .offset:         88
        .size:           2
        .value_kind:     hidden_group_size_z
      - .offset:         90
        .size:           2
        .value_kind:     hidden_remainder_x
      - .offset:         92
        .size:           2
        .value_kind:     hidden_remainder_y
      - .offset:         94
        .size:           2
        .value_kind:     hidden_remainder_z
      - .offset:         112
        .size:           8
        .value_kind:     hidden_global_offset_x
      - .offset:         120
        .size:           8
        .value_kind:     hidden_global_offset_y
      - .offset:         128
        .size:           8
        .value_kind:     hidden_global_offset_z
      - .offset:         136
        .size:           2
        .value_kind:     hidden_grid_dims
    .group_segment_fixed_size: 256
    .kernarg_segment_align: 8
    .kernarg_segment_size: 328
    .language:       OpenCL C
    .language_version:
      - 2
      - 0
    .max_flat_workgroup_size: 256
    .name:           _ZL23rocblas_gemvt_sn_reduceILi256ELi8EdddEviT2_lPT3_lilPT1_i
    .private_segment_fixed_size: 0
    .sgpr_count:     18
    .sgpr_spill_count: 0
    .symbol:         _ZL23rocblas_gemvt_sn_reduceILi256ELi8EdddEviT2_lPT3_lilPT1_i.kd
    .uniform_work_group_size: 1
    .uses_dynamic_stack: false
    .vgpr_count:     22
    .vgpr_spill_count: 0
    .wavefront_size: 32
    .workgroup_processor_mode: 1
  - .args:
      - .offset:         0
        .size:           4
        .value_kind:     by_value
      - .offset:         4
        .size:           4
        .value_kind:     by_value
      - .address_space:  global
        .offset:         8
        .size:           8
        .value_kind:     global_buffer
      - .offset:         16
        .size:           8
        .value_kind:     by_value
      - .address_space:  global
        .offset:         24
        .size:           8
        .value_kind:     global_buffer
      - .offset:         32
        .size:           8
        .value_kind:     by_value
      - .offset:         40
        .size:           4
        .value_kind:     by_value
      - .offset:         48
        .size:           8
        .value_kind:     by_value
      - .address_space:  global
        .offset:         56
        .size:           8
        .value_kind:     global_buffer
      - .offset:         64
        .size:           8
        .value_kind:     by_value
      - .offset:         72
        .size:           4
        .value_kind:     by_value
      - .offset:         80
        .size:           8
        .value_kind:     by_value
      - .address_space:  global
        .offset:         88
        .size:           8
        .value_kind:     global_buffer
      - .offset:         96
        .size:           8
        .value_kind:     by_value
      - .offset:         104
        .size:           4
        .value_kind:     by_value
      - .offset:         112
        .size:           8
        .value_kind:     by_value
      - .offset:         120
        .size:           4
        .value_kind:     by_value
      - .offset:         128
        .size:           4
        .value_kind:     hidden_block_count_x
      - .offset:         132
        .size:           4
        .value_kind:     hidden_block_count_y
      - .offset:         136
        .size:           4
        .value_kind:     hidden_block_count_z
      - .offset:         140
        .size:           2
        .value_kind:     hidden_group_size_x
      - .offset:         142
        .size:           2
        .value_kind:     hidden_group_size_y
      - .offset:         144
        .size:           2
        .value_kind:     hidden_group_size_z
      - .offset:         146
        .size:           2
        .value_kind:     hidden_remainder_x
      - .offset:         148
        .size:           2
        .value_kind:     hidden_remainder_y
      - .offset:         150
        .size:           2
        .value_kind:     hidden_remainder_z
      - .offset:         168
        .size:           8
        .value_kind:     hidden_global_offset_x
      - .offset:         176
        .size:           8
        .value_kind:     hidden_global_offset_y
      - .offset:         184
        .size:           8
        .value_kind:     hidden_global_offset_z
      - .offset:         192
        .size:           2
        .value_kind:     hidden_grid_dims
    .group_segment_fixed_size: 65536
    .kernarg_segment_align: 8
    .kernarg_segment_size: 384
    .language:       OpenCL C
    .language_version:
      - 2
      - 0
    .max_flat_workgroup_size: 512
    .name:           _ZL36rocblas_gemvt_double_buffered_kernelILb0ELi128ELi4ELi16EdPKddEviiT4_lPKT3_lilS5_lilPT5_lili
    .private_segment_fixed_size: 0
    .sgpr_count:     38
    .sgpr_spill_count: 0
    .symbol:         _ZL36rocblas_gemvt_double_buffered_kernelILb0ELi128ELi4ELi16EdPKddEviiT4_lPKT3_lilS5_lilPT5_lili.kd
    .uniform_work_group_size: 1
    .uses_dynamic_stack: false
    .vgpr_count:     174
    .vgpr_spill_count: 0
    .wavefront_size: 32
    .workgroup_processor_mode: 1
  - .args:
      - .offset:         0
        .size:           4
        .value_kind:     by_value
      - .offset:         4
        .size:           4
        .value_kind:     by_value
      - .offset:         8
        .size:           8
        .value_kind:     by_value
      - .offset:         16
        .size:           8
        .value_kind:     by_value
      - .address_space:  global
        .offset:         24
        .size:           8
        .value_kind:     global_buffer
      - .offset:         32
        .size:           8
        .value_kind:     by_value
      - .offset:         40
        .size:           4
        .value_kind:     by_value
      - .offset:         48
        .size:           8
        .value_kind:     by_value
      - .address_space:  global
        .offset:         56
        .size:           8
        .value_kind:     global_buffer
      - .offset:         64
        .size:           8
        .value_kind:     by_value
      - .offset:         72
        .size:           4
        .value_kind:     by_value
      - .offset:         80
        .size:           8
        .value_kind:     by_value
      - .address_space:  global
        .offset:         88
        .size:           8
        .value_kind:     global_buffer
      - .offset:         96
        .size:           8
        .value_kind:     by_value
      - .offset:         104
        .size:           4
        .value_kind:     by_value
      - .offset:         112
        .size:           8
        .value_kind:     by_value
      - .offset:         120
        .size:           4
        .value_kind:     by_value
      - .offset:         128
        .size:           4
        .value_kind:     hidden_block_count_x
      - .offset:         132
        .size:           4
        .value_kind:     hidden_block_count_y
      - .offset:         136
        .size:           4
        .value_kind:     hidden_block_count_z
      - .offset:         140
        .size:           2
        .value_kind:     hidden_group_size_x
      - .offset:         142
        .size:           2
        .value_kind:     hidden_group_size_y
      - .offset:         144
        .size:           2
        .value_kind:     hidden_group_size_z
      - .offset:         146
        .size:           2
        .value_kind:     hidden_remainder_x
      - .offset:         148
        .size:           2
        .value_kind:     hidden_remainder_y
      - .offset:         150
        .size:           2
        .value_kind:     hidden_remainder_z
      - .offset:         168
        .size:           8
        .value_kind:     hidden_global_offset_x
      - .offset:         176
        .size:           8
        .value_kind:     hidden_global_offset_y
      - .offset:         184
        .size:           8
        .value_kind:     hidden_global_offset_z
      - .offset:         192
        .size:           2
        .value_kind:     hidden_grid_dims
    .group_segment_fixed_size: 65536
    .kernarg_segment_align: 8
    .kernarg_segment_size: 384
    .language:       OpenCL C
    .language_version:
      - 2
      - 0
    .max_flat_workgroup_size: 512
    .name:           _ZL36rocblas_gemvt_double_buffered_kernelILb0ELi128ELi4ELi16EdddEviiT4_lPKT3_lilS3_lilPT5_lili
    .private_segment_fixed_size: 0
    .sgpr_count:     38
    .sgpr_spill_count: 0
    .symbol:         _ZL36rocblas_gemvt_double_buffered_kernelILb0ELi128ELi4ELi16EdddEviiT4_lPKT3_lilS3_lilPT5_lili.kd
    .uniform_work_group_size: 1
    .uses_dynamic_stack: false
    .vgpr_count:     174
    .vgpr_spill_count: 0
    .wavefront_size: 32
    .workgroup_processor_mode: 1
  - .args:
      - .offset:         0
        .size:           4
        .value_kind:     by_value
      - .offset:         4
        .size:           4
        .value_kind:     by_value
      - .address_space:  global
        .offset:         8
        .size:           8
        .value_kind:     global_buffer
      - .offset:         16
        .size:           8
        .value_kind:     by_value
      - .address_space:  global
        .offset:         24
        .size:           8
        .value_kind:     global_buffer
      - .offset:         32
        .size:           8
        .value_kind:     by_value
      - .offset:         40
        .size:           4
        .value_kind:     by_value
      - .offset:         48
        .size:           8
        .value_kind:     by_value
      - .address_space:  global
        .offset:         56
        .size:           8
        .value_kind:     global_buffer
      - .offset:         64
        .size:           8
        .value_kind:     by_value
      - .offset:         72
        .size:           4
        .value_kind:     by_value
      - .offset:         80
        .size:           8
        .value_kind:     by_value
      - .address_space:  global
        .offset:         88
        .size:           8
        .value_kind:     global_buffer
      - .offset:         96
        .size:           8
        .value_kind:     by_value
      - .address_space:  global
        .offset:         104
        .size:           8
        .value_kind:     global_buffer
      - .offset:         112
        .size:           8
        .value_kind:     by_value
      - .offset:         120
        .size:           4
        .value_kind:     by_value
      - .offset:         128
        .size:           8
        .value_kind:     by_value
      - .offset:         136
        .size:           4
        .value_kind:     by_value
    .group_segment_fixed_size: 256
    .kernarg_segment_align: 8
    .kernarg_segment_size: 140
    .language:       OpenCL C
    .language_version:
      - 2
      - 0
    .max_flat_workgroup_size: 256
    .name:           _ZL32rocblas_gemvt_warp_reduce_kernelILb0ELi256EidPKddEviiT3_lPKT2_lT1_lS5_lS6_lS2_lPT4_lS6_li
    .private_segment_fixed_size: 0
    .sgpr_count:     30
    .sgpr_spill_count: 0
    .symbol:         _ZL32rocblas_gemvt_warp_reduce_kernelILb0ELi256EidPKddEviiT3_lPKT2_lT1_lS5_lS6_lS2_lPT4_lS6_li.kd
    .uniform_work_group_size: 1
    .uses_dynamic_stack: false
    .vgpr_count:     14
    .vgpr_spill_count: 0
    .wavefront_size: 32
    .workgroup_processor_mode: 1
  - .args:
      - .offset:         0
        .size:           4
        .value_kind:     by_value
      - .offset:         4
        .size:           4
        .value_kind:     by_value
      - .address_space:  global
        .offset:         8
        .size:           8
        .value_kind:     global_buffer
      - .offset:         16
        .size:           8
        .value_kind:     by_value
      - .address_space:  global
        .offset:         24
        .size:           8
        .value_kind:     global_buffer
      - .offset:         32
        .size:           8
        .value_kind:     by_value
      - .offset:         40
        .size:           8
        .value_kind:     by_value
      - .offset:         48
        .size:           8
        .value_kind:     by_value
      - .address_space:  global
        .offset:         56
        .size:           8
        .value_kind:     global_buffer
      - .offset:         64
        .size:           8
        .value_kind:     by_value
      - .offset:         72
        .size:           8
        .value_kind:     by_value
      - .offset:         80
        .size:           8
        .value_kind:     by_value
      - .address_space:  global
        .offset:         88
        .size:           8
        .value_kind:     global_buffer
      - .offset:         96
        .size:           8
        .value_kind:     by_value
      - .address_space:  global
        .offset:         104
        .size:           8
        .value_kind:     global_buffer
      - .offset:         112
        .size:           8
        .value_kind:     by_value
      - .offset:         120
        .size:           8
        .value_kind:     by_value
      - .offset:         128
        .size:           8
        .value_kind:     by_value
      - .offset:         136
        .size:           4
        .value_kind:     by_value
    .group_segment_fixed_size: 256
    .kernarg_segment_align: 8
    .kernarg_segment_size: 140
    .language:       OpenCL C
    .language_version:
      - 2
      - 0
    .max_flat_workgroup_size: 256
    .name:           _ZL32rocblas_gemvt_warp_reduce_kernelILb0ELi256EldPKddEviiT3_lPKT2_lT1_lS5_lS6_lS2_lPT4_lS6_li
    .private_segment_fixed_size: 0
    .sgpr_count:     54
    .sgpr_spill_count: 0
    .symbol:         _ZL32rocblas_gemvt_warp_reduce_kernelILb0ELi256EldPKddEviiT3_lPKT2_lT1_lS5_lS6_lS2_lPT4_lS6_li.kd
    .uniform_work_group_size: 1
    .uses_dynamic_stack: false
    .vgpr_count:     14
    .vgpr_spill_count: 0
    .wavefront_size: 32
    .workgroup_processor_mode: 1
  - .args:
      - .offset:         0
        .size:           4
        .value_kind:     by_value
      - .offset:         4
        .size:           4
        .value_kind:     by_value
      - .offset:         8
        .size:           8
        .value_kind:     by_value
      - .offset:         16
        .size:           8
        .value_kind:     by_value
      - .address_space:  global
        .offset:         24
        .size:           8
        .value_kind:     global_buffer
      - .offset:         32
        .size:           8
        .value_kind:     by_value
      - .offset:         40
        .size:           4
        .value_kind:     by_value
      - .offset:         48
        .size:           8
        .value_kind:     by_value
      - .address_space:  global
        .offset:         56
        .size:           8
        .value_kind:     global_buffer
      - .offset:         64
        .size:           8
        .value_kind:     by_value
      - .offset:         72
        .size:           4
        .value_kind:     by_value
      - .offset:         80
        .size:           8
        .value_kind:     by_value
      - .offset:         88
        .size:           8
        .value_kind:     by_value
      - .offset:         96
        .size:           8
        .value_kind:     by_value
      - .address_space:  global
        .offset:         104
        .size:           8
        .value_kind:     global_buffer
      - .offset:         112
        .size:           8
        .value_kind:     by_value
      - .offset:         120
        .size:           4
        .value_kind:     by_value
      - .offset:         128
        .size:           8
        .value_kind:     by_value
      - .offset:         136
        .size:           4
        .value_kind:     by_value
    .group_segment_fixed_size: 256
    .kernarg_segment_align: 8
    .kernarg_segment_size: 140
    .language:       OpenCL C
    .language_version:
      - 2
      - 0
    .max_flat_workgroup_size: 256
    .name:           _ZL32rocblas_gemvt_warp_reduce_kernelILb0ELi256EidddEviiT3_lPKT2_lT1_lS3_lS4_lS0_lPT4_lS4_li
    .private_segment_fixed_size: 0
    .sgpr_count:     30
    .sgpr_spill_count: 0
    .symbol:         _ZL32rocblas_gemvt_warp_reduce_kernelILb0ELi256EidddEviiT3_lPKT2_lT1_lS3_lS4_lS0_lPT4_lS4_li.kd
    .uniform_work_group_size: 1
    .uses_dynamic_stack: false
    .vgpr_count:     14
    .vgpr_spill_count: 0
    .wavefront_size: 32
    .workgroup_processor_mode: 1
  - .args:
      - .offset:         0
        .size:           4
        .value_kind:     by_value
      - .offset:         4
        .size:           4
        .value_kind:     by_value
      - .offset:         8
        .size:           8
        .value_kind:     by_value
      - .offset:         16
        .size:           8
        .value_kind:     by_value
      - .address_space:  global
        .offset:         24
        .size:           8
        .value_kind:     global_buffer
      - .offset:         32
        .size:           8
        .value_kind:     by_value
      - .offset:         40
        .size:           8
        .value_kind:     by_value
      - .offset:         48
        .size:           8
        .value_kind:     by_value
      - .address_space:  global
        .offset:         56
        .size:           8
        .value_kind:     global_buffer
      - .offset:         64
        .size:           8
        .value_kind:     by_value
      - .offset:         72
        .size:           8
        .value_kind:     by_value
      - .offset:         80
        .size:           8
        .value_kind:     by_value
      - .offset:         88
        .size:           8
        .value_kind:     by_value
      - .offset:         96
        .size:           8
        .value_kind:     by_value
      - .address_space:  global
        .offset:         104
        .size:           8
        .value_kind:     global_buffer
      - .offset:         112
        .size:           8
        .value_kind:     by_value
      - .offset:         120
        .size:           8
        .value_kind:     by_value
      - .offset:         128
        .size:           8
        .value_kind:     by_value
      - .offset:         136
        .size:           4
        .value_kind:     by_value
    .group_segment_fixed_size: 256
    .kernarg_segment_align: 8
    .kernarg_segment_size: 140
    .language:       OpenCL C
    .language_version:
      - 2
      - 0
    .max_flat_workgroup_size: 256
    .name:           _ZL32rocblas_gemvt_warp_reduce_kernelILb0ELi256EldddEviiT3_lPKT2_lT1_lS3_lS4_lS0_lPT4_lS4_li
    .private_segment_fixed_size: 0
    .sgpr_count:     38
    .sgpr_spill_count: 0
    .symbol:         _ZL32rocblas_gemvt_warp_reduce_kernelILb0ELi256EldddEviiT3_lPKT2_lT1_lS3_lS4_lS0_lPT4_lS4_li.kd
    .uniform_work_group_size: 1
    .uses_dynamic_stack: false
    .vgpr_count:     14
    .vgpr_spill_count: 0
    .wavefront_size: 32
    .workgroup_processor_mode: 1
  - .args:
      - .offset:         0
        .size:           4
        .value_kind:     by_value
      - .offset:         4
        .size:           4
        .value_kind:     by_value
      - .address_space:  global
        .offset:         8
        .size:           8
        .value_kind:     global_buffer
      - .offset:         16
        .size:           8
        .value_kind:     by_value
      - .address_space:  global
        .offset:         24
        .size:           8
        .value_kind:     global_buffer
      - .offset:         32
        .size:           8
        .value_kind:     by_value
      - .offset:         40
        .size:           4
        .value_kind:     by_value
      - .offset:         48
        .size:           8
        .value_kind:     by_value
      - .address_space:  global
        .offset:         56
        .size:           8
        .value_kind:     global_buffer
      - .offset:         64
        .size:           8
        .value_kind:     by_value
      - .offset:         72
        .size:           4
        .value_kind:     by_value
      - .offset:         80
        .size:           8
        .value_kind:     by_value
      - .address_space:  global
        .offset:         88
        .size:           8
        .value_kind:     global_buffer
      - .offset:         96
        .size:           8
        .value_kind:     by_value
      - .address_space:  global
        .offset:         104
        .size:           8
        .value_kind:     global_buffer
      - .offset:         112
        .size:           8
        .value_kind:     by_value
      - .offset:         120
        .size:           4
        .value_kind:     by_value
      - .offset:         128
        .size:           8
        .value_kind:     by_value
      - .offset:         136
        .size:           4
        .value_kind:     by_value
    .group_segment_fixed_size: 2048
    .kernarg_segment_align: 8
    .kernarg_segment_size: 140
    .language:       OpenCL C
    .language_version:
      - 2
      - 0
    .max_flat_workgroup_size: 256
    .name:           _ZL20rocblas_gemvt_kernelILb0ELi256EdPKddEviiT2_lPKT1_lilS5_lilS2_lPT3_lili
    .private_segment_fixed_size: 0
    .sgpr_count:     30
    .sgpr_spill_count: 0
    .symbol:         _ZL20rocblas_gemvt_kernelILb0ELi256EdPKddEviiT2_lPKT1_lilS5_lilS2_lPT3_lili.kd
    .uniform_work_group_size: 1
    .uses_dynamic_stack: false
    .vgpr_count:     13
    .vgpr_spill_count: 0
    .wavefront_size: 32
    .workgroup_processor_mode: 1
  - .args:
      - .offset:         0
        .size:           4
        .value_kind:     by_value
      - .offset:         4
        .size:           4
        .value_kind:     by_value
      - .offset:         8
        .size:           8
        .value_kind:     by_value
      - .offset:         16
        .size:           8
        .value_kind:     by_value
      - .address_space:  global
        .offset:         24
        .size:           8
        .value_kind:     global_buffer
      - .offset:         32
        .size:           8
        .value_kind:     by_value
      - .offset:         40
        .size:           4
        .value_kind:     by_value
      - .offset:         48
        .size:           8
        .value_kind:     by_value
      - .address_space:  global
        .offset:         56
        .size:           8
        .value_kind:     global_buffer
      - .offset:         64
        .size:           8
        .value_kind:     by_value
      - .offset:         72
        .size:           4
        .value_kind:     by_value
      - .offset:         80
        .size:           8
        .value_kind:     by_value
      - .offset:         88
        .size:           8
        .value_kind:     by_value
      - .offset:         96
        .size:           8
        .value_kind:     by_value
      - .address_space:  global
        .offset:         104
        .size:           8
        .value_kind:     global_buffer
      - .offset:         112
        .size:           8
        .value_kind:     by_value
      - .offset:         120
        .size:           4
        .value_kind:     by_value
      - .offset:         128
        .size:           8
        .value_kind:     by_value
      - .offset:         136
        .size:           4
        .value_kind:     by_value
    .group_segment_fixed_size: 2048
    .kernarg_segment_align: 8
    .kernarg_segment_size: 140
    .language:       OpenCL C
    .language_version:
      - 2
      - 0
    .max_flat_workgroup_size: 256
    .name:           _ZL20rocblas_gemvt_kernelILb0ELi256EdddEviiT2_lPKT1_lilS3_lilS0_lPT3_lili
    .private_segment_fixed_size: 0
    .sgpr_count:     30
    .sgpr_spill_count: 0
    .symbol:         _ZL20rocblas_gemvt_kernelILb0ELi256EdddEviiT2_lPKT1_lilS3_lilS0_lPT3_lili.kd
    .uniform_work_group_size: 1
    .uses_dynamic_stack: false
    .vgpr_count:     13
    .vgpr_spill_count: 0
    .wavefront_size: 32
    .workgroup_processor_mode: 1
  - .args:
      - .offset:         0
        .size:           4
        .value_kind:     by_value
      - .offset:         4
        .size:           4
        .value_kind:     by_value
      - .address_space:  global
        .offset:         8
        .size:           8
        .value_kind:     global_buffer
      - .offset:         16
        .size:           8
        .value_kind:     by_value
      - .address_space:  global
        .offset:         24
        .size:           8
        .value_kind:     global_buffer
      - .offset:         32
        .size:           8
        .value_kind:     by_value
      - .offset:         40
        .size:           4
        .value_kind:     by_value
      - .offset:         48
        .size:           8
        .value_kind:     by_value
      - .address_space:  global
        .offset:         56
        .size:           8
        .value_kind:     global_buffer
      - .offset:         64
        .size:           8
        .value_kind:     by_value
      - .offset:         72
        .size:           4
        .value_kind:     by_value
      - .offset:         80
        .size:           8
        .value_kind:     by_value
      - .address_space:  global
        .offset:         88
        .size:           8
        .value_kind:     global_buffer
      - .offset:         96
        .size:           8
        .value_kind:     by_value
      - .address_space:  global
        .offset:         104
        .size:           8
        .value_kind:     global_buffer
      - .offset:         112
        .size:           8
        .value_kind:     by_value
      - .offset:         120
        .size:           4
        .value_kind:     by_value
      - .offset:         128
        .size:           8
        .value_kind:     by_value
      - .offset:         136
        .size:           4
        .value_kind:     by_value
    .group_segment_fixed_size: 256
    .kernarg_segment_align: 8
    .kernarg_segment_size: 140
    .language:       OpenCL C
    .language_version:
      - 2
      - 0
    .max_flat_workgroup_size: 1024
    .name:           _ZL32rocblas_gemvt_warp_reduce_kernelILb0ELi1024EidPKddEviiT3_lPKT2_lT1_lS5_lS6_lS2_lPT4_lS6_li
    .private_segment_fixed_size: 0
    .sgpr_count:     30
    .sgpr_spill_count: 0
    .symbol:         _ZL32rocblas_gemvt_warp_reduce_kernelILb0ELi1024EidPKddEviiT3_lPKT2_lT1_lS5_lS6_lS2_lPT4_lS6_li.kd
    .uniform_work_group_size: 1
    .uses_dynamic_stack: false
    .vgpr_count:     14
    .vgpr_spill_count: 0
    .wavefront_size: 32
    .workgroup_processor_mode: 1
  - .args:
      - .offset:         0
        .size:           4
        .value_kind:     by_value
      - .offset:         4
        .size:           4
        .value_kind:     by_value
      - .address_space:  global
        .offset:         8
        .size:           8
        .value_kind:     global_buffer
      - .offset:         16
        .size:           8
        .value_kind:     by_value
      - .address_space:  global
        .offset:         24
        .size:           8
        .value_kind:     global_buffer
      - .offset:         32
        .size:           8
        .value_kind:     by_value
      - .offset:         40
        .size:           8
        .value_kind:     by_value
      - .offset:         48
        .size:           8
        .value_kind:     by_value
      - .address_space:  global
        .offset:         56
        .size:           8
        .value_kind:     global_buffer
      - .offset:         64
        .size:           8
        .value_kind:     by_value
      - .offset:         72
        .size:           8
        .value_kind:     by_value
      - .offset:         80
        .size:           8
        .value_kind:     by_value
      - .address_space:  global
        .offset:         88
        .size:           8
        .value_kind:     global_buffer
      - .offset:         96
        .size:           8
        .value_kind:     by_value
      - .address_space:  global
        .offset:         104
        .size:           8
        .value_kind:     global_buffer
      - .offset:         112
        .size:           8
        .value_kind:     by_value
      - .offset:         120
        .size:           8
        .value_kind:     by_value
      - .offset:         128
        .size:           8
        .value_kind:     by_value
      - .offset:         136
        .size:           4
        .value_kind:     by_value
    .group_segment_fixed_size: 256
    .kernarg_segment_align: 8
    .kernarg_segment_size: 140
    .language:       OpenCL C
    .language_version:
      - 2
      - 0
    .max_flat_workgroup_size: 1024
    .name:           _ZL32rocblas_gemvt_warp_reduce_kernelILb0ELi1024EldPKddEviiT3_lPKT2_lT1_lS5_lS6_lS2_lPT4_lS6_li
    .private_segment_fixed_size: 0
    .sgpr_count:     54
    .sgpr_spill_count: 0
    .symbol:         _ZL32rocblas_gemvt_warp_reduce_kernelILb0ELi1024EldPKddEviiT3_lPKT2_lT1_lS5_lS6_lS2_lPT4_lS6_li.kd
    .uniform_work_group_size: 1
    .uses_dynamic_stack: false
    .vgpr_count:     14
    .vgpr_spill_count: 0
    .wavefront_size: 32
    .workgroup_processor_mode: 1
  - .args:
      - .offset:         0
        .size:           4
        .value_kind:     by_value
      - .offset:         4
        .size:           4
        .value_kind:     by_value
      - .offset:         8
        .size:           8
        .value_kind:     by_value
      - .offset:         16
        .size:           8
        .value_kind:     by_value
      - .address_space:  global
        .offset:         24
        .size:           8
        .value_kind:     global_buffer
      - .offset:         32
        .size:           8
        .value_kind:     by_value
      - .offset:         40
        .size:           4
        .value_kind:     by_value
      - .offset:         48
        .size:           8
        .value_kind:     by_value
      - .address_space:  global
        .offset:         56
        .size:           8
        .value_kind:     global_buffer
      - .offset:         64
        .size:           8
        .value_kind:     by_value
      - .offset:         72
        .size:           4
        .value_kind:     by_value
      - .offset:         80
        .size:           8
        .value_kind:     by_value
      - .offset:         88
        .size:           8
        .value_kind:     by_value
      - .offset:         96
        .size:           8
        .value_kind:     by_value
      - .address_space:  global
        .offset:         104
        .size:           8
        .value_kind:     global_buffer
      - .offset:         112
        .size:           8
        .value_kind:     by_value
      - .offset:         120
        .size:           4
        .value_kind:     by_value
      - .offset:         128
        .size:           8
        .value_kind:     by_value
      - .offset:         136
        .size:           4
        .value_kind:     by_value
    .group_segment_fixed_size: 256
    .kernarg_segment_align: 8
    .kernarg_segment_size: 140
    .language:       OpenCL C
    .language_version:
      - 2
      - 0
    .max_flat_workgroup_size: 1024
    .name:           _ZL32rocblas_gemvt_warp_reduce_kernelILb0ELi1024EidddEviiT3_lPKT2_lT1_lS3_lS4_lS0_lPT4_lS4_li
    .private_segment_fixed_size: 0
    .sgpr_count:     30
    .sgpr_spill_count: 0
    .symbol:         _ZL32rocblas_gemvt_warp_reduce_kernelILb0ELi1024EidddEviiT3_lPKT2_lT1_lS3_lS4_lS0_lPT4_lS4_li.kd
    .uniform_work_group_size: 1
    .uses_dynamic_stack: false
    .vgpr_count:     14
    .vgpr_spill_count: 0
    .wavefront_size: 32
    .workgroup_processor_mode: 1
  - .args:
      - .offset:         0
        .size:           4
        .value_kind:     by_value
      - .offset:         4
        .size:           4
        .value_kind:     by_value
      - .offset:         8
        .size:           8
        .value_kind:     by_value
      - .offset:         16
        .size:           8
        .value_kind:     by_value
      - .address_space:  global
        .offset:         24
        .size:           8
        .value_kind:     global_buffer
      - .offset:         32
        .size:           8
        .value_kind:     by_value
      - .offset:         40
        .size:           8
        .value_kind:     by_value
      - .offset:         48
        .size:           8
        .value_kind:     by_value
      - .address_space:  global
        .offset:         56
        .size:           8
        .value_kind:     global_buffer
      - .offset:         64
        .size:           8
        .value_kind:     by_value
      - .offset:         72
        .size:           8
        .value_kind:     by_value
      - .offset:         80
        .size:           8
        .value_kind:     by_value
      - .offset:         88
        .size:           8
        .value_kind:     by_value
      - .offset:         96
        .size:           8
        .value_kind:     by_value
      - .address_space:  global
        .offset:         104
        .size:           8
        .value_kind:     global_buffer
      - .offset:         112
        .size:           8
        .value_kind:     by_value
      - .offset:         120
        .size:           8
        .value_kind:     by_value
      - .offset:         128
        .size:           8
        .value_kind:     by_value
      - .offset:         136
        .size:           4
        .value_kind:     by_value
    .group_segment_fixed_size: 256
    .kernarg_segment_align: 8
    .kernarg_segment_size: 140
    .language:       OpenCL C
    .language_version:
      - 2
      - 0
    .max_flat_workgroup_size: 1024
    .name:           _ZL32rocblas_gemvt_warp_reduce_kernelILb0ELi1024EldddEviiT3_lPKT2_lT1_lS3_lS4_lS0_lPT4_lS4_li
    .private_segment_fixed_size: 0
    .sgpr_count:     38
    .sgpr_spill_count: 0
    .symbol:         _ZL32rocblas_gemvt_warp_reduce_kernelILb0ELi1024EldddEviiT3_lPKT2_lT1_lS3_lS4_lS0_lPT4_lS4_li.kd
    .uniform_work_group_size: 1
    .uses_dynamic_stack: false
    .vgpr_count:     14
    .vgpr_spill_count: 0
    .wavefront_size: 32
    .workgroup_processor_mode: 1
  - .args:
      - .offset:         0
        .size:           4
        .value_kind:     by_value
      - .offset:         4
        .size:           4
        .value_kind:     by_value
      - .address_space:  global
        .offset:         8
        .size:           8
        .value_kind:     global_buffer
      - .offset:         16
        .size:           8
        .value_kind:     by_value
      - .address_space:  global
        .offset:         24
        .size:           8
        .value_kind:     global_buffer
      - .offset:         32
        .size:           8
        .value_kind:     by_value
      - .offset:         40
        .size:           4
        .value_kind:     by_value
      - .offset:         48
        .size:           8
        .value_kind:     by_value
      - .address_space:  global
        .offset:         56
        .size:           8
        .value_kind:     global_buffer
      - .offset:         64
        .size:           8
        .value_kind:     by_value
      - .offset:         72
        .size:           4
        .value_kind:     by_value
      - .offset:         80
        .size:           8
        .value_kind:     by_value
      - .address_space:  global
        .offset:         88
        .size:           8
        .value_kind:     global_buffer
      - .offset:         96
        .size:           8
        .value_kind:     by_value
      - .address_space:  global
        .offset:         104
        .size:           8
        .value_kind:     global_buffer
      - .offset:         112
        .size:           8
        .value_kind:     by_value
      - .offset:         120
        .size:           4
        .value_kind:     by_value
      - .offset:         128
        .size:           8
        .value_kind:     by_value
    .group_segment_fixed_size: 512
    .kernarg_segment_align: 8
    .kernarg_segment_size: 136
    .language:       OpenCL C
    .language_version:
      - 2
      - 0
    .max_flat_workgroup_size: 256
    .name:           _ZL22rocblas_gemvtsm_kernelILb1ELi256EdPKddEviiT2_lPKT1_lilS5_lilS2_lPT3_lil
    .private_segment_fixed_size: 0
    .sgpr_count:     33
    .sgpr_spill_count: 0
    .symbol:         _ZL22rocblas_gemvtsm_kernelILb1ELi256EdPKddEviiT2_lPKT1_lilS5_lilS2_lPT3_lil.kd
    .uniform_work_group_size: 1
    .uses_dynamic_stack: false
    .vgpr_count:     36
    .vgpr_spill_count: 0
    .wavefront_size: 32
    .workgroup_processor_mode: 1
  - .args:
      - .offset:         0
        .size:           4
        .value_kind:     by_value
      - .offset:         4
        .size:           4
        .value_kind:     by_value
      - .offset:         8
        .size:           8
        .value_kind:     by_value
      - .offset:         16
        .size:           8
        .value_kind:     by_value
      - .address_space:  global
        .offset:         24
        .size:           8
        .value_kind:     global_buffer
      - .offset:         32
        .size:           8
        .value_kind:     by_value
      - .offset:         40
        .size:           4
        .value_kind:     by_value
      - .offset:         48
        .size:           8
        .value_kind:     by_value
      - .address_space:  global
        .offset:         56
        .size:           8
        .value_kind:     global_buffer
      - .offset:         64
        .size:           8
        .value_kind:     by_value
      - .offset:         72
        .size:           4
        .value_kind:     by_value
      - .offset:         80
        .size:           8
        .value_kind:     by_value
      - .offset:         88
        .size:           8
        .value_kind:     by_value
      - .offset:         96
        .size:           8
        .value_kind:     by_value
      - .address_space:  global
        .offset:         104
        .size:           8
        .value_kind:     global_buffer
      - .offset:         112
        .size:           8
        .value_kind:     by_value
      - .offset:         120
        .size:           4
        .value_kind:     by_value
      - .offset:         128
        .size:           8
        .value_kind:     by_value
    .group_segment_fixed_size: 512
    .kernarg_segment_align: 8
    .kernarg_segment_size: 136
    .language:       OpenCL C
    .language_version:
      - 2
      - 0
    .max_flat_workgroup_size: 256
    .name:           _ZL22rocblas_gemvtsm_kernelILb1ELi256EdddEviiT2_lPKT1_lilS3_lilS0_lPT3_lil
    .private_segment_fixed_size: 0
    .sgpr_count:     29
    .sgpr_spill_count: 0
    .symbol:         _ZL22rocblas_gemvtsm_kernelILb1ELi256EdddEviiT2_lPKT1_lilS3_lilS0_lPT3_lil.kd
    .uniform_work_group_size: 1
    .uses_dynamic_stack: false
    .vgpr_count:     36
    .vgpr_spill_count: 0
    .wavefront_size: 32
    .workgroup_processor_mode: 1
  - .args:
      - .offset:         0
        .size:           4
        .value_kind:     by_value
      - .offset:         4
        .size:           4
        .value_kind:     by_value
      - .address_space:  global
        .offset:         8
        .size:           8
        .value_kind:     global_buffer
      - .offset:         16
        .size:           8
        .value_kind:     by_value
      - .address_space:  global
        .offset:         24
        .size:           8
        .value_kind:     global_buffer
      - .offset:         32
        .size:           8
        .value_kind:     by_value
      - .offset:         40
        .size:           4
        .value_kind:     by_value
      - .offset:         48
        .size:           8
        .value_kind:     by_value
      - .address_space:  global
        .offset:         56
        .size:           8
        .value_kind:     global_buffer
      - .offset:         64
        .size:           8
        .value_kind:     by_value
      - .offset:         72
        .size:           4
        .value_kind:     by_value
      - .offset:         80
        .size:           8
        .value_kind:     by_value
      - .address_space:  global
        .offset:         88
        .size:           8
        .value_kind:     global_buffer
      - .offset:         96
        .size:           4
        .value_kind:     by_value
      - .offset:         104
        .size:           4
        .value_kind:     hidden_block_count_x
      - .offset:         108
        .size:           4
        .value_kind:     hidden_block_count_y
      - .offset:         112
        .size:           4
        .value_kind:     hidden_block_count_z
      - .offset:         116
        .size:           2
        .value_kind:     hidden_group_size_x
      - .offset:         118
        .size:           2
        .value_kind:     hidden_group_size_y
      - .offset:         120
        .size:           2
        .value_kind:     hidden_group_size_z
      - .offset:         122
        .size:           2
        .value_kind:     hidden_remainder_x
      - .offset:         124
        .size:           2
        .value_kind:     hidden_remainder_y
      - .offset:         126
        .size:           2
        .value_kind:     hidden_remainder_z
      - .offset:         144
        .size:           8
        .value_kind:     hidden_global_offset_x
      - .offset:         152
        .size:           8
        .value_kind:     hidden_global_offset_y
      - .offset:         160
        .size:           8
        .value_kind:     hidden_global_offset_z
      - .offset:         168
        .size:           2
        .value_kind:     hidden_grid_dims
    .group_segment_fixed_size: 256
    .kernarg_segment_align: 8
    .kernarg_segment_size: 360
    .language:       OpenCL C
    .language_version:
      - 2
      - 0
    .max_flat_workgroup_size: 256
    .name:           _ZL23rocblas_gemvt_sn_kernelILb1ELi256ELi4EidPKddEviiT4_lPKT3_lilS5_lilPT5_i
    .private_segment_fixed_size: 0
    .sgpr_count:     54
    .sgpr_spill_count: 0
    .symbol:         _ZL23rocblas_gemvt_sn_kernelILb1ELi256ELi4EidPKddEviiT4_lPKT3_lilS5_lilPT5_i.kd
    .uniform_work_group_size: 1
    .uses_dynamic_stack: false
    .vgpr_count:     71
    .vgpr_spill_count: 0
    .wavefront_size: 32
    .workgroup_processor_mode: 1
  - .args:
      - .offset:         0
        .size:           4
        .value_kind:     by_value
      - .offset:         4
        .size:           4
        .value_kind:     by_value
      - .address_space:  global
        .offset:         8
        .size:           8
        .value_kind:     global_buffer
      - .offset:         16
        .size:           8
        .value_kind:     by_value
      - .address_space:  global
        .offset:         24
        .size:           8
        .value_kind:     global_buffer
      - .offset:         32
        .size:           8
        .value_kind:     by_value
      - .offset:         40
        .size:           4
        .value_kind:     by_value
      - .offset:         48
        .size:           8
        .value_kind:     by_value
      - .address_space:  global
        .offset:         56
        .size:           8
        .value_kind:     global_buffer
      - .offset:         64
        .size:           8
        .value_kind:     by_value
      - .offset:         72
        .size:           4
        .value_kind:     by_value
      - .offset:         80
        .size:           8
        .value_kind:     by_value
      - .address_space:  global
        .offset:         88
        .size:           8
        .value_kind:     global_buffer
      - .offset:         96
        .size:           4
        .value_kind:     by_value
      - .offset:         104
        .size:           4
        .value_kind:     hidden_block_count_x
      - .offset:         108
        .size:           4
        .value_kind:     hidden_block_count_y
      - .offset:         112
        .size:           4
        .value_kind:     hidden_block_count_z
      - .offset:         116
        .size:           2
        .value_kind:     hidden_group_size_x
      - .offset:         118
        .size:           2
        .value_kind:     hidden_group_size_y
      - .offset:         120
        .size:           2
        .value_kind:     hidden_group_size_z
      - .offset:         122
        .size:           2
        .value_kind:     hidden_remainder_x
      - .offset:         124
        .size:           2
        .value_kind:     hidden_remainder_y
      - .offset:         126
        .size:           2
        .value_kind:     hidden_remainder_z
      - .offset:         144
        .size:           8
        .value_kind:     hidden_global_offset_x
      - .offset:         152
        .size:           8
        .value_kind:     hidden_global_offset_y
      - .offset:         160
        .size:           8
        .value_kind:     hidden_global_offset_z
      - .offset:         168
        .size:           2
        .value_kind:     hidden_grid_dims
    .group_segment_fixed_size: 256
    .kernarg_segment_align: 8
    .kernarg_segment_size: 360
    .language:       OpenCL C
    .language_version:
      - 2
      - 0
    .max_flat_workgroup_size: 256
    .name:           _ZL23rocblas_gemvt_sn_kernelILb1ELi256ELi4EldPKddEviiT4_lPKT3_lilS5_lilPT5_i
    .private_segment_fixed_size: 0
    .sgpr_count:     62
    .sgpr_spill_count: 0
    .symbol:         _ZL23rocblas_gemvt_sn_kernelILb1ELi256ELi4EldPKddEviiT4_lPKT3_lilS5_lilPT5_i.kd
    .uniform_work_group_size: 1
    .uses_dynamic_stack: false
    .vgpr_count:     75
    .vgpr_spill_count: 0
    .wavefront_size: 32
    .workgroup_processor_mode: 1
  - .args:
      - .offset:         0
        .size:           4
        .value_kind:     by_value
      - .offset:         4
        .size:           4
        .value_kind:     by_value
      - .offset:         8
        .size:           8
        .value_kind:     by_value
      - .offset:         16
        .size:           8
        .value_kind:     by_value
      - .address_space:  global
        .offset:         24
        .size:           8
        .value_kind:     global_buffer
      - .offset:         32
        .size:           8
        .value_kind:     by_value
      - .offset:         40
        .size:           4
        .value_kind:     by_value
      - .offset:         48
        .size:           8
        .value_kind:     by_value
      - .address_space:  global
        .offset:         56
        .size:           8
        .value_kind:     global_buffer
      - .offset:         64
        .size:           8
        .value_kind:     by_value
      - .offset:         72
        .size:           4
        .value_kind:     by_value
      - .offset:         80
        .size:           8
        .value_kind:     by_value
      - .address_space:  global
        .offset:         88
        .size:           8
        .value_kind:     global_buffer
      - .offset:         96
        .size:           4
        .value_kind:     by_value
      - .offset:         104
        .size:           4
        .value_kind:     hidden_block_count_x
      - .offset:         108
        .size:           4
        .value_kind:     hidden_block_count_y
      - .offset:         112
        .size:           4
        .value_kind:     hidden_block_count_z
      - .offset:         116
        .size:           2
        .value_kind:     hidden_group_size_x
      - .offset:         118
        .size:           2
        .value_kind:     hidden_group_size_y
      - .offset:         120
        .size:           2
        .value_kind:     hidden_group_size_z
      - .offset:         122
        .size:           2
        .value_kind:     hidden_remainder_x
      - .offset:         124
        .size:           2
        .value_kind:     hidden_remainder_y
      - .offset:         126
        .size:           2
        .value_kind:     hidden_remainder_z
      - .offset:         144
        .size:           8
        .value_kind:     hidden_global_offset_x
      - .offset:         152
        .size:           8
        .value_kind:     hidden_global_offset_y
      - .offset:         160
        .size:           8
        .value_kind:     hidden_global_offset_z
      - .offset:         168
        .size:           2
        .value_kind:     hidden_grid_dims
    .group_segment_fixed_size: 256
    .kernarg_segment_align: 8
    .kernarg_segment_size: 360
    .language:       OpenCL C
    .language_version:
      - 2
      - 0
    .max_flat_workgroup_size: 256
    .name:           _ZL23rocblas_gemvt_sn_kernelILb1ELi256ELi4EidddEviiT4_lPKT3_lilS3_lilPT5_i
    .private_segment_fixed_size: 0
    .sgpr_count:     54
    .sgpr_spill_count: 0
    .symbol:         _ZL23rocblas_gemvt_sn_kernelILb1ELi256ELi4EidddEviiT4_lPKT3_lilS3_lilPT5_i.kd
    .uniform_work_group_size: 1
    .uses_dynamic_stack: false
    .vgpr_count:     71
    .vgpr_spill_count: 0
    .wavefront_size: 32
    .workgroup_processor_mode: 1
  - .args:
      - .offset:         0
        .size:           4
        .value_kind:     by_value
      - .offset:         4
        .size:           4
        .value_kind:     by_value
      - .offset:         8
        .size:           8
        .value_kind:     by_value
      - .offset:         16
        .size:           8
        .value_kind:     by_value
      - .address_space:  global
        .offset:         24
        .size:           8
        .value_kind:     global_buffer
      - .offset:         32
        .size:           8
        .value_kind:     by_value
      - .offset:         40
        .size:           4
        .value_kind:     by_value
      - .offset:         48
        .size:           8
        .value_kind:     by_value
      - .address_space:  global
        .offset:         56
        .size:           8
        .value_kind:     global_buffer
      - .offset:         64
        .size:           8
        .value_kind:     by_value
      - .offset:         72
        .size:           4
        .value_kind:     by_value
      - .offset:         80
        .size:           8
        .value_kind:     by_value
      - .address_space:  global
        .offset:         88
        .size:           8
        .value_kind:     global_buffer
      - .offset:         96
        .size:           4
        .value_kind:     by_value
      - .offset:         104
        .size:           4
        .value_kind:     hidden_block_count_x
      - .offset:         108
        .size:           4
        .value_kind:     hidden_block_count_y
      - .offset:         112
        .size:           4
        .value_kind:     hidden_block_count_z
      - .offset:         116
        .size:           2
        .value_kind:     hidden_group_size_x
      - .offset:         118
        .size:           2
        .value_kind:     hidden_group_size_y
      - .offset:         120
        .size:           2
        .value_kind:     hidden_group_size_z
      - .offset:         122
        .size:           2
        .value_kind:     hidden_remainder_x
      - .offset:         124
        .size:           2
        .value_kind:     hidden_remainder_y
      - .offset:         126
        .size:           2
        .value_kind:     hidden_remainder_z
      - .offset:         144
        .size:           8
        .value_kind:     hidden_global_offset_x
      - .offset:         152
        .size:           8
        .value_kind:     hidden_global_offset_y
      - .offset:         160
        .size:           8
        .value_kind:     hidden_global_offset_z
      - .offset:         168
        .size:           2
        .value_kind:     hidden_grid_dims
    .group_segment_fixed_size: 256
    .kernarg_segment_align: 8
    .kernarg_segment_size: 360
    .language:       OpenCL C
    .language_version:
      - 2
      - 0
    .max_flat_workgroup_size: 256
    .name:           _ZL23rocblas_gemvt_sn_kernelILb1ELi256ELi4EldddEviiT4_lPKT3_lilS3_lilPT5_i
    .private_segment_fixed_size: 0
    .sgpr_count:     62
    .sgpr_spill_count: 0
    .symbol:         _ZL23rocblas_gemvt_sn_kernelILb1ELi256ELi4EldddEviiT4_lPKT3_lilS3_lilPT5_i.kd
    .uniform_work_group_size: 1
    .uses_dynamic_stack: false
    .vgpr_count:     75
    .vgpr_spill_count: 0
    .wavefront_size: 32
    .workgroup_processor_mode: 1
  - .args:
      - .offset:         0
        .size:           4
        .value_kind:     by_value
      - .offset:         4
        .size:           4
        .value_kind:     by_value
      - .address_space:  global
        .offset:         8
        .size:           8
        .value_kind:     global_buffer
      - .offset:         16
        .size:           8
        .value_kind:     by_value
      - .address_space:  global
        .offset:         24
        .size:           8
        .value_kind:     global_buffer
      - .offset:         32
        .size:           8
        .value_kind:     by_value
      - .offset:         40
        .size:           4
        .value_kind:     by_value
      - .offset:         48
        .size:           8
        .value_kind:     by_value
      - .address_space:  global
        .offset:         56
        .size:           8
        .value_kind:     global_buffer
      - .offset:         64
        .size:           8
        .value_kind:     by_value
      - .offset:         72
        .size:           4
        .value_kind:     by_value
      - .offset:         80
        .size:           8
        .value_kind:     by_value
      - .address_space:  global
        .offset:         88
        .size:           8
        .value_kind:     global_buffer
      - .offset:         96
        .size:           8
        .value_kind:     by_value
      - .offset:         104
        .size:           4
        .value_kind:     by_value
      - .offset:         112
        .size:           8
        .value_kind:     by_value
      - .offset:         120
        .size:           4
        .value_kind:     by_value
      - .offset:         128
        .size:           4
        .value_kind:     hidden_block_count_x
      - .offset:         132
        .size:           4
        .value_kind:     hidden_block_count_y
      - .offset:         136
        .size:           4
        .value_kind:     hidden_block_count_z
      - .offset:         140
        .size:           2
        .value_kind:     hidden_group_size_x
      - .offset:         142
        .size:           2
        .value_kind:     hidden_group_size_y
      - .offset:         144
        .size:           2
        .value_kind:     hidden_group_size_z
      - .offset:         146
        .size:           2
        .value_kind:     hidden_remainder_x
      - .offset:         148
        .size:           2
        .value_kind:     hidden_remainder_y
      - .offset:         150
        .size:           2
        .value_kind:     hidden_remainder_z
      - .offset:         168
        .size:           8
        .value_kind:     hidden_global_offset_x
      - .offset:         176
        .size:           8
        .value_kind:     hidden_global_offset_y
      - .offset:         184
        .size:           8
        .value_kind:     hidden_global_offset_z
      - .offset:         192
        .size:           2
        .value_kind:     hidden_grid_dims
    .group_segment_fixed_size: 65536
    .kernarg_segment_align: 8
    .kernarg_segment_size: 384
    .language:       OpenCL C
    .language_version:
      - 2
      - 0
    .max_flat_workgroup_size: 512
    .name:           _ZL36rocblas_gemvt_double_buffered_kernelILb1ELi128ELi4ELi16EdPKddEviiT4_lPKT3_lilS5_lilPT5_lili
    .private_segment_fixed_size: 0
    .sgpr_count:     38
    .sgpr_spill_count: 0
    .symbol:         _ZL36rocblas_gemvt_double_buffered_kernelILb1ELi128ELi4ELi16EdPKddEviiT4_lPKT3_lilS5_lilPT5_lili.kd
    .uniform_work_group_size: 1
    .uses_dynamic_stack: false
    .vgpr_count:     174
    .vgpr_spill_count: 0
    .wavefront_size: 32
    .workgroup_processor_mode: 1
  - .args:
      - .offset:         0
        .size:           4
        .value_kind:     by_value
      - .offset:         4
        .size:           4
        .value_kind:     by_value
      - .offset:         8
        .size:           8
        .value_kind:     by_value
      - .offset:         16
        .size:           8
        .value_kind:     by_value
      - .address_space:  global
        .offset:         24
        .size:           8
        .value_kind:     global_buffer
      - .offset:         32
        .size:           8
        .value_kind:     by_value
      - .offset:         40
        .size:           4
        .value_kind:     by_value
      - .offset:         48
        .size:           8
        .value_kind:     by_value
      - .address_space:  global
        .offset:         56
        .size:           8
        .value_kind:     global_buffer
      - .offset:         64
        .size:           8
        .value_kind:     by_value
      - .offset:         72
        .size:           4
        .value_kind:     by_value
      - .offset:         80
        .size:           8
        .value_kind:     by_value
      - .address_space:  global
        .offset:         88
        .size:           8
        .value_kind:     global_buffer
      - .offset:         96
        .size:           8
        .value_kind:     by_value
      - .offset:         104
        .size:           4
        .value_kind:     by_value
      - .offset:         112
        .size:           8
        .value_kind:     by_value
      - .offset:         120
        .size:           4
        .value_kind:     by_value
      - .offset:         128
        .size:           4
        .value_kind:     hidden_block_count_x
      - .offset:         132
        .size:           4
        .value_kind:     hidden_block_count_y
      - .offset:         136
        .size:           4
        .value_kind:     hidden_block_count_z
      - .offset:         140
        .size:           2
        .value_kind:     hidden_group_size_x
      - .offset:         142
        .size:           2
        .value_kind:     hidden_group_size_y
      - .offset:         144
        .size:           2
        .value_kind:     hidden_group_size_z
      - .offset:         146
        .size:           2
        .value_kind:     hidden_remainder_x
      - .offset:         148
        .size:           2
        .value_kind:     hidden_remainder_y
      - .offset:         150
        .size:           2
        .value_kind:     hidden_remainder_z
      - .offset:         168
        .size:           8
        .value_kind:     hidden_global_offset_x
      - .offset:         176
        .size:           8
        .value_kind:     hidden_global_offset_y
      - .offset:         184
        .size:           8
        .value_kind:     hidden_global_offset_z
      - .offset:         192
        .size:           2
        .value_kind:     hidden_grid_dims
    .group_segment_fixed_size: 65536
    .kernarg_segment_align: 8
    .kernarg_segment_size: 384
    .language:       OpenCL C
    .language_version:
      - 2
      - 0
    .max_flat_workgroup_size: 512
    .name:           _ZL36rocblas_gemvt_double_buffered_kernelILb1ELi128ELi4ELi16EdddEviiT4_lPKT3_lilS3_lilPT5_lili
    .private_segment_fixed_size: 0
    .sgpr_count:     38
    .sgpr_spill_count: 0
    .symbol:         _ZL36rocblas_gemvt_double_buffered_kernelILb1ELi128ELi4ELi16EdddEviiT4_lPKT3_lilS3_lilPT5_lili.kd
    .uniform_work_group_size: 1
    .uses_dynamic_stack: false
    .vgpr_count:     174
    .vgpr_spill_count: 0
    .wavefront_size: 32
    .workgroup_processor_mode: 1
  - .args:
      - .offset:         0
        .size:           4
        .value_kind:     by_value
      - .offset:         4
        .size:           4
        .value_kind:     by_value
      - .address_space:  global
        .offset:         8
        .size:           8
        .value_kind:     global_buffer
      - .offset:         16
        .size:           8
        .value_kind:     by_value
      - .address_space:  global
        .offset:         24
        .size:           8
        .value_kind:     global_buffer
      - .offset:         32
        .size:           8
        .value_kind:     by_value
      - .offset:         40
        .size:           4
        .value_kind:     by_value
      - .offset:         48
        .size:           8
        .value_kind:     by_value
      - .address_space:  global
        .offset:         56
        .size:           8
        .value_kind:     global_buffer
      - .offset:         64
        .size:           8
        .value_kind:     by_value
      - .offset:         72
        .size:           4
        .value_kind:     by_value
      - .offset:         80
        .size:           8
        .value_kind:     by_value
      - .address_space:  global
        .offset:         88
        .size:           8
        .value_kind:     global_buffer
      - .offset:         96
        .size:           8
        .value_kind:     by_value
      - .address_space:  global
        .offset:         104
        .size:           8
        .value_kind:     global_buffer
      - .offset:         112
        .size:           8
        .value_kind:     by_value
      - .offset:         120
        .size:           4
        .value_kind:     by_value
      - .offset:         128
        .size:           8
        .value_kind:     by_value
      - .offset:         136
        .size:           4
        .value_kind:     by_value
    .group_segment_fixed_size: 2048
    .kernarg_segment_align: 8
    .kernarg_segment_size: 140
    .language:       OpenCL C
    .language_version:
      - 2
      - 0
    .max_flat_workgroup_size: 256
    .name:           _ZL20rocblas_gemvt_kernelILb1ELi256EdPKddEviiT2_lPKT1_lilS5_lilS2_lPT3_lili
    .private_segment_fixed_size: 0
    .sgpr_count:     30
    .sgpr_spill_count: 0
    .symbol:         _ZL20rocblas_gemvt_kernelILb1ELi256EdPKddEviiT2_lPKT1_lilS5_lilS2_lPT3_lili.kd
    .uniform_work_group_size: 1
    .uses_dynamic_stack: false
    .vgpr_count:     13
    .vgpr_spill_count: 0
    .wavefront_size: 32
    .workgroup_processor_mode: 1
  - .args:
      - .offset:         0
        .size:           4
        .value_kind:     by_value
      - .offset:         4
        .size:           4
        .value_kind:     by_value
      - .offset:         8
        .size:           8
        .value_kind:     by_value
      - .offset:         16
        .size:           8
        .value_kind:     by_value
      - .address_space:  global
        .offset:         24
        .size:           8
        .value_kind:     global_buffer
      - .offset:         32
        .size:           8
        .value_kind:     by_value
      - .offset:         40
        .size:           4
        .value_kind:     by_value
      - .offset:         48
        .size:           8
        .value_kind:     by_value
      - .address_space:  global
        .offset:         56
        .size:           8
        .value_kind:     global_buffer
      - .offset:         64
        .size:           8
        .value_kind:     by_value
      - .offset:         72
        .size:           4
        .value_kind:     by_value
      - .offset:         80
        .size:           8
        .value_kind:     by_value
      - .offset:         88
        .size:           8
        .value_kind:     by_value
      - .offset:         96
        .size:           8
        .value_kind:     by_value
      - .address_space:  global
        .offset:         104
        .size:           8
        .value_kind:     global_buffer
      - .offset:         112
        .size:           8
        .value_kind:     by_value
      - .offset:         120
        .size:           4
        .value_kind:     by_value
      - .offset:         128
        .size:           8
        .value_kind:     by_value
      - .offset:         136
        .size:           4
        .value_kind:     by_value
    .group_segment_fixed_size: 2048
    .kernarg_segment_align: 8
    .kernarg_segment_size: 140
    .language:       OpenCL C
    .language_version:
      - 2
      - 0
    .max_flat_workgroup_size: 256
    .name:           _ZL20rocblas_gemvt_kernelILb1ELi256EdddEviiT2_lPKT1_lilS3_lilS0_lPT3_lili
    .private_segment_fixed_size: 0
    .sgpr_count:     30
    .sgpr_spill_count: 0
    .symbol:         _ZL20rocblas_gemvt_kernelILb1ELi256EdddEviiT2_lPKT1_lilS3_lilS0_lPT3_lili.kd
    .uniform_work_group_size: 1
    .uses_dynamic_stack: false
    .vgpr_count:     13
    .vgpr_spill_count: 0
    .wavefront_size: 32
    .workgroup_processor_mode: 1
  - .args:
      - .offset:         0
        .size:           4
        .value_kind:     by_value
      - .offset:         4
        .size:           4
        .value_kind:     by_value
      - .address_space:  global
        .offset:         8
        .size:           8
        .value_kind:     global_buffer
      - .offset:         16
        .size:           8
        .value_kind:     by_value
      - .address_space:  global
        .offset:         24
        .size:           8
        .value_kind:     global_buffer
      - .offset:         32
        .size:           8
        .value_kind:     by_value
      - .offset:         40
        .size:           4
        .value_kind:     by_value
      - .offset:         48
        .size:           8
        .value_kind:     by_value
      - .address_space:  global
        .offset:         56
        .size:           8
        .value_kind:     global_buffer
      - .offset:         64
        .size:           8
        .value_kind:     by_value
      - .offset:         72
        .size:           4
        .value_kind:     by_value
      - .offset:         80
        .size:           8
        .value_kind:     by_value
      - .address_space:  global
        .offset:         88
        .size:           8
        .value_kind:     global_buffer
      - .offset:         96
        .size:           8
        .value_kind:     by_value
      - .address_space:  global
        .offset:         104
        .size:           8
        .value_kind:     global_buffer
      - .offset:         112
        .size:           8
        .value_kind:     by_value
      - .offset:         120
        .size:           4
        .value_kind:     by_value
      - .offset:         128
        .size:           8
        .value_kind:     by_value
      - .offset:         136
        .size:           4
        .value_kind:     by_value
    .group_segment_fixed_size: 256
    .kernarg_segment_align: 8
    .kernarg_segment_size: 140
    .language:       OpenCL C
    .language_version:
      - 2
      - 0
    .max_flat_workgroup_size: 1024
    .name:           _ZL32rocblas_gemvt_warp_reduce_kernelILb1ELi1024EidPKddEviiT3_lPKT2_lT1_lS5_lS6_lS2_lPT4_lS6_li
    .private_segment_fixed_size: 0
    .sgpr_count:     30
    .sgpr_spill_count: 0
    .symbol:         _ZL32rocblas_gemvt_warp_reduce_kernelILb1ELi1024EidPKddEviiT3_lPKT2_lT1_lS5_lS6_lS2_lPT4_lS6_li.kd
    .uniform_work_group_size: 1
    .uses_dynamic_stack: false
    .vgpr_count:     14
    .vgpr_spill_count: 0
    .wavefront_size: 32
    .workgroup_processor_mode: 1
  - .args:
      - .offset:         0
        .size:           4
        .value_kind:     by_value
      - .offset:         4
        .size:           4
        .value_kind:     by_value
      - .address_space:  global
        .offset:         8
        .size:           8
        .value_kind:     global_buffer
      - .offset:         16
        .size:           8
        .value_kind:     by_value
      - .address_space:  global
        .offset:         24
        .size:           8
        .value_kind:     global_buffer
      - .offset:         32
        .size:           8
        .value_kind:     by_value
      - .offset:         40
        .size:           8
        .value_kind:     by_value
      - .offset:         48
        .size:           8
        .value_kind:     by_value
      - .address_space:  global
        .offset:         56
        .size:           8
        .value_kind:     global_buffer
      - .offset:         64
        .size:           8
        .value_kind:     by_value
      - .offset:         72
        .size:           8
        .value_kind:     by_value
      - .offset:         80
        .size:           8
        .value_kind:     by_value
      - .address_space:  global
        .offset:         88
        .size:           8
        .value_kind:     global_buffer
      - .offset:         96
        .size:           8
        .value_kind:     by_value
      - .address_space:  global
        .offset:         104
        .size:           8
        .value_kind:     global_buffer
      - .offset:         112
        .size:           8
        .value_kind:     by_value
      - .offset:         120
        .size:           8
        .value_kind:     by_value
      - .offset:         128
        .size:           8
        .value_kind:     by_value
      - .offset:         136
        .size:           4
        .value_kind:     by_value
    .group_segment_fixed_size: 256
    .kernarg_segment_align: 8
    .kernarg_segment_size: 140
    .language:       OpenCL C
    .language_version:
      - 2
      - 0
    .max_flat_workgroup_size: 1024
    .name:           _ZL32rocblas_gemvt_warp_reduce_kernelILb1ELi1024EldPKddEviiT3_lPKT2_lT1_lS5_lS6_lS2_lPT4_lS6_li
    .private_segment_fixed_size: 0
    .sgpr_count:     54
    .sgpr_spill_count: 0
    .symbol:         _ZL32rocblas_gemvt_warp_reduce_kernelILb1ELi1024EldPKddEviiT3_lPKT2_lT1_lS5_lS6_lS2_lPT4_lS6_li.kd
    .uniform_work_group_size: 1
    .uses_dynamic_stack: false
    .vgpr_count:     14
    .vgpr_spill_count: 0
    .wavefront_size: 32
    .workgroup_processor_mode: 1
  - .args:
      - .offset:         0
        .size:           4
        .value_kind:     by_value
      - .offset:         4
        .size:           4
        .value_kind:     by_value
      - .offset:         8
        .size:           8
        .value_kind:     by_value
      - .offset:         16
        .size:           8
        .value_kind:     by_value
      - .address_space:  global
        .offset:         24
        .size:           8
        .value_kind:     global_buffer
      - .offset:         32
        .size:           8
        .value_kind:     by_value
      - .offset:         40
        .size:           4
        .value_kind:     by_value
      - .offset:         48
        .size:           8
        .value_kind:     by_value
      - .address_space:  global
        .offset:         56
        .size:           8
        .value_kind:     global_buffer
      - .offset:         64
        .size:           8
        .value_kind:     by_value
      - .offset:         72
        .size:           4
        .value_kind:     by_value
      - .offset:         80
        .size:           8
        .value_kind:     by_value
      - .offset:         88
        .size:           8
        .value_kind:     by_value
      - .offset:         96
        .size:           8
        .value_kind:     by_value
      - .address_space:  global
        .offset:         104
        .size:           8
        .value_kind:     global_buffer
      - .offset:         112
        .size:           8
        .value_kind:     by_value
      - .offset:         120
        .size:           4
        .value_kind:     by_value
      - .offset:         128
        .size:           8
        .value_kind:     by_value
      - .offset:         136
        .size:           4
        .value_kind:     by_value
    .group_segment_fixed_size: 256
    .kernarg_segment_align: 8
    .kernarg_segment_size: 140
    .language:       OpenCL C
    .language_version:
      - 2
      - 0
    .max_flat_workgroup_size: 1024
    .name:           _ZL32rocblas_gemvt_warp_reduce_kernelILb1ELi1024EidddEviiT3_lPKT2_lT1_lS3_lS4_lS0_lPT4_lS4_li
    .private_segment_fixed_size: 0
    .sgpr_count:     30
    .sgpr_spill_count: 0
    .symbol:         _ZL32rocblas_gemvt_warp_reduce_kernelILb1ELi1024EidddEviiT3_lPKT2_lT1_lS3_lS4_lS0_lPT4_lS4_li.kd
    .uniform_work_group_size: 1
    .uses_dynamic_stack: false
    .vgpr_count:     14
    .vgpr_spill_count: 0
    .wavefront_size: 32
    .workgroup_processor_mode: 1
  - .args:
      - .offset:         0
        .size:           4
        .value_kind:     by_value
      - .offset:         4
        .size:           4
        .value_kind:     by_value
      - .offset:         8
        .size:           8
        .value_kind:     by_value
      - .offset:         16
        .size:           8
        .value_kind:     by_value
      - .address_space:  global
        .offset:         24
        .size:           8
        .value_kind:     global_buffer
      - .offset:         32
        .size:           8
        .value_kind:     by_value
      - .offset:         40
        .size:           8
        .value_kind:     by_value
      - .offset:         48
        .size:           8
        .value_kind:     by_value
      - .address_space:  global
        .offset:         56
        .size:           8
        .value_kind:     global_buffer
      - .offset:         64
        .size:           8
        .value_kind:     by_value
      - .offset:         72
        .size:           8
        .value_kind:     by_value
      - .offset:         80
        .size:           8
        .value_kind:     by_value
      - .offset:         88
        .size:           8
        .value_kind:     by_value
      - .offset:         96
        .size:           8
        .value_kind:     by_value
      - .address_space:  global
        .offset:         104
        .size:           8
        .value_kind:     global_buffer
      - .offset:         112
        .size:           8
        .value_kind:     by_value
      - .offset:         120
        .size:           8
        .value_kind:     by_value
      - .offset:         128
        .size:           8
        .value_kind:     by_value
      - .offset:         136
        .size:           4
        .value_kind:     by_value
    .group_segment_fixed_size: 256
    .kernarg_segment_align: 8
    .kernarg_segment_size: 140
    .language:       OpenCL C
    .language_version:
      - 2
      - 0
    .max_flat_workgroup_size: 1024
    .name:           _ZL32rocblas_gemvt_warp_reduce_kernelILb1ELi1024EldddEviiT3_lPKT2_lT1_lS3_lS4_lS0_lPT4_lS4_li
    .private_segment_fixed_size: 0
    .sgpr_count:     38
    .sgpr_spill_count: 0
    .symbol:         _ZL32rocblas_gemvt_warp_reduce_kernelILb1ELi1024EldddEviiT3_lPKT2_lT1_lS3_lS4_lS0_lPT4_lS4_li.kd
    .uniform_work_group_size: 1
    .uses_dynamic_stack: false
    .vgpr_count:     14
    .vgpr_spill_count: 0
    .wavefront_size: 32
    .workgroup_processor_mode: 1
  - .args:
      - .offset:         0
        .size:           4
        .value_kind:     by_value
      - .offset:         4
        .size:           4
        .value_kind:     by_value
      - .address_space:  global
        .offset:         8
        .size:           8
        .value_kind:     global_buffer
      - .offset:         16
        .size:           8
        .value_kind:     by_value
      - .address_space:  global
        .offset:         24
        .size:           8
        .value_kind:     global_buffer
      - .offset:         32
        .size:           8
        .value_kind:     by_value
      - .offset:         40
        .size:           4
        .value_kind:     by_value
      - .offset:         48
        .size:           8
        .value_kind:     by_value
      - .address_space:  global
        .offset:         56
        .size:           8
        .value_kind:     global_buffer
      - .offset:         64
        .size:           8
        .value_kind:     by_value
      - .offset:         72
        .size:           4
        .value_kind:     by_value
      - .offset:         80
        .size:           8
        .value_kind:     by_value
      - .address_space:  global
        .offset:         88
        .size:           8
        .value_kind:     global_buffer
      - .offset:         96
        .size:           8
        .value_kind:     by_value
      - .address_space:  global
        .offset:         104
        .size:           8
        .value_kind:     global_buffer
      - .offset:         112
        .size:           8
        .value_kind:     by_value
      - .offset:         120
        .size:           4
        .value_kind:     by_value
      - .offset:         128
        .size:           8
        .value_kind:     by_value
      - .offset:         136
        .size:           4
        .value_kind:     by_value
    .group_segment_fixed_size: 0
    .kernarg_segment_align: 8
    .kernarg_segment_size: 140
    .language:       OpenCL C
    .language_version:
      - 2
      - 0
    .max_flat_workgroup_size: 768
    .name:           _ZL34rocblas_gemvn_sm_mn_batched_kernelILi32ELi24E19rocblas_complex_numIfEPKS1_S1_EviiT2_lPKT1_lilS7_lilS4_lPT3_lili
    .private_segment_fixed_size: 0
    .sgpr_count:     0
    .sgpr_spill_count: 0
    .symbol:         _ZL34rocblas_gemvn_sm_mn_batched_kernelILi32ELi24E19rocblas_complex_numIfEPKS1_S1_EviiT2_lPKT1_lilS7_lilS4_lPT3_lili.kd
    .uniform_work_group_size: 1
    .uses_dynamic_stack: false
    .vgpr_count:     0
    .vgpr_spill_count: 0
    .wavefront_size: 32
    .workgroup_processor_mode: 1
  - .args:
      - .offset:         0
        .size:           4
        .value_kind:     by_value
      - .offset:         4
        .size:           4
        .value_kind:     by_value
      - .offset:         8
        .size:           8
        .value_kind:     by_value
      - .offset:         16
        .size:           8
        .value_kind:     by_value
      - .address_space:  global
        .offset:         24
        .size:           8
        .value_kind:     global_buffer
      - .offset:         32
        .size:           8
        .value_kind:     by_value
      - .offset:         40
        .size:           4
        .value_kind:     by_value
      - .offset:         48
        .size:           8
        .value_kind:     by_value
      - .address_space:  global
        .offset:         56
        .size:           8
        .value_kind:     global_buffer
      - .offset:         64
        .size:           8
        .value_kind:     by_value
      - .offset:         72
        .size:           4
        .value_kind:     by_value
      - .offset:         80
        .size:           8
        .value_kind:     by_value
      - .offset:         88
        .size:           8
        .value_kind:     by_value
      - .offset:         96
        .size:           8
        .value_kind:     by_value
      - .address_space:  global
        .offset:         104
        .size:           8
        .value_kind:     global_buffer
      - .offset:         112
        .size:           8
        .value_kind:     by_value
      - .offset:         120
        .size:           4
        .value_kind:     by_value
      - .offset:         128
        .size:           8
        .value_kind:     by_value
      - .offset:         136
        .size:           4
        .value_kind:     by_value
    .group_segment_fixed_size: 0
    .kernarg_segment_align: 8
    .kernarg_segment_size: 140
    .language:       OpenCL C
    .language_version:
      - 2
      - 0
    .max_flat_workgroup_size: 768
    .name:           _ZL34rocblas_gemvn_sm_mn_batched_kernelILi32ELi24E19rocblas_complex_numIfES1_S1_EviiT2_lPKT1_lilS5_lilS2_lPT3_lili
    .private_segment_fixed_size: 0
    .sgpr_count:     0
    .sgpr_spill_count: 0
    .symbol:         _ZL34rocblas_gemvn_sm_mn_batched_kernelILi32ELi24E19rocblas_complex_numIfES1_S1_EviiT2_lPKT1_lilS5_lilS2_lPT3_lili.kd
    .uniform_work_group_size: 1
    .uses_dynamic_stack: false
    .vgpr_count:     0
    .vgpr_spill_count: 0
    .wavefront_size: 32
    .workgroup_processor_mode: 1
  - .args:
      - .offset:         0
        .size:           4
        .value_kind:     by_value
      - .offset:         4
        .size:           4
        .value_kind:     by_value
      - .address_space:  global
        .offset:         8
        .size:           8
        .value_kind:     global_buffer
      - .offset:         16
        .size:           8
        .value_kind:     by_value
      - .address_space:  global
        .offset:         24
        .size:           8
        .value_kind:     global_buffer
      - .offset:         32
        .size:           8
        .value_kind:     by_value
      - .offset:         40
        .size:           4
        .value_kind:     by_value
      - .offset:         48
        .size:           8
        .value_kind:     by_value
      - .address_space:  global
        .offset:         56
        .size:           8
        .value_kind:     global_buffer
      - .offset:         64
        .size:           8
        .value_kind:     by_value
      - .offset:         72
        .size:           4
        .value_kind:     by_value
      - .offset:         80
        .size:           8
        .value_kind:     by_value
      - .address_space:  global
        .offset:         88
        .size:           8
        .value_kind:     global_buffer
      - .offset:         96
        .size:           8
        .value_kind:     by_value
      - .address_space:  global
        .offset:         104
        .size:           8
        .value_kind:     global_buffer
      - .offset:         112
        .size:           8
        .value_kind:     by_value
      - .offset:         120
        .size:           4
        .value_kind:     by_value
      - .offset:         128
        .size:           8
        .value_kind:     by_value
      - .offset:         136
        .size:           4
        .value_kind:     by_value
      - .offset:         144
        .size:           4
        .value_kind:     hidden_block_count_x
      - .offset:         148
        .size:           4
        .value_kind:     hidden_block_count_y
      - .offset:         152
        .size:           4
        .value_kind:     hidden_block_count_z
      - .offset:         156
        .size:           2
        .value_kind:     hidden_group_size_x
      - .offset:         158
        .size:           2
        .value_kind:     hidden_group_size_y
      - .offset:         160
        .size:           2
        .value_kind:     hidden_group_size_z
      - .offset:         162
        .size:           2
        .value_kind:     hidden_remainder_x
      - .offset:         164
        .size:           2
        .value_kind:     hidden_remainder_y
      - .offset:         166
        .size:           2
        .value_kind:     hidden_remainder_z
      - .offset:         184
        .size:           8
        .value_kind:     hidden_global_offset_x
      - .offset:         192
        .size:           8
        .value_kind:     hidden_global_offset_y
      - .offset:         200
        .size:           8
        .value_kind:     hidden_global_offset_z
      - .offset:         208
        .size:           2
        .value_kind:     hidden_grid_dims
    .group_segment_fixed_size: 8192
    .kernarg_segment_align: 8
    .kernarg_segment_size: 400
    .language:       OpenCL C
    .language_version:
      - 2
      - 0
    .max_flat_workgroup_size: 256
    .name:           _ZL20rocblas_gemvn_kernelILi64ELi4Ei19rocblas_complex_numIfEPKS1_S1_EviiT3_lPKT2_lT1_lS7_lS8_lS4_lPT4_lS8_li
    .private_segment_fixed_size: 0
    .sgpr_count:     31
    .sgpr_spill_count: 0
    .symbol:         _ZL20rocblas_gemvn_kernelILi64ELi4Ei19rocblas_complex_numIfEPKS1_S1_EviiT3_lPKT2_lT1_lS7_lS8_lS4_lPT4_lS8_li.kd
    .uniform_work_group_size: 1
    .uses_dynamic_stack: false
    .vgpr_count:     65
    .vgpr_spill_count: 0
    .wavefront_size: 32
    .workgroup_processor_mode: 1
  - .args:
      - .offset:         0
        .size:           4
        .value_kind:     by_value
      - .offset:         4
        .size:           4
        .value_kind:     by_value
      - .address_space:  global
        .offset:         8
        .size:           8
        .value_kind:     global_buffer
      - .offset:         16
        .size:           8
        .value_kind:     by_value
      - .address_space:  global
        .offset:         24
        .size:           8
        .value_kind:     global_buffer
      - .offset:         32
        .size:           8
        .value_kind:     by_value
      - .offset:         40
        .size:           8
        .value_kind:     by_value
      - .offset:         48
        .size:           8
        .value_kind:     by_value
      - .address_space:  global
        .offset:         56
        .size:           8
        .value_kind:     global_buffer
      - .offset:         64
        .size:           8
        .value_kind:     by_value
      - .offset:         72
        .size:           8
        .value_kind:     by_value
      - .offset:         80
        .size:           8
        .value_kind:     by_value
      - .address_space:  global
        .offset:         88
        .size:           8
        .value_kind:     global_buffer
      - .offset:         96
        .size:           8
        .value_kind:     by_value
      - .address_space:  global
        .offset:         104
        .size:           8
        .value_kind:     global_buffer
      - .offset:         112
        .size:           8
        .value_kind:     by_value
      - .offset:         120
        .size:           8
        .value_kind:     by_value
      - .offset:         128
        .size:           8
        .value_kind:     by_value
      - .offset:         136
        .size:           4
        .value_kind:     by_value
      - .offset:         144
        .size:           4
        .value_kind:     hidden_block_count_x
      - .offset:         148
        .size:           4
        .value_kind:     hidden_block_count_y
      - .offset:         152
        .size:           4
        .value_kind:     hidden_block_count_z
      - .offset:         156
        .size:           2
        .value_kind:     hidden_group_size_x
      - .offset:         158
        .size:           2
        .value_kind:     hidden_group_size_y
      - .offset:         160
        .size:           2
        .value_kind:     hidden_group_size_z
      - .offset:         162
        .size:           2
        .value_kind:     hidden_remainder_x
      - .offset:         164
        .size:           2
        .value_kind:     hidden_remainder_y
      - .offset:         166
        .size:           2
        .value_kind:     hidden_remainder_z
      - .offset:         184
        .size:           8
        .value_kind:     hidden_global_offset_x
      - .offset:         192
        .size:           8
        .value_kind:     hidden_global_offset_y
      - .offset:         200
        .size:           8
        .value_kind:     hidden_global_offset_z
      - .offset:         208
        .size:           2
        .value_kind:     hidden_grid_dims
    .group_segment_fixed_size: 8192
    .kernarg_segment_align: 8
    .kernarg_segment_size: 400
    .language:       OpenCL C
    .language_version:
      - 2
      - 0
    .max_flat_workgroup_size: 256
    .name:           _ZL20rocblas_gemvn_kernelILi64ELi4El19rocblas_complex_numIfEPKS1_S1_EviiT3_lPKT2_lT1_lS7_lS8_lS4_lPT4_lS8_li
    .private_segment_fixed_size: 0
    .sgpr_count:     54
    .sgpr_spill_count: 0
    .symbol:         _ZL20rocblas_gemvn_kernelILi64ELi4El19rocblas_complex_numIfEPKS1_S1_EviiT3_lPKT2_lT1_lS7_lS8_lS4_lPT4_lS8_li.kd
    .uniform_work_group_size: 1
    .uses_dynamic_stack: false
    .vgpr_count:     69
    .vgpr_spill_count: 0
    .wavefront_size: 32
    .workgroup_processor_mode: 1
  - .args:
      - .offset:         0
        .size:           4
        .value_kind:     by_value
      - .offset:         4
        .size:           4
        .value_kind:     by_value
      - .offset:         8
        .size:           8
        .value_kind:     by_value
      - .offset:         16
        .size:           8
        .value_kind:     by_value
      - .address_space:  global
        .offset:         24
        .size:           8
        .value_kind:     global_buffer
      - .offset:         32
        .size:           8
        .value_kind:     by_value
      - .offset:         40
        .size:           4
        .value_kind:     by_value
      - .offset:         48
        .size:           8
        .value_kind:     by_value
      - .address_space:  global
        .offset:         56
        .size:           8
        .value_kind:     global_buffer
      - .offset:         64
        .size:           8
        .value_kind:     by_value
      - .offset:         72
        .size:           4
        .value_kind:     by_value
      - .offset:         80
        .size:           8
        .value_kind:     by_value
      - .offset:         88
        .size:           8
        .value_kind:     by_value
      - .offset:         96
        .size:           8
        .value_kind:     by_value
      - .address_space:  global
        .offset:         104
        .size:           8
        .value_kind:     global_buffer
      - .offset:         112
        .size:           8
        .value_kind:     by_value
      - .offset:         120
        .size:           4
        .value_kind:     by_value
      - .offset:         128
        .size:           8
        .value_kind:     by_value
      - .offset:         136
        .size:           4
        .value_kind:     by_value
      - .offset:         144
        .size:           4
        .value_kind:     hidden_block_count_x
      - .offset:         148
        .size:           4
        .value_kind:     hidden_block_count_y
      - .offset:         152
        .size:           4
        .value_kind:     hidden_block_count_z
      - .offset:         156
        .size:           2
        .value_kind:     hidden_group_size_x
      - .offset:         158
        .size:           2
        .value_kind:     hidden_group_size_y
      - .offset:         160
        .size:           2
        .value_kind:     hidden_group_size_z
      - .offset:         162
        .size:           2
        .value_kind:     hidden_remainder_x
      - .offset:         164
        .size:           2
        .value_kind:     hidden_remainder_y
      - .offset:         166
        .size:           2
        .value_kind:     hidden_remainder_z
      - .offset:         184
        .size:           8
        .value_kind:     hidden_global_offset_x
      - .offset:         192
        .size:           8
        .value_kind:     hidden_global_offset_y
      - .offset:         200
        .size:           8
        .value_kind:     hidden_global_offset_z
      - .offset:         208
        .size:           2
        .value_kind:     hidden_grid_dims
    .group_segment_fixed_size: 8192
    .kernarg_segment_align: 8
    .kernarg_segment_size: 400
    .language:       OpenCL C
    .language_version:
      - 2
      - 0
    .max_flat_workgroup_size: 256
    .name:           _ZL20rocblas_gemvn_kernelILi64ELi4Ei19rocblas_complex_numIfES1_S1_EviiT3_lPKT2_lT1_lS5_lS6_lS2_lPT4_lS6_li
    .private_segment_fixed_size: 0
    .sgpr_count:     31
    .sgpr_spill_count: 0
    .symbol:         _ZL20rocblas_gemvn_kernelILi64ELi4Ei19rocblas_complex_numIfES1_S1_EviiT3_lPKT2_lT1_lS5_lS6_lS2_lPT4_lS6_li.kd
    .uniform_work_group_size: 1
    .uses_dynamic_stack: false
    .vgpr_count:     65
    .vgpr_spill_count: 0
    .wavefront_size: 32
    .workgroup_processor_mode: 1
  - .args:
      - .offset:         0
        .size:           4
        .value_kind:     by_value
      - .offset:         4
        .size:           4
        .value_kind:     by_value
      - .offset:         8
        .size:           8
        .value_kind:     by_value
      - .offset:         16
        .size:           8
        .value_kind:     by_value
      - .address_space:  global
        .offset:         24
        .size:           8
        .value_kind:     global_buffer
      - .offset:         32
        .size:           8
        .value_kind:     by_value
      - .offset:         40
        .size:           8
        .value_kind:     by_value
      - .offset:         48
        .size:           8
        .value_kind:     by_value
      - .address_space:  global
        .offset:         56
        .size:           8
        .value_kind:     global_buffer
      - .offset:         64
        .size:           8
        .value_kind:     by_value
      - .offset:         72
        .size:           8
        .value_kind:     by_value
      - .offset:         80
        .size:           8
        .value_kind:     by_value
      - .offset:         88
        .size:           8
        .value_kind:     by_value
      - .offset:         96
        .size:           8
        .value_kind:     by_value
      - .address_space:  global
        .offset:         104
        .size:           8
        .value_kind:     global_buffer
      - .offset:         112
        .size:           8
        .value_kind:     by_value
      - .offset:         120
        .size:           8
        .value_kind:     by_value
      - .offset:         128
        .size:           8
        .value_kind:     by_value
      - .offset:         136
        .size:           4
        .value_kind:     by_value
      - .offset:         144
        .size:           4
        .value_kind:     hidden_block_count_x
      - .offset:         148
        .size:           4
        .value_kind:     hidden_block_count_y
      - .offset:         152
        .size:           4
        .value_kind:     hidden_block_count_z
      - .offset:         156
        .size:           2
        .value_kind:     hidden_group_size_x
      - .offset:         158
        .size:           2
        .value_kind:     hidden_group_size_y
      - .offset:         160
        .size:           2
        .value_kind:     hidden_group_size_z
      - .offset:         162
        .size:           2
        .value_kind:     hidden_remainder_x
      - .offset:         164
        .size:           2
        .value_kind:     hidden_remainder_y
      - .offset:         166
        .size:           2
        .value_kind:     hidden_remainder_z
      - .offset:         184
        .size:           8
        .value_kind:     hidden_global_offset_x
      - .offset:         192
        .size:           8
        .value_kind:     hidden_global_offset_y
      - .offset:         200
        .size:           8
        .value_kind:     hidden_global_offset_z
      - .offset:         208
        .size:           2
        .value_kind:     hidden_grid_dims
    .group_segment_fixed_size: 8192
    .kernarg_segment_align: 8
    .kernarg_segment_size: 400
    .language:       OpenCL C
    .language_version:
      - 2
      - 0
    .max_flat_workgroup_size: 256
    .name:           _ZL20rocblas_gemvn_kernelILi64ELi4El19rocblas_complex_numIfES1_S1_EviiT3_lPKT2_lT1_lS5_lS6_lS2_lPT4_lS6_li
    .private_segment_fixed_size: 0
    .sgpr_count:     46
    .sgpr_spill_count: 0
    .symbol:         _ZL20rocblas_gemvn_kernelILi64ELi4El19rocblas_complex_numIfES1_S1_EviiT3_lPKT2_lT1_lS5_lS6_lS2_lPT4_lS6_li.kd
    .uniform_work_group_size: 1
    .uses_dynamic_stack: false
    .vgpr_count:     69
    .vgpr_spill_count: 0
    .wavefront_size: 32
    .workgroup_processor_mode: 1
  - .args:
      - .offset:         0
        .size:           4
        .value_kind:     by_value
      - .offset:         4
        .size:           4
        .value_kind:     by_value
      - .address_space:  global
        .offset:         8
        .size:           8
        .value_kind:     global_buffer
      - .offset:         16
        .size:           8
        .value_kind:     by_value
      - .address_space:  global
        .offset:         24
        .size:           8
        .value_kind:     global_buffer
      - .offset:         32
        .size:           8
        .value_kind:     by_value
      - .offset:         40
        .size:           4
        .value_kind:     by_value
      - .offset:         48
        .size:           8
        .value_kind:     by_value
      - .address_space:  global
        .offset:         56
        .size:           8
        .value_kind:     global_buffer
      - .offset:         64
        .size:           8
        .value_kind:     by_value
      - .offset:         72
        .size:           4
        .value_kind:     by_value
      - .offset:         80
        .size:           8
        .value_kind:     by_value
      - .address_space:  global
        .offset:         88
        .size:           8
        .value_kind:     global_buffer
      - .offset:         96
        .size:           8
        .value_kind:     by_value
      - .address_space:  global
        .offset:         104
        .size:           8
        .value_kind:     global_buffer
      - .offset:         112
        .size:           8
        .value_kind:     by_value
      - .offset:         120
        .size:           4
        .value_kind:     by_value
      - .offset:         128
        .size:           8
        .value_kind:     by_value
      - .offset:         136
        .size:           4
        .value_kind:     by_value
      - .offset:         144
        .size:           4
        .value_kind:     hidden_block_count_x
      - .offset:         148
        .size:           4
        .value_kind:     hidden_block_count_y
      - .offset:         152
        .size:           4
        .value_kind:     hidden_block_count_z
      - .offset:         156
        .size:           2
        .value_kind:     hidden_group_size_x
      - .offset:         158
        .size:           2
        .value_kind:     hidden_group_size_y
      - .offset:         160
        .size:           2
        .value_kind:     hidden_group_size_z
      - .offset:         162
        .size:           2
        .value_kind:     hidden_remainder_x
      - .offset:         164
        .size:           2
        .value_kind:     hidden_remainder_y
      - .offset:         166
        .size:           2
        .value_kind:     hidden_remainder_z
      - .offset:         184
        .size:           8
        .value_kind:     hidden_global_offset_x
      - .offset:         192
        .size:           8
        .value_kind:     hidden_global_offset_y
      - .offset:         200
        .size:           8
        .value_kind:     hidden_global_offset_z
      - .offset:         208
        .size:           2
        .value_kind:     hidden_grid_dims
    .group_segment_fixed_size: 16384
    .kernarg_segment_align: 8
    .kernarg_segment_size: 400
    .language:       OpenCL C
    .language_version:
      - 2
      - 0
    .max_flat_workgroup_size: 512
    .name:           _ZL20rocblas_gemvn_kernelILi32ELi16Ei19rocblas_complex_numIfEPKS1_S1_EviiT3_lPKT2_lT1_lS7_lS8_lS4_lPT4_lS8_li
    .private_segment_fixed_size: 0
    .sgpr_count:     31
    .sgpr_spill_count: 0
    .symbol:         _ZL20rocblas_gemvn_kernelILi32ELi16Ei19rocblas_complex_numIfEPKS1_S1_EviiT3_lPKT2_lT1_lS7_lS8_lS4_lPT4_lS8_li.kd
    .uniform_work_group_size: 1
    .uses_dynamic_stack: false
    .vgpr_count:     65
    .vgpr_spill_count: 0
    .wavefront_size: 32
    .workgroup_processor_mode: 1
  - .args:
      - .offset:         0
        .size:           4
        .value_kind:     by_value
      - .offset:         4
        .size:           4
        .value_kind:     by_value
      - .address_space:  global
        .offset:         8
        .size:           8
        .value_kind:     global_buffer
      - .offset:         16
        .size:           8
        .value_kind:     by_value
      - .address_space:  global
        .offset:         24
        .size:           8
        .value_kind:     global_buffer
      - .offset:         32
        .size:           8
        .value_kind:     by_value
      - .offset:         40
        .size:           8
        .value_kind:     by_value
      - .offset:         48
        .size:           8
        .value_kind:     by_value
      - .address_space:  global
        .offset:         56
        .size:           8
        .value_kind:     global_buffer
      - .offset:         64
        .size:           8
        .value_kind:     by_value
      - .offset:         72
        .size:           8
        .value_kind:     by_value
      - .offset:         80
        .size:           8
        .value_kind:     by_value
      - .address_space:  global
        .offset:         88
        .size:           8
        .value_kind:     global_buffer
      - .offset:         96
        .size:           8
        .value_kind:     by_value
      - .address_space:  global
        .offset:         104
        .size:           8
        .value_kind:     global_buffer
      - .offset:         112
        .size:           8
        .value_kind:     by_value
      - .offset:         120
        .size:           8
        .value_kind:     by_value
      - .offset:         128
        .size:           8
        .value_kind:     by_value
      - .offset:         136
        .size:           4
        .value_kind:     by_value
      - .offset:         144
        .size:           4
        .value_kind:     hidden_block_count_x
      - .offset:         148
        .size:           4
        .value_kind:     hidden_block_count_y
      - .offset:         152
        .size:           4
        .value_kind:     hidden_block_count_z
      - .offset:         156
        .size:           2
        .value_kind:     hidden_group_size_x
      - .offset:         158
        .size:           2
        .value_kind:     hidden_group_size_y
      - .offset:         160
        .size:           2
        .value_kind:     hidden_group_size_z
      - .offset:         162
        .size:           2
        .value_kind:     hidden_remainder_x
      - .offset:         164
        .size:           2
        .value_kind:     hidden_remainder_y
      - .offset:         166
        .size:           2
        .value_kind:     hidden_remainder_z
      - .offset:         184
        .size:           8
        .value_kind:     hidden_global_offset_x
      - .offset:         192
        .size:           8
        .value_kind:     hidden_global_offset_y
      - .offset:         200
        .size:           8
        .value_kind:     hidden_global_offset_z
      - .offset:         208
        .size:           2
        .value_kind:     hidden_grid_dims
    .group_segment_fixed_size: 16384
    .kernarg_segment_align: 8
    .kernarg_segment_size: 400
    .language:       OpenCL C
    .language_version:
      - 2
      - 0
    .max_flat_workgroup_size: 512
    .name:           _ZL20rocblas_gemvn_kernelILi32ELi16El19rocblas_complex_numIfEPKS1_S1_EviiT3_lPKT2_lT1_lS7_lS8_lS4_lPT4_lS8_li
    .private_segment_fixed_size: 0
    .sgpr_count:     54
    .sgpr_spill_count: 0
    .symbol:         _ZL20rocblas_gemvn_kernelILi32ELi16El19rocblas_complex_numIfEPKS1_S1_EviiT3_lPKT2_lT1_lS7_lS8_lS4_lPT4_lS8_li.kd
    .uniform_work_group_size: 1
    .uses_dynamic_stack: false
    .vgpr_count:     69
    .vgpr_spill_count: 0
    .wavefront_size: 32
    .workgroup_processor_mode: 1
  - .args:
      - .offset:         0
        .size:           4
        .value_kind:     by_value
      - .offset:         4
        .size:           4
        .value_kind:     by_value
      - .offset:         8
        .size:           8
        .value_kind:     by_value
      - .offset:         16
        .size:           8
        .value_kind:     by_value
      - .address_space:  global
        .offset:         24
        .size:           8
        .value_kind:     global_buffer
      - .offset:         32
        .size:           8
        .value_kind:     by_value
      - .offset:         40
        .size:           4
        .value_kind:     by_value
      - .offset:         48
        .size:           8
        .value_kind:     by_value
      - .address_space:  global
        .offset:         56
        .size:           8
        .value_kind:     global_buffer
      - .offset:         64
        .size:           8
        .value_kind:     by_value
      - .offset:         72
        .size:           4
        .value_kind:     by_value
      - .offset:         80
        .size:           8
        .value_kind:     by_value
      - .offset:         88
        .size:           8
        .value_kind:     by_value
      - .offset:         96
        .size:           8
        .value_kind:     by_value
      - .address_space:  global
        .offset:         104
        .size:           8
        .value_kind:     global_buffer
      - .offset:         112
        .size:           8
        .value_kind:     by_value
      - .offset:         120
        .size:           4
        .value_kind:     by_value
      - .offset:         128
        .size:           8
        .value_kind:     by_value
      - .offset:         136
        .size:           4
        .value_kind:     by_value
      - .offset:         144
        .size:           4
        .value_kind:     hidden_block_count_x
      - .offset:         148
        .size:           4
        .value_kind:     hidden_block_count_y
      - .offset:         152
        .size:           4
        .value_kind:     hidden_block_count_z
      - .offset:         156
        .size:           2
        .value_kind:     hidden_group_size_x
      - .offset:         158
        .size:           2
        .value_kind:     hidden_group_size_y
      - .offset:         160
        .size:           2
        .value_kind:     hidden_group_size_z
      - .offset:         162
        .size:           2
        .value_kind:     hidden_remainder_x
      - .offset:         164
        .size:           2
        .value_kind:     hidden_remainder_y
      - .offset:         166
        .size:           2
        .value_kind:     hidden_remainder_z
      - .offset:         184
        .size:           8
        .value_kind:     hidden_global_offset_x
      - .offset:         192
        .size:           8
        .value_kind:     hidden_global_offset_y
      - .offset:         200
        .size:           8
        .value_kind:     hidden_global_offset_z
      - .offset:         208
        .size:           2
        .value_kind:     hidden_grid_dims
    .group_segment_fixed_size: 16384
    .kernarg_segment_align: 8
    .kernarg_segment_size: 400
    .language:       OpenCL C
    .language_version:
      - 2
      - 0
    .max_flat_workgroup_size: 512
    .name:           _ZL20rocblas_gemvn_kernelILi32ELi16Ei19rocblas_complex_numIfES1_S1_EviiT3_lPKT2_lT1_lS5_lS6_lS2_lPT4_lS6_li
    .private_segment_fixed_size: 0
    .sgpr_count:     31
    .sgpr_spill_count: 0
    .symbol:         _ZL20rocblas_gemvn_kernelILi32ELi16Ei19rocblas_complex_numIfES1_S1_EviiT3_lPKT2_lT1_lS5_lS6_lS2_lPT4_lS6_li.kd
    .uniform_work_group_size: 1
    .uses_dynamic_stack: false
    .vgpr_count:     65
    .vgpr_spill_count: 0
    .wavefront_size: 32
    .workgroup_processor_mode: 1
  - .args:
      - .offset:         0
        .size:           4
        .value_kind:     by_value
      - .offset:         4
        .size:           4
        .value_kind:     by_value
      - .offset:         8
        .size:           8
        .value_kind:     by_value
      - .offset:         16
        .size:           8
        .value_kind:     by_value
      - .address_space:  global
        .offset:         24
        .size:           8
        .value_kind:     global_buffer
      - .offset:         32
        .size:           8
        .value_kind:     by_value
      - .offset:         40
        .size:           8
        .value_kind:     by_value
      - .offset:         48
        .size:           8
        .value_kind:     by_value
      - .address_space:  global
        .offset:         56
        .size:           8
        .value_kind:     global_buffer
      - .offset:         64
        .size:           8
        .value_kind:     by_value
      - .offset:         72
        .size:           8
        .value_kind:     by_value
      - .offset:         80
        .size:           8
        .value_kind:     by_value
      - .offset:         88
        .size:           8
        .value_kind:     by_value
      - .offset:         96
        .size:           8
        .value_kind:     by_value
      - .address_space:  global
        .offset:         104
        .size:           8
        .value_kind:     global_buffer
      - .offset:         112
        .size:           8
        .value_kind:     by_value
      - .offset:         120
        .size:           8
        .value_kind:     by_value
      - .offset:         128
        .size:           8
        .value_kind:     by_value
      - .offset:         136
        .size:           4
        .value_kind:     by_value
      - .offset:         144
        .size:           4
        .value_kind:     hidden_block_count_x
      - .offset:         148
        .size:           4
        .value_kind:     hidden_block_count_y
      - .offset:         152
        .size:           4
        .value_kind:     hidden_block_count_z
      - .offset:         156
        .size:           2
        .value_kind:     hidden_group_size_x
      - .offset:         158
        .size:           2
        .value_kind:     hidden_group_size_y
      - .offset:         160
        .size:           2
        .value_kind:     hidden_group_size_z
      - .offset:         162
        .size:           2
        .value_kind:     hidden_remainder_x
      - .offset:         164
        .size:           2
        .value_kind:     hidden_remainder_y
      - .offset:         166
        .size:           2
        .value_kind:     hidden_remainder_z
      - .offset:         184
        .size:           8
        .value_kind:     hidden_global_offset_x
      - .offset:         192
        .size:           8
        .value_kind:     hidden_global_offset_y
      - .offset:         200
        .size:           8
        .value_kind:     hidden_global_offset_z
      - .offset:         208
        .size:           2
        .value_kind:     hidden_grid_dims
    .group_segment_fixed_size: 16384
    .kernarg_segment_align: 8
    .kernarg_segment_size: 400
    .language:       OpenCL C
    .language_version:
      - 2
      - 0
    .max_flat_workgroup_size: 512
    .name:           _ZL20rocblas_gemvn_kernelILi32ELi16El19rocblas_complex_numIfES1_S1_EviiT3_lPKT2_lT1_lS5_lS6_lS2_lPT4_lS6_li
    .private_segment_fixed_size: 0
    .sgpr_count:     46
    .sgpr_spill_count: 0
    .symbol:         _ZL20rocblas_gemvn_kernelILi32ELi16El19rocblas_complex_numIfES1_S1_EviiT3_lPKT2_lT1_lS5_lS6_lS2_lPT4_lS6_li.kd
    .uniform_work_group_size: 1
    .uses_dynamic_stack: false
    .vgpr_count:     69
    .vgpr_spill_count: 0
    .wavefront_size: 32
    .workgroup_processor_mode: 1
  - .args:
      - .offset:         0
        .size:           4
        .value_kind:     by_value
      - .offset:         4
        .size:           4
        .value_kind:     by_value
      - .address_space:  global
        .offset:         8
        .size:           8
        .value_kind:     global_buffer
      - .offset:         16
        .size:           8
        .value_kind:     by_value
      - .address_space:  global
        .offset:         24
        .size:           8
        .value_kind:     global_buffer
      - .offset:         32
        .size:           8
        .value_kind:     by_value
      - .offset:         40
        .size:           4
        .value_kind:     by_value
      - .offset:         48
        .size:           8
        .value_kind:     by_value
      - .address_space:  global
        .offset:         56
        .size:           8
        .value_kind:     global_buffer
      - .offset:         64
        .size:           8
        .value_kind:     by_value
      - .offset:         72
        .size:           4
        .value_kind:     by_value
      - .offset:         80
        .size:           8
        .value_kind:     by_value
      - .address_space:  global
        .offset:         88
        .size:           8
        .value_kind:     global_buffer
      - .offset:         96
        .size:           8
        .value_kind:     by_value
      - .address_space:  global
        .offset:         104
        .size:           8
        .value_kind:     global_buffer
      - .offset:         112
        .size:           8
        .value_kind:     by_value
      - .offset:         120
        .size:           4
        .value_kind:     by_value
      - .offset:         128
        .size:           8
        .value_kind:     by_value
      - .offset:         136
        .size:           4
        .value_kind:     by_value
      - .offset:         144
        .size:           4
        .value_kind:     hidden_block_count_x
      - .offset:         148
        .size:           4
        .value_kind:     hidden_block_count_y
      - .offset:         152
        .size:           4
        .value_kind:     hidden_block_count_z
      - .offset:         156
        .size:           2
        .value_kind:     hidden_group_size_x
      - .offset:         158
        .size:           2
        .value_kind:     hidden_group_size_y
      - .offset:         160
        .size:           2
        .value_kind:     hidden_group_size_z
      - .offset:         162
        .size:           2
        .value_kind:     hidden_remainder_x
      - .offset:         164
        .size:           2
        .value_kind:     hidden_remainder_y
      - .offset:         166
        .size:           2
        .value_kind:     hidden_remainder_z
      - .offset:         184
        .size:           8
        .value_kind:     hidden_global_offset_x
      - .offset:         192
        .size:           8
        .value_kind:     hidden_global_offset_y
      - .offset:         200
        .size:           8
        .value_kind:     hidden_global_offset_z
      - .offset:         208
        .size:           2
        .value_kind:     hidden_grid_dims
    .group_segment_fixed_size: 32768
    .kernarg_segment_align: 8
    .kernarg_segment_size: 400
    .language:       OpenCL C
    .language_version:
      - 2
      - 0
    .max_flat_workgroup_size: 1024
    .name:           _ZL20rocblas_gemvn_kernelILi64ELi16Ei19rocblas_complex_numIfEPKS1_S1_EviiT3_lPKT2_lT1_lS7_lS8_lS4_lPT4_lS8_li
    .private_segment_fixed_size: 0
    .sgpr_count:     31
    .sgpr_spill_count: 0
    .symbol:         _ZL20rocblas_gemvn_kernelILi64ELi16Ei19rocblas_complex_numIfEPKS1_S1_EviiT3_lPKT2_lT1_lS7_lS8_lS4_lPT4_lS8_li.kd
    .uniform_work_group_size: 1
    .uses_dynamic_stack: false
    .vgpr_count:     65
    .vgpr_spill_count: 0
    .wavefront_size: 32
    .workgroup_processor_mode: 1
  - .args:
      - .offset:         0
        .size:           4
        .value_kind:     by_value
      - .offset:         4
        .size:           4
        .value_kind:     by_value
      - .address_space:  global
        .offset:         8
        .size:           8
        .value_kind:     global_buffer
      - .offset:         16
        .size:           8
        .value_kind:     by_value
      - .address_space:  global
        .offset:         24
        .size:           8
        .value_kind:     global_buffer
      - .offset:         32
        .size:           8
        .value_kind:     by_value
      - .offset:         40
        .size:           8
        .value_kind:     by_value
      - .offset:         48
        .size:           8
        .value_kind:     by_value
      - .address_space:  global
        .offset:         56
        .size:           8
        .value_kind:     global_buffer
      - .offset:         64
        .size:           8
        .value_kind:     by_value
      - .offset:         72
        .size:           8
        .value_kind:     by_value
      - .offset:         80
        .size:           8
        .value_kind:     by_value
      - .address_space:  global
        .offset:         88
        .size:           8
        .value_kind:     global_buffer
      - .offset:         96
        .size:           8
        .value_kind:     by_value
      - .address_space:  global
        .offset:         104
        .size:           8
        .value_kind:     global_buffer
      - .offset:         112
        .size:           8
        .value_kind:     by_value
      - .offset:         120
        .size:           8
        .value_kind:     by_value
      - .offset:         128
        .size:           8
        .value_kind:     by_value
      - .offset:         136
        .size:           4
        .value_kind:     by_value
      - .offset:         144
        .size:           4
        .value_kind:     hidden_block_count_x
      - .offset:         148
        .size:           4
        .value_kind:     hidden_block_count_y
      - .offset:         152
        .size:           4
        .value_kind:     hidden_block_count_z
      - .offset:         156
        .size:           2
        .value_kind:     hidden_group_size_x
      - .offset:         158
        .size:           2
        .value_kind:     hidden_group_size_y
      - .offset:         160
        .size:           2
        .value_kind:     hidden_group_size_z
      - .offset:         162
        .size:           2
        .value_kind:     hidden_remainder_x
      - .offset:         164
        .size:           2
        .value_kind:     hidden_remainder_y
      - .offset:         166
        .size:           2
        .value_kind:     hidden_remainder_z
      - .offset:         184
        .size:           8
        .value_kind:     hidden_global_offset_x
      - .offset:         192
        .size:           8
        .value_kind:     hidden_global_offset_y
      - .offset:         200
        .size:           8
        .value_kind:     hidden_global_offset_z
      - .offset:         208
        .size:           2
        .value_kind:     hidden_grid_dims
    .group_segment_fixed_size: 32768
    .kernarg_segment_align: 8
    .kernarg_segment_size: 400
    .language:       OpenCL C
    .language_version:
      - 2
      - 0
    .max_flat_workgroup_size: 1024
    .name:           _ZL20rocblas_gemvn_kernelILi64ELi16El19rocblas_complex_numIfEPKS1_S1_EviiT3_lPKT2_lT1_lS7_lS8_lS4_lPT4_lS8_li
    .private_segment_fixed_size: 0
    .sgpr_count:     54
    .sgpr_spill_count: 0
    .symbol:         _ZL20rocblas_gemvn_kernelILi64ELi16El19rocblas_complex_numIfEPKS1_S1_EviiT3_lPKT2_lT1_lS7_lS8_lS4_lPT4_lS8_li.kd
    .uniform_work_group_size: 1
    .uses_dynamic_stack: false
    .vgpr_count:     69
    .vgpr_spill_count: 0
    .wavefront_size: 32
    .workgroup_processor_mode: 1
  - .args:
      - .offset:         0
        .size:           4
        .value_kind:     by_value
      - .offset:         4
        .size:           4
        .value_kind:     by_value
      - .offset:         8
        .size:           8
        .value_kind:     by_value
      - .offset:         16
        .size:           8
        .value_kind:     by_value
      - .address_space:  global
        .offset:         24
        .size:           8
        .value_kind:     global_buffer
      - .offset:         32
        .size:           8
        .value_kind:     by_value
      - .offset:         40
        .size:           4
        .value_kind:     by_value
      - .offset:         48
        .size:           8
        .value_kind:     by_value
      - .address_space:  global
        .offset:         56
        .size:           8
        .value_kind:     global_buffer
      - .offset:         64
        .size:           8
        .value_kind:     by_value
      - .offset:         72
        .size:           4
        .value_kind:     by_value
      - .offset:         80
        .size:           8
        .value_kind:     by_value
      - .offset:         88
        .size:           8
        .value_kind:     by_value
      - .offset:         96
        .size:           8
        .value_kind:     by_value
      - .address_space:  global
        .offset:         104
        .size:           8
        .value_kind:     global_buffer
      - .offset:         112
        .size:           8
        .value_kind:     by_value
      - .offset:         120
        .size:           4
        .value_kind:     by_value
      - .offset:         128
        .size:           8
        .value_kind:     by_value
      - .offset:         136
        .size:           4
        .value_kind:     by_value
      - .offset:         144
        .size:           4
        .value_kind:     hidden_block_count_x
      - .offset:         148
        .size:           4
        .value_kind:     hidden_block_count_y
      - .offset:         152
        .size:           4
        .value_kind:     hidden_block_count_z
      - .offset:         156
        .size:           2
        .value_kind:     hidden_group_size_x
      - .offset:         158
        .size:           2
        .value_kind:     hidden_group_size_y
      - .offset:         160
        .size:           2
        .value_kind:     hidden_group_size_z
      - .offset:         162
        .size:           2
        .value_kind:     hidden_remainder_x
      - .offset:         164
        .size:           2
        .value_kind:     hidden_remainder_y
      - .offset:         166
        .size:           2
        .value_kind:     hidden_remainder_z
      - .offset:         184
        .size:           8
        .value_kind:     hidden_global_offset_x
      - .offset:         192
        .size:           8
        .value_kind:     hidden_global_offset_y
      - .offset:         200
        .size:           8
        .value_kind:     hidden_global_offset_z
      - .offset:         208
        .size:           2
        .value_kind:     hidden_grid_dims
    .group_segment_fixed_size: 32768
    .kernarg_segment_align: 8
    .kernarg_segment_size: 400
    .language:       OpenCL C
    .language_version:
      - 2
      - 0
    .max_flat_workgroup_size: 1024
    .name:           _ZL20rocblas_gemvn_kernelILi64ELi16Ei19rocblas_complex_numIfES1_S1_EviiT3_lPKT2_lT1_lS5_lS6_lS2_lPT4_lS6_li
    .private_segment_fixed_size: 0
    .sgpr_count:     31
    .sgpr_spill_count: 0
    .symbol:         _ZL20rocblas_gemvn_kernelILi64ELi16Ei19rocblas_complex_numIfES1_S1_EviiT3_lPKT2_lT1_lS5_lS6_lS2_lPT4_lS6_li.kd
    .uniform_work_group_size: 1
    .uses_dynamic_stack: false
    .vgpr_count:     65
    .vgpr_spill_count: 0
    .wavefront_size: 32
    .workgroup_processor_mode: 1
  - .args:
      - .offset:         0
        .size:           4
        .value_kind:     by_value
      - .offset:         4
        .size:           4
        .value_kind:     by_value
      - .offset:         8
        .size:           8
        .value_kind:     by_value
      - .offset:         16
        .size:           8
        .value_kind:     by_value
      - .address_space:  global
        .offset:         24
        .size:           8
        .value_kind:     global_buffer
      - .offset:         32
        .size:           8
        .value_kind:     by_value
      - .offset:         40
        .size:           8
        .value_kind:     by_value
      - .offset:         48
        .size:           8
        .value_kind:     by_value
      - .address_space:  global
        .offset:         56
        .size:           8
        .value_kind:     global_buffer
      - .offset:         64
        .size:           8
        .value_kind:     by_value
      - .offset:         72
        .size:           8
        .value_kind:     by_value
      - .offset:         80
        .size:           8
        .value_kind:     by_value
      - .offset:         88
        .size:           8
        .value_kind:     by_value
      - .offset:         96
        .size:           8
        .value_kind:     by_value
      - .address_space:  global
        .offset:         104
        .size:           8
        .value_kind:     global_buffer
      - .offset:         112
        .size:           8
        .value_kind:     by_value
      - .offset:         120
        .size:           8
        .value_kind:     by_value
      - .offset:         128
        .size:           8
        .value_kind:     by_value
      - .offset:         136
        .size:           4
        .value_kind:     by_value
      - .offset:         144
        .size:           4
        .value_kind:     hidden_block_count_x
      - .offset:         148
        .size:           4
        .value_kind:     hidden_block_count_y
      - .offset:         152
        .size:           4
        .value_kind:     hidden_block_count_z
      - .offset:         156
        .size:           2
        .value_kind:     hidden_group_size_x
      - .offset:         158
        .size:           2
        .value_kind:     hidden_group_size_y
      - .offset:         160
        .size:           2
        .value_kind:     hidden_group_size_z
      - .offset:         162
        .size:           2
        .value_kind:     hidden_remainder_x
      - .offset:         164
        .size:           2
        .value_kind:     hidden_remainder_y
      - .offset:         166
        .size:           2
        .value_kind:     hidden_remainder_z
      - .offset:         184
        .size:           8
        .value_kind:     hidden_global_offset_x
      - .offset:         192
        .size:           8
        .value_kind:     hidden_global_offset_y
      - .offset:         200
        .size:           8
        .value_kind:     hidden_global_offset_z
      - .offset:         208
        .size:           2
        .value_kind:     hidden_grid_dims
    .group_segment_fixed_size: 32768
    .kernarg_segment_align: 8
    .kernarg_segment_size: 400
    .language:       OpenCL C
    .language_version:
      - 2
      - 0
    .max_flat_workgroup_size: 1024
    .name:           _ZL20rocblas_gemvn_kernelILi64ELi16El19rocblas_complex_numIfES1_S1_EviiT3_lPKT2_lT1_lS5_lS6_lS2_lPT4_lS6_li
    .private_segment_fixed_size: 0
    .sgpr_count:     46
    .sgpr_spill_count: 0
    .symbol:         _ZL20rocblas_gemvn_kernelILi64ELi16El19rocblas_complex_numIfES1_S1_EviiT3_lPKT2_lT1_lS5_lS6_lS2_lPT4_lS6_li.kd
    .uniform_work_group_size: 1
    .uses_dynamic_stack: false
    .vgpr_count:     69
    .vgpr_spill_count: 0
    .wavefront_size: 32
    .workgroup_processor_mode: 1
  - .args:
      - .offset:         0
        .size:           4
        .value_kind:     by_value
      - .offset:         4
        .size:           4
        .value_kind:     by_value
      - .address_space:  global
        .offset:         8
        .size:           8
        .value_kind:     global_buffer
      - .offset:         16
        .size:           8
        .value_kind:     by_value
      - .address_space:  global
        .offset:         24
        .size:           8
        .value_kind:     global_buffer
      - .offset:         32
        .size:           8
        .value_kind:     by_value
      - .offset:         40
        .size:           4
        .value_kind:     by_value
      - .offset:         48
        .size:           8
        .value_kind:     by_value
      - .address_space:  global
        .offset:         56
        .size:           8
        .value_kind:     global_buffer
      - .offset:         64
        .size:           8
        .value_kind:     by_value
      - .offset:         72
        .size:           4
        .value_kind:     by_value
      - .offset:         80
        .size:           8
        .value_kind:     by_value
      - .address_space:  global
        .offset:         88
        .size:           8
        .value_kind:     global_buffer
      - .offset:         96
        .size:           8
        .value_kind:     by_value
      - .address_space:  global
        .offset:         104
        .size:           8
        .value_kind:     global_buffer
      - .offset:         112
        .size:           8
        .value_kind:     by_value
      - .offset:         120
        .size:           4
        .value_kind:     by_value
      - .offset:         128
        .size:           8
        .value_kind:     by_value
    .group_segment_fixed_size: 512
    .kernarg_segment_align: 8
    .kernarg_segment_size: 136
    .language:       OpenCL C
    .language_version:
      - 2
      - 0
    .max_flat_workgroup_size: 256
    .name:           _ZL22rocblas_gemvtsm_kernelILb0ELi256E19rocblas_complex_numIfEPKS1_S1_EviiT2_lPKT1_lilS7_lilS4_lPT3_lil
    .private_segment_fixed_size: 0
    .sgpr_count:     33
    .sgpr_spill_count: 0
    .symbol:         _ZL22rocblas_gemvtsm_kernelILb0ELi256E19rocblas_complex_numIfEPKS1_S1_EviiT2_lPKT1_lilS7_lilS4_lPT3_lil.kd
    .uniform_work_group_size: 1
    .uses_dynamic_stack: false
    .vgpr_count:     51
    .vgpr_spill_count: 0
    .wavefront_size: 32
    .workgroup_processor_mode: 1
  - .args:
      - .offset:         0
        .size:           4
        .value_kind:     by_value
      - .offset:         4
        .size:           4
        .value_kind:     by_value
      - .offset:         8
        .size:           8
        .value_kind:     by_value
      - .offset:         16
        .size:           8
        .value_kind:     by_value
      - .address_space:  global
        .offset:         24
        .size:           8
        .value_kind:     global_buffer
      - .offset:         32
        .size:           8
        .value_kind:     by_value
      - .offset:         40
        .size:           4
        .value_kind:     by_value
      - .offset:         48
        .size:           8
        .value_kind:     by_value
      - .address_space:  global
        .offset:         56
        .size:           8
        .value_kind:     global_buffer
      - .offset:         64
        .size:           8
        .value_kind:     by_value
      - .offset:         72
        .size:           4
        .value_kind:     by_value
      - .offset:         80
        .size:           8
        .value_kind:     by_value
      - .offset:         88
        .size:           8
        .value_kind:     by_value
      - .offset:         96
        .size:           8
        .value_kind:     by_value
      - .address_space:  global
        .offset:         104
        .size:           8
        .value_kind:     global_buffer
      - .offset:         112
        .size:           8
        .value_kind:     by_value
      - .offset:         120
        .size:           4
        .value_kind:     by_value
      - .offset:         128
        .size:           8
        .value_kind:     by_value
    .group_segment_fixed_size: 512
    .kernarg_segment_align: 8
    .kernarg_segment_size: 136
    .language:       OpenCL C
    .language_version:
      - 2
      - 0
    .max_flat_workgroup_size: 256
    .name:           _ZL22rocblas_gemvtsm_kernelILb0ELi256E19rocblas_complex_numIfES1_S1_EviiT2_lPKT1_lilS5_lilS2_lPT3_lil
    .private_segment_fixed_size: 0
    .sgpr_count:     29
    .sgpr_spill_count: 0
    .symbol:         _ZL22rocblas_gemvtsm_kernelILb0ELi256E19rocblas_complex_numIfES1_S1_EviiT2_lPKT1_lilS5_lilS2_lPT3_lil.kd
    .uniform_work_group_size: 1
    .uses_dynamic_stack: false
    .vgpr_count:     51
    .vgpr_spill_count: 0
    .wavefront_size: 32
    .workgroup_processor_mode: 1
  - .args:
      - .offset:         0
        .size:           4
        .value_kind:     by_value
      - .offset:         4
        .size:           4
        .value_kind:     by_value
      - .address_space:  global
        .offset:         8
        .size:           8
        .value_kind:     global_buffer
      - .offset:         16
        .size:           8
        .value_kind:     by_value
      - .address_space:  global
        .offset:         24
        .size:           8
        .value_kind:     global_buffer
      - .offset:         32
        .size:           8
        .value_kind:     by_value
      - .offset:         40
        .size:           4
        .value_kind:     by_value
      - .offset:         48
        .size:           8
        .value_kind:     by_value
      - .address_space:  global
        .offset:         56
        .size:           8
        .value_kind:     global_buffer
      - .offset:         64
        .size:           8
        .value_kind:     by_value
      - .offset:         72
        .size:           4
        .value_kind:     by_value
      - .offset:         80
        .size:           8
        .value_kind:     by_value
      - .address_space:  global
        .offset:         88
        .size:           8
        .value_kind:     global_buffer
      - .offset:         96
        .size:           4
        .value_kind:     by_value
      - .offset:         104
        .size:           4
        .value_kind:     hidden_block_count_x
      - .offset:         108
        .size:           4
        .value_kind:     hidden_block_count_y
      - .offset:         112
        .size:           4
        .value_kind:     hidden_block_count_z
      - .offset:         116
        .size:           2
        .value_kind:     hidden_group_size_x
      - .offset:         118
        .size:           2
        .value_kind:     hidden_group_size_y
      - .offset:         120
        .size:           2
        .value_kind:     hidden_group_size_z
      - .offset:         122
        .size:           2
        .value_kind:     hidden_remainder_x
      - .offset:         124
        .size:           2
        .value_kind:     hidden_remainder_y
      - .offset:         126
        .size:           2
        .value_kind:     hidden_remainder_z
      - .offset:         144
        .size:           8
        .value_kind:     hidden_global_offset_x
      - .offset:         152
        .size:           8
        .value_kind:     hidden_global_offset_y
      - .offset:         160
        .size:           8
        .value_kind:     hidden_global_offset_z
      - .offset:         168
        .size:           2
        .value_kind:     hidden_grid_dims
    .group_segment_fixed_size: 256
    .kernarg_segment_align: 8
    .kernarg_segment_size: 360
    .language:       OpenCL C
    .language_version:
      - 2
      - 0
    .max_flat_workgroup_size: 256
    .name:           _ZL23rocblas_gemvt_sn_kernelILb0ELi256ELi4Ei19rocblas_complex_numIfEPKS1_S1_EviiT4_lPKT3_lilS7_lilPT5_i
    .private_segment_fixed_size: 48
    .sgpr_count:     58
    .sgpr_spill_count: 0
    .symbol:         _ZL23rocblas_gemvt_sn_kernelILb0ELi256ELi4Ei19rocblas_complex_numIfEPKS1_S1_EviiT4_lPKT3_lilS7_lilPT5_i.kd
    .uniform_work_group_size: 1
    .uses_dynamic_stack: false
    .vgpr_count:     82
    .vgpr_spill_count: 0
    .wavefront_size: 32
    .workgroup_processor_mode: 1
  - .args:
      - .offset:         0
        .size:           4
        .value_kind:     by_value
      - .offset:         4
        .size:           4
        .value_kind:     by_value
      - .address_space:  global
        .offset:         8
        .size:           8
        .value_kind:     global_buffer
      - .offset:         16
        .size:           8
        .value_kind:     by_value
      - .address_space:  global
        .offset:         24
        .size:           8
        .value_kind:     global_buffer
      - .offset:         32
        .size:           8
        .value_kind:     by_value
      - .offset:         40
        .size:           4
        .value_kind:     by_value
      - .offset:         48
        .size:           8
        .value_kind:     by_value
      - .address_space:  global
        .offset:         56
        .size:           8
        .value_kind:     global_buffer
      - .offset:         64
        .size:           8
        .value_kind:     by_value
      - .offset:         72
        .size:           4
        .value_kind:     by_value
      - .offset:         80
        .size:           8
        .value_kind:     by_value
      - .address_space:  global
        .offset:         88
        .size:           8
        .value_kind:     global_buffer
      - .offset:         96
        .size:           4
        .value_kind:     by_value
      - .offset:         104
        .size:           4
        .value_kind:     hidden_block_count_x
      - .offset:         108
        .size:           4
        .value_kind:     hidden_block_count_y
      - .offset:         112
        .size:           4
        .value_kind:     hidden_block_count_z
      - .offset:         116
        .size:           2
        .value_kind:     hidden_group_size_x
      - .offset:         118
        .size:           2
        .value_kind:     hidden_group_size_y
      - .offset:         120
        .size:           2
        .value_kind:     hidden_group_size_z
      - .offset:         122
        .size:           2
        .value_kind:     hidden_remainder_x
      - .offset:         124
        .size:           2
        .value_kind:     hidden_remainder_y
      - .offset:         126
        .size:           2
        .value_kind:     hidden_remainder_z
      - .offset:         144
        .size:           8
        .value_kind:     hidden_global_offset_x
      - .offset:         152
        .size:           8
        .value_kind:     hidden_global_offset_y
      - .offset:         160
        .size:           8
        .value_kind:     hidden_global_offset_z
      - .offset:         168
        .size:           2
        .value_kind:     hidden_grid_dims
    .group_segment_fixed_size: 256
    .kernarg_segment_align: 8
    .kernarg_segment_size: 360
    .language:       OpenCL C
    .language_version:
      - 2
      - 0
    .max_flat_workgroup_size: 256
    .name:           _ZL23rocblas_gemvt_sn_kernelILb0ELi256ELi4El19rocblas_complex_numIfEPKS1_S1_EviiT4_lPKT3_lilS7_lilPT5_i
    .private_segment_fixed_size: 48
    .sgpr_count:     62
    .sgpr_spill_count: 0
    .symbol:         _ZL23rocblas_gemvt_sn_kernelILb0ELi256ELi4El19rocblas_complex_numIfEPKS1_S1_EviiT4_lPKT3_lilS7_lilPT5_i.kd
    .uniform_work_group_size: 1
    .uses_dynamic_stack: false
    .vgpr_count:     87
    .vgpr_spill_count: 0
    .wavefront_size: 32
    .workgroup_processor_mode: 1
  - .args:
      - .offset:         0
        .size:           4
        .value_kind:     by_value
      - .address_space:  global
        .offset:         8
        .size:           8
        .value_kind:     global_buffer
      - .offset:         16
        .size:           8
        .value_kind:     by_value
      - .address_space:  global
        .offset:         24
        .size:           8
        .value_kind:     global_buffer
      - .offset:         32
        .size:           8
        .value_kind:     by_value
      - .offset:         40
        .size:           4
        .value_kind:     by_value
      - .offset:         48
        .size:           8
        .value_kind:     by_value
      - .actual_access:  read_only
        .address_space:  global
        .offset:         56
        .size:           8
        .value_kind:     global_buffer
      - .offset:         64
        .size:           4
        .value_kind:     by_value
      - .offset:         72
        .size:           4
        .value_kind:     hidden_block_count_x
      - .offset:         76
        .size:           4
        .value_kind:     hidden_block_count_y
      - .offset:         80
        .size:           4
        .value_kind:     hidden_block_count_z
      - .offset:         84
        .size:           2
        .value_kind:     hidden_group_size_x
      - .offset:         86
        .size:           2
        .value_kind:     hidden_group_size_y
      - .offset:         88
        .size:           2
        .value_kind:     hidden_group_size_z
      - .offset:         90
        .size:           2
        .value_kind:     hidden_remainder_x
      - .offset:         92
        .size:           2
        .value_kind:     hidden_remainder_y
      - .offset:         94
        .size:           2
        .value_kind:     hidden_remainder_z
      - .offset:         112
        .size:           8
        .value_kind:     hidden_global_offset_x
      - .offset:         120
        .size:           8
        .value_kind:     hidden_global_offset_y
      - .offset:         128
        .size:           8
        .value_kind:     hidden_global_offset_z
      - .offset:         136
        .size:           2
        .value_kind:     hidden_grid_dims
    .group_segment_fixed_size: 256
    .kernarg_segment_align: 8
    .kernarg_segment_size: 328
    .language:       OpenCL C
    .language_version:
      - 2
      - 0
    .max_flat_workgroup_size: 256
    .name:           _ZL23rocblas_gemvt_sn_reduceILi256ELi8E19rocblas_complex_numIfEPKS1_S1_EviT2_lPT3_lilPT1_i
    .private_segment_fixed_size: 0
    .sgpr_count:     24
    .sgpr_spill_count: 0
    .symbol:         _ZL23rocblas_gemvt_sn_reduceILi256ELi8E19rocblas_complex_numIfEPKS1_S1_EviT2_lPT3_lilPT1_i.kd
    .uniform_work_group_size: 1
    .uses_dynamic_stack: false
    .vgpr_count:     22
    .vgpr_spill_count: 0
    .wavefront_size: 32
    .workgroup_processor_mode: 1
  - .args:
      - .offset:         0
        .size:           4
        .value_kind:     by_value
      - .offset:         4
        .size:           4
        .value_kind:     by_value
      - .offset:         8
        .size:           8
        .value_kind:     by_value
      - .offset:         16
        .size:           8
        .value_kind:     by_value
      - .address_space:  global
        .offset:         24
        .size:           8
        .value_kind:     global_buffer
      - .offset:         32
        .size:           8
        .value_kind:     by_value
      - .offset:         40
        .size:           4
        .value_kind:     by_value
      - .offset:         48
        .size:           8
        .value_kind:     by_value
      - .address_space:  global
        .offset:         56
        .size:           8
        .value_kind:     global_buffer
      - .offset:         64
        .size:           8
        .value_kind:     by_value
      - .offset:         72
        .size:           4
        .value_kind:     by_value
      - .offset:         80
        .size:           8
        .value_kind:     by_value
      - .address_space:  global
        .offset:         88
        .size:           8
        .value_kind:     global_buffer
      - .offset:         96
        .size:           4
        .value_kind:     by_value
      - .offset:         104
        .size:           4
        .value_kind:     hidden_block_count_x
      - .offset:         108
        .size:           4
        .value_kind:     hidden_block_count_y
      - .offset:         112
        .size:           4
        .value_kind:     hidden_block_count_z
      - .offset:         116
        .size:           2
        .value_kind:     hidden_group_size_x
      - .offset:         118
        .size:           2
        .value_kind:     hidden_group_size_y
      - .offset:         120
        .size:           2
        .value_kind:     hidden_group_size_z
      - .offset:         122
        .size:           2
        .value_kind:     hidden_remainder_x
      - .offset:         124
        .size:           2
        .value_kind:     hidden_remainder_y
      - .offset:         126
        .size:           2
        .value_kind:     hidden_remainder_z
      - .offset:         144
        .size:           8
        .value_kind:     hidden_global_offset_x
      - .offset:         152
        .size:           8
        .value_kind:     hidden_global_offset_y
      - .offset:         160
        .size:           8
        .value_kind:     hidden_global_offset_z
      - .offset:         168
        .size:           2
        .value_kind:     hidden_grid_dims
    .group_segment_fixed_size: 256
    .kernarg_segment_align: 8
    .kernarg_segment_size: 360
    .language:       OpenCL C
    .language_version:
      - 2
      - 0
    .max_flat_workgroup_size: 256
    .name:           _ZL23rocblas_gemvt_sn_kernelILb0ELi256ELi4Ei19rocblas_complex_numIfES1_S1_EviiT4_lPKT3_lilS5_lilPT5_i
    .private_segment_fixed_size: 48
    .sgpr_count:     58
    .sgpr_spill_count: 0
    .symbol:         _ZL23rocblas_gemvt_sn_kernelILb0ELi256ELi4Ei19rocblas_complex_numIfES1_S1_EviiT4_lPKT3_lilS5_lilPT5_i.kd
    .uniform_work_group_size: 1
    .uses_dynamic_stack: false
    .vgpr_count:     82
    .vgpr_spill_count: 0
    .wavefront_size: 32
    .workgroup_processor_mode: 1
  - .args:
      - .offset:         0
        .size:           4
        .value_kind:     by_value
      - .offset:         4
        .size:           4
        .value_kind:     by_value
      - .offset:         8
        .size:           8
        .value_kind:     by_value
      - .offset:         16
        .size:           8
        .value_kind:     by_value
      - .address_space:  global
        .offset:         24
        .size:           8
        .value_kind:     global_buffer
      - .offset:         32
        .size:           8
        .value_kind:     by_value
      - .offset:         40
        .size:           4
        .value_kind:     by_value
      - .offset:         48
        .size:           8
        .value_kind:     by_value
      - .address_space:  global
        .offset:         56
        .size:           8
        .value_kind:     global_buffer
      - .offset:         64
        .size:           8
        .value_kind:     by_value
      - .offset:         72
        .size:           4
        .value_kind:     by_value
      - .offset:         80
        .size:           8
        .value_kind:     by_value
      - .address_space:  global
        .offset:         88
        .size:           8
        .value_kind:     global_buffer
      - .offset:         96
        .size:           4
        .value_kind:     by_value
      - .offset:         104
        .size:           4
        .value_kind:     hidden_block_count_x
      - .offset:         108
        .size:           4
        .value_kind:     hidden_block_count_y
      - .offset:         112
        .size:           4
        .value_kind:     hidden_block_count_z
      - .offset:         116
        .size:           2
        .value_kind:     hidden_group_size_x
      - .offset:         118
        .size:           2
        .value_kind:     hidden_group_size_y
      - .offset:         120
        .size:           2
        .value_kind:     hidden_group_size_z
      - .offset:         122
        .size:           2
        .value_kind:     hidden_remainder_x
      - .offset:         124
        .size:           2
        .value_kind:     hidden_remainder_y
      - .offset:         126
        .size:           2
        .value_kind:     hidden_remainder_z
      - .offset:         144
        .size:           8
        .value_kind:     hidden_global_offset_x
      - .offset:         152
        .size:           8
        .value_kind:     hidden_global_offset_y
      - .offset:         160
        .size:           8
        .value_kind:     hidden_global_offset_z
      - .offset:         168
        .size:           2
        .value_kind:     hidden_grid_dims
    .group_segment_fixed_size: 256
    .kernarg_segment_align: 8
    .kernarg_segment_size: 360
    .language:       OpenCL C
    .language_version:
      - 2
      - 0
    .max_flat_workgroup_size: 256
    .name:           _ZL23rocblas_gemvt_sn_kernelILb0ELi256ELi4El19rocblas_complex_numIfES1_S1_EviiT4_lPKT3_lilS5_lilPT5_i
    .private_segment_fixed_size: 48
    .sgpr_count:     62
    .sgpr_spill_count: 0
    .symbol:         _ZL23rocblas_gemvt_sn_kernelILb0ELi256ELi4El19rocblas_complex_numIfES1_S1_EviiT4_lPKT3_lilS5_lilPT5_i.kd
    .uniform_work_group_size: 1
    .uses_dynamic_stack: false
    .vgpr_count:     87
    .vgpr_spill_count: 0
    .wavefront_size: 32
    .workgroup_processor_mode: 1
  - .args:
      - .offset:         0
        .size:           4
        .value_kind:     by_value
      - .offset:         4
        .size:           8
        .value_kind:     by_value
      - .offset:         16
        .size:           8
        .value_kind:     by_value
      - .address_space:  global
        .offset:         24
        .size:           8
        .value_kind:     global_buffer
      - .offset:         32
        .size:           8
        .value_kind:     by_value
      - .offset:         40
        .size:           4
        .value_kind:     by_value
      - .offset:         48
        .size:           8
        .value_kind:     by_value
      - .actual_access:  read_only
        .address_space:  global
        .offset:         56
        .size:           8
        .value_kind:     global_buffer
      - .offset:         64
        .size:           4
        .value_kind:     by_value
      - .offset:         72
        .size:           4
        .value_kind:     hidden_block_count_x
      - .offset:         76
        .size:           4
        .value_kind:     hidden_block_count_y
      - .offset:         80
        .size:           4
        .value_kind:     hidden_block_count_z
      - .offset:         84
        .size:           2
        .value_kind:     hidden_group_size_x
      - .offset:         86
        .size:           2
        .value_kind:     hidden_group_size_y
      - .offset:         88
        .size:           2
        .value_kind:     hidden_group_size_z
      - .offset:         90
        .size:           2
        .value_kind:     hidden_remainder_x
      - .offset:         92
        .size:           2
        .value_kind:     hidden_remainder_y
      - .offset:         94
        .size:           2
        .value_kind:     hidden_remainder_z
      - .offset:         112
        .size:           8
        .value_kind:     hidden_global_offset_x
      - .offset:         120
        .size:           8
        .value_kind:     hidden_global_offset_y
      - .offset:         128
        .size:           8
        .value_kind:     hidden_global_offset_z
      - .offset:         136
        .size:           2
        .value_kind:     hidden_grid_dims
    .group_segment_fixed_size: 256
    .kernarg_segment_align: 8
    .kernarg_segment_size: 328
    .language:       OpenCL C
    .language_version:
      - 2
      - 0
    .max_flat_workgroup_size: 256
    .name:           _ZL23rocblas_gemvt_sn_reduceILi256ELi8E19rocblas_complex_numIfES1_S1_EviT2_lPT3_lilPT1_i
    .private_segment_fixed_size: 0
    .sgpr_count:     20
    .sgpr_spill_count: 0
    .symbol:         _ZL23rocblas_gemvt_sn_reduceILi256ELi8E19rocblas_complex_numIfES1_S1_EviT2_lPT3_lilPT1_i.kd
    .uniform_work_group_size: 1
    .uses_dynamic_stack: false
    .vgpr_count:     22
    .vgpr_spill_count: 0
    .wavefront_size: 32
    .workgroup_processor_mode: 1
  - .args:
      - .offset:         0
        .size:           4
        .value_kind:     by_value
      - .offset:         4
        .size:           4
        .value_kind:     by_value
      - .address_space:  global
        .offset:         8
        .size:           8
        .value_kind:     global_buffer
      - .offset:         16
        .size:           8
        .value_kind:     by_value
      - .address_space:  global
        .offset:         24
        .size:           8
        .value_kind:     global_buffer
      - .offset:         32
        .size:           8
        .value_kind:     by_value
      - .offset:         40
        .size:           4
        .value_kind:     by_value
      - .offset:         48
        .size:           8
        .value_kind:     by_value
      - .address_space:  global
        .offset:         56
        .size:           8
        .value_kind:     global_buffer
      - .offset:         64
        .size:           8
        .value_kind:     by_value
      - .offset:         72
        .size:           4
        .value_kind:     by_value
      - .offset:         80
        .size:           8
        .value_kind:     by_value
      - .address_space:  global
        .offset:         88
        .size:           8
        .value_kind:     global_buffer
      - .offset:         96
        .size:           8
        .value_kind:     by_value
      - .address_space:  global
        .offset:         104
        .size:           8
        .value_kind:     global_buffer
      - .offset:         112
        .size:           8
        .value_kind:     by_value
      - .offset:         120
        .size:           4
        .value_kind:     by_value
      - .offset:         128
        .size:           8
        .value_kind:     by_value
      - .offset:         136
        .size:           4
        .value_kind:     by_value
    .group_segment_fixed_size: 256
    .kernarg_segment_align: 8
    .kernarg_segment_size: 140
    .language:       OpenCL C
    .language_version:
      - 2
      - 0
    .max_flat_workgroup_size: 256
    .name:           _ZL32rocblas_gemvt_warp_reduce_kernelILb0ELi256Ei19rocblas_complex_numIfEPKS1_S1_EviiT3_lPKT2_lT1_lS7_lS8_lS4_lPT4_lS8_li
    .private_segment_fixed_size: 0
    .sgpr_count:     28
    .sgpr_spill_count: 0
    .symbol:         _ZL32rocblas_gemvt_warp_reduce_kernelILb0ELi256Ei19rocblas_complex_numIfEPKS1_S1_EviiT3_lPKT2_lT1_lS7_lS8_lS4_lPT4_lS8_li.kd
    .uniform_work_group_size: 1
    .uses_dynamic_stack: false
    .vgpr_count:     14
    .vgpr_spill_count: 0
    .wavefront_size: 32
    .workgroup_processor_mode: 1
  - .args:
      - .offset:         0
        .size:           4
        .value_kind:     by_value
      - .offset:         4
        .size:           4
        .value_kind:     by_value
      - .address_space:  global
        .offset:         8
        .size:           8
        .value_kind:     global_buffer
      - .offset:         16
        .size:           8
        .value_kind:     by_value
      - .address_space:  global
        .offset:         24
        .size:           8
        .value_kind:     global_buffer
      - .offset:         32
        .size:           8
        .value_kind:     by_value
      - .offset:         40
        .size:           8
        .value_kind:     by_value
      - .offset:         48
        .size:           8
        .value_kind:     by_value
      - .address_space:  global
        .offset:         56
        .size:           8
        .value_kind:     global_buffer
      - .offset:         64
        .size:           8
        .value_kind:     by_value
      - .offset:         72
        .size:           8
        .value_kind:     by_value
      - .offset:         80
        .size:           8
        .value_kind:     by_value
      - .address_space:  global
        .offset:         88
        .size:           8
        .value_kind:     global_buffer
      - .offset:         96
        .size:           8
        .value_kind:     by_value
      - .address_space:  global
        .offset:         104
        .size:           8
        .value_kind:     global_buffer
      - .offset:         112
        .size:           8
        .value_kind:     by_value
      - .offset:         120
        .size:           8
        .value_kind:     by_value
      - .offset:         128
        .size:           8
        .value_kind:     by_value
      - .offset:         136
        .size:           4
        .value_kind:     by_value
    .group_segment_fixed_size: 256
    .kernarg_segment_align: 8
    .kernarg_segment_size: 140
    .language:       OpenCL C
    .language_version:
      - 2
      - 0
    .max_flat_workgroup_size: 256
    .name:           _ZL32rocblas_gemvt_warp_reduce_kernelILb0ELi256El19rocblas_complex_numIfEPKS1_S1_EviiT3_lPKT2_lT1_lS7_lS8_lS4_lPT4_lS8_li
    .private_segment_fixed_size: 0
    .sgpr_count:     54
    .sgpr_spill_count: 0
    .symbol:         _ZL32rocblas_gemvt_warp_reduce_kernelILb0ELi256El19rocblas_complex_numIfEPKS1_S1_EviiT3_lPKT2_lT1_lS7_lS8_lS4_lPT4_lS8_li.kd
    .uniform_work_group_size: 1
    .uses_dynamic_stack: false
    .vgpr_count:     15
    .vgpr_spill_count: 0
    .wavefront_size: 32
    .workgroup_processor_mode: 1
  - .args:
      - .offset:         0
        .size:           4
        .value_kind:     by_value
      - .offset:         4
        .size:           4
        .value_kind:     by_value
      - .offset:         8
        .size:           8
        .value_kind:     by_value
      - .offset:         16
        .size:           8
        .value_kind:     by_value
      - .address_space:  global
        .offset:         24
        .size:           8
        .value_kind:     global_buffer
      - .offset:         32
        .size:           8
        .value_kind:     by_value
      - .offset:         40
        .size:           4
        .value_kind:     by_value
      - .offset:         48
        .size:           8
        .value_kind:     by_value
      - .address_space:  global
        .offset:         56
        .size:           8
        .value_kind:     global_buffer
      - .offset:         64
        .size:           8
        .value_kind:     by_value
      - .offset:         72
        .size:           4
        .value_kind:     by_value
      - .offset:         80
        .size:           8
        .value_kind:     by_value
      - .offset:         88
        .size:           8
        .value_kind:     by_value
      - .offset:         96
        .size:           8
        .value_kind:     by_value
      - .address_space:  global
        .offset:         104
        .size:           8
        .value_kind:     global_buffer
      - .offset:         112
        .size:           8
        .value_kind:     by_value
      - .offset:         120
        .size:           4
        .value_kind:     by_value
      - .offset:         128
        .size:           8
        .value_kind:     by_value
      - .offset:         136
        .size:           4
        .value_kind:     by_value
    .group_segment_fixed_size: 256
    .kernarg_segment_align: 8
    .kernarg_segment_size: 140
    .language:       OpenCL C
    .language_version:
      - 2
      - 0
    .max_flat_workgroup_size: 256
    .name:           _ZL32rocblas_gemvt_warp_reduce_kernelILb0ELi256Ei19rocblas_complex_numIfES1_S1_EviiT3_lPKT2_lT1_lS5_lS6_lS2_lPT4_lS6_li
    .private_segment_fixed_size: 0
    .sgpr_count:     28
    .sgpr_spill_count: 0
    .symbol:         _ZL32rocblas_gemvt_warp_reduce_kernelILb0ELi256Ei19rocblas_complex_numIfES1_S1_EviiT3_lPKT2_lT1_lS5_lS6_lS2_lPT4_lS6_li.kd
    .uniform_work_group_size: 1
    .uses_dynamic_stack: false
    .vgpr_count:     14
    .vgpr_spill_count: 0
    .wavefront_size: 32
    .workgroup_processor_mode: 1
  - .args:
      - .offset:         0
        .size:           4
        .value_kind:     by_value
      - .offset:         4
        .size:           4
        .value_kind:     by_value
      - .offset:         8
        .size:           8
        .value_kind:     by_value
      - .offset:         16
        .size:           8
        .value_kind:     by_value
      - .address_space:  global
        .offset:         24
        .size:           8
        .value_kind:     global_buffer
      - .offset:         32
        .size:           8
        .value_kind:     by_value
      - .offset:         40
        .size:           8
        .value_kind:     by_value
      - .offset:         48
        .size:           8
        .value_kind:     by_value
      - .address_space:  global
        .offset:         56
        .size:           8
        .value_kind:     global_buffer
      - .offset:         64
        .size:           8
        .value_kind:     by_value
      - .offset:         72
        .size:           8
        .value_kind:     by_value
      - .offset:         80
        .size:           8
        .value_kind:     by_value
      - .offset:         88
        .size:           8
        .value_kind:     by_value
      - .offset:         96
        .size:           8
        .value_kind:     by_value
      - .address_space:  global
        .offset:         104
        .size:           8
        .value_kind:     global_buffer
      - .offset:         112
        .size:           8
        .value_kind:     by_value
      - .offset:         120
        .size:           8
        .value_kind:     by_value
      - .offset:         128
        .size:           8
        .value_kind:     by_value
      - .offset:         136
        .size:           4
        .value_kind:     by_value
    .group_segment_fixed_size: 256
    .kernarg_segment_align: 8
    .kernarg_segment_size: 140
    .language:       OpenCL C
    .language_version:
      - 2
      - 0
    .max_flat_workgroup_size: 256
    .name:           _ZL32rocblas_gemvt_warp_reduce_kernelILb0ELi256El19rocblas_complex_numIfES1_S1_EviiT3_lPKT2_lT1_lS5_lS6_lS2_lPT4_lS6_li
    .private_segment_fixed_size: 0
    .sgpr_count:     33
    .sgpr_spill_count: 0
    .symbol:         _ZL32rocblas_gemvt_warp_reduce_kernelILb0ELi256El19rocblas_complex_numIfES1_S1_EviiT3_lPKT2_lT1_lS5_lS6_lS2_lPT4_lS6_li.kd
    .uniform_work_group_size: 1
    .uses_dynamic_stack: false
    .vgpr_count:     15
    .vgpr_spill_count: 0
    .wavefront_size: 32
    .workgroup_processor_mode: 1
  - .args:
      - .offset:         0
        .size:           4
        .value_kind:     by_value
      - .offset:         4
        .size:           4
        .value_kind:     by_value
      - .address_space:  global
        .offset:         8
        .size:           8
        .value_kind:     global_buffer
      - .offset:         16
        .size:           8
        .value_kind:     by_value
      - .address_space:  global
        .offset:         24
        .size:           8
        .value_kind:     global_buffer
      - .offset:         32
        .size:           8
        .value_kind:     by_value
      - .offset:         40
        .size:           4
        .value_kind:     by_value
      - .offset:         48
        .size:           8
        .value_kind:     by_value
      - .address_space:  global
        .offset:         56
        .size:           8
        .value_kind:     global_buffer
      - .offset:         64
        .size:           8
        .value_kind:     by_value
      - .offset:         72
        .size:           4
        .value_kind:     by_value
      - .offset:         80
        .size:           8
        .value_kind:     by_value
      - .address_space:  global
        .offset:         88
        .size:           8
        .value_kind:     global_buffer
      - .offset:         96
        .size:           8
        .value_kind:     by_value
      - .address_space:  global
        .offset:         104
        .size:           8
        .value_kind:     global_buffer
      - .offset:         112
        .size:           8
        .value_kind:     by_value
      - .offset:         120
        .size:           4
        .value_kind:     by_value
      - .offset:         128
        .size:           8
        .value_kind:     by_value
      - .offset:         136
        .size:           4
        .value_kind:     by_value
    .group_segment_fixed_size: 2048
    .kernarg_segment_align: 8
    .kernarg_segment_size: 140
    .language:       OpenCL C
    .language_version:
      - 2
      - 0
    .max_flat_workgroup_size: 256
    .name:           _ZL20rocblas_gemvt_kernelILb0ELi256E19rocblas_complex_numIfEPKS1_S1_EviiT2_lPKT1_lilS7_lilS4_lPT3_lili
    .private_segment_fixed_size: 0
    .sgpr_count:     30
    .sgpr_spill_count: 0
    .symbol:         _ZL20rocblas_gemvt_kernelILb0ELi256E19rocblas_complex_numIfEPKS1_S1_EviiT2_lPKT1_lilS7_lilS4_lPT3_lili.kd
    .uniform_work_group_size: 1
    .uses_dynamic_stack: false
    .vgpr_count:     14
    .vgpr_spill_count: 0
    .wavefront_size: 32
    .workgroup_processor_mode: 1
  - .args:
      - .offset:         0
        .size:           4
        .value_kind:     by_value
      - .offset:         4
        .size:           4
        .value_kind:     by_value
      - .offset:         8
        .size:           8
        .value_kind:     by_value
      - .offset:         16
        .size:           8
        .value_kind:     by_value
      - .address_space:  global
        .offset:         24
        .size:           8
        .value_kind:     global_buffer
      - .offset:         32
        .size:           8
        .value_kind:     by_value
      - .offset:         40
        .size:           4
        .value_kind:     by_value
      - .offset:         48
        .size:           8
        .value_kind:     by_value
      - .address_space:  global
        .offset:         56
        .size:           8
        .value_kind:     global_buffer
      - .offset:         64
        .size:           8
        .value_kind:     by_value
      - .offset:         72
        .size:           4
        .value_kind:     by_value
      - .offset:         80
        .size:           8
        .value_kind:     by_value
      - .offset:         88
        .size:           8
        .value_kind:     by_value
      - .offset:         96
        .size:           8
        .value_kind:     by_value
      - .address_space:  global
        .offset:         104
        .size:           8
        .value_kind:     global_buffer
      - .offset:         112
        .size:           8
        .value_kind:     by_value
      - .offset:         120
        .size:           4
        .value_kind:     by_value
      - .offset:         128
        .size:           8
        .value_kind:     by_value
      - .offset:         136
        .size:           4
        .value_kind:     by_value
    .group_segment_fixed_size: 2048
    .kernarg_segment_align: 8
    .kernarg_segment_size: 140
    .language:       OpenCL C
    .language_version:
      - 2
      - 0
    .max_flat_workgroup_size: 256
    .name:           _ZL20rocblas_gemvt_kernelILb0ELi256E19rocblas_complex_numIfES1_S1_EviiT2_lPKT1_lilS5_lilS2_lPT3_lili
    .private_segment_fixed_size: 0
    .sgpr_count:     30
    .sgpr_spill_count: 0
    .symbol:         _ZL20rocblas_gemvt_kernelILb0ELi256E19rocblas_complex_numIfES1_S1_EviiT2_lPKT1_lilS5_lilS2_lPT3_lili.kd
    .uniform_work_group_size: 1
    .uses_dynamic_stack: false
    .vgpr_count:     14
    .vgpr_spill_count: 0
    .wavefront_size: 32
    .workgroup_processor_mode: 1
  - .args:
      - .offset:         0
        .size:           4
        .value_kind:     by_value
      - .offset:         4
        .size:           4
        .value_kind:     by_value
      - .address_space:  global
        .offset:         8
        .size:           8
        .value_kind:     global_buffer
      - .offset:         16
        .size:           8
        .value_kind:     by_value
      - .address_space:  global
        .offset:         24
        .size:           8
        .value_kind:     global_buffer
      - .offset:         32
        .size:           8
        .value_kind:     by_value
      - .offset:         40
        .size:           4
        .value_kind:     by_value
      - .offset:         48
        .size:           8
        .value_kind:     by_value
      - .address_space:  global
        .offset:         56
        .size:           8
        .value_kind:     global_buffer
      - .offset:         64
        .size:           8
        .value_kind:     by_value
      - .offset:         72
        .size:           4
        .value_kind:     by_value
      - .offset:         80
        .size:           8
        .value_kind:     by_value
      - .address_space:  global
        .offset:         88
        .size:           8
        .value_kind:     global_buffer
      - .offset:         96
        .size:           8
        .value_kind:     by_value
      - .address_space:  global
        .offset:         104
        .size:           8
        .value_kind:     global_buffer
      - .offset:         112
        .size:           8
        .value_kind:     by_value
      - .offset:         120
        .size:           4
        .value_kind:     by_value
      - .offset:         128
        .size:           8
        .value_kind:     by_value
      - .offset:         136
        .size:           4
        .value_kind:     by_value
    .group_segment_fixed_size: 256
    .kernarg_segment_align: 8
    .kernarg_segment_size: 140
    .language:       OpenCL C
    .language_version:
      - 2
      - 0
    .max_flat_workgroup_size: 1024
    .name:           _ZL32rocblas_gemvt_warp_reduce_kernelILb0ELi1024Ei19rocblas_complex_numIfEPKS1_S1_EviiT3_lPKT2_lT1_lS7_lS8_lS4_lPT4_lS8_li
    .private_segment_fixed_size: 0
    .sgpr_count:     28
    .sgpr_spill_count: 0
    .symbol:         _ZL32rocblas_gemvt_warp_reduce_kernelILb0ELi1024Ei19rocblas_complex_numIfEPKS1_S1_EviiT3_lPKT2_lT1_lS7_lS8_lS4_lPT4_lS8_li.kd
    .uniform_work_group_size: 1
    .uses_dynamic_stack: false
    .vgpr_count:     14
    .vgpr_spill_count: 0
    .wavefront_size: 32
    .workgroup_processor_mode: 1
  - .args:
      - .offset:         0
        .size:           4
        .value_kind:     by_value
      - .offset:         4
        .size:           4
        .value_kind:     by_value
      - .address_space:  global
        .offset:         8
        .size:           8
        .value_kind:     global_buffer
      - .offset:         16
        .size:           8
        .value_kind:     by_value
      - .address_space:  global
        .offset:         24
        .size:           8
        .value_kind:     global_buffer
      - .offset:         32
        .size:           8
        .value_kind:     by_value
      - .offset:         40
        .size:           8
        .value_kind:     by_value
      - .offset:         48
        .size:           8
        .value_kind:     by_value
      - .address_space:  global
        .offset:         56
        .size:           8
        .value_kind:     global_buffer
      - .offset:         64
        .size:           8
        .value_kind:     by_value
      - .offset:         72
        .size:           8
        .value_kind:     by_value
      - .offset:         80
        .size:           8
        .value_kind:     by_value
      - .address_space:  global
        .offset:         88
        .size:           8
        .value_kind:     global_buffer
      - .offset:         96
        .size:           8
        .value_kind:     by_value
      - .address_space:  global
        .offset:         104
        .size:           8
        .value_kind:     global_buffer
      - .offset:         112
        .size:           8
        .value_kind:     by_value
      - .offset:         120
        .size:           8
        .value_kind:     by_value
      - .offset:         128
        .size:           8
        .value_kind:     by_value
      - .offset:         136
        .size:           4
        .value_kind:     by_value
    .group_segment_fixed_size: 256
    .kernarg_segment_align: 8
    .kernarg_segment_size: 140
    .language:       OpenCL C
    .language_version:
      - 2
      - 0
    .max_flat_workgroup_size: 1024
    .name:           _ZL32rocblas_gemvt_warp_reduce_kernelILb0ELi1024El19rocblas_complex_numIfEPKS1_S1_EviiT3_lPKT2_lT1_lS7_lS8_lS4_lPT4_lS8_li
    .private_segment_fixed_size: 0
    .sgpr_count:     54
    .sgpr_spill_count: 0
    .symbol:         _ZL32rocblas_gemvt_warp_reduce_kernelILb0ELi1024El19rocblas_complex_numIfEPKS1_S1_EviiT3_lPKT2_lT1_lS7_lS8_lS4_lPT4_lS8_li.kd
    .uniform_work_group_size: 1
    .uses_dynamic_stack: false
    .vgpr_count:     15
    .vgpr_spill_count: 0
    .wavefront_size: 32
    .workgroup_processor_mode: 1
  - .args:
      - .offset:         0
        .size:           4
        .value_kind:     by_value
      - .offset:         4
        .size:           4
        .value_kind:     by_value
      - .offset:         8
        .size:           8
        .value_kind:     by_value
      - .offset:         16
        .size:           8
        .value_kind:     by_value
      - .address_space:  global
        .offset:         24
        .size:           8
        .value_kind:     global_buffer
      - .offset:         32
        .size:           8
        .value_kind:     by_value
      - .offset:         40
        .size:           4
        .value_kind:     by_value
      - .offset:         48
        .size:           8
        .value_kind:     by_value
      - .address_space:  global
        .offset:         56
        .size:           8
        .value_kind:     global_buffer
      - .offset:         64
        .size:           8
        .value_kind:     by_value
      - .offset:         72
        .size:           4
        .value_kind:     by_value
      - .offset:         80
        .size:           8
        .value_kind:     by_value
      - .offset:         88
        .size:           8
        .value_kind:     by_value
      - .offset:         96
        .size:           8
        .value_kind:     by_value
      - .address_space:  global
        .offset:         104
        .size:           8
        .value_kind:     global_buffer
      - .offset:         112
        .size:           8
        .value_kind:     by_value
      - .offset:         120
        .size:           4
        .value_kind:     by_value
      - .offset:         128
        .size:           8
        .value_kind:     by_value
      - .offset:         136
        .size:           4
        .value_kind:     by_value
    .group_segment_fixed_size: 256
    .kernarg_segment_align: 8
    .kernarg_segment_size: 140
    .language:       OpenCL C
    .language_version:
      - 2
      - 0
    .max_flat_workgroup_size: 1024
    .name:           _ZL32rocblas_gemvt_warp_reduce_kernelILb0ELi1024Ei19rocblas_complex_numIfES1_S1_EviiT3_lPKT2_lT1_lS5_lS6_lS2_lPT4_lS6_li
    .private_segment_fixed_size: 0
    .sgpr_count:     28
    .sgpr_spill_count: 0
    .symbol:         _ZL32rocblas_gemvt_warp_reduce_kernelILb0ELi1024Ei19rocblas_complex_numIfES1_S1_EviiT3_lPKT2_lT1_lS5_lS6_lS2_lPT4_lS6_li.kd
    .uniform_work_group_size: 1
    .uses_dynamic_stack: false
    .vgpr_count:     14
    .vgpr_spill_count: 0
    .wavefront_size: 32
    .workgroup_processor_mode: 1
  - .args:
      - .offset:         0
        .size:           4
        .value_kind:     by_value
      - .offset:         4
        .size:           4
        .value_kind:     by_value
      - .offset:         8
        .size:           8
        .value_kind:     by_value
      - .offset:         16
        .size:           8
        .value_kind:     by_value
      - .address_space:  global
        .offset:         24
        .size:           8
        .value_kind:     global_buffer
      - .offset:         32
        .size:           8
        .value_kind:     by_value
      - .offset:         40
        .size:           8
        .value_kind:     by_value
      - .offset:         48
        .size:           8
        .value_kind:     by_value
      - .address_space:  global
        .offset:         56
        .size:           8
        .value_kind:     global_buffer
      - .offset:         64
        .size:           8
        .value_kind:     by_value
      - .offset:         72
        .size:           8
        .value_kind:     by_value
      - .offset:         80
        .size:           8
        .value_kind:     by_value
      - .offset:         88
        .size:           8
        .value_kind:     by_value
      - .offset:         96
        .size:           8
        .value_kind:     by_value
      - .address_space:  global
        .offset:         104
        .size:           8
        .value_kind:     global_buffer
      - .offset:         112
        .size:           8
        .value_kind:     by_value
      - .offset:         120
        .size:           8
        .value_kind:     by_value
      - .offset:         128
        .size:           8
        .value_kind:     by_value
      - .offset:         136
        .size:           4
        .value_kind:     by_value
    .group_segment_fixed_size: 256
    .kernarg_segment_align: 8
    .kernarg_segment_size: 140
    .language:       OpenCL C
    .language_version:
      - 2
      - 0
    .max_flat_workgroup_size: 1024
    .name:           _ZL32rocblas_gemvt_warp_reduce_kernelILb0ELi1024El19rocblas_complex_numIfES1_S1_EviiT3_lPKT2_lT1_lS5_lS6_lS2_lPT4_lS6_li
    .private_segment_fixed_size: 0
    .sgpr_count:     33
    .sgpr_spill_count: 0
    .symbol:         _ZL32rocblas_gemvt_warp_reduce_kernelILb0ELi1024El19rocblas_complex_numIfES1_S1_EviiT3_lPKT2_lT1_lS5_lS6_lS2_lPT4_lS6_li.kd
    .uniform_work_group_size: 1
    .uses_dynamic_stack: false
    .vgpr_count:     15
    .vgpr_spill_count: 0
    .wavefront_size: 32
    .workgroup_processor_mode: 1
  - .args:
      - .offset:         0
        .size:           4
        .value_kind:     by_value
      - .offset:         4
        .size:           4
        .value_kind:     by_value
      - .address_space:  global
        .offset:         8
        .size:           8
        .value_kind:     global_buffer
      - .offset:         16
        .size:           8
        .value_kind:     by_value
      - .address_space:  global
        .offset:         24
        .size:           8
        .value_kind:     global_buffer
      - .offset:         32
        .size:           8
        .value_kind:     by_value
      - .offset:         40
        .size:           4
        .value_kind:     by_value
      - .offset:         48
        .size:           8
        .value_kind:     by_value
      - .address_space:  global
        .offset:         56
        .size:           8
        .value_kind:     global_buffer
      - .offset:         64
        .size:           8
        .value_kind:     by_value
      - .offset:         72
        .size:           4
        .value_kind:     by_value
      - .offset:         80
        .size:           8
        .value_kind:     by_value
      - .address_space:  global
        .offset:         88
        .size:           8
        .value_kind:     global_buffer
      - .offset:         96
        .size:           8
        .value_kind:     by_value
      - .address_space:  global
        .offset:         104
        .size:           8
        .value_kind:     global_buffer
      - .offset:         112
        .size:           8
        .value_kind:     by_value
      - .offset:         120
        .size:           4
        .value_kind:     by_value
      - .offset:         128
        .size:           8
        .value_kind:     by_value
    .group_segment_fixed_size: 512
    .kernarg_segment_align: 8
    .kernarg_segment_size: 136
    .language:       OpenCL C
    .language_version:
      - 2
      - 0
    .max_flat_workgroup_size: 256
    .name:           _ZL22rocblas_gemvtsm_kernelILb1ELi256E19rocblas_complex_numIfEPKS1_S1_EviiT2_lPKT1_lilS7_lilS4_lPT3_lil
    .private_segment_fixed_size: 0
    .sgpr_count:     33
    .sgpr_spill_count: 0
    .symbol:         _ZL22rocblas_gemvtsm_kernelILb1ELi256E19rocblas_complex_numIfEPKS1_S1_EviiT2_lPKT1_lilS7_lilS4_lPT3_lil.kd
    .uniform_work_group_size: 1
    .uses_dynamic_stack: false
    .vgpr_count:     51
    .vgpr_spill_count: 0
    .wavefront_size: 32
    .workgroup_processor_mode: 1
  - .args:
      - .offset:         0
        .size:           4
        .value_kind:     by_value
      - .offset:         4
        .size:           4
        .value_kind:     by_value
      - .offset:         8
        .size:           8
        .value_kind:     by_value
      - .offset:         16
        .size:           8
        .value_kind:     by_value
      - .address_space:  global
        .offset:         24
        .size:           8
        .value_kind:     global_buffer
      - .offset:         32
        .size:           8
        .value_kind:     by_value
      - .offset:         40
        .size:           4
        .value_kind:     by_value
      - .offset:         48
        .size:           8
        .value_kind:     by_value
      - .address_space:  global
        .offset:         56
        .size:           8
        .value_kind:     global_buffer
      - .offset:         64
        .size:           8
        .value_kind:     by_value
      - .offset:         72
        .size:           4
        .value_kind:     by_value
      - .offset:         80
        .size:           8
        .value_kind:     by_value
      - .offset:         88
        .size:           8
        .value_kind:     by_value
      - .offset:         96
        .size:           8
        .value_kind:     by_value
      - .address_space:  global
        .offset:         104
        .size:           8
        .value_kind:     global_buffer
      - .offset:         112
        .size:           8
        .value_kind:     by_value
      - .offset:         120
        .size:           4
        .value_kind:     by_value
      - .offset:         128
        .size:           8
        .value_kind:     by_value
    .group_segment_fixed_size: 512
    .kernarg_segment_align: 8
    .kernarg_segment_size: 136
    .language:       OpenCL C
    .language_version:
      - 2
      - 0
    .max_flat_workgroup_size: 256
    .name:           _ZL22rocblas_gemvtsm_kernelILb1ELi256E19rocblas_complex_numIfES1_S1_EviiT2_lPKT1_lilS5_lilS2_lPT3_lil
    .private_segment_fixed_size: 0
    .sgpr_count:     29
    .sgpr_spill_count: 0
    .symbol:         _ZL22rocblas_gemvtsm_kernelILb1ELi256E19rocblas_complex_numIfES1_S1_EviiT2_lPKT1_lilS5_lilS2_lPT3_lil.kd
    .uniform_work_group_size: 1
    .uses_dynamic_stack: false
    .vgpr_count:     51
    .vgpr_spill_count: 0
    .wavefront_size: 32
    .workgroup_processor_mode: 1
  - .args:
      - .offset:         0
        .size:           4
        .value_kind:     by_value
      - .offset:         4
        .size:           4
        .value_kind:     by_value
      - .address_space:  global
        .offset:         8
        .size:           8
        .value_kind:     global_buffer
      - .offset:         16
        .size:           8
        .value_kind:     by_value
      - .address_space:  global
        .offset:         24
        .size:           8
        .value_kind:     global_buffer
      - .offset:         32
        .size:           8
        .value_kind:     by_value
      - .offset:         40
        .size:           4
        .value_kind:     by_value
      - .offset:         48
        .size:           8
        .value_kind:     by_value
      - .address_space:  global
        .offset:         56
        .size:           8
        .value_kind:     global_buffer
      - .offset:         64
        .size:           8
        .value_kind:     by_value
      - .offset:         72
        .size:           4
        .value_kind:     by_value
      - .offset:         80
        .size:           8
        .value_kind:     by_value
      - .address_space:  global
        .offset:         88
        .size:           8
        .value_kind:     global_buffer
      - .offset:         96
        .size:           4
        .value_kind:     by_value
      - .offset:         104
        .size:           4
        .value_kind:     hidden_block_count_x
      - .offset:         108
        .size:           4
        .value_kind:     hidden_block_count_y
      - .offset:         112
        .size:           4
        .value_kind:     hidden_block_count_z
      - .offset:         116
        .size:           2
        .value_kind:     hidden_group_size_x
      - .offset:         118
        .size:           2
        .value_kind:     hidden_group_size_y
      - .offset:         120
        .size:           2
        .value_kind:     hidden_group_size_z
      - .offset:         122
        .size:           2
        .value_kind:     hidden_remainder_x
      - .offset:         124
        .size:           2
        .value_kind:     hidden_remainder_y
      - .offset:         126
        .size:           2
        .value_kind:     hidden_remainder_z
      - .offset:         144
        .size:           8
        .value_kind:     hidden_global_offset_x
      - .offset:         152
        .size:           8
        .value_kind:     hidden_global_offset_y
      - .offset:         160
        .size:           8
        .value_kind:     hidden_global_offset_z
      - .offset:         168
        .size:           2
        .value_kind:     hidden_grid_dims
    .group_segment_fixed_size: 256
    .kernarg_segment_align: 8
    .kernarg_segment_size: 360
    .language:       OpenCL C
    .language_version:
      - 2
      - 0
    .max_flat_workgroup_size: 256
    .name:           _ZL23rocblas_gemvt_sn_kernelILb1ELi256ELi4Ei19rocblas_complex_numIfEPKS1_S1_EviiT4_lPKT3_lilS7_lilPT5_i
    .private_segment_fixed_size: 48
    .sgpr_count:     58
    .sgpr_spill_count: 0
    .symbol:         _ZL23rocblas_gemvt_sn_kernelILb1ELi256ELi4Ei19rocblas_complex_numIfEPKS1_S1_EviiT4_lPKT3_lilS7_lilPT5_i.kd
    .uniform_work_group_size: 1
    .uses_dynamic_stack: false
    .vgpr_count:     82
    .vgpr_spill_count: 0
    .wavefront_size: 32
    .workgroup_processor_mode: 1
  - .args:
      - .offset:         0
        .size:           4
        .value_kind:     by_value
      - .offset:         4
        .size:           4
        .value_kind:     by_value
      - .address_space:  global
        .offset:         8
        .size:           8
        .value_kind:     global_buffer
      - .offset:         16
        .size:           8
        .value_kind:     by_value
      - .address_space:  global
        .offset:         24
        .size:           8
        .value_kind:     global_buffer
      - .offset:         32
        .size:           8
        .value_kind:     by_value
      - .offset:         40
        .size:           4
        .value_kind:     by_value
      - .offset:         48
        .size:           8
        .value_kind:     by_value
      - .address_space:  global
        .offset:         56
        .size:           8
        .value_kind:     global_buffer
      - .offset:         64
        .size:           8
        .value_kind:     by_value
      - .offset:         72
        .size:           4
        .value_kind:     by_value
      - .offset:         80
        .size:           8
        .value_kind:     by_value
      - .address_space:  global
        .offset:         88
        .size:           8
        .value_kind:     global_buffer
      - .offset:         96
        .size:           4
        .value_kind:     by_value
      - .offset:         104
        .size:           4
        .value_kind:     hidden_block_count_x
      - .offset:         108
        .size:           4
        .value_kind:     hidden_block_count_y
      - .offset:         112
        .size:           4
        .value_kind:     hidden_block_count_z
      - .offset:         116
        .size:           2
        .value_kind:     hidden_group_size_x
      - .offset:         118
        .size:           2
        .value_kind:     hidden_group_size_y
      - .offset:         120
        .size:           2
        .value_kind:     hidden_group_size_z
      - .offset:         122
        .size:           2
        .value_kind:     hidden_remainder_x
      - .offset:         124
        .size:           2
        .value_kind:     hidden_remainder_y
      - .offset:         126
        .size:           2
        .value_kind:     hidden_remainder_z
      - .offset:         144
        .size:           8
        .value_kind:     hidden_global_offset_x
      - .offset:         152
        .size:           8
        .value_kind:     hidden_global_offset_y
      - .offset:         160
        .size:           8
        .value_kind:     hidden_global_offset_z
      - .offset:         168
        .size:           2
        .value_kind:     hidden_grid_dims
    .group_segment_fixed_size: 256
    .kernarg_segment_align: 8
    .kernarg_segment_size: 360
    .language:       OpenCL C
    .language_version:
      - 2
      - 0
    .max_flat_workgroup_size: 256
    .name:           _ZL23rocblas_gemvt_sn_kernelILb1ELi256ELi4El19rocblas_complex_numIfEPKS1_S1_EviiT4_lPKT3_lilS7_lilPT5_i
    .private_segment_fixed_size: 48
    .sgpr_count:     58
    .sgpr_spill_count: 0
    .symbol:         _ZL23rocblas_gemvt_sn_kernelILb1ELi256ELi4El19rocblas_complex_numIfEPKS1_S1_EviiT4_lPKT3_lilS7_lilPT5_i.kd
    .uniform_work_group_size: 1
    .uses_dynamic_stack: false
    .vgpr_count:     88
    .vgpr_spill_count: 0
    .wavefront_size: 32
    .workgroup_processor_mode: 1
  - .args:
      - .offset:         0
        .size:           4
        .value_kind:     by_value
      - .offset:         4
        .size:           4
        .value_kind:     by_value
      - .offset:         8
        .size:           8
        .value_kind:     by_value
      - .offset:         16
        .size:           8
        .value_kind:     by_value
      - .address_space:  global
        .offset:         24
        .size:           8
        .value_kind:     global_buffer
      - .offset:         32
        .size:           8
        .value_kind:     by_value
      - .offset:         40
        .size:           4
        .value_kind:     by_value
      - .offset:         48
        .size:           8
        .value_kind:     by_value
      - .address_space:  global
        .offset:         56
        .size:           8
        .value_kind:     global_buffer
      - .offset:         64
        .size:           8
        .value_kind:     by_value
      - .offset:         72
        .size:           4
        .value_kind:     by_value
      - .offset:         80
        .size:           8
        .value_kind:     by_value
      - .address_space:  global
        .offset:         88
        .size:           8
        .value_kind:     global_buffer
      - .offset:         96
        .size:           4
        .value_kind:     by_value
      - .offset:         104
        .size:           4
        .value_kind:     hidden_block_count_x
      - .offset:         108
        .size:           4
        .value_kind:     hidden_block_count_y
      - .offset:         112
        .size:           4
        .value_kind:     hidden_block_count_z
      - .offset:         116
        .size:           2
        .value_kind:     hidden_group_size_x
      - .offset:         118
        .size:           2
        .value_kind:     hidden_group_size_y
      - .offset:         120
        .size:           2
        .value_kind:     hidden_group_size_z
      - .offset:         122
        .size:           2
        .value_kind:     hidden_remainder_x
      - .offset:         124
        .size:           2
        .value_kind:     hidden_remainder_y
      - .offset:         126
        .size:           2
        .value_kind:     hidden_remainder_z
      - .offset:         144
        .size:           8
        .value_kind:     hidden_global_offset_x
      - .offset:         152
        .size:           8
        .value_kind:     hidden_global_offset_y
      - .offset:         160
        .size:           8
        .value_kind:     hidden_global_offset_z
      - .offset:         168
        .size:           2
        .value_kind:     hidden_grid_dims
    .group_segment_fixed_size: 256
    .kernarg_segment_align: 8
    .kernarg_segment_size: 360
    .language:       OpenCL C
    .language_version:
      - 2
      - 0
    .max_flat_workgroup_size: 256
    .name:           _ZL23rocblas_gemvt_sn_kernelILb1ELi256ELi4Ei19rocblas_complex_numIfES1_S1_EviiT4_lPKT3_lilS5_lilPT5_i
    .private_segment_fixed_size: 48
    .sgpr_count:     58
    .sgpr_spill_count: 0
    .symbol:         _ZL23rocblas_gemvt_sn_kernelILb1ELi256ELi4Ei19rocblas_complex_numIfES1_S1_EviiT4_lPKT3_lilS5_lilPT5_i.kd
    .uniform_work_group_size: 1
    .uses_dynamic_stack: false
    .vgpr_count:     82
    .vgpr_spill_count: 0
    .wavefront_size: 32
    .workgroup_processor_mode: 1
  - .args:
      - .offset:         0
        .size:           4
        .value_kind:     by_value
      - .offset:         4
        .size:           4
        .value_kind:     by_value
      - .offset:         8
        .size:           8
        .value_kind:     by_value
      - .offset:         16
        .size:           8
        .value_kind:     by_value
      - .address_space:  global
        .offset:         24
        .size:           8
        .value_kind:     global_buffer
      - .offset:         32
        .size:           8
        .value_kind:     by_value
      - .offset:         40
        .size:           4
        .value_kind:     by_value
      - .offset:         48
        .size:           8
        .value_kind:     by_value
      - .address_space:  global
        .offset:         56
        .size:           8
        .value_kind:     global_buffer
      - .offset:         64
        .size:           8
        .value_kind:     by_value
      - .offset:         72
        .size:           4
        .value_kind:     by_value
      - .offset:         80
        .size:           8
        .value_kind:     by_value
      - .address_space:  global
        .offset:         88
        .size:           8
        .value_kind:     global_buffer
      - .offset:         96
        .size:           4
        .value_kind:     by_value
      - .offset:         104
        .size:           4
        .value_kind:     hidden_block_count_x
      - .offset:         108
        .size:           4
        .value_kind:     hidden_block_count_y
      - .offset:         112
        .size:           4
        .value_kind:     hidden_block_count_z
      - .offset:         116
        .size:           2
        .value_kind:     hidden_group_size_x
      - .offset:         118
        .size:           2
        .value_kind:     hidden_group_size_y
      - .offset:         120
        .size:           2
        .value_kind:     hidden_group_size_z
      - .offset:         122
        .size:           2
        .value_kind:     hidden_remainder_x
      - .offset:         124
        .size:           2
        .value_kind:     hidden_remainder_y
      - .offset:         126
        .size:           2
        .value_kind:     hidden_remainder_z
      - .offset:         144
        .size:           8
        .value_kind:     hidden_global_offset_x
      - .offset:         152
        .size:           8
        .value_kind:     hidden_global_offset_y
      - .offset:         160
        .size:           8
        .value_kind:     hidden_global_offset_z
      - .offset:         168
        .size:           2
        .value_kind:     hidden_grid_dims
    .group_segment_fixed_size: 256
    .kernarg_segment_align: 8
    .kernarg_segment_size: 360
    .language:       OpenCL C
    .language_version:
      - 2
      - 0
    .max_flat_workgroup_size: 256
    .name:           _ZL23rocblas_gemvt_sn_kernelILb1ELi256ELi4El19rocblas_complex_numIfES1_S1_EviiT4_lPKT3_lilS5_lilPT5_i
    .private_segment_fixed_size: 48
    .sgpr_count:     58
    .sgpr_spill_count: 0
    .symbol:         _ZL23rocblas_gemvt_sn_kernelILb1ELi256ELi4El19rocblas_complex_numIfES1_S1_EviiT4_lPKT3_lilS5_lilPT5_i.kd
    .uniform_work_group_size: 1
    .uses_dynamic_stack: false
    .vgpr_count:     88
    .vgpr_spill_count: 0
    .wavefront_size: 32
    .workgroup_processor_mode: 1
  - .args:
      - .offset:         0
        .size:           4
        .value_kind:     by_value
      - .offset:         4
        .size:           4
        .value_kind:     by_value
      - .address_space:  global
        .offset:         8
        .size:           8
        .value_kind:     global_buffer
      - .offset:         16
        .size:           8
        .value_kind:     by_value
      - .address_space:  global
        .offset:         24
        .size:           8
        .value_kind:     global_buffer
      - .offset:         32
        .size:           8
        .value_kind:     by_value
      - .offset:         40
        .size:           4
        .value_kind:     by_value
      - .offset:         48
        .size:           8
        .value_kind:     by_value
      - .address_space:  global
        .offset:         56
        .size:           8
        .value_kind:     global_buffer
      - .offset:         64
        .size:           8
        .value_kind:     by_value
      - .offset:         72
        .size:           4
        .value_kind:     by_value
      - .offset:         80
        .size:           8
        .value_kind:     by_value
      - .address_space:  global
        .offset:         88
        .size:           8
        .value_kind:     global_buffer
      - .offset:         96
        .size:           8
        .value_kind:     by_value
      - .address_space:  global
        .offset:         104
        .size:           8
        .value_kind:     global_buffer
      - .offset:         112
        .size:           8
        .value_kind:     by_value
      - .offset:         120
        .size:           4
        .value_kind:     by_value
      - .offset:         128
        .size:           8
        .value_kind:     by_value
      - .offset:         136
        .size:           4
        .value_kind:     by_value
    .group_segment_fixed_size: 2048
    .kernarg_segment_align: 8
    .kernarg_segment_size: 140
    .language:       OpenCL C
    .language_version:
      - 2
      - 0
    .max_flat_workgroup_size: 256
    .name:           _ZL20rocblas_gemvt_kernelILb1ELi256E19rocblas_complex_numIfEPKS1_S1_EviiT2_lPKT1_lilS7_lilS4_lPT3_lili
    .private_segment_fixed_size: 0
    .sgpr_count:     38
    .sgpr_spill_count: 0
    .symbol:         _ZL20rocblas_gemvt_kernelILb1ELi256E19rocblas_complex_numIfEPKS1_S1_EviiT2_lPKT1_lilS7_lilS4_lPT3_lili.kd
    .uniform_work_group_size: 1
    .uses_dynamic_stack: false
    .vgpr_count:     13
    .vgpr_spill_count: 0
    .wavefront_size: 32
    .workgroup_processor_mode: 1
  - .args:
      - .offset:         0
        .size:           4
        .value_kind:     by_value
      - .offset:         4
        .size:           4
        .value_kind:     by_value
      - .offset:         8
        .size:           8
        .value_kind:     by_value
      - .offset:         16
        .size:           8
        .value_kind:     by_value
      - .address_space:  global
        .offset:         24
        .size:           8
        .value_kind:     global_buffer
      - .offset:         32
        .size:           8
        .value_kind:     by_value
      - .offset:         40
        .size:           4
        .value_kind:     by_value
      - .offset:         48
        .size:           8
        .value_kind:     by_value
      - .address_space:  global
        .offset:         56
        .size:           8
        .value_kind:     global_buffer
      - .offset:         64
        .size:           8
        .value_kind:     by_value
      - .offset:         72
        .size:           4
        .value_kind:     by_value
      - .offset:         80
        .size:           8
        .value_kind:     by_value
      - .offset:         88
        .size:           8
        .value_kind:     by_value
      - .offset:         96
        .size:           8
        .value_kind:     by_value
      - .address_space:  global
        .offset:         104
        .size:           8
        .value_kind:     global_buffer
      - .offset:         112
        .size:           8
        .value_kind:     by_value
      - .offset:         120
        .size:           4
        .value_kind:     by_value
      - .offset:         128
        .size:           8
        .value_kind:     by_value
      - .offset:         136
        .size:           4
        .value_kind:     by_value
    .group_segment_fixed_size: 2048
    .kernarg_segment_align: 8
    .kernarg_segment_size: 140
    .language:       OpenCL C
    .language_version:
      - 2
      - 0
    .max_flat_workgroup_size: 256
    .name:           _ZL20rocblas_gemvt_kernelILb1ELi256E19rocblas_complex_numIfES1_S1_EviiT2_lPKT1_lilS5_lilS2_lPT3_lili
    .private_segment_fixed_size: 0
    .sgpr_count:     38
    .sgpr_spill_count: 0
    .symbol:         _ZL20rocblas_gemvt_kernelILb1ELi256E19rocblas_complex_numIfES1_S1_EviiT2_lPKT1_lilS5_lilS2_lPT3_lili.kd
    .uniform_work_group_size: 1
    .uses_dynamic_stack: false
    .vgpr_count:     13
    .vgpr_spill_count: 0
    .wavefront_size: 32
    .workgroup_processor_mode: 1
  - .args:
      - .offset:         0
        .size:           4
        .value_kind:     by_value
      - .offset:         4
        .size:           4
        .value_kind:     by_value
      - .address_space:  global
        .offset:         8
        .size:           8
        .value_kind:     global_buffer
      - .offset:         16
        .size:           8
        .value_kind:     by_value
      - .address_space:  global
        .offset:         24
        .size:           8
        .value_kind:     global_buffer
      - .offset:         32
        .size:           8
        .value_kind:     by_value
      - .offset:         40
        .size:           4
        .value_kind:     by_value
      - .offset:         48
        .size:           8
        .value_kind:     by_value
      - .address_space:  global
        .offset:         56
        .size:           8
        .value_kind:     global_buffer
      - .offset:         64
        .size:           8
        .value_kind:     by_value
      - .offset:         72
        .size:           4
        .value_kind:     by_value
      - .offset:         80
        .size:           8
        .value_kind:     by_value
      - .address_space:  global
        .offset:         88
        .size:           8
        .value_kind:     global_buffer
      - .offset:         96
        .size:           8
        .value_kind:     by_value
      - .address_space:  global
        .offset:         104
        .size:           8
        .value_kind:     global_buffer
      - .offset:         112
        .size:           8
        .value_kind:     by_value
      - .offset:         120
        .size:           4
        .value_kind:     by_value
      - .offset:         128
        .size:           8
        .value_kind:     by_value
      - .offset:         136
        .size:           4
        .value_kind:     by_value
    .group_segment_fixed_size: 256
    .kernarg_segment_align: 8
    .kernarg_segment_size: 140
    .language:       OpenCL C
    .language_version:
      - 2
      - 0
    .max_flat_workgroup_size: 1024
    .name:           _ZL32rocblas_gemvt_warp_reduce_kernelILb1ELi1024Ei19rocblas_complex_numIfEPKS1_S1_EviiT3_lPKT2_lT1_lS7_lS8_lS4_lPT4_lS8_li
    .private_segment_fixed_size: 0
    .sgpr_count:     30
    .sgpr_spill_count: 0
    .symbol:         _ZL32rocblas_gemvt_warp_reduce_kernelILb1ELi1024Ei19rocblas_complex_numIfEPKS1_S1_EviiT3_lPKT2_lT1_lS7_lS8_lS4_lPT4_lS8_li.kd
    .uniform_work_group_size: 1
    .uses_dynamic_stack: false
    .vgpr_count:     13
    .vgpr_spill_count: 0
    .wavefront_size: 32
    .workgroup_processor_mode: 1
  - .args:
      - .offset:         0
        .size:           4
        .value_kind:     by_value
      - .offset:         4
        .size:           4
        .value_kind:     by_value
      - .address_space:  global
        .offset:         8
        .size:           8
        .value_kind:     global_buffer
      - .offset:         16
        .size:           8
        .value_kind:     by_value
      - .address_space:  global
        .offset:         24
        .size:           8
        .value_kind:     global_buffer
      - .offset:         32
        .size:           8
        .value_kind:     by_value
      - .offset:         40
        .size:           8
        .value_kind:     by_value
      - .offset:         48
        .size:           8
        .value_kind:     by_value
      - .address_space:  global
        .offset:         56
        .size:           8
        .value_kind:     global_buffer
      - .offset:         64
        .size:           8
        .value_kind:     by_value
      - .offset:         72
        .size:           8
        .value_kind:     by_value
      - .offset:         80
        .size:           8
        .value_kind:     by_value
      - .address_space:  global
        .offset:         88
        .size:           8
        .value_kind:     global_buffer
      - .offset:         96
        .size:           8
        .value_kind:     by_value
      - .address_space:  global
        .offset:         104
        .size:           8
        .value_kind:     global_buffer
      - .offset:         112
        .size:           8
        .value_kind:     by_value
      - .offset:         120
        .size:           8
        .value_kind:     by_value
      - .offset:         128
        .size:           8
        .value_kind:     by_value
      - .offset:         136
        .size:           4
        .value_kind:     by_value
    .group_segment_fixed_size: 256
    .kernarg_segment_align: 8
    .kernarg_segment_size: 140
    .language:       OpenCL C
    .language_version:
      - 2
      - 0
    .max_flat_workgroup_size: 1024
    .name:           _ZL32rocblas_gemvt_warp_reduce_kernelILb1ELi1024El19rocblas_complex_numIfEPKS1_S1_EviiT3_lPKT2_lT1_lS7_lS8_lS4_lPT4_lS8_li
    .private_segment_fixed_size: 0
    .sgpr_count:     54
    .sgpr_spill_count: 0
    .symbol:         _ZL32rocblas_gemvt_warp_reduce_kernelILb1ELi1024El19rocblas_complex_numIfEPKS1_S1_EviiT3_lPKT2_lT1_lS7_lS8_lS4_lPT4_lS8_li.kd
    .uniform_work_group_size: 1
    .uses_dynamic_stack: false
    .vgpr_count:     14
    .vgpr_spill_count: 0
    .wavefront_size: 32
    .workgroup_processor_mode: 1
  - .args:
      - .offset:         0
        .size:           4
        .value_kind:     by_value
      - .offset:         4
        .size:           4
        .value_kind:     by_value
      - .offset:         8
        .size:           8
        .value_kind:     by_value
      - .offset:         16
        .size:           8
        .value_kind:     by_value
      - .address_space:  global
        .offset:         24
        .size:           8
        .value_kind:     global_buffer
      - .offset:         32
        .size:           8
        .value_kind:     by_value
      - .offset:         40
        .size:           4
        .value_kind:     by_value
      - .offset:         48
        .size:           8
        .value_kind:     by_value
      - .address_space:  global
        .offset:         56
        .size:           8
        .value_kind:     global_buffer
      - .offset:         64
        .size:           8
        .value_kind:     by_value
      - .offset:         72
        .size:           4
        .value_kind:     by_value
      - .offset:         80
        .size:           8
        .value_kind:     by_value
      - .offset:         88
        .size:           8
        .value_kind:     by_value
      - .offset:         96
        .size:           8
        .value_kind:     by_value
      - .address_space:  global
        .offset:         104
        .size:           8
        .value_kind:     global_buffer
      - .offset:         112
        .size:           8
        .value_kind:     by_value
      - .offset:         120
        .size:           4
        .value_kind:     by_value
      - .offset:         128
        .size:           8
        .value_kind:     by_value
      - .offset:         136
        .size:           4
        .value_kind:     by_value
    .group_segment_fixed_size: 256
    .kernarg_segment_align: 8
    .kernarg_segment_size: 140
    .language:       OpenCL C
    .language_version:
      - 2
      - 0
    .max_flat_workgroup_size: 1024
    .name:           _ZL32rocblas_gemvt_warp_reduce_kernelILb1ELi1024Ei19rocblas_complex_numIfES1_S1_EviiT3_lPKT2_lT1_lS5_lS6_lS2_lPT4_lS6_li
    .private_segment_fixed_size: 0
    .sgpr_count:     30
    .sgpr_spill_count: 0
    .symbol:         _ZL32rocblas_gemvt_warp_reduce_kernelILb1ELi1024Ei19rocblas_complex_numIfES1_S1_EviiT3_lPKT2_lT1_lS5_lS6_lS2_lPT4_lS6_li.kd
    .uniform_work_group_size: 1
    .uses_dynamic_stack: false
    .vgpr_count:     13
    .vgpr_spill_count: 0
    .wavefront_size: 32
    .workgroup_processor_mode: 1
  - .args:
      - .offset:         0
        .size:           4
        .value_kind:     by_value
      - .offset:         4
        .size:           4
        .value_kind:     by_value
      - .offset:         8
        .size:           8
        .value_kind:     by_value
      - .offset:         16
        .size:           8
        .value_kind:     by_value
      - .address_space:  global
        .offset:         24
        .size:           8
        .value_kind:     global_buffer
      - .offset:         32
        .size:           8
        .value_kind:     by_value
      - .offset:         40
        .size:           8
        .value_kind:     by_value
      - .offset:         48
        .size:           8
        .value_kind:     by_value
      - .address_space:  global
        .offset:         56
        .size:           8
        .value_kind:     global_buffer
      - .offset:         64
        .size:           8
        .value_kind:     by_value
      - .offset:         72
        .size:           8
        .value_kind:     by_value
      - .offset:         80
        .size:           8
        .value_kind:     by_value
      - .offset:         88
        .size:           8
        .value_kind:     by_value
      - .offset:         96
        .size:           8
        .value_kind:     by_value
      - .address_space:  global
        .offset:         104
        .size:           8
        .value_kind:     global_buffer
      - .offset:         112
        .size:           8
        .value_kind:     by_value
      - .offset:         120
        .size:           8
        .value_kind:     by_value
      - .offset:         128
        .size:           8
        .value_kind:     by_value
      - .offset:         136
        .size:           4
        .value_kind:     by_value
    .group_segment_fixed_size: 256
    .kernarg_segment_align: 8
    .kernarg_segment_size: 140
    .language:       OpenCL C
    .language_version:
      - 2
      - 0
    .max_flat_workgroup_size: 1024
    .name:           _ZL32rocblas_gemvt_warp_reduce_kernelILb1ELi1024El19rocblas_complex_numIfES1_S1_EviiT3_lPKT2_lT1_lS5_lS6_lS2_lPT4_lS6_li
    .private_segment_fixed_size: 0
    .sgpr_count:     41
    .sgpr_spill_count: 0
    .symbol:         _ZL32rocblas_gemvt_warp_reduce_kernelILb1ELi1024El19rocblas_complex_numIfES1_S1_EviiT3_lPKT2_lT1_lS5_lS6_lS2_lPT4_lS6_li.kd
    .uniform_work_group_size: 1
    .uses_dynamic_stack: false
    .vgpr_count:     14
    .vgpr_spill_count: 0
    .wavefront_size: 32
    .workgroup_processor_mode: 1
  - .args:
      - .offset:         0
        .size:           4
        .value_kind:     by_value
      - .offset:         4
        .size:           4
        .value_kind:     by_value
      - .address_space:  global
        .offset:         8
        .size:           8
        .value_kind:     global_buffer
      - .offset:         16
        .size:           8
        .value_kind:     by_value
      - .address_space:  global
        .offset:         24
        .size:           8
        .value_kind:     global_buffer
      - .offset:         32
        .size:           8
        .value_kind:     by_value
      - .offset:         40
        .size:           4
        .value_kind:     by_value
      - .offset:         48
        .size:           8
        .value_kind:     by_value
      - .address_space:  global
        .offset:         56
        .size:           8
        .value_kind:     global_buffer
      - .offset:         64
        .size:           8
        .value_kind:     by_value
      - .offset:         72
        .size:           4
        .value_kind:     by_value
      - .offset:         80
        .size:           8
        .value_kind:     by_value
      - .address_space:  global
        .offset:         88
        .size:           8
        .value_kind:     global_buffer
      - .offset:         96
        .size:           8
        .value_kind:     by_value
      - .address_space:  global
        .offset:         104
        .size:           8
        .value_kind:     global_buffer
      - .offset:         112
        .size:           8
        .value_kind:     by_value
      - .offset:         120
        .size:           4
        .value_kind:     by_value
      - .offset:         128
        .size:           8
        .value_kind:     by_value
      - .offset:         136
        .size:           4
        .value_kind:     by_value
    .group_segment_fixed_size: 0
    .kernarg_segment_align: 8
    .kernarg_segment_size: 140
    .language:       OpenCL C
    .language_version:
      - 2
      - 0
    .max_flat_workgroup_size: 768
    .name:           _ZL34rocblas_gemvn_sm_mn_batched_kernelILi32ELi24E19rocblas_complex_numIdEPKS1_S1_EviiT2_lPKT1_lilS7_lilS4_lPT3_lili
    .private_segment_fixed_size: 0
    .sgpr_count:     0
    .sgpr_spill_count: 0
    .symbol:         _ZL34rocblas_gemvn_sm_mn_batched_kernelILi32ELi24E19rocblas_complex_numIdEPKS1_S1_EviiT2_lPKT1_lilS7_lilS4_lPT3_lili.kd
    .uniform_work_group_size: 1
    .uses_dynamic_stack: false
    .vgpr_count:     0
    .vgpr_spill_count: 0
    .wavefront_size: 32
    .workgroup_processor_mode: 1
  - .args:
      - .offset:         0
        .size:           4
        .value_kind:     by_value
      - .offset:         4
        .size:           4
        .value_kind:     by_value
      - .offset:         8
        .size:           16
        .value_kind:     by_value
      - .offset:         24
        .size:           8
        .value_kind:     by_value
      - .address_space:  global
        .offset:         32
        .size:           8
        .value_kind:     global_buffer
      - .offset:         40
        .size:           8
        .value_kind:     by_value
      - .offset:         48
        .size:           4
        .value_kind:     by_value
      - .offset:         56
        .size:           8
        .value_kind:     by_value
      - .address_space:  global
        .offset:         64
        .size:           8
        .value_kind:     global_buffer
      - .offset:         72
        .size:           8
        .value_kind:     by_value
      - .offset:         80
        .size:           4
        .value_kind:     by_value
      - .offset:         88
        .size:           8
        .value_kind:     by_value
      - .offset:         96
        .size:           16
        .value_kind:     by_value
      - .offset:         112
        .size:           8
        .value_kind:     by_value
      - .address_space:  global
        .offset:         120
        .size:           8
        .value_kind:     global_buffer
      - .offset:         128
        .size:           8
        .value_kind:     by_value
      - .offset:         136
        .size:           4
        .value_kind:     by_value
      - .offset:         144
        .size:           8
        .value_kind:     by_value
      - .offset:         152
        .size:           4
        .value_kind:     by_value
    .group_segment_fixed_size: 0
    .kernarg_segment_align: 8
    .kernarg_segment_size: 156
    .language:       OpenCL C
    .language_version:
      - 2
      - 0
    .max_flat_workgroup_size: 768
    .name:           _ZL34rocblas_gemvn_sm_mn_batched_kernelILi32ELi24E19rocblas_complex_numIdES1_S1_EviiT2_lPKT1_lilS5_lilS2_lPT3_lili
    .private_segment_fixed_size: 0
    .sgpr_count:     0
    .sgpr_spill_count: 0
    .symbol:         _ZL34rocblas_gemvn_sm_mn_batched_kernelILi32ELi24E19rocblas_complex_numIdES1_S1_EviiT2_lPKT1_lilS5_lilS2_lPT3_lili.kd
    .uniform_work_group_size: 1
    .uses_dynamic_stack: false
    .vgpr_count:     0
    .vgpr_spill_count: 0
    .wavefront_size: 32
    .workgroup_processor_mode: 1
  - .args:
      - .offset:         0
        .size:           4
        .value_kind:     by_value
      - .offset:         4
        .size:           4
        .value_kind:     by_value
      - .address_space:  global
        .offset:         8
        .size:           8
        .value_kind:     global_buffer
      - .offset:         16
        .size:           8
        .value_kind:     by_value
      - .address_space:  global
        .offset:         24
        .size:           8
        .value_kind:     global_buffer
      - .offset:         32
        .size:           8
        .value_kind:     by_value
      - .offset:         40
        .size:           4
        .value_kind:     by_value
      - .offset:         48
        .size:           8
        .value_kind:     by_value
      - .address_space:  global
        .offset:         56
        .size:           8
        .value_kind:     global_buffer
      - .offset:         64
        .size:           8
        .value_kind:     by_value
      - .offset:         72
        .size:           4
        .value_kind:     by_value
      - .offset:         80
        .size:           8
        .value_kind:     by_value
      - .address_space:  global
        .offset:         88
        .size:           8
        .value_kind:     global_buffer
      - .offset:         96
        .size:           8
        .value_kind:     by_value
      - .address_space:  global
        .offset:         104
        .size:           8
        .value_kind:     global_buffer
      - .offset:         112
        .size:           8
        .value_kind:     by_value
      - .offset:         120
        .size:           4
        .value_kind:     by_value
      - .offset:         128
        .size:           8
        .value_kind:     by_value
      - .offset:         136
        .size:           4
        .value_kind:     by_value
      - .offset:         144
        .size:           4
        .value_kind:     hidden_block_count_x
      - .offset:         148
        .size:           4
        .value_kind:     hidden_block_count_y
      - .offset:         152
        .size:           4
        .value_kind:     hidden_block_count_z
      - .offset:         156
        .size:           2
        .value_kind:     hidden_group_size_x
      - .offset:         158
        .size:           2
        .value_kind:     hidden_group_size_y
      - .offset:         160
        .size:           2
        .value_kind:     hidden_group_size_z
      - .offset:         162
        .size:           2
        .value_kind:     hidden_remainder_x
      - .offset:         164
        .size:           2
        .value_kind:     hidden_remainder_y
      - .offset:         166
        .size:           2
        .value_kind:     hidden_remainder_z
      - .offset:         184
        .size:           8
        .value_kind:     hidden_global_offset_x
      - .offset:         192
        .size:           8
        .value_kind:     hidden_global_offset_y
      - .offset:         200
        .size:           8
        .value_kind:     hidden_global_offset_z
      - .offset:         208
        .size:           2
        .value_kind:     hidden_grid_dims
    .group_segment_fixed_size: 4096
    .kernarg_segment_align: 8
    .kernarg_segment_size: 400
    .language:       OpenCL C
    .language_version:
      - 2
      - 0
    .max_flat_workgroup_size: 256
    .name:           _ZL20rocblas_gemvn_kernelILi64ELi4Ei19rocblas_complex_numIdEPKS1_S1_EviiT3_lPKT2_lT1_lS7_lS8_lS4_lPT4_lS8_li
    .private_segment_fixed_size: 0
    .sgpr_count:     34
    .sgpr_spill_count: 0
    .symbol:         _ZL20rocblas_gemvn_kernelILi64ELi4Ei19rocblas_complex_numIdEPKS1_S1_EviiT3_lPKT2_lT1_lS7_lS8_lS4_lPT4_lS8_li.kd
    .uniform_work_group_size: 1
    .uses_dynamic_stack: false
    .vgpr_count:     21
    .vgpr_spill_count: 0
    .wavefront_size: 32
    .workgroup_processor_mode: 1
  - .args:
      - .offset:         0
        .size:           4
        .value_kind:     by_value
      - .offset:         4
        .size:           4
        .value_kind:     by_value
      - .address_space:  global
        .offset:         8
        .size:           8
        .value_kind:     global_buffer
      - .offset:         16
        .size:           8
        .value_kind:     by_value
      - .address_space:  global
        .offset:         24
        .size:           8
        .value_kind:     global_buffer
      - .offset:         32
        .size:           8
        .value_kind:     by_value
      - .offset:         40
        .size:           8
        .value_kind:     by_value
      - .offset:         48
        .size:           8
        .value_kind:     by_value
      - .address_space:  global
        .offset:         56
        .size:           8
        .value_kind:     global_buffer
      - .offset:         64
        .size:           8
        .value_kind:     by_value
      - .offset:         72
        .size:           8
        .value_kind:     by_value
      - .offset:         80
        .size:           8
        .value_kind:     by_value
      - .address_space:  global
        .offset:         88
        .size:           8
        .value_kind:     global_buffer
      - .offset:         96
        .size:           8
        .value_kind:     by_value
      - .address_space:  global
        .offset:         104
        .size:           8
        .value_kind:     global_buffer
      - .offset:         112
        .size:           8
        .value_kind:     by_value
      - .offset:         120
        .size:           8
        .value_kind:     by_value
      - .offset:         128
        .size:           8
        .value_kind:     by_value
      - .offset:         136
        .size:           4
        .value_kind:     by_value
      - .offset:         144
        .size:           4
        .value_kind:     hidden_block_count_x
      - .offset:         148
        .size:           4
        .value_kind:     hidden_block_count_y
      - .offset:         152
        .size:           4
        .value_kind:     hidden_block_count_z
      - .offset:         156
        .size:           2
        .value_kind:     hidden_group_size_x
      - .offset:         158
        .size:           2
        .value_kind:     hidden_group_size_y
      - .offset:         160
        .size:           2
        .value_kind:     hidden_group_size_z
      - .offset:         162
        .size:           2
        .value_kind:     hidden_remainder_x
      - .offset:         164
        .size:           2
        .value_kind:     hidden_remainder_y
      - .offset:         166
        .size:           2
        .value_kind:     hidden_remainder_z
      - .offset:         184
        .size:           8
        .value_kind:     hidden_global_offset_x
      - .offset:         192
        .size:           8
        .value_kind:     hidden_global_offset_y
      - .offset:         200
        .size:           8
        .value_kind:     hidden_global_offset_z
      - .offset:         208
        .size:           2
        .value_kind:     hidden_grid_dims
    .group_segment_fixed_size: 4096
    .kernarg_segment_align: 8
    .kernarg_segment_size: 400
    .language:       OpenCL C
    .language_version:
      - 2
      - 0
    .max_flat_workgroup_size: 256
    .name:           _ZL20rocblas_gemvn_kernelILi64ELi4El19rocblas_complex_numIdEPKS1_S1_EviiT3_lPKT2_lT1_lS7_lS8_lS4_lPT4_lS8_li
    .private_segment_fixed_size: 0
    .sgpr_count:     54
    .sgpr_spill_count: 0
    .symbol:         _ZL20rocblas_gemvn_kernelILi64ELi4El19rocblas_complex_numIdEPKS1_S1_EviiT3_lPKT2_lT1_lS7_lS8_lS4_lPT4_lS8_li.kd
    .uniform_work_group_size: 1
    .uses_dynamic_stack: false
    .vgpr_count:     21
    .vgpr_spill_count: 0
    .wavefront_size: 32
    .workgroup_processor_mode: 1
  - .args:
      - .offset:         0
        .size:           4
        .value_kind:     by_value
      - .offset:         4
        .size:           4
        .value_kind:     by_value
      - .offset:         8
        .size:           16
        .value_kind:     by_value
      - .offset:         24
        .size:           8
        .value_kind:     by_value
      - .address_space:  global
        .offset:         32
        .size:           8
        .value_kind:     global_buffer
      - .offset:         40
        .size:           8
        .value_kind:     by_value
      - .offset:         48
        .size:           4
        .value_kind:     by_value
      - .offset:         56
        .size:           8
        .value_kind:     by_value
      - .address_space:  global
        .offset:         64
        .size:           8
        .value_kind:     global_buffer
      - .offset:         72
        .size:           8
        .value_kind:     by_value
      - .offset:         80
        .size:           4
        .value_kind:     by_value
      - .offset:         88
        .size:           8
        .value_kind:     by_value
      - .offset:         96
        .size:           16
        .value_kind:     by_value
      - .offset:         112
        .size:           8
        .value_kind:     by_value
      - .address_space:  global
        .offset:         120
        .size:           8
        .value_kind:     global_buffer
      - .offset:         128
        .size:           8
        .value_kind:     by_value
      - .offset:         136
        .size:           4
        .value_kind:     by_value
      - .offset:         144
        .size:           8
        .value_kind:     by_value
      - .offset:         152
        .size:           4
        .value_kind:     by_value
      - .offset:         160
        .size:           4
        .value_kind:     hidden_block_count_x
      - .offset:         164
        .size:           4
        .value_kind:     hidden_block_count_y
      - .offset:         168
        .size:           4
        .value_kind:     hidden_block_count_z
      - .offset:         172
        .size:           2
        .value_kind:     hidden_group_size_x
      - .offset:         174
        .size:           2
        .value_kind:     hidden_group_size_y
      - .offset:         176
        .size:           2
        .value_kind:     hidden_group_size_z
      - .offset:         178
        .size:           2
        .value_kind:     hidden_remainder_x
      - .offset:         180
        .size:           2
        .value_kind:     hidden_remainder_y
      - .offset:         182
        .size:           2
        .value_kind:     hidden_remainder_z
      - .offset:         200
        .size:           8
        .value_kind:     hidden_global_offset_x
      - .offset:         208
        .size:           8
        .value_kind:     hidden_global_offset_y
      - .offset:         216
        .size:           8
        .value_kind:     hidden_global_offset_z
      - .offset:         224
        .size:           2
        .value_kind:     hidden_grid_dims
    .group_segment_fixed_size: 4096
    .kernarg_segment_align: 8
    .kernarg_segment_size: 416
    .language:       OpenCL C
    .language_version:
      - 2
      - 0
    .max_flat_workgroup_size: 256
    .name:           _ZL20rocblas_gemvn_kernelILi64ELi4Ei19rocblas_complex_numIdES1_S1_EviiT3_lPKT2_lT1_lS5_lS6_lS2_lPT4_lS6_li
    .private_segment_fixed_size: 0
    .sgpr_count:     36
    .sgpr_spill_count: 0
    .symbol:         _ZL20rocblas_gemvn_kernelILi64ELi4Ei19rocblas_complex_numIdES1_S1_EviiT3_lPKT2_lT1_lS5_lS6_lS2_lPT4_lS6_li.kd
    .uniform_work_group_size: 1
    .uses_dynamic_stack: false
    .vgpr_count:     21
    .vgpr_spill_count: 0
    .wavefront_size: 32
    .workgroup_processor_mode: 1
  - .args:
      - .offset:         0
        .size:           4
        .value_kind:     by_value
      - .offset:         4
        .size:           4
        .value_kind:     by_value
      - .offset:         8
        .size:           16
        .value_kind:     by_value
      - .offset:         24
        .size:           8
        .value_kind:     by_value
      - .address_space:  global
        .offset:         32
        .size:           8
        .value_kind:     global_buffer
      - .offset:         40
        .size:           8
        .value_kind:     by_value
      - .offset:         48
        .size:           8
        .value_kind:     by_value
      - .offset:         56
        .size:           8
        .value_kind:     by_value
      - .address_space:  global
        .offset:         64
        .size:           8
        .value_kind:     global_buffer
      - .offset:         72
        .size:           8
        .value_kind:     by_value
      - .offset:         80
        .size:           8
        .value_kind:     by_value
      - .offset:         88
        .size:           8
        .value_kind:     by_value
      - .offset:         96
        .size:           16
        .value_kind:     by_value
      - .offset:         112
        .size:           8
        .value_kind:     by_value
      - .address_space:  global
        .offset:         120
        .size:           8
        .value_kind:     global_buffer
      - .offset:         128
        .size:           8
        .value_kind:     by_value
      - .offset:         136
        .size:           8
        .value_kind:     by_value
      - .offset:         144
        .size:           8
        .value_kind:     by_value
      - .offset:         152
        .size:           4
        .value_kind:     by_value
      - .offset:         160
        .size:           4
        .value_kind:     hidden_block_count_x
      - .offset:         164
        .size:           4
        .value_kind:     hidden_block_count_y
      - .offset:         168
        .size:           4
        .value_kind:     hidden_block_count_z
      - .offset:         172
        .size:           2
        .value_kind:     hidden_group_size_x
      - .offset:         174
        .size:           2
        .value_kind:     hidden_group_size_y
      - .offset:         176
        .size:           2
        .value_kind:     hidden_group_size_z
      - .offset:         178
        .size:           2
        .value_kind:     hidden_remainder_x
      - .offset:         180
        .size:           2
        .value_kind:     hidden_remainder_y
      - .offset:         182
        .size:           2
        .value_kind:     hidden_remainder_z
      - .offset:         200
        .size:           8
        .value_kind:     hidden_global_offset_x
      - .offset:         208
        .size:           8
        .value_kind:     hidden_global_offset_y
      - .offset:         216
        .size:           8
        .value_kind:     hidden_global_offset_z
      - .offset:         224
        .size:           2
        .value_kind:     hidden_grid_dims
    .group_segment_fixed_size: 4096
    .kernarg_segment_align: 8
    .kernarg_segment_size: 416
    .language:       OpenCL C
    .language_version:
      - 2
      - 0
    .max_flat_workgroup_size: 256
    .name:           _ZL20rocblas_gemvn_kernelILi64ELi4El19rocblas_complex_numIdES1_S1_EviiT3_lPKT2_lT1_lS5_lS6_lS2_lPT4_lS6_li
    .private_segment_fixed_size: 0
    .sgpr_count:     45
    .sgpr_spill_count: 0
    .symbol:         _ZL20rocblas_gemvn_kernelILi64ELi4El19rocblas_complex_numIdES1_S1_EviiT3_lPKT2_lT1_lS5_lS6_lS2_lPT4_lS6_li.kd
    .uniform_work_group_size: 1
    .uses_dynamic_stack: false
    .vgpr_count:     21
    .vgpr_spill_count: 0
    .wavefront_size: 32
    .workgroup_processor_mode: 1
  - .args:
      - .offset:         0
        .size:           4
        .value_kind:     by_value
      - .offset:         4
        .size:           4
        .value_kind:     by_value
      - .address_space:  global
        .offset:         8
        .size:           8
        .value_kind:     global_buffer
      - .offset:         16
        .size:           8
        .value_kind:     by_value
      - .address_space:  global
        .offset:         24
        .size:           8
        .value_kind:     global_buffer
      - .offset:         32
        .size:           8
        .value_kind:     by_value
      - .offset:         40
        .size:           4
        .value_kind:     by_value
      - .offset:         48
        .size:           8
        .value_kind:     by_value
      - .address_space:  global
        .offset:         56
        .size:           8
        .value_kind:     global_buffer
      - .offset:         64
        .size:           8
        .value_kind:     by_value
      - .offset:         72
        .size:           4
        .value_kind:     by_value
      - .offset:         80
        .size:           8
        .value_kind:     by_value
      - .address_space:  global
        .offset:         88
        .size:           8
        .value_kind:     global_buffer
      - .offset:         96
        .size:           8
        .value_kind:     by_value
      - .address_space:  global
        .offset:         104
        .size:           8
        .value_kind:     global_buffer
      - .offset:         112
        .size:           8
        .value_kind:     by_value
      - .offset:         120
        .size:           4
        .value_kind:     by_value
      - .offset:         128
        .size:           8
        .value_kind:     by_value
      - .offset:         136
        .size:           4
        .value_kind:     by_value
      - .offset:         144
        .size:           4
        .value_kind:     hidden_block_count_x
      - .offset:         148
        .size:           4
        .value_kind:     hidden_block_count_y
      - .offset:         152
        .size:           4
        .value_kind:     hidden_block_count_z
      - .offset:         156
        .size:           2
        .value_kind:     hidden_group_size_x
      - .offset:         158
        .size:           2
        .value_kind:     hidden_group_size_y
      - .offset:         160
        .size:           2
        .value_kind:     hidden_group_size_z
      - .offset:         162
        .size:           2
        .value_kind:     hidden_remainder_x
      - .offset:         164
        .size:           2
        .value_kind:     hidden_remainder_y
      - .offset:         166
        .size:           2
        .value_kind:     hidden_remainder_z
      - .offset:         184
        .size:           8
        .value_kind:     hidden_global_offset_x
      - .offset:         192
        .size:           8
        .value_kind:     hidden_global_offset_y
      - .offset:         200
        .size:           8
        .value_kind:     hidden_global_offset_z
      - .offset:         208
        .size:           2
        .value_kind:     hidden_grid_dims
    .group_segment_fixed_size: 8192
    .kernarg_segment_align: 8
    .kernarg_segment_size: 400
    .language:       OpenCL C
    .language_version:
      - 2
      - 0
    .max_flat_workgroup_size: 512
    .name:           _ZL20rocblas_gemvn_kernelILi32ELi16Ei19rocblas_complex_numIdEPKS1_S1_EviiT3_lPKT2_lT1_lS7_lS8_lS4_lPT4_lS8_li
    .private_segment_fixed_size: 0
    .sgpr_count:     34
    .sgpr_spill_count: 0
    .symbol:         _ZL20rocblas_gemvn_kernelILi32ELi16Ei19rocblas_complex_numIdEPKS1_S1_EviiT3_lPKT2_lT1_lS7_lS8_lS4_lPT4_lS8_li.kd
    .uniform_work_group_size: 1
    .uses_dynamic_stack: false
    .vgpr_count:     21
    .vgpr_spill_count: 0
    .wavefront_size: 32
    .workgroup_processor_mode: 1
  - .args:
      - .offset:         0
        .size:           4
        .value_kind:     by_value
      - .offset:         4
        .size:           4
        .value_kind:     by_value
      - .address_space:  global
        .offset:         8
        .size:           8
        .value_kind:     global_buffer
      - .offset:         16
        .size:           8
        .value_kind:     by_value
      - .address_space:  global
        .offset:         24
        .size:           8
        .value_kind:     global_buffer
      - .offset:         32
        .size:           8
        .value_kind:     by_value
      - .offset:         40
        .size:           8
        .value_kind:     by_value
      - .offset:         48
        .size:           8
        .value_kind:     by_value
      - .address_space:  global
        .offset:         56
        .size:           8
        .value_kind:     global_buffer
      - .offset:         64
        .size:           8
        .value_kind:     by_value
      - .offset:         72
        .size:           8
        .value_kind:     by_value
      - .offset:         80
        .size:           8
        .value_kind:     by_value
      - .address_space:  global
        .offset:         88
        .size:           8
        .value_kind:     global_buffer
      - .offset:         96
        .size:           8
        .value_kind:     by_value
      - .address_space:  global
        .offset:         104
        .size:           8
        .value_kind:     global_buffer
      - .offset:         112
        .size:           8
        .value_kind:     by_value
      - .offset:         120
        .size:           8
        .value_kind:     by_value
      - .offset:         128
        .size:           8
        .value_kind:     by_value
      - .offset:         136
        .size:           4
        .value_kind:     by_value
      - .offset:         144
        .size:           4
        .value_kind:     hidden_block_count_x
      - .offset:         148
        .size:           4
        .value_kind:     hidden_block_count_y
      - .offset:         152
        .size:           4
        .value_kind:     hidden_block_count_z
      - .offset:         156
        .size:           2
        .value_kind:     hidden_group_size_x
      - .offset:         158
        .size:           2
        .value_kind:     hidden_group_size_y
      - .offset:         160
        .size:           2
        .value_kind:     hidden_group_size_z
      - .offset:         162
        .size:           2
        .value_kind:     hidden_remainder_x
      - .offset:         164
        .size:           2
        .value_kind:     hidden_remainder_y
      - .offset:         166
        .size:           2
        .value_kind:     hidden_remainder_z
      - .offset:         184
        .size:           8
        .value_kind:     hidden_global_offset_x
      - .offset:         192
        .size:           8
        .value_kind:     hidden_global_offset_y
      - .offset:         200
        .size:           8
        .value_kind:     hidden_global_offset_z
      - .offset:         208
        .size:           2
        .value_kind:     hidden_grid_dims
    .group_segment_fixed_size: 8192
    .kernarg_segment_align: 8
    .kernarg_segment_size: 400
    .language:       OpenCL C
    .language_version:
      - 2
      - 0
    .max_flat_workgroup_size: 512
    .name:           _ZL20rocblas_gemvn_kernelILi32ELi16El19rocblas_complex_numIdEPKS1_S1_EviiT3_lPKT2_lT1_lS7_lS8_lS4_lPT4_lS8_li
    .private_segment_fixed_size: 0
    .sgpr_count:     54
    .sgpr_spill_count: 0
    .symbol:         _ZL20rocblas_gemvn_kernelILi32ELi16El19rocblas_complex_numIdEPKS1_S1_EviiT3_lPKT2_lT1_lS7_lS8_lS4_lPT4_lS8_li.kd
    .uniform_work_group_size: 1
    .uses_dynamic_stack: false
    .vgpr_count:     21
    .vgpr_spill_count: 0
    .wavefront_size: 32
    .workgroup_processor_mode: 1
  - .args:
      - .offset:         0
        .size:           4
        .value_kind:     by_value
      - .offset:         4
        .size:           4
        .value_kind:     by_value
      - .offset:         8
        .size:           16
        .value_kind:     by_value
      - .offset:         24
        .size:           8
        .value_kind:     by_value
      - .address_space:  global
        .offset:         32
        .size:           8
        .value_kind:     global_buffer
      - .offset:         40
        .size:           8
        .value_kind:     by_value
      - .offset:         48
        .size:           4
        .value_kind:     by_value
      - .offset:         56
        .size:           8
        .value_kind:     by_value
      - .address_space:  global
        .offset:         64
        .size:           8
        .value_kind:     global_buffer
      - .offset:         72
        .size:           8
        .value_kind:     by_value
      - .offset:         80
        .size:           4
        .value_kind:     by_value
      - .offset:         88
        .size:           8
        .value_kind:     by_value
      - .offset:         96
        .size:           16
        .value_kind:     by_value
      - .offset:         112
        .size:           8
        .value_kind:     by_value
      - .address_space:  global
        .offset:         120
        .size:           8
        .value_kind:     global_buffer
      - .offset:         128
        .size:           8
        .value_kind:     by_value
      - .offset:         136
        .size:           4
        .value_kind:     by_value
      - .offset:         144
        .size:           8
        .value_kind:     by_value
      - .offset:         152
        .size:           4
        .value_kind:     by_value
      - .offset:         160
        .size:           4
        .value_kind:     hidden_block_count_x
      - .offset:         164
        .size:           4
        .value_kind:     hidden_block_count_y
      - .offset:         168
        .size:           4
        .value_kind:     hidden_block_count_z
      - .offset:         172
        .size:           2
        .value_kind:     hidden_group_size_x
      - .offset:         174
        .size:           2
        .value_kind:     hidden_group_size_y
      - .offset:         176
        .size:           2
        .value_kind:     hidden_group_size_z
      - .offset:         178
        .size:           2
        .value_kind:     hidden_remainder_x
      - .offset:         180
        .size:           2
        .value_kind:     hidden_remainder_y
      - .offset:         182
        .size:           2
        .value_kind:     hidden_remainder_z
      - .offset:         200
        .size:           8
        .value_kind:     hidden_global_offset_x
      - .offset:         208
        .size:           8
        .value_kind:     hidden_global_offset_y
      - .offset:         216
        .size:           8
        .value_kind:     hidden_global_offset_z
      - .offset:         224
        .size:           2
        .value_kind:     hidden_grid_dims
    .group_segment_fixed_size: 8192
    .kernarg_segment_align: 8
    .kernarg_segment_size: 416
    .language:       OpenCL C
    .language_version:
      - 2
      - 0
    .max_flat_workgroup_size: 512
    .name:           _ZL20rocblas_gemvn_kernelILi32ELi16Ei19rocblas_complex_numIdES1_S1_EviiT3_lPKT2_lT1_lS5_lS6_lS2_lPT4_lS6_li
    .private_segment_fixed_size: 0
    .sgpr_count:     36
    .sgpr_spill_count: 0
    .symbol:         _ZL20rocblas_gemvn_kernelILi32ELi16Ei19rocblas_complex_numIdES1_S1_EviiT3_lPKT2_lT1_lS5_lS6_lS2_lPT4_lS6_li.kd
    .uniform_work_group_size: 1
    .uses_dynamic_stack: false
    .vgpr_count:     21
    .vgpr_spill_count: 0
    .wavefront_size: 32
    .workgroup_processor_mode: 1
  - .args:
      - .offset:         0
        .size:           4
        .value_kind:     by_value
      - .offset:         4
        .size:           4
        .value_kind:     by_value
      - .offset:         8
        .size:           16
        .value_kind:     by_value
      - .offset:         24
        .size:           8
        .value_kind:     by_value
      - .address_space:  global
        .offset:         32
        .size:           8
        .value_kind:     global_buffer
      - .offset:         40
        .size:           8
        .value_kind:     by_value
      - .offset:         48
        .size:           8
        .value_kind:     by_value
      - .offset:         56
        .size:           8
        .value_kind:     by_value
      - .address_space:  global
        .offset:         64
        .size:           8
        .value_kind:     global_buffer
      - .offset:         72
        .size:           8
        .value_kind:     by_value
      - .offset:         80
        .size:           8
        .value_kind:     by_value
      - .offset:         88
        .size:           8
        .value_kind:     by_value
      - .offset:         96
        .size:           16
        .value_kind:     by_value
      - .offset:         112
        .size:           8
        .value_kind:     by_value
      - .address_space:  global
        .offset:         120
        .size:           8
        .value_kind:     global_buffer
      - .offset:         128
        .size:           8
        .value_kind:     by_value
      - .offset:         136
        .size:           8
        .value_kind:     by_value
      - .offset:         144
        .size:           8
        .value_kind:     by_value
      - .offset:         152
        .size:           4
        .value_kind:     by_value
      - .offset:         160
        .size:           4
        .value_kind:     hidden_block_count_x
      - .offset:         164
        .size:           4
        .value_kind:     hidden_block_count_y
      - .offset:         168
        .size:           4
        .value_kind:     hidden_block_count_z
      - .offset:         172
        .size:           2
        .value_kind:     hidden_group_size_x
      - .offset:         174
        .size:           2
        .value_kind:     hidden_group_size_y
      - .offset:         176
        .size:           2
        .value_kind:     hidden_group_size_z
      - .offset:         178
        .size:           2
        .value_kind:     hidden_remainder_x
      - .offset:         180
        .size:           2
        .value_kind:     hidden_remainder_y
      - .offset:         182
        .size:           2
        .value_kind:     hidden_remainder_z
      - .offset:         200
        .size:           8
        .value_kind:     hidden_global_offset_x
      - .offset:         208
        .size:           8
        .value_kind:     hidden_global_offset_y
      - .offset:         216
        .size:           8
        .value_kind:     hidden_global_offset_z
      - .offset:         224
        .size:           2
        .value_kind:     hidden_grid_dims
    .group_segment_fixed_size: 8192
    .kernarg_segment_align: 8
    .kernarg_segment_size: 416
    .language:       OpenCL C
    .language_version:
      - 2
      - 0
    .max_flat_workgroup_size: 512
    .name:           _ZL20rocblas_gemvn_kernelILi32ELi16El19rocblas_complex_numIdES1_S1_EviiT3_lPKT2_lT1_lS5_lS6_lS2_lPT4_lS6_li
    .private_segment_fixed_size: 0
    .sgpr_count:     45
    .sgpr_spill_count: 0
    .symbol:         _ZL20rocblas_gemvn_kernelILi32ELi16El19rocblas_complex_numIdES1_S1_EviiT3_lPKT2_lT1_lS5_lS6_lS2_lPT4_lS6_li.kd
    .uniform_work_group_size: 1
    .uses_dynamic_stack: false
    .vgpr_count:     21
    .vgpr_spill_count: 0
    .wavefront_size: 32
    .workgroup_processor_mode: 1
  - .args:
      - .offset:         0
        .size:           4
        .value_kind:     by_value
      - .offset:         4
        .size:           4
        .value_kind:     by_value
      - .address_space:  global
        .offset:         8
        .size:           8
        .value_kind:     global_buffer
      - .offset:         16
        .size:           8
        .value_kind:     by_value
      - .address_space:  global
        .offset:         24
        .size:           8
        .value_kind:     global_buffer
      - .offset:         32
        .size:           8
        .value_kind:     by_value
      - .offset:         40
        .size:           4
        .value_kind:     by_value
      - .offset:         48
        .size:           8
        .value_kind:     by_value
      - .address_space:  global
        .offset:         56
        .size:           8
        .value_kind:     global_buffer
      - .offset:         64
        .size:           8
        .value_kind:     by_value
      - .offset:         72
        .size:           4
        .value_kind:     by_value
      - .offset:         80
        .size:           8
        .value_kind:     by_value
      - .address_space:  global
        .offset:         88
        .size:           8
        .value_kind:     global_buffer
      - .offset:         96
        .size:           8
        .value_kind:     by_value
      - .address_space:  global
        .offset:         104
        .size:           8
        .value_kind:     global_buffer
      - .offset:         112
        .size:           8
        .value_kind:     by_value
      - .offset:         120
        .size:           4
        .value_kind:     by_value
      - .offset:         128
        .size:           8
        .value_kind:     by_value
      - .offset:         136
        .size:           4
        .value_kind:     by_value
      - .offset:         144
        .size:           4
        .value_kind:     hidden_block_count_x
      - .offset:         148
        .size:           4
        .value_kind:     hidden_block_count_y
      - .offset:         152
        .size:           4
        .value_kind:     hidden_block_count_z
      - .offset:         156
        .size:           2
        .value_kind:     hidden_group_size_x
      - .offset:         158
        .size:           2
        .value_kind:     hidden_group_size_y
      - .offset:         160
        .size:           2
        .value_kind:     hidden_group_size_z
      - .offset:         162
        .size:           2
        .value_kind:     hidden_remainder_x
      - .offset:         164
        .size:           2
        .value_kind:     hidden_remainder_y
      - .offset:         166
        .size:           2
        .value_kind:     hidden_remainder_z
      - .offset:         184
        .size:           8
        .value_kind:     hidden_global_offset_x
      - .offset:         192
        .size:           8
        .value_kind:     hidden_global_offset_y
      - .offset:         200
        .size:           8
        .value_kind:     hidden_global_offset_z
      - .offset:         208
        .size:           2
        .value_kind:     hidden_grid_dims
    .group_segment_fixed_size: 16384
    .kernarg_segment_align: 8
    .kernarg_segment_size: 400
    .language:       OpenCL C
    .language_version:
      - 2
      - 0
    .max_flat_workgroup_size: 1024
    .name:           _ZL20rocblas_gemvn_kernelILi64ELi16Ei19rocblas_complex_numIdEPKS1_S1_EviiT3_lPKT2_lT1_lS7_lS8_lS4_lPT4_lS8_li
    .private_segment_fixed_size: 0
    .sgpr_count:     34
    .sgpr_spill_count: 0
    .symbol:         _ZL20rocblas_gemvn_kernelILi64ELi16Ei19rocblas_complex_numIdEPKS1_S1_EviiT3_lPKT2_lT1_lS7_lS8_lS4_lPT4_lS8_li.kd
    .uniform_work_group_size: 1
    .uses_dynamic_stack: false
    .vgpr_count:     21
    .vgpr_spill_count: 0
    .wavefront_size: 32
    .workgroup_processor_mode: 1
  - .args:
      - .offset:         0
        .size:           4
        .value_kind:     by_value
      - .offset:         4
        .size:           4
        .value_kind:     by_value
      - .address_space:  global
        .offset:         8
        .size:           8
        .value_kind:     global_buffer
      - .offset:         16
        .size:           8
        .value_kind:     by_value
      - .address_space:  global
        .offset:         24
        .size:           8
        .value_kind:     global_buffer
      - .offset:         32
        .size:           8
        .value_kind:     by_value
      - .offset:         40
        .size:           8
        .value_kind:     by_value
      - .offset:         48
        .size:           8
        .value_kind:     by_value
      - .address_space:  global
        .offset:         56
        .size:           8
        .value_kind:     global_buffer
      - .offset:         64
        .size:           8
        .value_kind:     by_value
      - .offset:         72
        .size:           8
        .value_kind:     by_value
      - .offset:         80
        .size:           8
        .value_kind:     by_value
      - .address_space:  global
        .offset:         88
        .size:           8
        .value_kind:     global_buffer
      - .offset:         96
        .size:           8
        .value_kind:     by_value
      - .address_space:  global
        .offset:         104
        .size:           8
        .value_kind:     global_buffer
      - .offset:         112
        .size:           8
        .value_kind:     by_value
      - .offset:         120
        .size:           8
        .value_kind:     by_value
      - .offset:         128
        .size:           8
        .value_kind:     by_value
      - .offset:         136
        .size:           4
        .value_kind:     by_value
      - .offset:         144
        .size:           4
        .value_kind:     hidden_block_count_x
      - .offset:         148
        .size:           4
        .value_kind:     hidden_block_count_y
      - .offset:         152
        .size:           4
        .value_kind:     hidden_block_count_z
      - .offset:         156
        .size:           2
        .value_kind:     hidden_group_size_x
      - .offset:         158
        .size:           2
        .value_kind:     hidden_group_size_y
      - .offset:         160
        .size:           2
        .value_kind:     hidden_group_size_z
      - .offset:         162
        .size:           2
        .value_kind:     hidden_remainder_x
      - .offset:         164
        .size:           2
        .value_kind:     hidden_remainder_y
      - .offset:         166
        .size:           2
        .value_kind:     hidden_remainder_z
      - .offset:         184
        .size:           8
        .value_kind:     hidden_global_offset_x
      - .offset:         192
        .size:           8
        .value_kind:     hidden_global_offset_y
      - .offset:         200
        .size:           8
        .value_kind:     hidden_global_offset_z
      - .offset:         208
        .size:           2
        .value_kind:     hidden_grid_dims
    .group_segment_fixed_size: 16384
    .kernarg_segment_align: 8
    .kernarg_segment_size: 400
    .language:       OpenCL C
    .language_version:
      - 2
      - 0
    .max_flat_workgroup_size: 1024
    .name:           _ZL20rocblas_gemvn_kernelILi64ELi16El19rocblas_complex_numIdEPKS1_S1_EviiT3_lPKT2_lT1_lS7_lS8_lS4_lPT4_lS8_li
    .private_segment_fixed_size: 0
    .sgpr_count:     54
    .sgpr_spill_count: 0
    .symbol:         _ZL20rocblas_gemvn_kernelILi64ELi16El19rocblas_complex_numIdEPKS1_S1_EviiT3_lPKT2_lT1_lS7_lS8_lS4_lPT4_lS8_li.kd
    .uniform_work_group_size: 1
    .uses_dynamic_stack: false
    .vgpr_count:     21
    .vgpr_spill_count: 0
    .wavefront_size: 32
    .workgroup_processor_mode: 1
  - .args:
      - .offset:         0
        .size:           4
        .value_kind:     by_value
      - .offset:         4
        .size:           4
        .value_kind:     by_value
      - .offset:         8
        .size:           16
        .value_kind:     by_value
      - .offset:         24
        .size:           8
        .value_kind:     by_value
      - .address_space:  global
        .offset:         32
        .size:           8
        .value_kind:     global_buffer
      - .offset:         40
        .size:           8
        .value_kind:     by_value
      - .offset:         48
        .size:           4
        .value_kind:     by_value
      - .offset:         56
        .size:           8
        .value_kind:     by_value
      - .address_space:  global
        .offset:         64
        .size:           8
        .value_kind:     global_buffer
      - .offset:         72
        .size:           8
        .value_kind:     by_value
      - .offset:         80
        .size:           4
        .value_kind:     by_value
      - .offset:         88
        .size:           8
        .value_kind:     by_value
      - .offset:         96
        .size:           16
        .value_kind:     by_value
      - .offset:         112
        .size:           8
        .value_kind:     by_value
      - .address_space:  global
        .offset:         120
        .size:           8
        .value_kind:     global_buffer
      - .offset:         128
        .size:           8
        .value_kind:     by_value
      - .offset:         136
        .size:           4
        .value_kind:     by_value
      - .offset:         144
        .size:           8
        .value_kind:     by_value
      - .offset:         152
        .size:           4
        .value_kind:     by_value
      - .offset:         160
        .size:           4
        .value_kind:     hidden_block_count_x
      - .offset:         164
        .size:           4
        .value_kind:     hidden_block_count_y
      - .offset:         168
        .size:           4
        .value_kind:     hidden_block_count_z
      - .offset:         172
        .size:           2
        .value_kind:     hidden_group_size_x
      - .offset:         174
        .size:           2
        .value_kind:     hidden_group_size_y
      - .offset:         176
        .size:           2
        .value_kind:     hidden_group_size_z
      - .offset:         178
        .size:           2
        .value_kind:     hidden_remainder_x
      - .offset:         180
        .size:           2
        .value_kind:     hidden_remainder_y
      - .offset:         182
        .size:           2
        .value_kind:     hidden_remainder_z
      - .offset:         200
        .size:           8
        .value_kind:     hidden_global_offset_x
      - .offset:         208
        .size:           8
        .value_kind:     hidden_global_offset_y
      - .offset:         216
        .size:           8
        .value_kind:     hidden_global_offset_z
      - .offset:         224
        .size:           2
        .value_kind:     hidden_grid_dims
    .group_segment_fixed_size: 16384
    .kernarg_segment_align: 8
    .kernarg_segment_size: 416
    .language:       OpenCL C
    .language_version:
      - 2
      - 0
    .max_flat_workgroup_size: 1024
    .name:           _ZL20rocblas_gemvn_kernelILi64ELi16Ei19rocblas_complex_numIdES1_S1_EviiT3_lPKT2_lT1_lS5_lS6_lS2_lPT4_lS6_li
    .private_segment_fixed_size: 0
    .sgpr_count:     36
    .sgpr_spill_count: 0
    .symbol:         _ZL20rocblas_gemvn_kernelILi64ELi16Ei19rocblas_complex_numIdES1_S1_EviiT3_lPKT2_lT1_lS5_lS6_lS2_lPT4_lS6_li.kd
    .uniform_work_group_size: 1
    .uses_dynamic_stack: false
    .vgpr_count:     21
    .vgpr_spill_count: 0
    .wavefront_size: 32
    .workgroup_processor_mode: 1
  - .args:
      - .offset:         0
        .size:           4
        .value_kind:     by_value
      - .offset:         4
        .size:           4
        .value_kind:     by_value
      - .offset:         8
        .size:           16
        .value_kind:     by_value
      - .offset:         24
        .size:           8
        .value_kind:     by_value
      - .address_space:  global
        .offset:         32
        .size:           8
        .value_kind:     global_buffer
      - .offset:         40
        .size:           8
        .value_kind:     by_value
      - .offset:         48
        .size:           8
        .value_kind:     by_value
      - .offset:         56
        .size:           8
        .value_kind:     by_value
      - .address_space:  global
        .offset:         64
        .size:           8
        .value_kind:     global_buffer
      - .offset:         72
        .size:           8
        .value_kind:     by_value
      - .offset:         80
        .size:           8
        .value_kind:     by_value
      - .offset:         88
        .size:           8
        .value_kind:     by_value
      - .offset:         96
        .size:           16
        .value_kind:     by_value
      - .offset:         112
        .size:           8
        .value_kind:     by_value
      - .address_space:  global
        .offset:         120
        .size:           8
        .value_kind:     global_buffer
      - .offset:         128
        .size:           8
        .value_kind:     by_value
      - .offset:         136
        .size:           8
        .value_kind:     by_value
      - .offset:         144
        .size:           8
        .value_kind:     by_value
      - .offset:         152
        .size:           4
        .value_kind:     by_value
      - .offset:         160
        .size:           4
        .value_kind:     hidden_block_count_x
      - .offset:         164
        .size:           4
        .value_kind:     hidden_block_count_y
      - .offset:         168
        .size:           4
        .value_kind:     hidden_block_count_z
      - .offset:         172
        .size:           2
        .value_kind:     hidden_group_size_x
      - .offset:         174
        .size:           2
        .value_kind:     hidden_group_size_y
      - .offset:         176
        .size:           2
        .value_kind:     hidden_group_size_z
      - .offset:         178
        .size:           2
        .value_kind:     hidden_remainder_x
      - .offset:         180
        .size:           2
        .value_kind:     hidden_remainder_y
      - .offset:         182
        .size:           2
        .value_kind:     hidden_remainder_z
      - .offset:         200
        .size:           8
        .value_kind:     hidden_global_offset_x
      - .offset:         208
        .size:           8
        .value_kind:     hidden_global_offset_y
      - .offset:         216
        .size:           8
        .value_kind:     hidden_global_offset_z
      - .offset:         224
        .size:           2
        .value_kind:     hidden_grid_dims
    .group_segment_fixed_size: 16384
    .kernarg_segment_align: 8
    .kernarg_segment_size: 416
    .language:       OpenCL C
    .language_version:
      - 2
      - 0
    .max_flat_workgroup_size: 1024
    .name:           _ZL20rocblas_gemvn_kernelILi64ELi16El19rocblas_complex_numIdES1_S1_EviiT3_lPKT2_lT1_lS5_lS6_lS2_lPT4_lS6_li
    .private_segment_fixed_size: 0
    .sgpr_count:     45
    .sgpr_spill_count: 0
    .symbol:         _ZL20rocblas_gemvn_kernelILi64ELi16El19rocblas_complex_numIdES1_S1_EviiT3_lPKT2_lT1_lS5_lS6_lS2_lPT4_lS6_li.kd
    .uniform_work_group_size: 1
    .uses_dynamic_stack: false
    .vgpr_count:     21
    .vgpr_spill_count: 0
    .wavefront_size: 32
    .workgroup_processor_mode: 1
  - .args:
      - .offset:         0
        .size:           4
        .value_kind:     by_value
      - .offset:         4
        .size:           4
        .value_kind:     by_value
      - .address_space:  global
        .offset:         8
        .size:           8
        .value_kind:     global_buffer
      - .offset:         16
        .size:           8
        .value_kind:     by_value
      - .address_space:  global
        .offset:         24
        .size:           8
        .value_kind:     global_buffer
      - .offset:         32
        .size:           8
        .value_kind:     by_value
      - .offset:         40
        .size:           4
        .value_kind:     by_value
      - .offset:         48
        .size:           8
        .value_kind:     by_value
      - .address_space:  global
        .offset:         56
        .size:           8
        .value_kind:     global_buffer
      - .offset:         64
        .size:           8
        .value_kind:     by_value
      - .offset:         72
        .size:           4
        .value_kind:     by_value
      - .offset:         80
        .size:           8
        .value_kind:     by_value
      - .address_space:  global
        .offset:         88
        .size:           8
        .value_kind:     global_buffer
      - .offset:         96
        .size:           8
        .value_kind:     by_value
      - .address_space:  global
        .offset:         104
        .size:           8
        .value_kind:     global_buffer
      - .offset:         112
        .size:           8
        .value_kind:     by_value
      - .offset:         120
        .size:           4
        .value_kind:     by_value
      - .offset:         128
        .size:           8
        .value_kind:     by_value
    .group_segment_fixed_size: 1024
    .kernarg_segment_align: 8
    .kernarg_segment_size: 136
    .language:       OpenCL C
    .language_version:
      - 2
      - 0
    .max_flat_workgroup_size: 256
    .name:           _ZL22rocblas_gemvtsm_kernelILb0ELi256E19rocblas_complex_numIdEPKS1_S1_EviiT2_lPKT1_lilS7_lilS4_lPT3_lil
    .private_segment_fixed_size: 0
    .sgpr_count:     38
    .sgpr_spill_count: 0
    .symbol:         _ZL22rocblas_gemvtsm_kernelILb0ELi256E19rocblas_complex_numIdEPKS1_S1_EviiT2_lPKT1_lilS7_lilS4_lPT3_lil.kd
    .uniform_work_group_size: 1
    .uses_dynamic_stack: false
    .vgpr_count:     62
    .vgpr_spill_count: 0
    .wavefront_size: 32
    .workgroup_processor_mode: 1
  - .args:
      - .offset:         0
        .size:           4
        .value_kind:     by_value
      - .offset:         4
        .size:           4
        .value_kind:     by_value
      - .offset:         8
        .size:           16
        .value_kind:     by_value
      - .offset:         24
        .size:           8
        .value_kind:     by_value
      - .address_space:  global
        .offset:         32
        .size:           8
        .value_kind:     global_buffer
      - .offset:         40
        .size:           8
        .value_kind:     by_value
      - .offset:         48
        .size:           4
        .value_kind:     by_value
      - .offset:         56
        .size:           8
        .value_kind:     by_value
      - .address_space:  global
        .offset:         64
        .size:           8
        .value_kind:     global_buffer
      - .offset:         72
        .size:           8
        .value_kind:     by_value
      - .offset:         80
        .size:           4
        .value_kind:     by_value
      - .offset:         88
        .size:           8
        .value_kind:     by_value
      - .offset:         96
        .size:           16
        .value_kind:     by_value
      - .offset:         112
        .size:           8
        .value_kind:     by_value
      - .address_space:  global
        .offset:         120
        .size:           8
        .value_kind:     global_buffer
      - .offset:         128
        .size:           8
        .value_kind:     by_value
      - .offset:         136
        .size:           4
        .value_kind:     by_value
      - .offset:         144
        .size:           8
        .value_kind:     by_value
    .group_segment_fixed_size: 1024
    .kernarg_segment_align: 8
    .kernarg_segment_size: 152
    .language:       OpenCL C
    .language_version:
      - 2
      - 0
    .max_flat_workgroup_size: 256
    .name:           _ZL22rocblas_gemvtsm_kernelILb0ELi256E19rocblas_complex_numIdES1_S1_EviiT2_lPKT1_lilS5_lilS2_lPT3_lil
    .private_segment_fixed_size: 0
    .sgpr_count:     33
    .sgpr_spill_count: 0
    .symbol:         _ZL22rocblas_gemvtsm_kernelILb0ELi256E19rocblas_complex_numIdES1_S1_EviiT2_lPKT1_lilS5_lilS2_lPT3_lil.kd
    .uniform_work_group_size: 1
    .uses_dynamic_stack: false
    .vgpr_count:     62
    .vgpr_spill_count: 0
    .wavefront_size: 32
    .workgroup_processor_mode: 1
  - .args:
      - .offset:         0
        .size:           4
        .value_kind:     by_value
      - .offset:         4
        .size:           4
        .value_kind:     by_value
      - .address_space:  global
        .offset:         8
        .size:           8
        .value_kind:     global_buffer
      - .offset:         16
        .size:           8
        .value_kind:     by_value
      - .address_space:  global
        .offset:         24
        .size:           8
        .value_kind:     global_buffer
      - .offset:         32
        .size:           8
        .value_kind:     by_value
      - .offset:         40
        .size:           4
        .value_kind:     by_value
      - .offset:         48
        .size:           8
        .value_kind:     by_value
      - .address_space:  global
        .offset:         56
        .size:           8
        .value_kind:     global_buffer
      - .offset:         64
        .size:           8
        .value_kind:     by_value
      - .offset:         72
        .size:           4
        .value_kind:     by_value
      - .offset:         80
        .size:           8
        .value_kind:     by_value
      - .address_space:  global
        .offset:         88
        .size:           8
        .value_kind:     global_buffer
      - .offset:         96
        .size:           4
        .value_kind:     by_value
      - .offset:         104
        .size:           4
        .value_kind:     hidden_block_count_x
      - .offset:         108
        .size:           4
        .value_kind:     hidden_block_count_y
      - .offset:         112
        .size:           4
        .value_kind:     hidden_block_count_z
      - .offset:         116
        .size:           2
        .value_kind:     hidden_group_size_x
      - .offset:         118
        .size:           2
        .value_kind:     hidden_group_size_y
      - .offset:         120
        .size:           2
        .value_kind:     hidden_group_size_z
      - .offset:         122
        .size:           2
        .value_kind:     hidden_remainder_x
      - .offset:         124
        .size:           2
        .value_kind:     hidden_remainder_y
      - .offset:         126
        .size:           2
        .value_kind:     hidden_remainder_z
      - .offset:         144
        .size:           8
        .value_kind:     hidden_global_offset_x
      - .offset:         152
        .size:           8
        .value_kind:     hidden_global_offset_y
      - .offset:         160
        .size:           8
        .value_kind:     hidden_global_offset_z
      - .offset:         168
        .size:           2
        .value_kind:     hidden_grid_dims
    .group_segment_fixed_size: 512
    .kernarg_segment_align: 8
    .kernarg_segment_size: 360
    .language:       OpenCL C
    .language_version:
      - 2
      - 0
    .max_flat_workgroup_size: 256
    .name:           _ZL23rocblas_gemvt_sn_kernelILb0ELi256ELi4Ei19rocblas_complex_numIdEPKS1_S1_EviiT4_lPKT3_lilS7_lilPT5_i
    .private_segment_fixed_size: 80
    .sgpr_count:     60
    .sgpr_spill_count: 0
    .symbol:         _ZL23rocblas_gemvt_sn_kernelILb0ELi256ELi4Ei19rocblas_complex_numIdEPKS1_S1_EviiT4_lPKT3_lilS7_lilPT5_i.kd
    .uniform_work_group_size: 1
    .uses_dynamic_stack: false
    .vgpr_count:     122
    .vgpr_spill_count: 0
    .wavefront_size: 32
    .workgroup_processor_mode: 1
  - .args:
      - .offset:         0
        .size:           4
        .value_kind:     by_value
      - .offset:         4
        .size:           4
        .value_kind:     by_value
      - .address_space:  global
        .offset:         8
        .size:           8
        .value_kind:     global_buffer
      - .offset:         16
        .size:           8
        .value_kind:     by_value
      - .address_space:  global
        .offset:         24
        .size:           8
        .value_kind:     global_buffer
      - .offset:         32
        .size:           8
        .value_kind:     by_value
      - .offset:         40
        .size:           4
        .value_kind:     by_value
      - .offset:         48
        .size:           8
        .value_kind:     by_value
      - .address_space:  global
        .offset:         56
        .size:           8
        .value_kind:     global_buffer
      - .offset:         64
        .size:           8
        .value_kind:     by_value
      - .offset:         72
        .size:           4
        .value_kind:     by_value
      - .offset:         80
        .size:           8
        .value_kind:     by_value
      - .address_space:  global
        .offset:         88
        .size:           8
        .value_kind:     global_buffer
      - .offset:         96
        .size:           4
        .value_kind:     by_value
      - .offset:         104
        .size:           4
        .value_kind:     hidden_block_count_x
      - .offset:         108
        .size:           4
        .value_kind:     hidden_block_count_y
      - .offset:         112
        .size:           4
        .value_kind:     hidden_block_count_z
      - .offset:         116
        .size:           2
        .value_kind:     hidden_group_size_x
      - .offset:         118
        .size:           2
        .value_kind:     hidden_group_size_y
      - .offset:         120
        .size:           2
        .value_kind:     hidden_group_size_z
      - .offset:         122
        .size:           2
        .value_kind:     hidden_remainder_x
      - .offset:         124
        .size:           2
        .value_kind:     hidden_remainder_y
      - .offset:         126
        .size:           2
        .value_kind:     hidden_remainder_z
      - .offset:         144
        .size:           8
        .value_kind:     hidden_global_offset_x
      - .offset:         152
        .size:           8
        .value_kind:     hidden_global_offset_y
      - .offset:         160
        .size:           8
        .value_kind:     hidden_global_offset_z
      - .offset:         168
        .size:           2
        .value_kind:     hidden_grid_dims
    .group_segment_fixed_size: 512
    .kernarg_segment_align: 8
    .kernarg_segment_size: 360
    .language:       OpenCL C
    .language_version:
      - 2
      - 0
    .max_flat_workgroup_size: 256
    .name:           _ZL23rocblas_gemvt_sn_kernelILb0ELi256ELi4El19rocblas_complex_numIdEPKS1_S1_EviiT4_lPKT3_lilS7_lilPT5_i
    .private_segment_fixed_size: 80
    .sgpr_count:     67
    .sgpr_spill_count: 0
    .symbol:         _ZL23rocblas_gemvt_sn_kernelILb0ELi256ELi4El19rocblas_complex_numIdEPKS1_S1_EviiT4_lPKT3_lilS7_lilPT5_i.kd
    .uniform_work_group_size: 1
    .uses_dynamic_stack: false
    .vgpr_count:     126
    .vgpr_spill_count: 0
    .wavefront_size: 32
    .workgroup_processor_mode: 1
  - .args:
      - .offset:         0
        .size:           4
        .value_kind:     by_value
      - .address_space:  global
        .offset:         8
        .size:           8
        .value_kind:     global_buffer
      - .offset:         16
        .size:           8
        .value_kind:     by_value
      - .address_space:  global
        .offset:         24
        .size:           8
        .value_kind:     global_buffer
      - .offset:         32
        .size:           8
        .value_kind:     by_value
      - .offset:         40
        .size:           4
        .value_kind:     by_value
      - .offset:         48
        .size:           8
        .value_kind:     by_value
      - .actual_access:  read_only
        .address_space:  global
        .offset:         56
        .size:           8
        .value_kind:     global_buffer
      - .offset:         64
        .size:           4
        .value_kind:     by_value
      - .offset:         72
        .size:           4
        .value_kind:     hidden_block_count_x
      - .offset:         76
        .size:           4
        .value_kind:     hidden_block_count_y
      - .offset:         80
        .size:           4
        .value_kind:     hidden_block_count_z
      - .offset:         84
        .size:           2
        .value_kind:     hidden_group_size_x
      - .offset:         86
        .size:           2
        .value_kind:     hidden_group_size_y
      - .offset:         88
        .size:           2
        .value_kind:     hidden_group_size_z
      - .offset:         90
        .size:           2
        .value_kind:     hidden_remainder_x
      - .offset:         92
        .size:           2
        .value_kind:     hidden_remainder_y
      - .offset:         94
        .size:           2
        .value_kind:     hidden_remainder_z
      - .offset:         112
        .size:           8
        .value_kind:     hidden_global_offset_x
      - .offset:         120
        .size:           8
        .value_kind:     hidden_global_offset_y
      - .offset:         128
        .size:           8
        .value_kind:     hidden_global_offset_z
      - .offset:         136
        .size:           2
        .value_kind:     hidden_grid_dims
    .group_segment_fixed_size: 512
    .kernarg_segment_align: 8
    .kernarg_segment_size: 328
    .language:       OpenCL C
    .language_version:
      - 2
      - 0
    .max_flat_workgroup_size: 256
    .name:           _ZL23rocblas_gemvt_sn_reduceILi256ELi8E19rocblas_complex_numIdEPKS1_S1_EviT2_lPT3_lilPT1_i
    .private_segment_fixed_size: 0
    .sgpr_count:     26
    .sgpr_spill_count: 0
    .symbol:         _ZL23rocblas_gemvt_sn_reduceILi256ELi8E19rocblas_complex_numIdEPKS1_S1_EviT2_lPT3_lilPT1_i.kd
    .uniform_work_group_size: 1
    .uses_dynamic_stack: false
    .vgpr_count:     40
    .vgpr_spill_count: 0
    .wavefront_size: 32
    .workgroup_processor_mode: 1
  - .args:
      - .offset:         0
        .size:           4
        .value_kind:     by_value
      - .offset:         4
        .size:           4
        .value_kind:     by_value
      - .offset:         8
        .size:           16
        .value_kind:     by_value
      - .offset:         24
        .size:           8
        .value_kind:     by_value
      - .address_space:  global
        .offset:         32
        .size:           8
        .value_kind:     global_buffer
      - .offset:         40
        .size:           8
        .value_kind:     by_value
      - .offset:         48
        .size:           4
        .value_kind:     by_value
      - .offset:         56
        .size:           8
        .value_kind:     by_value
      - .address_space:  global
        .offset:         64
        .size:           8
        .value_kind:     global_buffer
      - .offset:         72
        .size:           8
        .value_kind:     by_value
      - .offset:         80
        .size:           4
        .value_kind:     by_value
      - .offset:         88
        .size:           8
        .value_kind:     by_value
      - .address_space:  global
        .offset:         96
        .size:           8
        .value_kind:     global_buffer
      - .offset:         104
        .size:           4
        .value_kind:     by_value
      - .offset:         112
        .size:           4
        .value_kind:     hidden_block_count_x
      - .offset:         116
        .size:           4
        .value_kind:     hidden_block_count_y
      - .offset:         120
        .size:           4
        .value_kind:     hidden_block_count_z
      - .offset:         124
        .size:           2
        .value_kind:     hidden_group_size_x
      - .offset:         126
        .size:           2
        .value_kind:     hidden_group_size_y
      - .offset:         128
        .size:           2
        .value_kind:     hidden_group_size_z
      - .offset:         130
        .size:           2
        .value_kind:     hidden_remainder_x
      - .offset:         132
        .size:           2
        .value_kind:     hidden_remainder_y
      - .offset:         134
        .size:           2
        .value_kind:     hidden_remainder_z
      - .offset:         152
        .size:           8
        .value_kind:     hidden_global_offset_x
      - .offset:         160
        .size:           8
        .value_kind:     hidden_global_offset_y
      - .offset:         168
        .size:           8
        .value_kind:     hidden_global_offset_z
      - .offset:         176
        .size:           2
        .value_kind:     hidden_grid_dims
    .group_segment_fixed_size: 512
    .kernarg_segment_align: 8
    .kernarg_segment_size: 368
    .language:       OpenCL C
    .language_version:
      - 2
      - 0
    .max_flat_workgroup_size: 256
    .name:           _ZL23rocblas_gemvt_sn_kernelILb0ELi256ELi4Ei19rocblas_complex_numIdES1_S1_EviiT4_lPKT3_lilS5_lilPT5_i
    .private_segment_fixed_size: 80
    .sgpr_count:     60
    .sgpr_spill_count: 0
    .symbol:         _ZL23rocblas_gemvt_sn_kernelILb0ELi256ELi4Ei19rocblas_complex_numIdES1_S1_EviiT4_lPKT3_lilS5_lilPT5_i.kd
    .uniform_work_group_size: 1
    .uses_dynamic_stack: false
    .vgpr_count:     122
    .vgpr_spill_count: 0
    .wavefront_size: 32
    .workgroup_processor_mode: 1
  - .args:
      - .offset:         0
        .size:           4
        .value_kind:     by_value
      - .offset:         4
        .size:           4
        .value_kind:     by_value
      - .offset:         8
        .size:           16
        .value_kind:     by_value
      - .offset:         24
        .size:           8
        .value_kind:     by_value
      - .address_space:  global
        .offset:         32
        .size:           8
        .value_kind:     global_buffer
      - .offset:         40
        .size:           8
        .value_kind:     by_value
      - .offset:         48
        .size:           4
        .value_kind:     by_value
      - .offset:         56
        .size:           8
        .value_kind:     by_value
      - .address_space:  global
        .offset:         64
        .size:           8
        .value_kind:     global_buffer
      - .offset:         72
        .size:           8
        .value_kind:     by_value
      - .offset:         80
        .size:           4
        .value_kind:     by_value
      - .offset:         88
        .size:           8
        .value_kind:     by_value
      - .address_space:  global
        .offset:         96
        .size:           8
        .value_kind:     global_buffer
      - .offset:         104
        .size:           4
        .value_kind:     by_value
      - .offset:         112
        .size:           4
        .value_kind:     hidden_block_count_x
      - .offset:         116
        .size:           4
        .value_kind:     hidden_block_count_y
      - .offset:         120
        .size:           4
        .value_kind:     hidden_block_count_z
      - .offset:         124
        .size:           2
        .value_kind:     hidden_group_size_x
      - .offset:         126
        .size:           2
        .value_kind:     hidden_group_size_y
      - .offset:         128
        .size:           2
        .value_kind:     hidden_group_size_z
      - .offset:         130
        .size:           2
        .value_kind:     hidden_remainder_x
      - .offset:         132
        .size:           2
        .value_kind:     hidden_remainder_y
      - .offset:         134
        .size:           2
        .value_kind:     hidden_remainder_z
      - .offset:         152
        .size:           8
        .value_kind:     hidden_global_offset_x
      - .offset:         160
        .size:           8
        .value_kind:     hidden_global_offset_y
      - .offset:         168
        .size:           8
        .value_kind:     hidden_global_offset_z
      - .offset:         176
        .size:           2
        .value_kind:     hidden_grid_dims
    .group_segment_fixed_size: 512
    .kernarg_segment_align: 8
    .kernarg_segment_size: 368
    .language:       OpenCL C
    .language_version:
      - 2
      - 0
    .max_flat_workgroup_size: 256
    .name:           _ZL23rocblas_gemvt_sn_kernelILb0ELi256ELi4El19rocblas_complex_numIdES1_S1_EviiT4_lPKT3_lilS5_lilPT5_i
    .private_segment_fixed_size: 80
    .sgpr_count:     67
    .sgpr_spill_count: 0
    .symbol:         _ZL23rocblas_gemvt_sn_kernelILb0ELi256ELi4El19rocblas_complex_numIdES1_S1_EviiT4_lPKT3_lilS5_lilPT5_i.kd
    .uniform_work_group_size: 1
    .uses_dynamic_stack: false
    .vgpr_count:     126
    .vgpr_spill_count: 0
    .wavefront_size: 32
    .workgroup_processor_mode: 1
  - .args:
      - .offset:         0
        .size:           4
        .value_kind:     by_value
      - .offset:         8
        .size:           16
        .value_kind:     by_value
      - .offset:         24
        .size:           8
        .value_kind:     by_value
      - .address_space:  global
        .offset:         32
        .size:           8
        .value_kind:     global_buffer
      - .offset:         40
        .size:           8
        .value_kind:     by_value
      - .offset:         48
        .size:           4
        .value_kind:     by_value
      - .offset:         56
        .size:           8
        .value_kind:     by_value
      - .actual_access:  read_only
        .address_space:  global
        .offset:         64
        .size:           8
        .value_kind:     global_buffer
      - .offset:         72
        .size:           4
        .value_kind:     by_value
      - .offset:         80
        .size:           4
        .value_kind:     hidden_block_count_x
      - .offset:         84
        .size:           4
        .value_kind:     hidden_block_count_y
      - .offset:         88
        .size:           4
        .value_kind:     hidden_block_count_z
      - .offset:         92
        .size:           2
        .value_kind:     hidden_group_size_x
      - .offset:         94
        .size:           2
        .value_kind:     hidden_group_size_y
      - .offset:         96
        .size:           2
        .value_kind:     hidden_group_size_z
      - .offset:         98
        .size:           2
        .value_kind:     hidden_remainder_x
      - .offset:         100
        .size:           2
        .value_kind:     hidden_remainder_y
      - .offset:         102
        .size:           2
        .value_kind:     hidden_remainder_z
      - .offset:         120
        .size:           8
        .value_kind:     hidden_global_offset_x
      - .offset:         128
        .size:           8
        .value_kind:     hidden_global_offset_y
      - .offset:         136
        .size:           8
        .value_kind:     hidden_global_offset_z
      - .offset:         144
        .size:           2
        .value_kind:     hidden_grid_dims
    .group_segment_fixed_size: 512
    .kernarg_segment_align: 8
    .kernarg_segment_size: 336
    .language:       OpenCL C
    .language_version:
      - 2
      - 0
    .max_flat_workgroup_size: 256
    .name:           _ZL23rocblas_gemvt_sn_reduceILi256ELi8E19rocblas_complex_numIdES1_S1_EviT2_lPT3_lilPT1_i
    .private_segment_fixed_size: 0
    .sgpr_count:     19
    .sgpr_spill_count: 0
    .symbol:         _ZL23rocblas_gemvt_sn_reduceILi256ELi8E19rocblas_complex_numIdES1_S1_EviT2_lPT3_lilPT1_i.kd
    .uniform_work_group_size: 1
    .uses_dynamic_stack: false
    .vgpr_count:     40
    .vgpr_spill_count: 0
    .wavefront_size: 32
    .workgroup_processor_mode: 1
  - .args:
      - .offset:         0
        .size:           4
        .value_kind:     by_value
      - .offset:         4
        .size:           4
        .value_kind:     by_value
      - .address_space:  global
        .offset:         8
        .size:           8
        .value_kind:     global_buffer
      - .offset:         16
        .size:           8
        .value_kind:     by_value
      - .address_space:  global
        .offset:         24
        .size:           8
        .value_kind:     global_buffer
      - .offset:         32
        .size:           8
        .value_kind:     by_value
      - .offset:         40
        .size:           4
        .value_kind:     by_value
      - .offset:         48
        .size:           8
        .value_kind:     by_value
      - .address_space:  global
        .offset:         56
        .size:           8
        .value_kind:     global_buffer
      - .offset:         64
        .size:           8
        .value_kind:     by_value
      - .offset:         72
        .size:           4
        .value_kind:     by_value
      - .offset:         80
        .size:           8
        .value_kind:     by_value
      - .address_space:  global
        .offset:         88
        .size:           8
        .value_kind:     global_buffer
      - .offset:         96
        .size:           8
        .value_kind:     by_value
      - .address_space:  global
        .offset:         104
        .size:           8
        .value_kind:     global_buffer
      - .offset:         112
        .size:           8
        .value_kind:     by_value
      - .offset:         120
        .size:           4
        .value_kind:     by_value
      - .offset:         128
        .size:           8
        .value_kind:     by_value
      - .offset:         136
        .size:           4
        .value_kind:     by_value
    .group_segment_fixed_size: 512
    .kernarg_segment_align: 8
    .kernarg_segment_size: 140
    .language:       OpenCL C
    .language_version:
      - 2
      - 0
    .max_flat_workgroup_size: 256
    .name:           _ZL32rocblas_gemvt_warp_reduce_kernelILb0ELi256Ei19rocblas_complex_numIdEPKS1_S1_EviiT3_lPKT2_lT1_lS7_lS8_lS4_lPT4_lS8_li
    .private_segment_fixed_size: 0
    .sgpr_count:     38
    .sgpr_spill_count: 0
    .symbol:         _ZL32rocblas_gemvt_warp_reduce_kernelILb0ELi256Ei19rocblas_complex_numIdEPKS1_S1_EviiT3_lPKT2_lT1_lS7_lS8_lS4_lPT4_lS8_li.kd
    .uniform_work_group_size: 1
    .uses_dynamic_stack: false
    .vgpr_count:     21
    .vgpr_spill_count: 0
    .wavefront_size: 32
    .workgroup_processor_mode: 1
  - .args:
      - .offset:         0
        .size:           4
        .value_kind:     by_value
      - .offset:         4
        .size:           4
        .value_kind:     by_value
      - .address_space:  global
        .offset:         8
        .size:           8
        .value_kind:     global_buffer
      - .offset:         16
        .size:           8
        .value_kind:     by_value
      - .address_space:  global
        .offset:         24
        .size:           8
        .value_kind:     global_buffer
      - .offset:         32
        .size:           8
        .value_kind:     by_value
      - .offset:         40
        .size:           8
        .value_kind:     by_value
      - .offset:         48
        .size:           8
        .value_kind:     by_value
      - .address_space:  global
        .offset:         56
        .size:           8
        .value_kind:     global_buffer
      - .offset:         64
        .size:           8
        .value_kind:     by_value
      - .offset:         72
        .size:           8
        .value_kind:     by_value
      - .offset:         80
        .size:           8
        .value_kind:     by_value
      - .address_space:  global
        .offset:         88
        .size:           8
        .value_kind:     global_buffer
      - .offset:         96
        .size:           8
        .value_kind:     by_value
      - .address_space:  global
        .offset:         104
        .size:           8
        .value_kind:     global_buffer
      - .offset:         112
        .size:           8
        .value_kind:     by_value
      - .offset:         120
        .size:           8
        .value_kind:     by_value
      - .offset:         128
        .size:           8
        .value_kind:     by_value
      - .offset:         136
        .size:           4
        .value_kind:     by_value
    .group_segment_fixed_size: 512
    .kernarg_segment_align: 8
    .kernarg_segment_size: 140
    .language:       OpenCL C
    .language_version:
      - 2
      - 0
    .max_flat_workgroup_size: 256
    .name:           _ZL32rocblas_gemvt_warp_reduce_kernelILb0ELi256El19rocblas_complex_numIdEPKS1_S1_EviiT3_lPKT2_lT1_lS7_lS8_lS4_lPT4_lS8_li
    .private_segment_fixed_size: 0
    .sgpr_count:     54
    .sgpr_spill_count: 0
    .symbol:         _ZL32rocblas_gemvt_warp_reduce_kernelILb0ELi256El19rocblas_complex_numIdEPKS1_S1_EviiT3_lPKT2_lT1_lS7_lS8_lS4_lPT4_lS8_li.kd
    .uniform_work_group_size: 1
    .uses_dynamic_stack: false
    .vgpr_count:     21
    .vgpr_spill_count: 0
    .wavefront_size: 32
    .workgroup_processor_mode: 1
  - .args:
      - .offset:         0
        .size:           4
        .value_kind:     by_value
      - .offset:         4
        .size:           4
        .value_kind:     by_value
      - .offset:         8
        .size:           16
        .value_kind:     by_value
      - .offset:         24
        .size:           8
        .value_kind:     by_value
      - .address_space:  global
        .offset:         32
        .size:           8
        .value_kind:     global_buffer
      - .offset:         40
        .size:           8
        .value_kind:     by_value
      - .offset:         48
        .size:           4
        .value_kind:     by_value
      - .offset:         56
        .size:           8
        .value_kind:     by_value
      - .address_space:  global
        .offset:         64
        .size:           8
        .value_kind:     global_buffer
      - .offset:         72
        .size:           8
        .value_kind:     by_value
      - .offset:         80
        .size:           4
        .value_kind:     by_value
      - .offset:         88
        .size:           8
        .value_kind:     by_value
      - .offset:         96
        .size:           16
        .value_kind:     by_value
      - .offset:         112
        .size:           8
        .value_kind:     by_value
      - .address_space:  global
        .offset:         120
        .size:           8
        .value_kind:     global_buffer
      - .offset:         128
        .size:           8
        .value_kind:     by_value
      - .offset:         136
        .size:           4
        .value_kind:     by_value
      - .offset:         144
        .size:           8
        .value_kind:     by_value
      - .offset:         152
        .size:           4
        .value_kind:     by_value
    .group_segment_fixed_size: 512
    .kernarg_segment_align: 8
    .kernarg_segment_size: 156
    .language:       OpenCL C
    .language_version:
      - 2
      - 0
    .max_flat_workgroup_size: 256
    .name:           _ZL32rocblas_gemvt_warp_reduce_kernelILb0ELi256Ei19rocblas_complex_numIdES1_S1_EviiT3_lPKT2_lT1_lS5_lS6_lS2_lPT4_lS6_li
    .private_segment_fixed_size: 0
    .sgpr_count:     38
    .sgpr_spill_count: 0
    .symbol:         _ZL32rocblas_gemvt_warp_reduce_kernelILb0ELi256Ei19rocblas_complex_numIdES1_S1_EviiT3_lPKT2_lT1_lS5_lS6_lS2_lPT4_lS6_li.kd
    .uniform_work_group_size: 1
    .uses_dynamic_stack: false
    .vgpr_count:     21
    .vgpr_spill_count: 0
    .wavefront_size: 32
    .workgroup_processor_mode: 1
  - .args:
      - .offset:         0
        .size:           4
        .value_kind:     by_value
      - .offset:         4
        .size:           4
        .value_kind:     by_value
      - .offset:         8
        .size:           16
        .value_kind:     by_value
      - .offset:         24
        .size:           8
        .value_kind:     by_value
      - .address_space:  global
        .offset:         32
        .size:           8
        .value_kind:     global_buffer
      - .offset:         40
        .size:           8
        .value_kind:     by_value
      - .offset:         48
        .size:           8
        .value_kind:     by_value
      - .offset:         56
        .size:           8
        .value_kind:     by_value
      - .address_space:  global
        .offset:         64
        .size:           8
        .value_kind:     global_buffer
      - .offset:         72
        .size:           8
        .value_kind:     by_value
      - .offset:         80
        .size:           8
        .value_kind:     by_value
      - .offset:         88
        .size:           8
        .value_kind:     by_value
      - .offset:         96
        .size:           16
        .value_kind:     by_value
      - .offset:         112
        .size:           8
        .value_kind:     by_value
      - .address_space:  global
        .offset:         120
        .size:           8
        .value_kind:     global_buffer
      - .offset:         128
        .size:           8
        .value_kind:     by_value
      - .offset:         136
        .size:           8
        .value_kind:     by_value
      - .offset:         144
        .size:           8
        .value_kind:     by_value
      - .offset:         152
        .size:           4
        .value_kind:     by_value
    .group_segment_fixed_size: 512
    .kernarg_segment_align: 8
    .kernarg_segment_size: 156
    .language:       OpenCL C
    .language_version:
      - 2
      - 0
    .max_flat_workgroup_size: 256
    .name:           _ZL32rocblas_gemvt_warp_reduce_kernelILb0ELi256El19rocblas_complex_numIdES1_S1_EviiT3_lPKT2_lT1_lS5_lS6_lS2_lPT4_lS6_li
    .private_segment_fixed_size: 0
    .sgpr_count:     46
    .sgpr_spill_count: 0
    .symbol:         _ZL32rocblas_gemvt_warp_reduce_kernelILb0ELi256El19rocblas_complex_numIdES1_S1_EviiT3_lPKT2_lT1_lS5_lS6_lS2_lPT4_lS6_li.kd
    .uniform_work_group_size: 1
    .uses_dynamic_stack: false
    .vgpr_count:     21
    .vgpr_spill_count: 0
    .wavefront_size: 32
    .workgroup_processor_mode: 1
  - .args:
      - .offset:         0
        .size:           4
        .value_kind:     by_value
      - .offset:         4
        .size:           4
        .value_kind:     by_value
      - .address_space:  global
        .offset:         8
        .size:           8
        .value_kind:     global_buffer
      - .offset:         16
        .size:           8
        .value_kind:     by_value
      - .address_space:  global
        .offset:         24
        .size:           8
        .value_kind:     global_buffer
      - .offset:         32
        .size:           8
        .value_kind:     by_value
      - .offset:         40
        .size:           4
        .value_kind:     by_value
      - .offset:         48
        .size:           8
        .value_kind:     by_value
      - .address_space:  global
        .offset:         56
        .size:           8
        .value_kind:     global_buffer
      - .offset:         64
        .size:           8
        .value_kind:     by_value
      - .offset:         72
        .size:           4
        .value_kind:     by_value
      - .offset:         80
        .size:           8
        .value_kind:     by_value
      - .address_space:  global
        .offset:         88
        .size:           8
        .value_kind:     global_buffer
      - .offset:         96
        .size:           8
        .value_kind:     by_value
      - .address_space:  global
        .offset:         104
        .size:           8
        .value_kind:     global_buffer
      - .offset:         112
        .size:           8
        .value_kind:     by_value
      - .offset:         120
        .size:           4
        .value_kind:     by_value
      - .offset:         128
        .size:           8
        .value_kind:     by_value
      - .offset:         136
        .size:           4
        .value_kind:     by_value
    .group_segment_fixed_size: 4096
    .kernarg_segment_align: 8
    .kernarg_segment_size: 140
    .language:       OpenCL C
    .language_version:
      - 2
      - 0
    .max_flat_workgroup_size: 256
    .name:           _ZL20rocblas_gemvt_kernelILb0ELi256E19rocblas_complex_numIdEPKS1_S1_EviiT2_lPKT1_lilS7_lilS4_lPT3_lili
    .private_segment_fixed_size: 0
    .sgpr_count:     42
    .sgpr_spill_count: 0
    .symbol:         _ZL20rocblas_gemvt_kernelILb0ELi256E19rocblas_complex_numIdEPKS1_S1_EviiT2_lPKT1_lilS7_lilS4_lPT3_lili.kd
    .uniform_work_group_size: 1
    .uses_dynamic_stack: false
    .vgpr_count:     20
    .vgpr_spill_count: 0
    .wavefront_size: 32
    .workgroup_processor_mode: 1
  - .args:
      - .offset:         0
        .size:           4
        .value_kind:     by_value
      - .offset:         4
        .size:           4
        .value_kind:     by_value
      - .offset:         8
        .size:           16
        .value_kind:     by_value
      - .offset:         24
        .size:           8
        .value_kind:     by_value
      - .address_space:  global
        .offset:         32
        .size:           8
        .value_kind:     global_buffer
      - .offset:         40
        .size:           8
        .value_kind:     by_value
      - .offset:         48
        .size:           4
        .value_kind:     by_value
      - .offset:         56
        .size:           8
        .value_kind:     by_value
      - .address_space:  global
        .offset:         64
        .size:           8
        .value_kind:     global_buffer
      - .offset:         72
        .size:           8
        .value_kind:     by_value
      - .offset:         80
        .size:           4
        .value_kind:     by_value
      - .offset:         88
        .size:           8
        .value_kind:     by_value
      - .offset:         96
        .size:           16
        .value_kind:     by_value
      - .offset:         112
        .size:           8
        .value_kind:     by_value
      - .address_space:  global
        .offset:         120
        .size:           8
        .value_kind:     global_buffer
      - .offset:         128
        .size:           8
        .value_kind:     by_value
      - .offset:         136
        .size:           4
        .value_kind:     by_value
      - .offset:         144
        .size:           8
        .value_kind:     by_value
      - .offset:         152
        .size:           4
        .value_kind:     by_value
    .group_segment_fixed_size: 4096
    .kernarg_segment_align: 8
    .kernarg_segment_size: 156
    .language:       OpenCL C
    .language_version:
      - 2
      - 0
    .max_flat_workgroup_size: 256
    .name:           _ZL20rocblas_gemvt_kernelILb0ELi256E19rocblas_complex_numIdES1_S1_EviiT2_lPKT1_lilS5_lilS2_lPT3_lili
    .private_segment_fixed_size: 0
    .sgpr_count:     42
    .sgpr_spill_count: 0
    .symbol:         _ZL20rocblas_gemvt_kernelILb0ELi256E19rocblas_complex_numIdES1_S1_EviiT2_lPKT1_lilS5_lilS2_lPT3_lili.kd
    .uniform_work_group_size: 1
    .uses_dynamic_stack: false
    .vgpr_count:     20
    .vgpr_spill_count: 0
    .wavefront_size: 32
    .workgroup_processor_mode: 1
  - .args:
      - .offset:         0
        .size:           4
        .value_kind:     by_value
      - .offset:         4
        .size:           4
        .value_kind:     by_value
      - .address_space:  global
        .offset:         8
        .size:           8
        .value_kind:     global_buffer
      - .offset:         16
        .size:           8
        .value_kind:     by_value
      - .address_space:  global
        .offset:         24
        .size:           8
        .value_kind:     global_buffer
      - .offset:         32
        .size:           8
        .value_kind:     by_value
      - .offset:         40
        .size:           4
        .value_kind:     by_value
      - .offset:         48
        .size:           8
        .value_kind:     by_value
      - .address_space:  global
        .offset:         56
        .size:           8
        .value_kind:     global_buffer
      - .offset:         64
        .size:           8
        .value_kind:     by_value
      - .offset:         72
        .size:           4
        .value_kind:     by_value
      - .offset:         80
        .size:           8
        .value_kind:     by_value
      - .address_space:  global
        .offset:         88
        .size:           8
        .value_kind:     global_buffer
      - .offset:         96
        .size:           8
        .value_kind:     by_value
      - .address_space:  global
        .offset:         104
        .size:           8
        .value_kind:     global_buffer
      - .offset:         112
        .size:           8
        .value_kind:     by_value
      - .offset:         120
        .size:           4
        .value_kind:     by_value
      - .offset:         128
        .size:           8
        .value_kind:     by_value
      - .offset:         136
        .size:           4
        .value_kind:     by_value
    .group_segment_fixed_size: 512
    .kernarg_segment_align: 8
    .kernarg_segment_size: 140
    .language:       OpenCL C
    .language_version:
      - 2
      - 0
    .max_flat_workgroup_size: 1024
    .name:           _ZL32rocblas_gemvt_warp_reduce_kernelILb0ELi1024Ei19rocblas_complex_numIdEPKS1_S1_EviiT3_lPKT2_lT1_lS7_lS8_lS4_lPT4_lS8_li
    .private_segment_fixed_size: 0
    .sgpr_count:     38
    .sgpr_spill_count: 0
    .symbol:         _ZL32rocblas_gemvt_warp_reduce_kernelILb0ELi1024Ei19rocblas_complex_numIdEPKS1_S1_EviiT3_lPKT2_lT1_lS7_lS8_lS4_lPT4_lS8_li.kd
    .uniform_work_group_size: 1
    .uses_dynamic_stack: false
    .vgpr_count:     21
    .vgpr_spill_count: 0
    .wavefront_size: 32
    .workgroup_processor_mode: 1
  - .args:
      - .offset:         0
        .size:           4
        .value_kind:     by_value
      - .offset:         4
        .size:           4
        .value_kind:     by_value
      - .address_space:  global
        .offset:         8
        .size:           8
        .value_kind:     global_buffer
      - .offset:         16
        .size:           8
        .value_kind:     by_value
      - .address_space:  global
        .offset:         24
        .size:           8
        .value_kind:     global_buffer
      - .offset:         32
        .size:           8
        .value_kind:     by_value
      - .offset:         40
        .size:           8
        .value_kind:     by_value
      - .offset:         48
        .size:           8
        .value_kind:     by_value
      - .address_space:  global
        .offset:         56
        .size:           8
        .value_kind:     global_buffer
      - .offset:         64
        .size:           8
        .value_kind:     by_value
      - .offset:         72
        .size:           8
        .value_kind:     by_value
      - .offset:         80
        .size:           8
        .value_kind:     by_value
      - .address_space:  global
        .offset:         88
        .size:           8
        .value_kind:     global_buffer
      - .offset:         96
        .size:           8
        .value_kind:     by_value
      - .address_space:  global
        .offset:         104
        .size:           8
        .value_kind:     global_buffer
      - .offset:         112
        .size:           8
        .value_kind:     by_value
      - .offset:         120
        .size:           8
        .value_kind:     by_value
      - .offset:         128
        .size:           8
        .value_kind:     by_value
      - .offset:         136
        .size:           4
        .value_kind:     by_value
    .group_segment_fixed_size: 512
    .kernarg_segment_align: 8
    .kernarg_segment_size: 140
    .language:       OpenCL C
    .language_version:
      - 2
      - 0
    .max_flat_workgroup_size: 1024
    .name:           _ZL32rocblas_gemvt_warp_reduce_kernelILb0ELi1024El19rocblas_complex_numIdEPKS1_S1_EviiT3_lPKT2_lT1_lS7_lS8_lS4_lPT4_lS8_li
    .private_segment_fixed_size: 0
    .sgpr_count:     54
    .sgpr_spill_count: 0
    .symbol:         _ZL32rocblas_gemvt_warp_reduce_kernelILb0ELi1024El19rocblas_complex_numIdEPKS1_S1_EviiT3_lPKT2_lT1_lS7_lS8_lS4_lPT4_lS8_li.kd
    .uniform_work_group_size: 1
    .uses_dynamic_stack: false
    .vgpr_count:     21
    .vgpr_spill_count: 0
    .wavefront_size: 32
    .workgroup_processor_mode: 1
  - .args:
      - .offset:         0
        .size:           4
        .value_kind:     by_value
      - .offset:         4
        .size:           4
        .value_kind:     by_value
      - .offset:         8
        .size:           16
        .value_kind:     by_value
      - .offset:         24
        .size:           8
        .value_kind:     by_value
      - .address_space:  global
        .offset:         32
        .size:           8
        .value_kind:     global_buffer
      - .offset:         40
        .size:           8
        .value_kind:     by_value
      - .offset:         48
        .size:           4
        .value_kind:     by_value
      - .offset:         56
        .size:           8
        .value_kind:     by_value
      - .address_space:  global
        .offset:         64
        .size:           8
        .value_kind:     global_buffer
      - .offset:         72
        .size:           8
        .value_kind:     by_value
      - .offset:         80
        .size:           4
        .value_kind:     by_value
      - .offset:         88
        .size:           8
        .value_kind:     by_value
      - .offset:         96
        .size:           16
        .value_kind:     by_value
      - .offset:         112
        .size:           8
        .value_kind:     by_value
      - .address_space:  global
        .offset:         120
        .size:           8
        .value_kind:     global_buffer
      - .offset:         128
        .size:           8
        .value_kind:     by_value
      - .offset:         136
        .size:           4
        .value_kind:     by_value
      - .offset:         144
        .size:           8
        .value_kind:     by_value
      - .offset:         152
        .size:           4
        .value_kind:     by_value
    .group_segment_fixed_size: 512
    .kernarg_segment_align: 8
    .kernarg_segment_size: 156
    .language:       OpenCL C
    .language_version:
      - 2
      - 0
    .max_flat_workgroup_size: 1024
    .name:           _ZL32rocblas_gemvt_warp_reduce_kernelILb0ELi1024Ei19rocblas_complex_numIdES1_S1_EviiT3_lPKT2_lT1_lS5_lS6_lS2_lPT4_lS6_li
    .private_segment_fixed_size: 0
    .sgpr_count:     38
    .sgpr_spill_count: 0
    .symbol:         _ZL32rocblas_gemvt_warp_reduce_kernelILb0ELi1024Ei19rocblas_complex_numIdES1_S1_EviiT3_lPKT2_lT1_lS5_lS6_lS2_lPT4_lS6_li.kd
    .uniform_work_group_size: 1
    .uses_dynamic_stack: false
    .vgpr_count:     21
    .vgpr_spill_count: 0
    .wavefront_size: 32
    .workgroup_processor_mode: 1
  - .args:
      - .offset:         0
        .size:           4
        .value_kind:     by_value
      - .offset:         4
        .size:           4
        .value_kind:     by_value
      - .offset:         8
        .size:           16
        .value_kind:     by_value
      - .offset:         24
        .size:           8
        .value_kind:     by_value
      - .address_space:  global
        .offset:         32
        .size:           8
        .value_kind:     global_buffer
      - .offset:         40
        .size:           8
        .value_kind:     by_value
      - .offset:         48
        .size:           8
        .value_kind:     by_value
      - .offset:         56
        .size:           8
        .value_kind:     by_value
      - .address_space:  global
        .offset:         64
        .size:           8
        .value_kind:     global_buffer
      - .offset:         72
        .size:           8
        .value_kind:     by_value
      - .offset:         80
        .size:           8
        .value_kind:     by_value
      - .offset:         88
        .size:           8
        .value_kind:     by_value
      - .offset:         96
        .size:           16
        .value_kind:     by_value
      - .offset:         112
        .size:           8
        .value_kind:     by_value
      - .address_space:  global
        .offset:         120
        .size:           8
        .value_kind:     global_buffer
      - .offset:         128
        .size:           8
        .value_kind:     by_value
      - .offset:         136
        .size:           8
        .value_kind:     by_value
      - .offset:         144
        .size:           8
        .value_kind:     by_value
      - .offset:         152
        .size:           4
        .value_kind:     by_value
    .group_segment_fixed_size: 512
    .kernarg_segment_align: 8
    .kernarg_segment_size: 156
    .language:       OpenCL C
    .language_version:
      - 2
      - 0
    .max_flat_workgroup_size: 1024
    .name:           _ZL32rocblas_gemvt_warp_reduce_kernelILb0ELi1024El19rocblas_complex_numIdES1_S1_EviiT3_lPKT2_lT1_lS5_lS6_lS2_lPT4_lS6_li
    .private_segment_fixed_size: 0
    .sgpr_count:     46
    .sgpr_spill_count: 0
    .symbol:         _ZL32rocblas_gemvt_warp_reduce_kernelILb0ELi1024El19rocblas_complex_numIdES1_S1_EviiT3_lPKT2_lT1_lS5_lS6_lS2_lPT4_lS6_li.kd
    .uniform_work_group_size: 1
    .uses_dynamic_stack: false
    .vgpr_count:     21
    .vgpr_spill_count: 0
    .wavefront_size: 32
    .workgroup_processor_mode: 1
  - .args:
      - .offset:         0
        .size:           4
        .value_kind:     by_value
      - .offset:         4
        .size:           4
        .value_kind:     by_value
      - .address_space:  global
        .offset:         8
        .size:           8
        .value_kind:     global_buffer
      - .offset:         16
        .size:           8
        .value_kind:     by_value
      - .address_space:  global
        .offset:         24
        .size:           8
        .value_kind:     global_buffer
      - .offset:         32
        .size:           8
        .value_kind:     by_value
      - .offset:         40
        .size:           4
        .value_kind:     by_value
      - .offset:         48
        .size:           8
        .value_kind:     by_value
      - .address_space:  global
        .offset:         56
        .size:           8
        .value_kind:     global_buffer
      - .offset:         64
        .size:           8
        .value_kind:     by_value
      - .offset:         72
        .size:           4
        .value_kind:     by_value
      - .offset:         80
        .size:           8
        .value_kind:     by_value
      - .address_space:  global
        .offset:         88
        .size:           8
        .value_kind:     global_buffer
      - .offset:         96
        .size:           8
        .value_kind:     by_value
      - .address_space:  global
        .offset:         104
        .size:           8
        .value_kind:     global_buffer
      - .offset:         112
        .size:           8
        .value_kind:     by_value
      - .offset:         120
        .size:           4
        .value_kind:     by_value
      - .offset:         128
        .size:           8
        .value_kind:     by_value
    .group_segment_fixed_size: 1024
    .kernarg_segment_align: 8
    .kernarg_segment_size: 136
    .language:       OpenCL C
    .language_version:
      - 2
      - 0
    .max_flat_workgroup_size: 256
    .name:           _ZL22rocblas_gemvtsm_kernelILb1ELi256E19rocblas_complex_numIdEPKS1_S1_EviiT2_lPKT1_lilS7_lilS4_lPT3_lil
    .private_segment_fixed_size: 0
    .sgpr_count:     38
    .sgpr_spill_count: 0
    .symbol:         _ZL22rocblas_gemvtsm_kernelILb1ELi256E19rocblas_complex_numIdEPKS1_S1_EviiT2_lPKT1_lilS7_lilS4_lPT3_lil.kd
    .uniform_work_group_size: 1
    .uses_dynamic_stack: false
    .vgpr_count:     62
    .vgpr_spill_count: 0
    .wavefront_size: 32
    .workgroup_processor_mode: 1
  - .args:
      - .offset:         0
        .size:           4
        .value_kind:     by_value
      - .offset:         4
        .size:           4
        .value_kind:     by_value
      - .offset:         8
        .size:           16
        .value_kind:     by_value
      - .offset:         24
        .size:           8
        .value_kind:     by_value
      - .address_space:  global
        .offset:         32
        .size:           8
        .value_kind:     global_buffer
      - .offset:         40
        .size:           8
        .value_kind:     by_value
      - .offset:         48
        .size:           4
        .value_kind:     by_value
      - .offset:         56
        .size:           8
        .value_kind:     by_value
      - .address_space:  global
        .offset:         64
        .size:           8
        .value_kind:     global_buffer
      - .offset:         72
        .size:           8
        .value_kind:     by_value
      - .offset:         80
        .size:           4
        .value_kind:     by_value
      - .offset:         88
        .size:           8
        .value_kind:     by_value
      - .offset:         96
        .size:           16
        .value_kind:     by_value
      - .offset:         112
        .size:           8
        .value_kind:     by_value
      - .address_space:  global
        .offset:         120
        .size:           8
        .value_kind:     global_buffer
      - .offset:         128
        .size:           8
        .value_kind:     by_value
      - .offset:         136
        .size:           4
        .value_kind:     by_value
      - .offset:         144
        .size:           8
        .value_kind:     by_value
    .group_segment_fixed_size: 1024
    .kernarg_segment_align: 8
    .kernarg_segment_size: 152
    .language:       OpenCL C
    .language_version:
      - 2
      - 0
    .max_flat_workgroup_size: 256
    .name:           _ZL22rocblas_gemvtsm_kernelILb1ELi256E19rocblas_complex_numIdES1_S1_EviiT2_lPKT1_lilS5_lilS2_lPT3_lil
    .private_segment_fixed_size: 0
    .sgpr_count:     33
    .sgpr_spill_count: 0
    .symbol:         _ZL22rocblas_gemvtsm_kernelILb1ELi256E19rocblas_complex_numIdES1_S1_EviiT2_lPKT1_lilS5_lilS2_lPT3_lil.kd
    .uniform_work_group_size: 1
    .uses_dynamic_stack: false
    .vgpr_count:     62
    .vgpr_spill_count: 0
    .wavefront_size: 32
    .workgroup_processor_mode: 1
  - .args:
      - .offset:         0
        .size:           4
        .value_kind:     by_value
      - .offset:         4
        .size:           4
        .value_kind:     by_value
      - .address_space:  global
        .offset:         8
        .size:           8
        .value_kind:     global_buffer
      - .offset:         16
        .size:           8
        .value_kind:     by_value
      - .address_space:  global
        .offset:         24
        .size:           8
        .value_kind:     global_buffer
      - .offset:         32
        .size:           8
        .value_kind:     by_value
      - .offset:         40
        .size:           4
        .value_kind:     by_value
      - .offset:         48
        .size:           8
        .value_kind:     by_value
      - .address_space:  global
        .offset:         56
        .size:           8
        .value_kind:     global_buffer
      - .offset:         64
        .size:           8
        .value_kind:     by_value
      - .offset:         72
        .size:           4
        .value_kind:     by_value
      - .offset:         80
        .size:           8
        .value_kind:     by_value
      - .address_space:  global
        .offset:         88
        .size:           8
        .value_kind:     global_buffer
      - .offset:         96
        .size:           4
        .value_kind:     by_value
      - .offset:         104
        .size:           4
        .value_kind:     hidden_block_count_x
      - .offset:         108
        .size:           4
        .value_kind:     hidden_block_count_y
      - .offset:         112
        .size:           4
        .value_kind:     hidden_block_count_z
      - .offset:         116
        .size:           2
        .value_kind:     hidden_group_size_x
      - .offset:         118
        .size:           2
        .value_kind:     hidden_group_size_y
      - .offset:         120
        .size:           2
        .value_kind:     hidden_group_size_z
      - .offset:         122
        .size:           2
        .value_kind:     hidden_remainder_x
      - .offset:         124
        .size:           2
        .value_kind:     hidden_remainder_y
      - .offset:         126
        .size:           2
        .value_kind:     hidden_remainder_z
      - .offset:         144
        .size:           8
        .value_kind:     hidden_global_offset_x
      - .offset:         152
        .size:           8
        .value_kind:     hidden_global_offset_y
      - .offset:         160
        .size:           8
        .value_kind:     hidden_global_offset_z
      - .offset:         168
        .size:           2
        .value_kind:     hidden_grid_dims
    .group_segment_fixed_size: 512
    .kernarg_segment_align: 8
    .kernarg_segment_size: 360
    .language:       OpenCL C
    .language_version:
      - 2
      - 0
    .max_flat_workgroup_size: 256
    .name:           _ZL23rocblas_gemvt_sn_kernelILb1ELi256ELi4Ei19rocblas_complex_numIdEPKS1_S1_EviiT4_lPKT3_lilS7_lilPT5_i
    .private_segment_fixed_size: 80
    .sgpr_count:     60
    .sgpr_spill_count: 0
    .symbol:         _ZL23rocblas_gemvt_sn_kernelILb1ELi256ELi4Ei19rocblas_complex_numIdEPKS1_S1_EviiT4_lPKT3_lilS7_lilPT5_i.kd
    .uniform_work_group_size: 1
    .uses_dynamic_stack: false
    .vgpr_count:     122
    .vgpr_spill_count: 0
    .wavefront_size: 32
    .workgroup_processor_mode: 1
  - .args:
      - .offset:         0
        .size:           4
        .value_kind:     by_value
      - .offset:         4
        .size:           4
        .value_kind:     by_value
      - .address_space:  global
        .offset:         8
        .size:           8
        .value_kind:     global_buffer
      - .offset:         16
        .size:           8
        .value_kind:     by_value
      - .address_space:  global
        .offset:         24
        .size:           8
        .value_kind:     global_buffer
      - .offset:         32
        .size:           8
        .value_kind:     by_value
      - .offset:         40
        .size:           4
        .value_kind:     by_value
      - .offset:         48
        .size:           8
        .value_kind:     by_value
      - .address_space:  global
        .offset:         56
        .size:           8
        .value_kind:     global_buffer
      - .offset:         64
        .size:           8
        .value_kind:     by_value
      - .offset:         72
        .size:           4
        .value_kind:     by_value
      - .offset:         80
        .size:           8
        .value_kind:     by_value
      - .address_space:  global
        .offset:         88
        .size:           8
        .value_kind:     global_buffer
      - .offset:         96
        .size:           4
        .value_kind:     by_value
      - .offset:         104
        .size:           4
        .value_kind:     hidden_block_count_x
      - .offset:         108
        .size:           4
        .value_kind:     hidden_block_count_y
      - .offset:         112
        .size:           4
        .value_kind:     hidden_block_count_z
      - .offset:         116
        .size:           2
        .value_kind:     hidden_group_size_x
      - .offset:         118
        .size:           2
        .value_kind:     hidden_group_size_y
      - .offset:         120
        .size:           2
        .value_kind:     hidden_group_size_z
      - .offset:         122
        .size:           2
        .value_kind:     hidden_remainder_x
      - .offset:         124
        .size:           2
        .value_kind:     hidden_remainder_y
      - .offset:         126
        .size:           2
        .value_kind:     hidden_remainder_z
      - .offset:         144
        .size:           8
        .value_kind:     hidden_global_offset_x
      - .offset:         152
        .size:           8
        .value_kind:     hidden_global_offset_y
      - .offset:         160
        .size:           8
        .value_kind:     hidden_global_offset_z
      - .offset:         168
        .size:           2
        .value_kind:     hidden_grid_dims
    .group_segment_fixed_size: 512
    .kernarg_segment_align: 8
    .kernarg_segment_size: 360
    .language:       OpenCL C
    .language_version:
      - 2
      - 0
    .max_flat_workgroup_size: 256
    .name:           _ZL23rocblas_gemvt_sn_kernelILb1ELi256ELi4El19rocblas_complex_numIdEPKS1_S1_EviiT4_lPKT3_lilS7_lilPT5_i
    .private_segment_fixed_size: 80
    .sgpr_count:     67
    .sgpr_spill_count: 0
    .symbol:         _ZL23rocblas_gemvt_sn_kernelILb1ELi256ELi4El19rocblas_complex_numIdEPKS1_S1_EviiT4_lPKT3_lilS7_lilPT5_i.kd
    .uniform_work_group_size: 1
    .uses_dynamic_stack: false
    .vgpr_count:     126
    .vgpr_spill_count: 0
    .wavefront_size: 32
    .workgroup_processor_mode: 1
  - .args:
      - .offset:         0
        .size:           4
        .value_kind:     by_value
      - .offset:         4
        .size:           4
        .value_kind:     by_value
      - .offset:         8
        .size:           16
        .value_kind:     by_value
      - .offset:         24
        .size:           8
        .value_kind:     by_value
      - .address_space:  global
        .offset:         32
        .size:           8
        .value_kind:     global_buffer
      - .offset:         40
        .size:           8
        .value_kind:     by_value
      - .offset:         48
        .size:           4
        .value_kind:     by_value
      - .offset:         56
        .size:           8
        .value_kind:     by_value
      - .address_space:  global
        .offset:         64
        .size:           8
        .value_kind:     global_buffer
      - .offset:         72
        .size:           8
        .value_kind:     by_value
      - .offset:         80
        .size:           4
        .value_kind:     by_value
      - .offset:         88
        .size:           8
        .value_kind:     by_value
      - .address_space:  global
        .offset:         96
        .size:           8
        .value_kind:     global_buffer
      - .offset:         104
        .size:           4
        .value_kind:     by_value
      - .offset:         112
        .size:           4
        .value_kind:     hidden_block_count_x
      - .offset:         116
        .size:           4
        .value_kind:     hidden_block_count_y
      - .offset:         120
        .size:           4
        .value_kind:     hidden_block_count_z
      - .offset:         124
        .size:           2
        .value_kind:     hidden_group_size_x
      - .offset:         126
        .size:           2
        .value_kind:     hidden_group_size_y
      - .offset:         128
        .size:           2
        .value_kind:     hidden_group_size_z
      - .offset:         130
        .size:           2
        .value_kind:     hidden_remainder_x
      - .offset:         132
        .size:           2
        .value_kind:     hidden_remainder_y
      - .offset:         134
        .size:           2
        .value_kind:     hidden_remainder_z
      - .offset:         152
        .size:           8
        .value_kind:     hidden_global_offset_x
      - .offset:         160
        .size:           8
        .value_kind:     hidden_global_offset_y
      - .offset:         168
        .size:           8
        .value_kind:     hidden_global_offset_z
      - .offset:         176
        .size:           2
        .value_kind:     hidden_grid_dims
    .group_segment_fixed_size: 512
    .kernarg_segment_align: 8
    .kernarg_segment_size: 368
    .language:       OpenCL C
    .language_version:
      - 2
      - 0
    .max_flat_workgroup_size: 256
    .name:           _ZL23rocblas_gemvt_sn_kernelILb1ELi256ELi4Ei19rocblas_complex_numIdES1_S1_EviiT4_lPKT3_lilS5_lilPT5_i
    .private_segment_fixed_size: 80
    .sgpr_count:     60
    .sgpr_spill_count: 0
    .symbol:         _ZL23rocblas_gemvt_sn_kernelILb1ELi256ELi4Ei19rocblas_complex_numIdES1_S1_EviiT4_lPKT3_lilS5_lilPT5_i.kd
    .uniform_work_group_size: 1
    .uses_dynamic_stack: false
    .vgpr_count:     122
    .vgpr_spill_count: 0
    .wavefront_size: 32
    .workgroup_processor_mode: 1
  - .args:
      - .offset:         0
        .size:           4
        .value_kind:     by_value
      - .offset:         4
        .size:           4
        .value_kind:     by_value
      - .offset:         8
        .size:           16
        .value_kind:     by_value
      - .offset:         24
        .size:           8
        .value_kind:     by_value
      - .address_space:  global
        .offset:         32
        .size:           8
        .value_kind:     global_buffer
      - .offset:         40
        .size:           8
        .value_kind:     by_value
      - .offset:         48
        .size:           4
        .value_kind:     by_value
      - .offset:         56
        .size:           8
        .value_kind:     by_value
      - .address_space:  global
        .offset:         64
        .size:           8
        .value_kind:     global_buffer
      - .offset:         72
        .size:           8
        .value_kind:     by_value
      - .offset:         80
        .size:           4
        .value_kind:     by_value
      - .offset:         88
        .size:           8
        .value_kind:     by_value
      - .address_space:  global
        .offset:         96
        .size:           8
        .value_kind:     global_buffer
      - .offset:         104
        .size:           4
        .value_kind:     by_value
      - .offset:         112
        .size:           4
        .value_kind:     hidden_block_count_x
      - .offset:         116
        .size:           4
        .value_kind:     hidden_block_count_y
      - .offset:         120
        .size:           4
        .value_kind:     hidden_block_count_z
      - .offset:         124
        .size:           2
        .value_kind:     hidden_group_size_x
      - .offset:         126
        .size:           2
        .value_kind:     hidden_group_size_y
      - .offset:         128
        .size:           2
        .value_kind:     hidden_group_size_z
      - .offset:         130
        .size:           2
        .value_kind:     hidden_remainder_x
      - .offset:         132
        .size:           2
        .value_kind:     hidden_remainder_y
      - .offset:         134
        .size:           2
        .value_kind:     hidden_remainder_z
      - .offset:         152
        .size:           8
        .value_kind:     hidden_global_offset_x
      - .offset:         160
        .size:           8
        .value_kind:     hidden_global_offset_y
      - .offset:         168
        .size:           8
        .value_kind:     hidden_global_offset_z
      - .offset:         176
        .size:           2
        .value_kind:     hidden_grid_dims
    .group_segment_fixed_size: 512
    .kernarg_segment_align: 8
    .kernarg_segment_size: 368
    .language:       OpenCL C
    .language_version:
      - 2
      - 0
    .max_flat_workgroup_size: 256
    .name:           _ZL23rocblas_gemvt_sn_kernelILb1ELi256ELi4El19rocblas_complex_numIdES1_S1_EviiT4_lPKT3_lilS5_lilPT5_i
    .private_segment_fixed_size: 80
    .sgpr_count:     67
    .sgpr_spill_count: 0
    .symbol:         _ZL23rocblas_gemvt_sn_kernelILb1ELi256ELi4El19rocblas_complex_numIdES1_S1_EviiT4_lPKT3_lilS5_lilPT5_i.kd
    .uniform_work_group_size: 1
    .uses_dynamic_stack: false
    .vgpr_count:     126
    .vgpr_spill_count: 0
    .wavefront_size: 32
    .workgroup_processor_mode: 1
  - .args:
      - .offset:         0
        .size:           4
        .value_kind:     by_value
      - .offset:         4
        .size:           4
        .value_kind:     by_value
      - .address_space:  global
        .offset:         8
        .size:           8
        .value_kind:     global_buffer
      - .offset:         16
        .size:           8
        .value_kind:     by_value
      - .address_space:  global
        .offset:         24
        .size:           8
        .value_kind:     global_buffer
      - .offset:         32
        .size:           8
        .value_kind:     by_value
      - .offset:         40
        .size:           4
        .value_kind:     by_value
      - .offset:         48
        .size:           8
        .value_kind:     by_value
      - .address_space:  global
        .offset:         56
        .size:           8
        .value_kind:     global_buffer
      - .offset:         64
        .size:           8
        .value_kind:     by_value
      - .offset:         72
        .size:           4
        .value_kind:     by_value
      - .offset:         80
        .size:           8
        .value_kind:     by_value
      - .address_space:  global
        .offset:         88
        .size:           8
        .value_kind:     global_buffer
      - .offset:         96
        .size:           8
        .value_kind:     by_value
      - .address_space:  global
        .offset:         104
        .size:           8
        .value_kind:     global_buffer
      - .offset:         112
        .size:           8
        .value_kind:     by_value
      - .offset:         120
        .size:           4
        .value_kind:     by_value
      - .offset:         128
        .size:           8
        .value_kind:     by_value
      - .offset:         136
        .size:           4
        .value_kind:     by_value
    .group_segment_fixed_size: 4096
    .kernarg_segment_align: 8
    .kernarg_segment_size: 140
    .language:       OpenCL C
    .language_version:
      - 2
      - 0
    .max_flat_workgroup_size: 256
    .name:           _ZL20rocblas_gemvt_kernelILb1ELi256E19rocblas_complex_numIdEPKS1_S1_EviiT2_lPKT1_lilS7_lilS4_lPT3_lili
    .private_segment_fixed_size: 0
    .sgpr_count:     42
    .sgpr_spill_count: 0
    .symbol:         _ZL20rocblas_gemvt_kernelILb1ELi256E19rocblas_complex_numIdEPKS1_S1_EviiT2_lPKT1_lilS7_lilS4_lPT3_lili.kd
    .uniform_work_group_size: 1
    .uses_dynamic_stack: false
    .vgpr_count:     20
    .vgpr_spill_count: 0
    .wavefront_size: 32
    .workgroup_processor_mode: 1
  - .args:
      - .offset:         0
        .size:           4
        .value_kind:     by_value
      - .offset:         4
        .size:           4
        .value_kind:     by_value
      - .offset:         8
        .size:           16
        .value_kind:     by_value
      - .offset:         24
        .size:           8
        .value_kind:     by_value
      - .address_space:  global
        .offset:         32
        .size:           8
        .value_kind:     global_buffer
      - .offset:         40
        .size:           8
        .value_kind:     by_value
      - .offset:         48
        .size:           4
        .value_kind:     by_value
      - .offset:         56
        .size:           8
        .value_kind:     by_value
      - .address_space:  global
        .offset:         64
        .size:           8
        .value_kind:     global_buffer
      - .offset:         72
        .size:           8
        .value_kind:     by_value
      - .offset:         80
        .size:           4
        .value_kind:     by_value
      - .offset:         88
        .size:           8
        .value_kind:     by_value
      - .offset:         96
        .size:           16
        .value_kind:     by_value
      - .offset:         112
        .size:           8
        .value_kind:     by_value
      - .address_space:  global
        .offset:         120
        .size:           8
        .value_kind:     global_buffer
      - .offset:         128
        .size:           8
        .value_kind:     by_value
      - .offset:         136
        .size:           4
        .value_kind:     by_value
      - .offset:         144
        .size:           8
        .value_kind:     by_value
      - .offset:         152
        .size:           4
        .value_kind:     by_value
    .group_segment_fixed_size: 4096
    .kernarg_segment_align: 8
    .kernarg_segment_size: 156
    .language:       OpenCL C
    .language_version:
      - 2
      - 0
    .max_flat_workgroup_size: 256
    .name:           _ZL20rocblas_gemvt_kernelILb1ELi256E19rocblas_complex_numIdES1_S1_EviiT2_lPKT1_lilS5_lilS2_lPT3_lili
    .private_segment_fixed_size: 0
    .sgpr_count:     42
    .sgpr_spill_count: 0
    .symbol:         _ZL20rocblas_gemvt_kernelILb1ELi256E19rocblas_complex_numIdES1_S1_EviiT2_lPKT1_lilS5_lilS2_lPT3_lili.kd
    .uniform_work_group_size: 1
    .uses_dynamic_stack: false
    .vgpr_count:     20
    .vgpr_spill_count: 0
    .wavefront_size: 32
    .workgroup_processor_mode: 1
  - .args:
      - .offset:         0
        .size:           4
        .value_kind:     by_value
      - .offset:         4
        .size:           4
        .value_kind:     by_value
      - .address_space:  global
        .offset:         8
        .size:           8
        .value_kind:     global_buffer
      - .offset:         16
        .size:           8
        .value_kind:     by_value
      - .address_space:  global
        .offset:         24
        .size:           8
        .value_kind:     global_buffer
      - .offset:         32
        .size:           8
        .value_kind:     by_value
      - .offset:         40
        .size:           4
        .value_kind:     by_value
      - .offset:         48
        .size:           8
        .value_kind:     by_value
      - .address_space:  global
        .offset:         56
        .size:           8
        .value_kind:     global_buffer
      - .offset:         64
        .size:           8
        .value_kind:     by_value
      - .offset:         72
        .size:           4
        .value_kind:     by_value
      - .offset:         80
        .size:           8
        .value_kind:     by_value
      - .address_space:  global
        .offset:         88
        .size:           8
        .value_kind:     global_buffer
      - .offset:         96
        .size:           8
        .value_kind:     by_value
      - .address_space:  global
        .offset:         104
        .size:           8
        .value_kind:     global_buffer
      - .offset:         112
        .size:           8
        .value_kind:     by_value
      - .offset:         120
        .size:           4
        .value_kind:     by_value
      - .offset:         128
        .size:           8
        .value_kind:     by_value
      - .offset:         136
        .size:           4
        .value_kind:     by_value
    .group_segment_fixed_size: 512
    .kernarg_segment_align: 8
    .kernarg_segment_size: 140
    .language:       OpenCL C
    .language_version:
      - 2
      - 0
    .max_flat_workgroup_size: 1024
    .name:           _ZL32rocblas_gemvt_warp_reduce_kernelILb1ELi1024Ei19rocblas_complex_numIdEPKS1_S1_EviiT3_lPKT2_lT1_lS7_lS8_lS4_lPT4_lS8_li
    .private_segment_fixed_size: 0
    .sgpr_count:     38
    .sgpr_spill_count: 0
    .symbol:         _ZL32rocblas_gemvt_warp_reduce_kernelILb1ELi1024Ei19rocblas_complex_numIdEPKS1_S1_EviiT3_lPKT2_lT1_lS7_lS8_lS4_lPT4_lS8_li.kd
    .uniform_work_group_size: 1
    .uses_dynamic_stack: false
    .vgpr_count:     21
    .vgpr_spill_count: 0
    .wavefront_size: 32
    .workgroup_processor_mode: 1
  - .args:
      - .offset:         0
        .size:           4
        .value_kind:     by_value
      - .offset:         4
        .size:           4
        .value_kind:     by_value
      - .address_space:  global
        .offset:         8
        .size:           8
        .value_kind:     global_buffer
      - .offset:         16
        .size:           8
        .value_kind:     by_value
      - .address_space:  global
        .offset:         24
        .size:           8
        .value_kind:     global_buffer
      - .offset:         32
        .size:           8
        .value_kind:     by_value
      - .offset:         40
        .size:           8
        .value_kind:     by_value
      - .offset:         48
        .size:           8
        .value_kind:     by_value
      - .address_space:  global
        .offset:         56
        .size:           8
        .value_kind:     global_buffer
      - .offset:         64
        .size:           8
        .value_kind:     by_value
      - .offset:         72
        .size:           8
        .value_kind:     by_value
      - .offset:         80
        .size:           8
        .value_kind:     by_value
      - .address_space:  global
        .offset:         88
        .size:           8
        .value_kind:     global_buffer
      - .offset:         96
        .size:           8
        .value_kind:     by_value
      - .address_space:  global
        .offset:         104
        .size:           8
        .value_kind:     global_buffer
      - .offset:         112
        .size:           8
        .value_kind:     by_value
      - .offset:         120
        .size:           8
        .value_kind:     by_value
      - .offset:         128
        .size:           8
        .value_kind:     by_value
      - .offset:         136
        .size:           4
        .value_kind:     by_value
    .group_segment_fixed_size: 512
    .kernarg_segment_align: 8
    .kernarg_segment_size: 140
    .language:       OpenCL C
    .language_version:
      - 2
      - 0
    .max_flat_workgroup_size: 1024
    .name:           _ZL32rocblas_gemvt_warp_reduce_kernelILb1ELi1024El19rocblas_complex_numIdEPKS1_S1_EviiT3_lPKT2_lT1_lS7_lS8_lS4_lPT4_lS8_li
    .private_segment_fixed_size: 0
    .sgpr_count:     54
    .sgpr_spill_count: 0
    .symbol:         _ZL32rocblas_gemvt_warp_reduce_kernelILb1ELi1024El19rocblas_complex_numIdEPKS1_S1_EviiT3_lPKT2_lT1_lS7_lS8_lS4_lPT4_lS8_li.kd
    .uniform_work_group_size: 1
    .uses_dynamic_stack: false
    .vgpr_count:     21
    .vgpr_spill_count: 0
    .wavefront_size: 32
    .workgroup_processor_mode: 1
  - .args:
      - .offset:         0
        .size:           4
        .value_kind:     by_value
      - .offset:         4
        .size:           4
        .value_kind:     by_value
      - .offset:         8
        .size:           16
        .value_kind:     by_value
      - .offset:         24
        .size:           8
        .value_kind:     by_value
      - .address_space:  global
        .offset:         32
        .size:           8
        .value_kind:     global_buffer
      - .offset:         40
        .size:           8
        .value_kind:     by_value
      - .offset:         48
        .size:           4
        .value_kind:     by_value
      - .offset:         56
        .size:           8
        .value_kind:     by_value
      - .address_space:  global
        .offset:         64
        .size:           8
        .value_kind:     global_buffer
      - .offset:         72
        .size:           8
        .value_kind:     by_value
      - .offset:         80
        .size:           4
        .value_kind:     by_value
      - .offset:         88
        .size:           8
        .value_kind:     by_value
      - .offset:         96
        .size:           16
        .value_kind:     by_value
      - .offset:         112
        .size:           8
        .value_kind:     by_value
      - .address_space:  global
        .offset:         120
        .size:           8
        .value_kind:     global_buffer
      - .offset:         128
        .size:           8
        .value_kind:     by_value
      - .offset:         136
        .size:           4
        .value_kind:     by_value
      - .offset:         144
        .size:           8
        .value_kind:     by_value
      - .offset:         152
        .size:           4
        .value_kind:     by_value
    .group_segment_fixed_size: 512
    .kernarg_segment_align: 8
    .kernarg_segment_size: 156
    .language:       OpenCL C
    .language_version:
      - 2
      - 0
    .max_flat_workgroup_size: 1024
    .name:           _ZL32rocblas_gemvt_warp_reduce_kernelILb1ELi1024Ei19rocblas_complex_numIdES1_S1_EviiT3_lPKT2_lT1_lS5_lS6_lS2_lPT4_lS6_li
    .private_segment_fixed_size: 0
    .sgpr_count:     38
    .sgpr_spill_count: 0
    .symbol:         _ZL32rocblas_gemvt_warp_reduce_kernelILb1ELi1024Ei19rocblas_complex_numIdES1_S1_EviiT3_lPKT2_lT1_lS5_lS6_lS2_lPT4_lS6_li.kd
    .uniform_work_group_size: 1
    .uses_dynamic_stack: false
    .vgpr_count:     21
    .vgpr_spill_count: 0
    .wavefront_size: 32
    .workgroup_processor_mode: 1
  - .args:
      - .offset:         0
        .size:           4
        .value_kind:     by_value
      - .offset:         4
        .size:           4
        .value_kind:     by_value
      - .offset:         8
        .size:           16
        .value_kind:     by_value
      - .offset:         24
        .size:           8
        .value_kind:     by_value
      - .address_space:  global
        .offset:         32
        .size:           8
        .value_kind:     global_buffer
      - .offset:         40
        .size:           8
        .value_kind:     by_value
      - .offset:         48
        .size:           8
        .value_kind:     by_value
      - .offset:         56
        .size:           8
        .value_kind:     by_value
      - .address_space:  global
        .offset:         64
        .size:           8
        .value_kind:     global_buffer
      - .offset:         72
        .size:           8
        .value_kind:     by_value
      - .offset:         80
        .size:           8
        .value_kind:     by_value
      - .offset:         88
        .size:           8
        .value_kind:     by_value
      - .offset:         96
        .size:           16
        .value_kind:     by_value
      - .offset:         112
        .size:           8
        .value_kind:     by_value
      - .address_space:  global
        .offset:         120
        .size:           8
        .value_kind:     global_buffer
      - .offset:         128
        .size:           8
        .value_kind:     by_value
      - .offset:         136
        .size:           8
        .value_kind:     by_value
      - .offset:         144
        .size:           8
        .value_kind:     by_value
      - .offset:         152
        .size:           4
        .value_kind:     by_value
    .group_segment_fixed_size: 512
    .kernarg_segment_align: 8
    .kernarg_segment_size: 156
    .language:       OpenCL C
    .language_version:
      - 2
      - 0
    .max_flat_workgroup_size: 1024
    .name:           _ZL32rocblas_gemvt_warp_reduce_kernelILb1ELi1024El19rocblas_complex_numIdES1_S1_EviiT3_lPKT2_lT1_lS5_lS6_lS2_lPT4_lS6_li
    .private_segment_fixed_size: 0
    .sgpr_count:     46
    .sgpr_spill_count: 0
    .symbol:         _ZL32rocblas_gemvt_warp_reduce_kernelILb1ELi1024El19rocblas_complex_numIdES1_S1_EviiT3_lPKT2_lT1_lS5_lS6_lS2_lPT4_lS6_li.kd
    .uniform_work_group_size: 1
    .uses_dynamic_stack: false
    .vgpr_count:     21
    .vgpr_spill_count: 0
    .wavefront_size: 32
    .workgroup_processor_mode: 1
  - .args:
      - .offset:         0
        .size:           4
        .value_kind:     by_value
      - .offset:         4
        .size:           4
        .value_kind:     by_value
      - .address_space:  global
        .offset:         8
        .size:           8
        .value_kind:     global_buffer
      - .offset:         16
        .size:           8
        .value_kind:     by_value
      - .address_space:  global
        .offset:         24
        .size:           8
        .value_kind:     global_buffer
      - .offset:         32
        .size:           8
        .value_kind:     by_value
      - .offset:         40
        .size:           4
        .value_kind:     by_value
      - .offset:         48
        .size:           8
        .value_kind:     by_value
      - .address_space:  global
        .offset:         56
        .size:           8
        .value_kind:     global_buffer
      - .offset:         64
        .size:           8
        .value_kind:     by_value
      - .offset:         72
        .size:           4
        .value_kind:     by_value
      - .offset:         80
        .size:           8
        .value_kind:     by_value
      - .address_space:  global
        .offset:         88
        .size:           8
        .value_kind:     global_buffer
      - .offset:         96
        .size:           8
        .value_kind:     by_value
      - .address_space:  global
        .offset:         104
        .size:           8
        .value_kind:     global_buffer
      - .offset:         112
        .size:           8
        .value_kind:     by_value
      - .offset:         120
        .size:           4
        .value_kind:     by_value
      - .offset:         128
        .size:           8
        .value_kind:     by_value
      - .offset:         136
        .size:           4
        .value_kind:     by_value
    .group_segment_fixed_size: 0
    .kernarg_segment_align: 8
    .kernarg_segment_size: 140
    .language:       OpenCL C
    .language_version:
      - 2
      - 0
    .max_flat_workgroup_size: 768
    .name:           _ZL34rocblas_gemvn_sm_mn_batched_kernelILi32ELi24EPKfS1_KPfEviiT2_lPKT1_lilS7_lilS4_lPT3_lili
    .private_segment_fixed_size: 0
    .sgpr_count:     0
    .sgpr_spill_count: 0
    .symbol:         _ZL34rocblas_gemvn_sm_mn_batched_kernelILi32ELi24EPKfS1_KPfEviiT2_lPKT1_lilS7_lilS4_lPT3_lili.kd
    .uniform_work_group_size: 1
    .uses_dynamic_stack: false
    .vgpr_count:     0
    .vgpr_spill_count: 0
    .wavefront_size: 32
    .workgroup_processor_mode: 1
  - .args:
      - .offset:         0
        .size:           4
        .value_kind:     by_value
      - .offset:         4
        .size:           4
        .value_kind:     by_value
      - .offset:         8
        .size:           4
        .value_kind:     by_value
      - .offset:         16
        .size:           8
        .value_kind:     by_value
      - .address_space:  global
        .offset:         24
        .size:           8
        .value_kind:     global_buffer
      - .offset:         32
        .size:           8
        .value_kind:     by_value
      - .offset:         40
        .size:           4
        .value_kind:     by_value
      - .offset:         48
        .size:           8
        .value_kind:     by_value
      - .address_space:  global
        .offset:         56
        .size:           8
        .value_kind:     global_buffer
      - .offset:         64
        .size:           8
        .value_kind:     by_value
      - .offset:         72
        .size:           4
        .value_kind:     by_value
      - .offset:         80
        .size:           8
        .value_kind:     by_value
      - .offset:         88
        .size:           4
        .value_kind:     by_value
      - .offset:         96
        .size:           8
        .value_kind:     by_value
      - .address_space:  global
        .offset:         104
        .size:           8
        .value_kind:     global_buffer
      - .offset:         112
        .size:           8
        .value_kind:     by_value
      - .offset:         120
        .size:           4
        .value_kind:     by_value
      - .offset:         128
        .size:           8
        .value_kind:     by_value
      - .offset:         136
        .size:           4
        .value_kind:     by_value
    .group_segment_fixed_size: 0
    .kernarg_segment_align: 8
    .kernarg_segment_size: 140
    .language:       OpenCL C
    .language_version:
      - 2
      - 0
    .max_flat_workgroup_size: 768
    .name:           _ZL34rocblas_gemvn_sm_mn_batched_kernelILi32ELi24EPKffKPfEviiT2_lPKT1_lilS7_lilS4_lPT3_lili
    .private_segment_fixed_size: 0
    .sgpr_count:     0
    .sgpr_spill_count: 0
    .symbol:         _ZL34rocblas_gemvn_sm_mn_batched_kernelILi32ELi24EPKffKPfEviiT2_lPKT1_lilS7_lilS4_lPT3_lili.kd
    .uniform_work_group_size: 1
    .uses_dynamic_stack: false
    .vgpr_count:     0
    .vgpr_spill_count: 0
    .wavefront_size: 32
    .workgroup_processor_mode: 1
  - .args:
      - .offset:         0
        .size:           4
        .value_kind:     by_value
      - .offset:         4
        .size:           4
        .value_kind:     by_value
      - .address_space:  global
        .offset:         8
        .size:           8
        .value_kind:     global_buffer
      - .offset:         16
        .size:           8
        .value_kind:     by_value
      - .address_space:  global
        .offset:         24
        .size:           8
        .value_kind:     global_buffer
      - .offset:         32
        .size:           8
        .value_kind:     by_value
      - .offset:         40
        .size:           4
        .value_kind:     by_value
      - .offset:         48
        .size:           8
        .value_kind:     by_value
      - .address_space:  global
        .offset:         56
        .size:           8
        .value_kind:     global_buffer
      - .offset:         64
        .size:           8
        .value_kind:     by_value
      - .offset:         72
        .size:           4
        .value_kind:     by_value
      - .offset:         80
        .size:           8
        .value_kind:     by_value
      - .address_space:  global
        .offset:         88
        .size:           8
        .value_kind:     global_buffer
      - .offset:         96
        .size:           8
        .value_kind:     by_value
      - .address_space:  global
        .offset:         104
        .size:           8
        .value_kind:     global_buffer
      - .offset:         112
        .size:           8
        .value_kind:     by_value
      - .offset:         120
        .size:           4
        .value_kind:     by_value
      - .offset:         128
        .size:           8
        .value_kind:     by_value
      - .offset:         136
        .size:           4
        .value_kind:     by_value
      - .offset:         144
        .size:           4
        .value_kind:     hidden_block_count_x
      - .offset:         148
        .size:           4
        .value_kind:     hidden_block_count_y
      - .offset:         152
        .size:           4
        .value_kind:     hidden_block_count_z
      - .offset:         156
        .size:           2
        .value_kind:     hidden_group_size_x
      - .offset:         158
        .size:           2
        .value_kind:     hidden_group_size_y
      - .offset:         160
        .size:           2
        .value_kind:     hidden_group_size_z
      - .offset:         162
        .size:           2
        .value_kind:     hidden_remainder_x
      - .offset:         164
        .size:           2
        .value_kind:     hidden_remainder_y
      - .offset:         166
        .size:           2
        .value_kind:     hidden_remainder_z
      - .offset:         184
        .size:           8
        .value_kind:     hidden_global_offset_x
      - .offset:         192
        .size:           8
        .value_kind:     hidden_global_offset_y
      - .offset:         200
        .size:           8
        .value_kind:     hidden_global_offset_z
      - .offset:         208
        .size:           2
        .value_kind:     hidden_grid_dims
    .group_segment_fixed_size: 4096
    .kernarg_segment_align: 8
    .kernarg_segment_size: 400
    .language:       OpenCL C
    .language_version:
      - 2
      - 0
    .max_flat_workgroup_size: 256
    .name:           _ZL20rocblas_gemvn_kernelILi64ELi4EiPKfS1_KPfEviiT3_lPKT2_lT1_lS7_lS8_lS4_lPT4_lS8_li
    .private_segment_fixed_size: 0
    .sgpr_count:     30
    .sgpr_spill_count: 0
    .symbol:         _ZL20rocblas_gemvn_kernelILi64ELi4EiPKfS1_KPfEviiT3_lPKT2_lT1_lS7_lS8_lS4_lPT4_lS8_li.kd
    .uniform_work_group_size: 1
    .uses_dynamic_stack: false
    .vgpr_count:     42
    .vgpr_spill_count: 0
    .wavefront_size: 32
    .workgroup_processor_mode: 1
  - .args:
      - .offset:         0
        .size:           4
        .value_kind:     by_value
      - .offset:         4
        .size:           4
        .value_kind:     by_value
      - .address_space:  global
        .offset:         8
        .size:           8
        .value_kind:     global_buffer
      - .offset:         16
        .size:           8
        .value_kind:     by_value
      - .address_space:  global
        .offset:         24
        .size:           8
        .value_kind:     global_buffer
      - .offset:         32
        .size:           8
        .value_kind:     by_value
      - .offset:         40
        .size:           8
        .value_kind:     by_value
      - .offset:         48
        .size:           8
        .value_kind:     by_value
      - .address_space:  global
        .offset:         56
        .size:           8
        .value_kind:     global_buffer
      - .offset:         64
        .size:           8
        .value_kind:     by_value
      - .offset:         72
        .size:           8
        .value_kind:     by_value
      - .offset:         80
        .size:           8
        .value_kind:     by_value
      - .address_space:  global
        .offset:         88
        .size:           8
        .value_kind:     global_buffer
      - .offset:         96
        .size:           8
        .value_kind:     by_value
      - .address_space:  global
        .offset:         104
        .size:           8
        .value_kind:     global_buffer
      - .offset:         112
        .size:           8
        .value_kind:     by_value
      - .offset:         120
        .size:           8
        .value_kind:     by_value
      - .offset:         128
        .size:           8
        .value_kind:     by_value
      - .offset:         136
        .size:           4
        .value_kind:     by_value
      - .offset:         144
        .size:           4
        .value_kind:     hidden_block_count_x
      - .offset:         148
        .size:           4
        .value_kind:     hidden_block_count_y
      - .offset:         152
        .size:           4
        .value_kind:     hidden_block_count_z
      - .offset:         156
        .size:           2
        .value_kind:     hidden_group_size_x
      - .offset:         158
        .size:           2
        .value_kind:     hidden_group_size_y
      - .offset:         160
        .size:           2
        .value_kind:     hidden_group_size_z
      - .offset:         162
        .size:           2
        .value_kind:     hidden_remainder_x
      - .offset:         164
        .size:           2
        .value_kind:     hidden_remainder_y
      - .offset:         166
        .size:           2
        .value_kind:     hidden_remainder_z
      - .offset:         184
        .size:           8
        .value_kind:     hidden_global_offset_x
      - .offset:         192
        .size:           8
        .value_kind:     hidden_global_offset_y
      - .offset:         200
        .size:           8
        .value_kind:     hidden_global_offset_z
      - .offset:         208
        .size:           2
        .value_kind:     hidden_grid_dims
    .group_segment_fixed_size: 4096
    .kernarg_segment_align: 8
    .kernarg_segment_size: 400
    .language:       OpenCL C
    .language_version:
      - 2
      - 0
    .max_flat_workgroup_size: 256
    .name:           _ZL20rocblas_gemvn_kernelILi64ELi4ElPKfS1_KPfEviiT3_lPKT2_lT1_lS7_lS8_lS4_lPT4_lS8_li
    .private_segment_fixed_size: 0
    .sgpr_count:     37
    .sgpr_spill_count: 0
    .symbol:         _ZL20rocblas_gemvn_kernelILi64ELi4ElPKfS1_KPfEviiT3_lPKT2_lT1_lS7_lS8_lS4_lPT4_lS8_li.kd
    .uniform_work_group_size: 1
    .uses_dynamic_stack: false
    .vgpr_count:     52
    .vgpr_spill_count: 0
    .wavefront_size: 32
    .workgroup_processor_mode: 1
  - .args:
      - .offset:         0
        .size:           4
        .value_kind:     by_value
      - .offset:         4
        .size:           4
        .value_kind:     by_value
      - .offset:         8
        .size:           4
        .value_kind:     by_value
      - .offset:         16
        .size:           8
        .value_kind:     by_value
      - .address_space:  global
        .offset:         24
        .size:           8
        .value_kind:     global_buffer
      - .offset:         32
        .size:           8
        .value_kind:     by_value
      - .offset:         40
        .size:           4
        .value_kind:     by_value
      - .offset:         48
        .size:           8
        .value_kind:     by_value
      - .address_space:  global
        .offset:         56
        .size:           8
        .value_kind:     global_buffer
      - .offset:         64
        .size:           8
        .value_kind:     by_value
      - .offset:         72
        .size:           4
        .value_kind:     by_value
      - .offset:         80
        .size:           8
        .value_kind:     by_value
      - .offset:         88
        .size:           4
        .value_kind:     by_value
      - .offset:         96
        .size:           8
        .value_kind:     by_value
      - .address_space:  global
        .offset:         104
        .size:           8
        .value_kind:     global_buffer
      - .offset:         112
        .size:           8
        .value_kind:     by_value
      - .offset:         120
        .size:           4
        .value_kind:     by_value
      - .offset:         128
        .size:           8
        .value_kind:     by_value
      - .offset:         136
        .size:           4
        .value_kind:     by_value
      - .offset:         144
        .size:           4
        .value_kind:     hidden_block_count_x
      - .offset:         148
        .size:           4
        .value_kind:     hidden_block_count_y
      - .offset:         152
        .size:           4
        .value_kind:     hidden_block_count_z
      - .offset:         156
        .size:           2
        .value_kind:     hidden_group_size_x
      - .offset:         158
        .size:           2
        .value_kind:     hidden_group_size_y
      - .offset:         160
        .size:           2
        .value_kind:     hidden_group_size_z
      - .offset:         162
        .size:           2
        .value_kind:     hidden_remainder_x
      - .offset:         164
        .size:           2
        .value_kind:     hidden_remainder_y
      - .offset:         166
        .size:           2
        .value_kind:     hidden_remainder_z
      - .offset:         184
        .size:           8
        .value_kind:     hidden_global_offset_x
      - .offset:         192
        .size:           8
        .value_kind:     hidden_global_offset_y
      - .offset:         200
        .size:           8
        .value_kind:     hidden_global_offset_z
      - .offset:         208
        .size:           2
        .value_kind:     hidden_grid_dims
    .group_segment_fixed_size: 4096
    .kernarg_segment_align: 8
    .kernarg_segment_size: 400
    .language:       OpenCL C
    .language_version:
      - 2
      - 0
    .max_flat_workgroup_size: 256
    .name:           _ZL20rocblas_gemvn_kernelILi64ELi4EiPKffKPfEviiT3_lPKT2_lT1_lS7_lS8_lS4_lPT4_lS8_li
    .private_segment_fixed_size: 0
    .sgpr_count:     30
    .sgpr_spill_count: 0
    .symbol:         _ZL20rocblas_gemvn_kernelILi64ELi4EiPKffKPfEviiT3_lPKT2_lT1_lS7_lS8_lS4_lPT4_lS8_li.kd
    .uniform_work_group_size: 1
    .uses_dynamic_stack: false
    .vgpr_count:     42
    .vgpr_spill_count: 0
    .wavefront_size: 32
    .workgroup_processor_mode: 1
  - .args:
      - .offset:         0
        .size:           4
        .value_kind:     by_value
      - .offset:         4
        .size:           4
        .value_kind:     by_value
      - .offset:         8
        .size:           4
        .value_kind:     by_value
      - .offset:         16
        .size:           8
        .value_kind:     by_value
      - .address_space:  global
        .offset:         24
        .size:           8
        .value_kind:     global_buffer
      - .offset:         32
        .size:           8
        .value_kind:     by_value
      - .offset:         40
        .size:           8
        .value_kind:     by_value
      - .offset:         48
        .size:           8
        .value_kind:     by_value
      - .address_space:  global
        .offset:         56
        .size:           8
        .value_kind:     global_buffer
      - .offset:         64
        .size:           8
        .value_kind:     by_value
      - .offset:         72
        .size:           8
        .value_kind:     by_value
      - .offset:         80
        .size:           8
        .value_kind:     by_value
      - .offset:         88
        .size:           4
        .value_kind:     by_value
      - .offset:         96
        .size:           8
        .value_kind:     by_value
      - .address_space:  global
        .offset:         104
        .size:           8
        .value_kind:     global_buffer
      - .offset:         112
        .size:           8
        .value_kind:     by_value
      - .offset:         120
        .size:           8
        .value_kind:     by_value
      - .offset:         128
        .size:           8
        .value_kind:     by_value
      - .offset:         136
        .size:           4
        .value_kind:     by_value
      - .offset:         144
        .size:           4
        .value_kind:     hidden_block_count_x
      - .offset:         148
        .size:           4
        .value_kind:     hidden_block_count_y
      - .offset:         152
        .size:           4
        .value_kind:     hidden_block_count_z
      - .offset:         156
        .size:           2
        .value_kind:     hidden_group_size_x
      - .offset:         158
        .size:           2
        .value_kind:     hidden_group_size_y
      - .offset:         160
        .size:           2
        .value_kind:     hidden_group_size_z
      - .offset:         162
        .size:           2
        .value_kind:     hidden_remainder_x
      - .offset:         164
        .size:           2
        .value_kind:     hidden_remainder_y
      - .offset:         166
        .size:           2
        .value_kind:     hidden_remainder_z
      - .offset:         184
        .size:           8
        .value_kind:     hidden_global_offset_x
      - .offset:         192
        .size:           8
        .value_kind:     hidden_global_offset_y
      - .offset:         200
        .size:           8
        .value_kind:     hidden_global_offset_z
      - .offset:         208
        .size:           2
        .value_kind:     hidden_grid_dims
    .group_segment_fixed_size: 4096
    .kernarg_segment_align: 8
    .kernarg_segment_size: 400
    .language:       OpenCL C
    .language_version:
      - 2
      - 0
    .max_flat_workgroup_size: 256
    .name:           _ZL20rocblas_gemvn_kernelILi64ELi4ElPKffKPfEviiT3_lPKT2_lT1_lS7_lS8_lS4_lPT4_lS8_li
    .private_segment_fixed_size: 0
    .sgpr_count:     37
    .sgpr_spill_count: 0
    .symbol:         _ZL20rocblas_gemvn_kernelILi64ELi4ElPKffKPfEviiT3_lPKT2_lT1_lS7_lS8_lS4_lPT4_lS8_li.kd
    .uniform_work_group_size: 1
    .uses_dynamic_stack: false
    .vgpr_count:     52
    .vgpr_spill_count: 0
    .wavefront_size: 32
    .workgroup_processor_mode: 1
  - .args:
      - .offset:         0
        .size:           4
        .value_kind:     by_value
      - .address_space:  global
        .offset:         8
        .size:           8
        .value_kind:     global_buffer
      - .offset:         16
        .size:           8
        .value_kind:     by_value
      - .address_space:  global
        .offset:         24
        .size:           8
        .value_kind:     global_buffer
      - .offset:         32
        .size:           8
        .value_kind:     by_value
      - .offset:         40
        .size:           4
        .value_kind:     by_value
      - .offset:         48
        .size:           8
        .value_kind:     by_value
      - .offset:         56
        .size:           4
        .value_kind:     by_value
      - .offset:         64
        .size:           4
        .value_kind:     hidden_block_count_x
      - .offset:         68
        .size:           4
        .value_kind:     hidden_block_count_y
      - .offset:         72
        .size:           4
        .value_kind:     hidden_block_count_z
      - .offset:         76
        .size:           2
        .value_kind:     hidden_group_size_x
      - .offset:         78
        .size:           2
        .value_kind:     hidden_group_size_y
      - .offset:         80
        .size:           2
        .value_kind:     hidden_group_size_z
      - .offset:         82
        .size:           2
        .value_kind:     hidden_remainder_x
      - .offset:         84
        .size:           2
        .value_kind:     hidden_remainder_y
      - .offset:         86
        .size:           2
        .value_kind:     hidden_remainder_z
      - .offset:         104
        .size:           8
        .value_kind:     hidden_global_offset_x
      - .offset:         112
        .size:           8
        .value_kind:     hidden_global_offset_y
      - .offset:         120
        .size:           8
        .value_kind:     hidden_global_offset_z
      - .offset:         128
        .size:           2
        .value_kind:     hidden_grid_dims
    .group_segment_fixed_size: 0
    .kernarg_segment_align: 8
    .kernarg_segment_size: 320
    .language:       OpenCL C
    .language_version:
      - 2
      - 0
    .max_flat_workgroup_size: 256
    .name:           _ZL24rocblas_gemv_scal_kernelILi256EPKfPKPfEviT0_lT1_lili
    .private_segment_fixed_size: 0
    .sgpr_count:     18
    .sgpr_spill_count: 0
    .symbol:         _ZL24rocblas_gemv_scal_kernelILi256EPKfPKPfEviT0_lT1_lili.kd
    .uniform_work_group_size: 1
    .uses_dynamic_stack: false
    .vgpr_count:     5
    .vgpr_spill_count: 0
    .wavefront_size: 32
    .workgroup_processor_mode: 1
  - .args:
      - .offset:         0
        .size:           4
        .value_kind:     by_value
      - .offset:         4
        .size:           4
        .value_kind:     by_value
      - .offset:         8
        .size:           8
        .value_kind:     by_value
      - .address_space:  global
        .offset:         16
        .size:           8
        .value_kind:     global_buffer
      - .offset:         24
        .size:           8
        .value_kind:     by_value
      - .offset:         32
        .size:           4
        .value_kind:     by_value
      - .offset:         40
        .size:           8
        .value_kind:     by_value
      - .offset:         48
        .size:           4
        .value_kind:     by_value
      - .offset:         56
        .size:           4
        .value_kind:     hidden_block_count_x
      - .offset:         60
        .size:           4
        .value_kind:     hidden_block_count_y
      - .offset:         64
        .size:           4
        .value_kind:     hidden_block_count_z
      - .offset:         68
        .size:           2
        .value_kind:     hidden_group_size_x
      - .offset:         70
        .size:           2
        .value_kind:     hidden_group_size_y
      - .offset:         72
        .size:           2
        .value_kind:     hidden_group_size_z
      - .offset:         74
        .size:           2
        .value_kind:     hidden_remainder_x
      - .offset:         76
        .size:           2
        .value_kind:     hidden_remainder_y
      - .offset:         78
        .size:           2
        .value_kind:     hidden_remainder_z
      - .offset:         96
        .size:           8
        .value_kind:     hidden_global_offset_x
      - .offset:         104
        .size:           8
        .value_kind:     hidden_global_offset_y
      - .offset:         112
        .size:           8
        .value_kind:     hidden_global_offset_z
      - .offset:         120
        .size:           2
        .value_kind:     hidden_grid_dims
    .group_segment_fixed_size: 0
    .kernarg_segment_align: 8
    .kernarg_segment_size: 312
    .language:       OpenCL C
    .language_version:
      - 2
      - 0
    .max_flat_workgroup_size: 256
    .name:           _ZL24rocblas_gemv_scal_kernelILi256EfPKPfEviT0_lT1_lili
    .private_segment_fixed_size: 0
    .sgpr_count:     10
    .sgpr_spill_count: 0
    .symbol:         _ZL24rocblas_gemv_scal_kernelILi256EfPKPfEviT0_lT1_lili.kd
    .uniform_work_group_size: 1
    .uses_dynamic_stack: false
    .vgpr_count:     5
    .vgpr_spill_count: 0
    .wavefront_size: 32
    .workgroup_processor_mode: 1
  - .args:
      - .offset:         0
        .size:           4
        .value_kind:     by_value
      - .offset:         4
        .size:           4
        .value_kind:     by_value
      - .address_space:  global
        .offset:         8
        .size:           8
        .value_kind:     global_buffer
      - .offset:         16
        .size:           8
        .value_kind:     by_value
      - .address_space:  global
        .offset:         24
        .size:           8
        .value_kind:     global_buffer
      - .offset:         32
        .size:           8
        .value_kind:     by_value
      - .offset:         40
        .size:           4
        .value_kind:     by_value
      - .offset:         48
        .size:           8
        .value_kind:     by_value
      - .address_space:  global
        .offset:         56
        .size:           8
        .value_kind:     global_buffer
      - .offset:         64
        .size:           8
        .value_kind:     by_value
      - .offset:         72
        .size:           4
        .value_kind:     by_value
      - .offset:         80
        .size:           8
        .value_kind:     by_value
      - .address_space:  global
        .offset:         88
        .size:           8
        .value_kind:     global_buffer
      - .offset:         96
        .size:           8
        .value_kind:     by_value
      - .offset:         104
        .size:           4
        .value_kind:     by_value
      - .offset:         112
        .size:           8
        .value_kind:     by_value
      - .offset:         120
        .size:           4
        .value_kind:     by_value
      - .offset:         128
        .size:           4
        .value_kind:     hidden_block_count_x
      - .offset:         132
        .size:           4
        .value_kind:     hidden_block_count_y
      - .offset:         136
        .size:           4
        .value_kind:     hidden_block_count_z
      - .offset:         140
        .size:           2
        .value_kind:     hidden_group_size_x
      - .offset:         142
        .size:           2
        .value_kind:     hidden_group_size_y
      - .offset:         144
        .size:           2
        .value_kind:     hidden_group_size_z
      - .offset:         146
        .size:           2
        .value_kind:     hidden_remainder_x
      - .offset:         148
        .size:           2
        .value_kind:     hidden_remainder_y
      - .offset:         150
        .size:           2
        .value_kind:     hidden_remainder_z
      - .offset:         168
        .size:           8
        .value_kind:     hidden_global_offset_x
      - .offset:         176
        .size:           8
        .value_kind:     hidden_global_offset_y
      - .offset:         184
        .size:           8
        .value_kind:     hidden_global_offset_z
      - .offset:         192
        .size:           2
        .value_kind:     hidden_grid_dims
    .group_segment_fixed_size: 8192
    .kernarg_segment_align: 8
    .kernarg_segment_size: 384
    .language:       OpenCL C
    .language_version:
      - 2
      - 0
    .max_flat_workgroup_size: 1024
    .name:           _ZL36rocblas_gemvn_double_buffered_kernelILi128ELi8ELi8EPKfS1_KPfEviiT3_lPKT2_lilS7_lilPT4_lili
    .private_segment_fixed_size: 0
    .sgpr_count:     32
    .sgpr_spill_count: 0
    .symbol:         _ZL36rocblas_gemvn_double_buffered_kernelILi128ELi8ELi8EPKfS1_KPfEviiT3_lPKT2_lilS7_lilPT4_lili.kd
    .uniform_work_group_size: 1
    .uses_dynamic_stack: false
    .vgpr_count:     76
    .vgpr_spill_count: 0
    .wavefront_size: 32
    .workgroup_processor_mode: 1
  - .args:
      - .offset:         0
        .size:           4
        .value_kind:     by_value
      - .offset:         4
        .size:           4
        .value_kind:     by_value
      - .offset:         8
        .size:           4
        .value_kind:     by_value
      - .offset:         16
        .size:           8
        .value_kind:     by_value
      - .address_space:  global
        .offset:         24
        .size:           8
        .value_kind:     global_buffer
      - .offset:         32
        .size:           8
        .value_kind:     by_value
      - .offset:         40
        .size:           4
        .value_kind:     by_value
      - .offset:         48
        .size:           8
        .value_kind:     by_value
      - .address_space:  global
        .offset:         56
        .size:           8
        .value_kind:     global_buffer
      - .offset:         64
        .size:           8
        .value_kind:     by_value
      - .offset:         72
        .size:           4
        .value_kind:     by_value
      - .offset:         80
        .size:           8
        .value_kind:     by_value
      - .address_space:  global
        .offset:         88
        .size:           8
        .value_kind:     global_buffer
      - .offset:         96
        .size:           8
        .value_kind:     by_value
      - .offset:         104
        .size:           4
        .value_kind:     by_value
      - .offset:         112
        .size:           8
        .value_kind:     by_value
      - .offset:         120
        .size:           4
        .value_kind:     by_value
      - .offset:         128
        .size:           4
        .value_kind:     hidden_block_count_x
      - .offset:         132
        .size:           4
        .value_kind:     hidden_block_count_y
      - .offset:         136
        .size:           4
        .value_kind:     hidden_block_count_z
      - .offset:         140
        .size:           2
        .value_kind:     hidden_group_size_x
      - .offset:         142
        .size:           2
        .value_kind:     hidden_group_size_y
      - .offset:         144
        .size:           2
        .value_kind:     hidden_group_size_z
      - .offset:         146
        .size:           2
        .value_kind:     hidden_remainder_x
      - .offset:         148
        .size:           2
        .value_kind:     hidden_remainder_y
      - .offset:         150
        .size:           2
        .value_kind:     hidden_remainder_z
      - .offset:         168
        .size:           8
        .value_kind:     hidden_global_offset_x
      - .offset:         176
        .size:           8
        .value_kind:     hidden_global_offset_y
      - .offset:         184
        .size:           8
        .value_kind:     hidden_global_offset_z
      - .offset:         192
        .size:           2
        .value_kind:     hidden_grid_dims
    .group_segment_fixed_size: 8192
    .kernarg_segment_align: 8
    .kernarg_segment_size: 384
    .language:       OpenCL C
    .language_version:
      - 2
      - 0
    .max_flat_workgroup_size: 1024
    .name:           _ZL36rocblas_gemvn_double_buffered_kernelILi128ELi8ELi8EPKffKPfEviiT3_lPKT2_lilS7_lilPT4_lili
    .private_segment_fixed_size: 0
    .sgpr_count:     34
    .sgpr_spill_count: 0
    .symbol:         _ZL36rocblas_gemvn_double_buffered_kernelILi128ELi8ELi8EPKffKPfEviiT3_lPKT2_lilS7_lilPT4_lili.kd
    .uniform_work_group_size: 1
    .uses_dynamic_stack: false
    .vgpr_count:     76
    .vgpr_spill_count: 0
    .wavefront_size: 32
    .workgroup_processor_mode: 1
  - .args:
      - .offset:         0
        .size:           4
        .value_kind:     by_value
      - .offset:         4
        .size:           4
        .value_kind:     by_value
      - .address_space:  global
        .offset:         8
        .size:           8
        .value_kind:     global_buffer
      - .offset:         16
        .size:           8
        .value_kind:     by_value
      - .address_space:  global
        .offset:         24
        .size:           8
        .value_kind:     global_buffer
      - .offset:         32
        .size:           8
        .value_kind:     by_value
      - .offset:         40
        .size:           4
        .value_kind:     by_value
      - .offset:         48
        .size:           8
        .value_kind:     by_value
      - .address_space:  global
        .offset:         56
        .size:           8
        .value_kind:     global_buffer
      - .offset:         64
        .size:           8
        .value_kind:     by_value
      - .offset:         72
        .size:           4
        .value_kind:     by_value
      - .offset:         80
        .size:           8
        .value_kind:     by_value
      - .address_space:  global
        .offset:         88
        .size:           8
        .value_kind:     global_buffer
      - .offset:         96
        .size:           8
        .value_kind:     by_value
      - .address_space:  global
        .offset:         104
        .size:           8
        .value_kind:     global_buffer
      - .offset:         112
        .size:           8
        .value_kind:     by_value
      - .offset:         120
        .size:           4
        .value_kind:     by_value
      - .offset:         128
        .size:           8
        .value_kind:     by_value
      - .offset:         136
        .size:           4
        .value_kind:     by_value
      - .offset:         144
        .size:           4
        .value_kind:     hidden_block_count_x
      - .offset:         148
        .size:           4
        .value_kind:     hidden_block_count_y
      - .offset:         152
        .size:           4
        .value_kind:     hidden_block_count_z
      - .offset:         156
        .size:           2
        .value_kind:     hidden_group_size_x
      - .offset:         158
        .size:           2
        .value_kind:     hidden_group_size_y
      - .offset:         160
        .size:           2
        .value_kind:     hidden_group_size_z
      - .offset:         162
        .size:           2
        .value_kind:     hidden_remainder_x
      - .offset:         164
        .size:           2
        .value_kind:     hidden_remainder_y
      - .offset:         166
        .size:           2
        .value_kind:     hidden_remainder_z
      - .offset:         184
        .size:           8
        .value_kind:     hidden_global_offset_x
      - .offset:         192
        .size:           8
        .value_kind:     hidden_global_offset_y
      - .offset:         200
        .size:           8
        .value_kind:     hidden_global_offset_z
      - .offset:         208
        .size:           2
        .value_kind:     hidden_grid_dims
    .group_segment_fixed_size: 8192
    .kernarg_segment_align: 8
    .kernarg_segment_size: 400
    .language:       OpenCL C
    .language_version:
      - 2
      - 0
    .max_flat_workgroup_size: 512
    .name:           _ZL20rocblas_gemvn_kernelILi32ELi16EiPKfS1_KPfEviiT3_lPKT2_lT1_lS7_lS8_lS4_lPT4_lS8_li
    .private_segment_fixed_size: 0
    .sgpr_count:     30
    .sgpr_spill_count: 0
    .symbol:         _ZL20rocblas_gemvn_kernelILi32ELi16EiPKfS1_KPfEviiT3_lPKT2_lT1_lS7_lS8_lS4_lPT4_lS8_li.kd
    .uniform_work_group_size: 1
    .uses_dynamic_stack: false
    .vgpr_count:     42
    .vgpr_spill_count: 0
    .wavefront_size: 32
    .workgroup_processor_mode: 1
  - .args:
      - .offset:         0
        .size:           4
        .value_kind:     by_value
      - .offset:         4
        .size:           4
        .value_kind:     by_value
      - .address_space:  global
        .offset:         8
        .size:           8
        .value_kind:     global_buffer
      - .offset:         16
        .size:           8
        .value_kind:     by_value
      - .address_space:  global
        .offset:         24
        .size:           8
        .value_kind:     global_buffer
      - .offset:         32
        .size:           8
        .value_kind:     by_value
      - .offset:         40
        .size:           8
        .value_kind:     by_value
      - .offset:         48
        .size:           8
        .value_kind:     by_value
      - .address_space:  global
        .offset:         56
        .size:           8
        .value_kind:     global_buffer
      - .offset:         64
        .size:           8
        .value_kind:     by_value
      - .offset:         72
        .size:           8
        .value_kind:     by_value
      - .offset:         80
        .size:           8
        .value_kind:     by_value
      - .address_space:  global
        .offset:         88
        .size:           8
        .value_kind:     global_buffer
      - .offset:         96
        .size:           8
        .value_kind:     by_value
      - .address_space:  global
        .offset:         104
        .size:           8
        .value_kind:     global_buffer
      - .offset:         112
        .size:           8
        .value_kind:     by_value
      - .offset:         120
        .size:           8
        .value_kind:     by_value
      - .offset:         128
        .size:           8
        .value_kind:     by_value
      - .offset:         136
        .size:           4
        .value_kind:     by_value
      - .offset:         144
        .size:           4
        .value_kind:     hidden_block_count_x
      - .offset:         148
        .size:           4
        .value_kind:     hidden_block_count_y
      - .offset:         152
        .size:           4
        .value_kind:     hidden_block_count_z
      - .offset:         156
        .size:           2
        .value_kind:     hidden_group_size_x
      - .offset:         158
        .size:           2
        .value_kind:     hidden_group_size_y
      - .offset:         160
        .size:           2
        .value_kind:     hidden_group_size_z
      - .offset:         162
        .size:           2
        .value_kind:     hidden_remainder_x
      - .offset:         164
        .size:           2
        .value_kind:     hidden_remainder_y
      - .offset:         166
        .size:           2
        .value_kind:     hidden_remainder_z
      - .offset:         184
        .size:           8
        .value_kind:     hidden_global_offset_x
      - .offset:         192
        .size:           8
        .value_kind:     hidden_global_offset_y
      - .offset:         200
        .size:           8
        .value_kind:     hidden_global_offset_z
      - .offset:         208
        .size:           2
        .value_kind:     hidden_grid_dims
    .group_segment_fixed_size: 8192
    .kernarg_segment_align: 8
    .kernarg_segment_size: 400
    .language:       OpenCL C
    .language_version:
      - 2
      - 0
    .max_flat_workgroup_size: 512
    .name:           _ZL20rocblas_gemvn_kernelILi32ELi16ElPKfS1_KPfEviiT3_lPKT2_lT1_lS7_lS8_lS4_lPT4_lS8_li
    .private_segment_fixed_size: 0
    .sgpr_count:     37
    .sgpr_spill_count: 0
    .symbol:         _ZL20rocblas_gemvn_kernelILi32ELi16ElPKfS1_KPfEviiT3_lPKT2_lT1_lS7_lS8_lS4_lPT4_lS8_li.kd
    .uniform_work_group_size: 1
    .uses_dynamic_stack: false
    .vgpr_count:     52
    .vgpr_spill_count: 0
    .wavefront_size: 32
    .workgroup_processor_mode: 1
  - .args:
      - .offset:         0
        .size:           4
        .value_kind:     by_value
      - .offset:         4
        .size:           4
        .value_kind:     by_value
      - .offset:         8
        .size:           4
        .value_kind:     by_value
      - .offset:         16
        .size:           8
        .value_kind:     by_value
      - .address_space:  global
        .offset:         24
        .size:           8
        .value_kind:     global_buffer
      - .offset:         32
        .size:           8
        .value_kind:     by_value
      - .offset:         40
        .size:           4
        .value_kind:     by_value
      - .offset:         48
        .size:           8
        .value_kind:     by_value
      - .address_space:  global
        .offset:         56
        .size:           8
        .value_kind:     global_buffer
      - .offset:         64
        .size:           8
        .value_kind:     by_value
      - .offset:         72
        .size:           4
        .value_kind:     by_value
      - .offset:         80
        .size:           8
        .value_kind:     by_value
      - .offset:         88
        .size:           4
        .value_kind:     by_value
      - .offset:         96
        .size:           8
        .value_kind:     by_value
      - .address_space:  global
        .offset:         104
        .size:           8
        .value_kind:     global_buffer
      - .offset:         112
        .size:           8
        .value_kind:     by_value
      - .offset:         120
        .size:           4
        .value_kind:     by_value
      - .offset:         128
        .size:           8
        .value_kind:     by_value
      - .offset:         136
        .size:           4
        .value_kind:     by_value
      - .offset:         144
        .size:           4
        .value_kind:     hidden_block_count_x
      - .offset:         148
        .size:           4
        .value_kind:     hidden_block_count_y
      - .offset:         152
        .size:           4
        .value_kind:     hidden_block_count_z
      - .offset:         156
        .size:           2
        .value_kind:     hidden_group_size_x
      - .offset:         158
        .size:           2
        .value_kind:     hidden_group_size_y
      - .offset:         160
        .size:           2
        .value_kind:     hidden_group_size_z
      - .offset:         162
        .size:           2
        .value_kind:     hidden_remainder_x
      - .offset:         164
        .size:           2
        .value_kind:     hidden_remainder_y
      - .offset:         166
        .size:           2
        .value_kind:     hidden_remainder_z
      - .offset:         184
        .size:           8
        .value_kind:     hidden_global_offset_x
      - .offset:         192
        .size:           8
        .value_kind:     hidden_global_offset_y
      - .offset:         200
        .size:           8
        .value_kind:     hidden_global_offset_z
      - .offset:         208
        .size:           2
        .value_kind:     hidden_grid_dims
    .group_segment_fixed_size: 8192
    .kernarg_segment_align: 8
    .kernarg_segment_size: 400
    .language:       OpenCL C
    .language_version:
      - 2
      - 0
    .max_flat_workgroup_size: 512
    .name:           _ZL20rocblas_gemvn_kernelILi32ELi16EiPKffKPfEviiT3_lPKT2_lT1_lS7_lS8_lS4_lPT4_lS8_li
    .private_segment_fixed_size: 0
    .sgpr_count:     30
    .sgpr_spill_count: 0
    .symbol:         _ZL20rocblas_gemvn_kernelILi32ELi16EiPKffKPfEviiT3_lPKT2_lT1_lS7_lS8_lS4_lPT4_lS8_li.kd
    .uniform_work_group_size: 1
    .uses_dynamic_stack: false
    .vgpr_count:     42
    .vgpr_spill_count: 0
    .wavefront_size: 32
    .workgroup_processor_mode: 1
  - .args:
      - .offset:         0
        .size:           4
        .value_kind:     by_value
      - .offset:         4
        .size:           4
        .value_kind:     by_value
      - .offset:         8
        .size:           4
        .value_kind:     by_value
      - .offset:         16
        .size:           8
        .value_kind:     by_value
      - .address_space:  global
        .offset:         24
        .size:           8
        .value_kind:     global_buffer
      - .offset:         32
        .size:           8
        .value_kind:     by_value
      - .offset:         40
        .size:           8
        .value_kind:     by_value
      - .offset:         48
        .size:           8
        .value_kind:     by_value
      - .address_space:  global
        .offset:         56
        .size:           8
        .value_kind:     global_buffer
      - .offset:         64
        .size:           8
        .value_kind:     by_value
      - .offset:         72
        .size:           8
        .value_kind:     by_value
      - .offset:         80
        .size:           8
        .value_kind:     by_value
      - .offset:         88
        .size:           4
        .value_kind:     by_value
      - .offset:         96
        .size:           8
        .value_kind:     by_value
      - .address_space:  global
        .offset:         104
        .size:           8
        .value_kind:     global_buffer
      - .offset:         112
        .size:           8
        .value_kind:     by_value
      - .offset:         120
        .size:           8
        .value_kind:     by_value
      - .offset:         128
        .size:           8
        .value_kind:     by_value
      - .offset:         136
        .size:           4
        .value_kind:     by_value
      - .offset:         144
        .size:           4
        .value_kind:     hidden_block_count_x
      - .offset:         148
        .size:           4
        .value_kind:     hidden_block_count_y
      - .offset:         152
        .size:           4
        .value_kind:     hidden_block_count_z
      - .offset:         156
        .size:           2
        .value_kind:     hidden_group_size_x
      - .offset:         158
        .size:           2
        .value_kind:     hidden_group_size_y
      - .offset:         160
        .size:           2
        .value_kind:     hidden_group_size_z
      - .offset:         162
        .size:           2
        .value_kind:     hidden_remainder_x
      - .offset:         164
        .size:           2
        .value_kind:     hidden_remainder_y
      - .offset:         166
        .size:           2
        .value_kind:     hidden_remainder_z
      - .offset:         184
        .size:           8
        .value_kind:     hidden_global_offset_x
      - .offset:         192
        .size:           8
        .value_kind:     hidden_global_offset_y
      - .offset:         200
        .size:           8
        .value_kind:     hidden_global_offset_z
      - .offset:         208
        .size:           2
        .value_kind:     hidden_grid_dims
    .group_segment_fixed_size: 8192
    .kernarg_segment_align: 8
    .kernarg_segment_size: 400
    .language:       OpenCL C
    .language_version:
      - 2
      - 0
    .max_flat_workgroup_size: 512
    .name:           _ZL20rocblas_gemvn_kernelILi32ELi16ElPKffKPfEviiT3_lPKT2_lT1_lS7_lS8_lS4_lPT4_lS8_li
    .private_segment_fixed_size: 0
    .sgpr_count:     37
    .sgpr_spill_count: 0
    .symbol:         _ZL20rocblas_gemvn_kernelILi32ELi16ElPKffKPfEviiT3_lPKT2_lT1_lS7_lS8_lS4_lPT4_lS8_li.kd
    .uniform_work_group_size: 1
    .uses_dynamic_stack: false
    .vgpr_count:     52
    .vgpr_spill_count: 0
    .wavefront_size: 32
    .workgroup_processor_mode: 1
  - .args:
      - .offset:         0
        .size:           4
        .value_kind:     by_value
      - .offset:         4
        .size:           4
        .value_kind:     by_value
      - .address_space:  global
        .offset:         8
        .size:           8
        .value_kind:     global_buffer
      - .offset:         16
        .size:           8
        .value_kind:     by_value
      - .address_space:  global
        .offset:         24
        .size:           8
        .value_kind:     global_buffer
      - .offset:         32
        .size:           8
        .value_kind:     by_value
      - .offset:         40
        .size:           4
        .value_kind:     by_value
      - .offset:         48
        .size:           8
        .value_kind:     by_value
      - .address_space:  global
        .offset:         56
        .size:           8
        .value_kind:     global_buffer
      - .offset:         64
        .size:           8
        .value_kind:     by_value
      - .offset:         72
        .size:           4
        .value_kind:     by_value
      - .offset:         80
        .size:           8
        .value_kind:     by_value
      - .address_space:  global
        .offset:         88
        .size:           8
        .value_kind:     global_buffer
      - .offset:         96
        .size:           8
        .value_kind:     by_value
      - .address_space:  global
        .offset:         104
        .size:           8
        .value_kind:     global_buffer
      - .offset:         112
        .size:           8
        .value_kind:     by_value
      - .offset:         120
        .size:           4
        .value_kind:     by_value
      - .offset:         128
        .size:           8
        .value_kind:     by_value
      - .offset:         136
        .size:           4
        .value_kind:     by_value
      - .offset:         144
        .size:           4
        .value_kind:     hidden_block_count_x
      - .offset:         148
        .size:           4
        .value_kind:     hidden_block_count_y
      - .offset:         152
        .size:           4
        .value_kind:     hidden_block_count_z
      - .offset:         156
        .size:           2
        .value_kind:     hidden_group_size_x
      - .offset:         158
        .size:           2
        .value_kind:     hidden_group_size_y
      - .offset:         160
        .size:           2
        .value_kind:     hidden_group_size_z
      - .offset:         162
        .size:           2
        .value_kind:     hidden_remainder_x
      - .offset:         164
        .size:           2
        .value_kind:     hidden_remainder_y
      - .offset:         166
        .size:           2
        .value_kind:     hidden_remainder_z
      - .offset:         184
        .size:           8
        .value_kind:     hidden_global_offset_x
      - .offset:         192
        .size:           8
        .value_kind:     hidden_global_offset_y
      - .offset:         200
        .size:           8
        .value_kind:     hidden_global_offset_z
      - .offset:         208
        .size:           2
        .value_kind:     hidden_grid_dims
    .group_segment_fixed_size: 16384
    .kernarg_segment_align: 8
    .kernarg_segment_size: 400
    .language:       OpenCL C
    .language_version:
      - 2
      - 0
    .max_flat_workgroup_size: 1024
    .name:           _ZL20rocblas_gemvn_kernelILi64ELi16EiPKfS1_KPfEviiT3_lPKT2_lT1_lS7_lS8_lS4_lPT4_lS8_li
    .private_segment_fixed_size: 0
    .sgpr_count:     30
    .sgpr_spill_count: 0
    .symbol:         _ZL20rocblas_gemvn_kernelILi64ELi16EiPKfS1_KPfEviiT3_lPKT2_lT1_lS7_lS8_lS4_lPT4_lS8_li.kd
    .uniform_work_group_size: 1
    .uses_dynamic_stack: false
    .vgpr_count:     42
    .vgpr_spill_count: 0
    .wavefront_size: 32
    .workgroup_processor_mode: 1
  - .args:
      - .offset:         0
        .size:           4
        .value_kind:     by_value
      - .offset:         4
        .size:           4
        .value_kind:     by_value
      - .address_space:  global
        .offset:         8
        .size:           8
        .value_kind:     global_buffer
      - .offset:         16
        .size:           8
        .value_kind:     by_value
      - .address_space:  global
        .offset:         24
        .size:           8
        .value_kind:     global_buffer
      - .offset:         32
        .size:           8
        .value_kind:     by_value
      - .offset:         40
        .size:           8
        .value_kind:     by_value
      - .offset:         48
        .size:           8
        .value_kind:     by_value
      - .address_space:  global
        .offset:         56
        .size:           8
        .value_kind:     global_buffer
      - .offset:         64
        .size:           8
        .value_kind:     by_value
      - .offset:         72
        .size:           8
        .value_kind:     by_value
      - .offset:         80
        .size:           8
        .value_kind:     by_value
      - .address_space:  global
        .offset:         88
        .size:           8
        .value_kind:     global_buffer
      - .offset:         96
        .size:           8
        .value_kind:     by_value
      - .address_space:  global
        .offset:         104
        .size:           8
        .value_kind:     global_buffer
      - .offset:         112
        .size:           8
        .value_kind:     by_value
      - .offset:         120
        .size:           8
        .value_kind:     by_value
      - .offset:         128
        .size:           8
        .value_kind:     by_value
      - .offset:         136
        .size:           4
        .value_kind:     by_value
      - .offset:         144
        .size:           4
        .value_kind:     hidden_block_count_x
      - .offset:         148
        .size:           4
        .value_kind:     hidden_block_count_y
      - .offset:         152
        .size:           4
        .value_kind:     hidden_block_count_z
      - .offset:         156
        .size:           2
        .value_kind:     hidden_group_size_x
      - .offset:         158
        .size:           2
        .value_kind:     hidden_group_size_y
      - .offset:         160
        .size:           2
        .value_kind:     hidden_group_size_z
      - .offset:         162
        .size:           2
        .value_kind:     hidden_remainder_x
      - .offset:         164
        .size:           2
        .value_kind:     hidden_remainder_y
      - .offset:         166
        .size:           2
        .value_kind:     hidden_remainder_z
      - .offset:         184
        .size:           8
        .value_kind:     hidden_global_offset_x
      - .offset:         192
        .size:           8
        .value_kind:     hidden_global_offset_y
      - .offset:         200
        .size:           8
        .value_kind:     hidden_global_offset_z
      - .offset:         208
        .size:           2
        .value_kind:     hidden_grid_dims
    .group_segment_fixed_size: 16384
    .kernarg_segment_align: 8
    .kernarg_segment_size: 400
    .language:       OpenCL C
    .language_version:
      - 2
      - 0
    .max_flat_workgroup_size: 1024
    .name:           _ZL20rocblas_gemvn_kernelILi64ELi16ElPKfS1_KPfEviiT3_lPKT2_lT1_lS7_lS8_lS4_lPT4_lS8_li
    .private_segment_fixed_size: 0
    .sgpr_count:     37
    .sgpr_spill_count: 0
    .symbol:         _ZL20rocblas_gemvn_kernelILi64ELi16ElPKfS1_KPfEviiT3_lPKT2_lT1_lS7_lS8_lS4_lPT4_lS8_li.kd
    .uniform_work_group_size: 1
    .uses_dynamic_stack: false
    .vgpr_count:     52
    .vgpr_spill_count: 0
    .wavefront_size: 32
    .workgroup_processor_mode: 1
  - .args:
      - .offset:         0
        .size:           4
        .value_kind:     by_value
      - .offset:         4
        .size:           4
        .value_kind:     by_value
      - .offset:         8
        .size:           4
        .value_kind:     by_value
      - .offset:         16
        .size:           8
        .value_kind:     by_value
      - .address_space:  global
        .offset:         24
        .size:           8
        .value_kind:     global_buffer
      - .offset:         32
        .size:           8
        .value_kind:     by_value
      - .offset:         40
        .size:           4
        .value_kind:     by_value
      - .offset:         48
        .size:           8
        .value_kind:     by_value
      - .address_space:  global
        .offset:         56
        .size:           8
        .value_kind:     global_buffer
      - .offset:         64
        .size:           8
        .value_kind:     by_value
      - .offset:         72
        .size:           4
        .value_kind:     by_value
      - .offset:         80
        .size:           8
        .value_kind:     by_value
      - .offset:         88
        .size:           4
        .value_kind:     by_value
      - .offset:         96
        .size:           8
        .value_kind:     by_value
      - .address_space:  global
        .offset:         104
        .size:           8
        .value_kind:     global_buffer
      - .offset:         112
        .size:           8
        .value_kind:     by_value
      - .offset:         120
        .size:           4
        .value_kind:     by_value
      - .offset:         128
        .size:           8
        .value_kind:     by_value
      - .offset:         136
        .size:           4
        .value_kind:     by_value
      - .offset:         144
        .size:           4
        .value_kind:     hidden_block_count_x
      - .offset:         148
        .size:           4
        .value_kind:     hidden_block_count_y
      - .offset:         152
        .size:           4
        .value_kind:     hidden_block_count_z
      - .offset:         156
        .size:           2
        .value_kind:     hidden_group_size_x
      - .offset:         158
        .size:           2
        .value_kind:     hidden_group_size_y
      - .offset:         160
        .size:           2
        .value_kind:     hidden_group_size_z
      - .offset:         162
        .size:           2
        .value_kind:     hidden_remainder_x
      - .offset:         164
        .size:           2
        .value_kind:     hidden_remainder_y
      - .offset:         166
        .size:           2
        .value_kind:     hidden_remainder_z
      - .offset:         184
        .size:           8
        .value_kind:     hidden_global_offset_x
      - .offset:         192
        .size:           8
        .value_kind:     hidden_global_offset_y
      - .offset:         200
        .size:           8
        .value_kind:     hidden_global_offset_z
      - .offset:         208
        .size:           2
        .value_kind:     hidden_grid_dims
    .group_segment_fixed_size: 16384
    .kernarg_segment_align: 8
    .kernarg_segment_size: 400
    .language:       OpenCL C
    .language_version:
      - 2
      - 0
    .max_flat_workgroup_size: 1024
    .name:           _ZL20rocblas_gemvn_kernelILi64ELi16EiPKffKPfEviiT3_lPKT2_lT1_lS7_lS8_lS4_lPT4_lS8_li
    .private_segment_fixed_size: 0
    .sgpr_count:     30
    .sgpr_spill_count: 0
    .symbol:         _ZL20rocblas_gemvn_kernelILi64ELi16EiPKffKPfEviiT3_lPKT2_lT1_lS7_lS8_lS4_lPT4_lS8_li.kd
    .uniform_work_group_size: 1
    .uses_dynamic_stack: false
    .vgpr_count:     42
    .vgpr_spill_count: 0
    .wavefront_size: 32
    .workgroup_processor_mode: 1
  - .args:
      - .offset:         0
        .size:           4
        .value_kind:     by_value
      - .offset:         4
        .size:           4
        .value_kind:     by_value
      - .offset:         8
        .size:           4
        .value_kind:     by_value
      - .offset:         16
        .size:           8
        .value_kind:     by_value
      - .address_space:  global
        .offset:         24
        .size:           8
        .value_kind:     global_buffer
      - .offset:         32
        .size:           8
        .value_kind:     by_value
      - .offset:         40
        .size:           8
        .value_kind:     by_value
      - .offset:         48
        .size:           8
        .value_kind:     by_value
      - .address_space:  global
        .offset:         56
        .size:           8
        .value_kind:     global_buffer
      - .offset:         64
        .size:           8
        .value_kind:     by_value
      - .offset:         72
        .size:           8
        .value_kind:     by_value
      - .offset:         80
        .size:           8
        .value_kind:     by_value
      - .offset:         88
        .size:           4
        .value_kind:     by_value
      - .offset:         96
        .size:           8
        .value_kind:     by_value
      - .address_space:  global
        .offset:         104
        .size:           8
        .value_kind:     global_buffer
      - .offset:         112
        .size:           8
        .value_kind:     by_value
      - .offset:         120
        .size:           8
        .value_kind:     by_value
      - .offset:         128
        .size:           8
        .value_kind:     by_value
      - .offset:         136
        .size:           4
        .value_kind:     by_value
      - .offset:         144
        .size:           4
        .value_kind:     hidden_block_count_x
      - .offset:         148
        .size:           4
        .value_kind:     hidden_block_count_y
      - .offset:         152
        .size:           4
        .value_kind:     hidden_block_count_z
      - .offset:         156
        .size:           2
        .value_kind:     hidden_group_size_x
      - .offset:         158
        .size:           2
        .value_kind:     hidden_group_size_y
      - .offset:         160
        .size:           2
        .value_kind:     hidden_group_size_z
      - .offset:         162
        .size:           2
        .value_kind:     hidden_remainder_x
      - .offset:         164
        .size:           2
        .value_kind:     hidden_remainder_y
      - .offset:         166
        .size:           2
        .value_kind:     hidden_remainder_z
      - .offset:         184
        .size:           8
        .value_kind:     hidden_global_offset_x
      - .offset:         192
        .size:           8
        .value_kind:     hidden_global_offset_y
      - .offset:         200
        .size:           8
        .value_kind:     hidden_global_offset_z
      - .offset:         208
        .size:           2
        .value_kind:     hidden_grid_dims
    .group_segment_fixed_size: 16384
    .kernarg_segment_align: 8
    .kernarg_segment_size: 400
    .language:       OpenCL C
    .language_version:
      - 2
      - 0
    .max_flat_workgroup_size: 1024
    .name:           _ZL20rocblas_gemvn_kernelILi64ELi16ElPKffKPfEviiT3_lPKT2_lT1_lS7_lS8_lS4_lPT4_lS8_li
    .private_segment_fixed_size: 0
    .sgpr_count:     37
    .sgpr_spill_count: 0
    .symbol:         _ZL20rocblas_gemvn_kernelILi64ELi16ElPKffKPfEviiT3_lPKT2_lT1_lS7_lS8_lS4_lPT4_lS8_li.kd
    .uniform_work_group_size: 1
    .uses_dynamic_stack: false
    .vgpr_count:     52
    .vgpr_spill_count: 0
    .wavefront_size: 32
    .workgroup_processor_mode: 1
  - .args:
      - .offset:         0
        .size:           4
        .value_kind:     by_value
      - .offset:         4
        .size:           4
        .value_kind:     by_value
      - .address_space:  global
        .offset:         8
        .size:           8
        .value_kind:     global_buffer
      - .offset:         16
        .size:           8
        .value_kind:     by_value
      - .address_space:  global
        .offset:         24
        .size:           8
        .value_kind:     global_buffer
      - .offset:         32
        .size:           8
        .value_kind:     by_value
      - .offset:         40
        .size:           4
        .value_kind:     by_value
      - .offset:         48
        .size:           8
        .value_kind:     by_value
      - .address_space:  global
        .offset:         56
        .size:           8
        .value_kind:     global_buffer
      - .offset:         64
        .size:           8
        .value_kind:     by_value
      - .offset:         72
        .size:           4
        .value_kind:     by_value
      - .offset:         80
        .size:           8
        .value_kind:     by_value
      - .address_space:  global
        .offset:         88
        .size:           8
        .value_kind:     global_buffer
      - .offset:         96
        .size:           8
        .value_kind:     by_value
      - .address_space:  global
        .offset:         104
        .size:           8
        .value_kind:     global_buffer
      - .offset:         112
        .size:           8
        .value_kind:     by_value
      - .offset:         120
        .size:           4
        .value_kind:     by_value
      - .offset:         128
        .size:           8
        .value_kind:     by_value
    .group_segment_fixed_size: 256
    .kernarg_segment_align: 8
    .kernarg_segment_size: 136
    .language:       OpenCL C
    .language_version:
      - 2
      - 0
    .max_flat_workgroup_size: 256
    .name:           _ZL22rocblas_gemvtsm_kernelILb0ELi256EPKfS1_KPfEviiT2_lPKT1_lilS7_lilS4_lPT3_lil
    .private_segment_fixed_size: 0
    .sgpr_count:     26
    .sgpr_spill_count: 0
    .symbol:         _ZL22rocblas_gemvtsm_kernelILb0ELi256EPKfS1_KPfEviiT2_lPKT1_lilS7_lilS4_lPT3_lil.kd
    .uniform_work_group_size: 1
    .uses_dynamic_stack: false
    .vgpr_count:     24
    .vgpr_spill_count: 0
    .wavefront_size: 32
    .workgroup_processor_mode: 1
  - .args:
      - .offset:         0
        .size:           4
        .value_kind:     by_value
      - .offset:         4
        .size:           4
        .value_kind:     by_value
      - .offset:         8
        .size:           4
        .value_kind:     by_value
      - .offset:         16
        .size:           8
        .value_kind:     by_value
      - .address_space:  global
        .offset:         24
        .size:           8
        .value_kind:     global_buffer
      - .offset:         32
        .size:           8
        .value_kind:     by_value
      - .offset:         40
        .size:           4
        .value_kind:     by_value
      - .offset:         48
        .size:           8
        .value_kind:     by_value
      - .address_space:  global
        .offset:         56
        .size:           8
        .value_kind:     global_buffer
      - .offset:         64
        .size:           8
        .value_kind:     by_value
      - .offset:         72
        .size:           4
        .value_kind:     by_value
      - .offset:         80
        .size:           8
        .value_kind:     by_value
      - .offset:         88
        .size:           4
        .value_kind:     by_value
      - .offset:         96
        .size:           8
        .value_kind:     by_value
      - .address_space:  global
        .offset:         104
        .size:           8
        .value_kind:     global_buffer
      - .offset:         112
        .size:           8
        .value_kind:     by_value
      - .offset:         120
        .size:           4
        .value_kind:     by_value
      - .offset:         128
        .size:           8
        .value_kind:     by_value
    .group_segment_fixed_size: 256
    .kernarg_segment_align: 8
    .kernarg_segment_size: 136
    .language:       OpenCL C
    .language_version:
      - 2
      - 0
    .max_flat_workgroup_size: 256
    .name:           _ZL22rocblas_gemvtsm_kernelILb0ELi256EPKffKPfEviiT2_lPKT1_lilS7_lilS4_lPT3_lil
    .private_segment_fixed_size: 0
    .sgpr_count:     26
    .sgpr_spill_count: 0
    .symbol:         _ZL22rocblas_gemvtsm_kernelILb0ELi256EPKffKPfEviiT2_lPKT1_lilS7_lilS4_lPT3_lil.kd
    .uniform_work_group_size: 1
    .uses_dynamic_stack: false
    .vgpr_count:     24
    .vgpr_spill_count: 0
    .wavefront_size: 32
    .workgroup_processor_mode: 1
  - .args:
      - .offset:         0
        .size:           4
        .value_kind:     by_value
      - .offset:         4
        .size:           4
        .value_kind:     by_value
      - .address_space:  global
        .offset:         8
        .size:           8
        .value_kind:     global_buffer
      - .offset:         16
        .size:           8
        .value_kind:     by_value
      - .address_space:  global
        .offset:         24
        .size:           8
        .value_kind:     global_buffer
      - .offset:         32
        .size:           8
        .value_kind:     by_value
      - .offset:         40
        .size:           4
        .value_kind:     by_value
      - .offset:         48
        .size:           8
        .value_kind:     by_value
      - .address_space:  global
        .offset:         56
        .size:           8
        .value_kind:     global_buffer
      - .offset:         64
        .size:           8
        .value_kind:     by_value
      - .offset:         72
        .size:           4
        .value_kind:     by_value
      - .offset:         80
        .size:           8
        .value_kind:     by_value
      - .address_space:  global
        .offset:         88
        .size:           8
        .value_kind:     global_buffer
      - .offset:         96
        .size:           4
        .value_kind:     by_value
      - .offset:         104
        .size:           4
        .value_kind:     hidden_block_count_x
      - .offset:         108
        .size:           4
        .value_kind:     hidden_block_count_y
      - .offset:         112
        .size:           4
        .value_kind:     hidden_block_count_z
      - .offset:         116
        .size:           2
        .value_kind:     hidden_group_size_x
      - .offset:         118
        .size:           2
        .value_kind:     hidden_group_size_y
      - .offset:         120
        .size:           2
        .value_kind:     hidden_group_size_z
      - .offset:         122
        .size:           2
        .value_kind:     hidden_remainder_x
      - .offset:         124
        .size:           2
        .value_kind:     hidden_remainder_y
      - .offset:         126
        .size:           2
        .value_kind:     hidden_remainder_z
      - .offset:         144
        .size:           8
        .value_kind:     hidden_global_offset_x
      - .offset:         152
        .size:           8
        .value_kind:     hidden_global_offset_y
      - .offset:         160
        .size:           8
        .value_kind:     hidden_global_offset_z
      - .offset:         168
        .size:           2
        .value_kind:     hidden_grid_dims
    .group_segment_fixed_size: 128
    .kernarg_segment_align: 8
    .kernarg_segment_size: 360
    .language:       OpenCL C
    .language_version:
      - 2
      - 0
    .max_flat_workgroup_size: 256
    .name:           _ZL23rocblas_gemvt_sn_kernelILb0ELi256ELi4EiPKfS1_fEviiT4_lPKT3_lilS5_lilPT5_i
    .private_segment_fixed_size: 0
    .sgpr_count:     46
    .sgpr_spill_count: 0
    .symbol:         _ZL23rocblas_gemvt_sn_kernelILb0ELi256ELi4EiPKfS1_fEviiT4_lPKT3_lilS5_lilPT5_i.kd
    .uniform_work_group_size: 1
    .uses_dynamic_stack: false
    .vgpr_count:     51
    .vgpr_spill_count: 0
    .wavefront_size: 32
    .workgroup_processor_mode: 1
  - .args:
      - .offset:         0
        .size:           4
        .value_kind:     by_value
      - .offset:         4
        .size:           4
        .value_kind:     by_value
      - .address_space:  global
        .offset:         8
        .size:           8
        .value_kind:     global_buffer
      - .offset:         16
        .size:           8
        .value_kind:     by_value
      - .address_space:  global
        .offset:         24
        .size:           8
        .value_kind:     global_buffer
      - .offset:         32
        .size:           8
        .value_kind:     by_value
      - .offset:         40
        .size:           4
        .value_kind:     by_value
      - .offset:         48
        .size:           8
        .value_kind:     by_value
      - .address_space:  global
        .offset:         56
        .size:           8
        .value_kind:     global_buffer
      - .offset:         64
        .size:           8
        .value_kind:     by_value
      - .offset:         72
        .size:           4
        .value_kind:     by_value
      - .offset:         80
        .size:           8
        .value_kind:     by_value
      - .address_space:  global
        .offset:         88
        .size:           8
        .value_kind:     global_buffer
      - .offset:         96
        .size:           4
        .value_kind:     by_value
      - .offset:         104
        .size:           4
        .value_kind:     hidden_block_count_x
      - .offset:         108
        .size:           4
        .value_kind:     hidden_block_count_y
      - .offset:         112
        .size:           4
        .value_kind:     hidden_block_count_z
      - .offset:         116
        .size:           2
        .value_kind:     hidden_group_size_x
      - .offset:         118
        .size:           2
        .value_kind:     hidden_group_size_y
      - .offset:         120
        .size:           2
        .value_kind:     hidden_group_size_z
      - .offset:         122
        .size:           2
        .value_kind:     hidden_remainder_x
      - .offset:         124
        .size:           2
        .value_kind:     hidden_remainder_y
      - .offset:         126
        .size:           2
        .value_kind:     hidden_remainder_z
      - .offset:         144
        .size:           8
        .value_kind:     hidden_global_offset_x
      - .offset:         152
        .size:           8
        .value_kind:     hidden_global_offset_y
      - .offset:         160
        .size:           8
        .value_kind:     hidden_global_offset_z
      - .offset:         168
        .size:           2
        .value_kind:     hidden_grid_dims
    .group_segment_fixed_size: 128
    .kernarg_segment_align: 8
    .kernarg_segment_size: 360
    .language:       OpenCL C
    .language_version:
      - 2
      - 0
    .max_flat_workgroup_size: 256
    .name:           _ZL23rocblas_gemvt_sn_kernelILb0ELi256ELi4ElPKfS1_fEviiT4_lPKT3_lilS5_lilPT5_i
    .private_segment_fixed_size: 0
    .sgpr_count:     48
    .sgpr_spill_count: 0
    .symbol:         _ZL23rocblas_gemvt_sn_kernelILb0ELi256ELi4ElPKfS1_fEviiT4_lPKT3_lilS5_lilPT5_i.kd
    .uniform_work_group_size: 1
    .uses_dynamic_stack: false
    .vgpr_count:     57
    .vgpr_spill_count: 0
    .wavefront_size: 32
    .workgroup_processor_mode: 1
  - .args:
      - .offset:         0
        .size:           4
        .value_kind:     by_value
      - .offset:         4
        .size:           4
        .value_kind:     by_value
      - .offset:         8
        .size:           4
        .value_kind:     by_value
      - .offset:         16
        .size:           8
        .value_kind:     by_value
      - .address_space:  global
        .offset:         24
        .size:           8
        .value_kind:     global_buffer
      - .offset:         32
        .size:           8
        .value_kind:     by_value
      - .offset:         40
        .size:           4
        .value_kind:     by_value
      - .offset:         48
        .size:           8
        .value_kind:     by_value
      - .address_space:  global
        .offset:         56
        .size:           8
        .value_kind:     global_buffer
      - .offset:         64
        .size:           8
        .value_kind:     by_value
      - .offset:         72
        .size:           4
        .value_kind:     by_value
      - .offset:         80
        .size:           8
        .value_kind:     by_value
      - .address_space:  global
        .offset:         88
        .size:           8
        .value_kind:     global_buffer
      - .offset:         96
        .size:           4
        .value_kind:     by_value
      - .offset:         104
        .size:           4
        .value_kind:     hidden_block_count_x
      - .offset:         108
        .size:           4
        .value_kind:     hidden_block_count_y
      - .offset:         112
        .size:           4
        .value_kind:     hidden_block_count_z
      - .offset:         116
        .size:           2
        .value_kind:     hidden_group_size_x
      - .offset:         118
        .size:           2
        .value_kind:     hidden_group_size_y
      - .offset:         120
        .size:           2
        .value_kind:     hidden_group_size_z
      - .offset:         122
        .size:           2
        .value_kind:     hidden_remainder_x
      - .offset:         124
        .size:           2
        .value_kind:     hidden_remainder_y
      - .offset:         126
        .size:           2
        .value_kind:     hidden_remainder_z
      - .offset:         144
        .size:           8
        .value_kind:     hidden_global_offset_x
      - .offset:         152
        .size:           8
        .value_kind:     hidden_global_offset_y
      - .offset:         160
        .size:           8
        .value_kind:     hidden_global_offset_z
      - .offset:         168
        .size:           2
        .value_kind:     hidden_grid_dims
    .group_segment_fixed_size: 128
    .kernarg_segment_align: 8
    .kernarg_segment_size: 360
    .language:       OpenCL C
    .language_version:
      - 2
      - 0
    .max_flat_workgroup_size: 256
    .name:           _ZL23rocblas_gemvt_sn_kernelILb0ELi256ELi4EiPKfffEviiT4_lPKT3_lilS5_lilPT5_i
    .private_segment_fixed_size: 0
    .sgpr_count:     46
    .sgpr_spill_count: 0
    .symbol:         _ZL23rocblas_gemvt_sn_kernelILb0ELi256ELi4EiPKfffEviiT4_lPKT3_lilS5_lilPT5_i.kd
    .uniform_work_group_size: 1
    .uses_dynamic_stack: false
    .vgpr_count:     51
    .vgpr_spill_count: 0
    .wavefront_size: 32
    .workgroup_processor_mode: 1
  - .args:
      - .offset:         0
        .size:           4
        .value_kind:     by_value
      - .offset:         4
        .size:           4
        .value_kind:     by_value
      - .offset:         8
        .size:           4
        .value_kind:     by_value
      - .offset:         16
        .size:           8
        .value_kind:     by_value
      - .address_space:  global
        .offset:         24
        .size:           8
        .value_kind:     global_buffer
      - .offset:         32
        .size:           8
        .value_kind:     by_value
      - .offset:         40
        .size:           4
        .value_kind:     by_value
      - .offset:         48
        .size:           8
        .value_kind:     by_value
      - .address_space:  global
        .offset:         56
        .size:           8
        .value_kind:     global_buffer
      - .offset:         64
        .size:           8
        .value_kind:     by_value
      - .offset:         72
        .size:           4
        .value_kind:     by_value
      - .offset:         80
        .size:           8
        .value_kind:     by_value
      - .address_space:  global
        .offset:         88
        .size:           8
        .value_kind:     global_buffer
      - .offset:         96
        .size:           4
        .value_kind:     by_value
      - .offset:         104
        .size:           4
        .value_kind:     hidden_block_count_x
      - .offset:         108
        .size:           4
        .value_kind:     hidden_block_count_y
      - .offset:         112
        .size:           4
        .value_kind:     hidden_block_count_z
      - .offset:         116
        .size:           2
        .value_kind:     hidden_group_size_x
      - .offset:         118
        .size:           2
        .value_kind:     hidden_group_size_y
      - .offset:         120
        .size:           2
        .value_kind:     hidden_group_size_z
      - .offset:         122
        .size:           2
        .value_kind:     hidden_remainder_x
      - .offset:         124
        .size:           2
        .value_kind:     hidden_remainder_y
      - .offset:         126
        .size:           2
        .value_kind:     hidden_remainder_z
      - .offset:         144
        .size:           8
        .value_kind:     hidden_global_offset_x
      - .offset:         152
        .size:           8
        .value_kind:     hidden_global_offset_y
      - .offset:         160
        .size:           8
        .value_kind:     hidden_global_offset_z
      - .offset:         168
        .size:           2
        .value_kind:     hidden_grid_dims
    .group_segment_fixed_size: 128
    .kernarg_segment_align: 8
    .kernarg_segment_size: 360
    .language:       OpenCL C
    .language_version:
      - 2
      - 0
    .max_flat_workgroup_size: 256
    .name:           _ZL23rocblas_gemvt_sn_kernelILb0ELi256ELi4ElPKfffEviiT4_lPKT3_lilS5_lilPT5_i
    .private_segment_fixed_size: 0
    .sgpr_count:     48
    .sgpr_spill_count: 0
    .symbol:         _ZL23rocblas_gemvt_sn_kernelILb0ELi256ELi4ElPKfffEviiT4_lPKT3_lilS5_lilPT5_i.kd
    .uniform_work_group_size: 1
    .uses_dynamic_stack: false
    .vgpr_count:     57
    .vgpr_spill_count: 0
    .wavefront_size: 32
    .workgroup_processor_mode: 1
  - .args:
      - .offset:         0
        .size:           4
        .value_kind:     by_value
      - .offset:         4
        .size:           4
        .value_kind:     by_value
      - .address_space:  global
        .offset:         8
        .size:           8
        .value_kind:     global_buffer
      - .offset:         16
        .size:           8
        .value_kind:     by_value
      - .address_space:  global
        .offset:         24
        .size:           8
        .value_kind:     global_buffer
      - .offset:         32
        .size:           8
        .value_kind:     by_value
      - .offset:         40
        .size:           4
        .value_kind:     by_value
      - .offset:         48
        .size:           8
        .value_kind:     by_value
      - .address_space:  global
        .offset:         56
        .size:           8
        .value_kind:     global_buffer
      - .offset:         64
        .size:           8
        .value_kind:     by_value
      - .offset:         72
        .size:           4
        .value_kind:     by_value
      - .offset:         80
        .size:           8
        .value_kind:     by_value
      - .address_space:  global
        .offset:         88
        .size:           8
        .value_kind:     global_buffer
      - .offset:         96
        .size:           8
        .value_kind:     by_value
      - .offset:         104
        .size:           4
        .value_kind:     by_value
      - .offset:         112
        .size:           8
        .value_kind:     by_value
      - .offset:         120
        .size:           4
        .value_kind:     by_value
      - .offset:         128
        .size:           4
        .value_kind:     hidden_block_count_x
      - .offset:         132
        .size:           4
        .value_kind:     hidden_block_count_y
      - .offset:         136
        .size:           4
        .value_kind:     hidden_block_count_z
      - .offset:         140
        .size:           2
        .value_kind:     hidden_group_size_x
      - .offset:         142
        .size:           2
        .value_kind:     hidden_group_size_y
      - .offset:         144
        .size:           2
        .value_kind:     hidden_group_size_z
      - .offset:         146
        .size:           2
        .value_kind:     hidden_remainder_x
      - .offset:         148
        .size:           2
        .value_kind:     hidden_remainder_y
      - .offset:         150
        .size:           2
        .value_kind:     hidden_remainder_z
      - .offset:         168
        .size:           8
        .value_kind:     hidden_global_offset_x
      - .offset:         176
        .size:           8
        .value_kind:     hidden_global_offset_y
      - .offset:         184
        .size:           8
        .value_kind:     hidden_global_offset_z
      - .offset:         192
        .size:           2
        .value_kind:     hidden_grid_dims
    .group_segment_fixed_size: 32768
    .kernarg_segment_align: 8
    .kernarg_segment_size: 384
    .language:       OpenCL C
    .language_version:
      - 2
      - 0
    .max_flat_workgroup_size: 1024
    .name:           _ZL36rocblas_gemvt_double_buffered_kernelILb0ELi128ELi8ELi8EPKfS1_KPfEviiT4_lPKT3_lilS7_lilPT5_lili
    .private_segment_fixed_size: 0
    .sgpr_count:     32
    .sgpr_spill_count: 0
    .symbol:         _ZL36rocblas_gemvt_double_buffered_kernelILb0ELi128ELi8ELi8EPKfS1_KPfEviiT4_lPKT3_lilS7_lilPT5_lili.kd
    .uniform_work_group_size: 1
    .uses_dynamic_stack: false
    .vgpr_count:     69
    .vgpr_spill_count: 0
    .wavefront_size: 32
    .workgroup_processor_mode: 1
  - .args:
      - .offset:         0
        .size:           4
        .value_kind:     by_value
      - .offset:         4
        .size:           4
        .value_kind:     by_value
      - .offset:         8
        .size:           4
        .value_kind:     by_value
      - .offset:         16
        .size:           8
        .value_kind:     by_value
      - .address_space:  global
        .offset:         24
        .size:           8
        .value_kind:     global_buffer
      - .offset:         32
        .size:           8
        .value_kind:     by_value
      - .offset:         40
        .size:           4
        .value_kind:     by_value
      - .offset:         48
        .size:           8
        .value_kind:     by_value
      - .address_space:  global
        .offset:         56
        .size:           8
        .value_kind:     global_buffer
      - .offset:         64
        .size:           8
        .value_kind:     by_value
      - .offset:         72
        .size:           4
        .value_kind:     by_value
      - .offset:         80
        .size:           8
        .value_kind:     by_value
      - .address_space:  global
        .offset:         88
        .size:           8
        .value_kind:     global_buffer
      - .offset:         96
        .size:           8
        .value_kind:     by_value
      - .offset:         104
        .size:           4
        .value_kind:     by_value
      - .offset:         112
        .size:           8
        .value_kind:     by_value
      - .offset:         120
        .size:           4
        .value_kind:     by_value
      - .offset:         128
        .size:           4
        .value_kind:     hidden_block_count_x
      - .offset:         132
        .size:           4
        .value_kind:     hidden_block_count_y
      - .offset:         136
        .size:           4
        .value_kind:     hidden_block_count_z
      - .offset:         140
        .size:           2
        .value_kind:     hidden_group_size_x
      - .offset:         142
        .size:           2
        .value_kind:     hidden_group_size_y
      - .offset:         144
        .size:           2
        .value_kind:     hidden_group_size_z
      - .offset:         146
        .size:           2
        .value_kind:     hidden_remainder_x
      - .offset:         148
        .size:           2
        .value_kind:     hidden_remainder_y
      - .offset:         150
        .size:           2
        .value_kind:     hidden_remainder_z
      - .offset:         168
        .size:           8
        .value_kind:     hidden_global_offset_x
      - .offset:         176
        .size:           8
        .value_kind:     hidden_global_offset_y
      - .offset:         184
        .size:           8
        .value_kind:     hidden_global_offset_z
      - .offset:         192
        .size:           2
        .value_kind:     hidden_grid_dims
    .group_segment_fixed_size: 32768
    .kernarg_segment_align: 8
    .kernarg_segment_size: 384
    .language:       OpenCL C
    .language_version:
      - 2
      - 0
    .max_flat_workgroup_size: 1024
    .name:           _ZL36rocblas_gemvt_double_buffered_kernelILb0ELi128ELi8ELi8EPKffKPfEviiT4_lPKT3_lilS7_lilPT5_lili
    .private_segment_fixed_size: 0
    .sgpr_count:     34
    .sgpr_spill_count: 0
    .symbol:         _ZL36rocblas_gemvt_double_buffered_kernelILb0ELi128ELi8ELi8EPKffKPfEviiT4_lPKT3_lilS7_lilPT5_lili.kd
    .uniform_work_group_size: 1
    .uses_dynamic_stack: false
    .vgpr_count:     69
    .vgpr_spill_count: 0
    .wavefront_size: 32
    .workgroup_processor_mode: 1
  - .args:
      - .offset:         0
        .size:           4
        .value_kind:     by_value
      - .offset:         4
        .size:           4
        .value_kind:     by_value
      - .address_space:  global
        .offset:         8
        .size:           8
        .value_kind:     global_buffer
      - .offset:         16
        .size:           8
        .value_kind:     by_value
      - .address_space:  global
        .offset:         24
        .size:           8
        .value_kind:     global_buffer
      - .offset:         32
        .size:           8
        .value_kind:     by_value
      - .offset:         40
        .size:           4
        .value_kind:     by_value
      - .offset:         48
        .size:           8
        .value_kind:     by_value
      - .address_space:  global
        .offset:         56
        .size:           8
        .value_kind:     global_buffer
      - .offset:         64
        .size:           8
        .value_kind:     by_value
      - .offset:         72
        .size:           4
        .value_kind:     by_value
      - .offset:         80
        .size:           8
        .value_kind:     by_value
      - .address_space:  global
        .offset:         88
        .size:           8
        .value_kind:     global_buffer
      - .offset:         96
        .size:           8
        .value_kind:     by_value
      - .address_space:  global
        .offset:         104
        .size:           8
        .value_kind:     global_buffer
      - .offset:         112
        .size:           8
        .value_kind:     by_value
      - .offset:         120
        .size:           4
        .value_kind:     by_value
      - .offset:         128
        .size:           8
        .value_kind:     by_value
      - .offset:         136
        .size:           4
        .value_kind:     by_value
    .group_segment_fixed_size: 128
    .kernarg_segment_align: 8
    .kernarg_segment_size: 140
    .language:       OpenCL C
    .language_version:
      - 2
      - 0
    .max_flat_workgroup_size: 256
    .name:           _ZL32rocblas_gemvt_warp_reduce_kernelILb0ELi256EiPKfS1_KPfEviiT3_lPKT2_lT1_lS7_lS8_lS4_lPT4_lS8_li
    .private_segment_fixed_size: 0
    .sgpr_count:     26
    .sgpr_spill_count: 0
    .symbol:         _ZL32rocblas_gemvt_warp_reduce_kernelILb0ELi256EiPKfS1_KPfEviiT3_lPKT2_lT1_lS7_lS8_lS4_lPT4_lS8_li.kd
    .uniform_work_group_size: 1
    .uses_dynamic_stack: false
    .vgpr_count:     11
    .vgpr_spill_count: 0
    .wavefront_size: 32
    .workgroup_processor_mode: 1
  - .args:
      - .offset:         0
        .size:           4
        .value_kind:     by_value
      - .offset:         4
        .size:           4
        .value_kind:     by_value
      - .address_space:  global
        .offset:         8
        .size:           8
        .value_kind:     global_buffer
      - .offset:         16
        .size:           8
        .value_kind:     by_value
      - .address_space:  global
        .offset:         24
        .size:           8
        .value_kind:     global_buffer
      - .offset:         32
        .size:           8
        .value_kind:     by_value
      - .offset:         40
        .size:           8
        .value_kind:     by_value
      - .offset:         48
        .size:           8
        .value_kind:     by_value
      - .address_space:  global
        .offset:         56
        .size:           8
        .value_kind:     global_buffer
      - .offset:         64
        .size:           8
        .value_kind:     by_value
      - .offset:         72
        .size:           8
        .value_kind:     by_value
      - .offset:         80
        .size:           8
        .value_kind:     by_value
      - .address_space:  global
        .offset:         88
        .size:           8
        .value_kind:     global_buffer
      - .offset:         96
        .size:           8
        .value_kind:     by_value
      - .address_space:  global
        .offset:         104
        .size:           8
        .value_kind:     global_buffer
      - .offset:         112
        .size:           8
        .value_kind:     by_value
      - .offset:         120
        .size:           8
        .value_kind:     by_value
      - .offset:         128
        .size:           8
        .value_kind:     by_value
      - .offset:         136
        .size:           4
        .value_kind:     by_value
    .group_segment_fixed_size: 128
    .kernarg_segment_align: 8
    .kernarg_segment_size: 140
    .language:       OpenCL C
    .language_version:
      - 2
      - 0
    .max_flat_workgroup_size: 256
    .name:           _ZL32rocblas_gemvt_warp_reduce_kernelILb0ELi256ElPKfS1_KPfEviiT3_lPKT2_lT1_lS7_lS8_lS4_lPT4_lS8_li
    .private_segment_fixed_size: 0
    .sgpr_count:     33
    .sgpr_spill_count: 0
    .symbol:         _ZL32rocblas_gemvt_warp_reduce_kernelILb0ELi256ElPKfS1_KPfEviiT3_lPKT2_lT1_lS7_lS8_lS4_lPT4_lS8_li.kd
    .uniform_work_group_size: 1
    .uses_dynamic_stack: false
    .vgpr_count:     11
    .vgpr_spill_count: 0
    .wavefront_size: 32
    .workgroup_processor_mode: 1
  - .args:
      - .offset:         0
        .size:           4
        .value_kind:     by_value
      - .offset:         4
        .size:           4
        .value_kind:     by_value
      - .offset:         8
        .size:           4
        .value_kind:     by_value
      - .offset:         16
        .size:           8
        .value_kind:     by_value
      - .address_space:  global
        .offset:         24
        .size:           8
        .value_kind:     global_buffer
      - .offset:         32
        .size:           8
        .value_kind:     by_value
      - .offset:         40
        .size:           4
        .value_kind:     by_value
      - .offset:         48
        .size:           8
        .value_kind:     by_value
      - .address_space:  global
        .offset:         56
        .size:           8
        .value_kind:     global_buffer
      - .offset:         64
        .size:           8
        .value_kind:     by_value
      - .offset:         72
        .size:           4
        .value_kind:     by_value
      - .offset:         80
        .size:           8
        .value_kind:     by_value
      - .offset:         88
        .size:           4
        .value_kind:     by_value
      - .offset:         96
        .size:           8
        .value_kind:     by_value
      - .address_space:  global
        .offset:         104
        .size:           8
        .value_kind:     global_buffer
      - .offset:         112
        .size:           8
        .value_kind:     by_value
      - .offset:         120
        .size:           4
        .value_kind:     by_value
      - .offset:         128
        .size:           8
        .value_kind:     by_value
      - .offset:         136
        .size:           4
        .value_kind:     by_value
    .group_segment_fixed_size: 128
    .kernarg_segment_align: 8
    .kernarg_segment_size: 140
    .language:       OpenCL C
    .language_version:
      - 2
      - 0
    .max_flat_workgroup_size: 256
    .name:           _ZL32rocblas_gemvt_warp_reduce_kernelILb0ELi256EiPKffKPfEviiT3_lPKT2_lT1_lS7_lS8_lS4_lPT4_lS8_li
    .private_segment_fixed_size: 0
    .sgpr_count:     22
    .sgpr_spill_count: 0
    .symbol:         _ZL32rocblas_gemvt_warp_reduce_kernelILb0ELi256EiPKffKPfEviiT3_lPKT2_lT1_lS7_lS8_lS4_lPT4_lS8_li.kd
    .uniform_work_group_size: 1
    .uses_dynamic_stack: false
    .vgpr_count:     11
    .vgpr_spill_count: 0
    .wavefront_size: 32
    .workgroup_processor_mode: 1
  - .args:
      - .offset:         0
        .size:           4
        .value_kind:     by_value
      - .offset:         4
        .size:           4
        .value_kind:     by_value
      - .offset:         8
        .size:           4
        .value_kind:     by_value
      - .offset:         16
        .size:           8
        .value_kind:     by_value
      - .address_space:  global
        .offset:         24
        .size:           8
        .value_kind:     global_buffer
      - .offset:         32
        .size:           8
        .value_kind:     by_value
      - .offset:         40
        .size:           8
        .value_kind:     by_value
      - .offset:         48
        .size:           8
        .value_kind:     by_value
      - .address_space:  global
        .offset:         56
        .size:           8
        .value_kind:     global_buffer
      - .offset:         64
        .size:           8
        .value_kind:     by_value
      - .offset:         72
        .size:           8
        .value_kind:     by_value
      - .offset:         80
        .size:           8
        .value_kind:     by_value
      - .offset:         88
        .size:           4
        .value_kind:     by_value
      - .offset:         96
        .size:           8
        .value_kind:     by_value
      - .address_space:  global
        .offset:         104
        .size:           8
        .value_kind:     global_buffer
      - .offset:         112
        .size:           8
        .value_kind:     by_value
      - .offset:         120
        .size:           8
        .value_kind:     by_value
      - .offset:         128
        .size:           8
        .value_kind:     by_value
      - .offset:         136
        .size:           4
        .value_kind:     by_value
    .group_segment_fixed_size: 128
    .kernarg_segment_align: 8
    .kernarg_segment_size: 140
    .language:       OpenCL C
    .language_version:
      - 2
      - 0
    .max_flat_workgroup_size: 256
    .name:           _ZL32rocblas_gemvt_warp_reduce_kernelILb0ELi256ElPKffKPfEviiT3_lPKT2_lT1_lS7_lS8_lS4_lPT4_lS8_li
    .private_segment_fixed_size: 0
    .sgpr_count:     30
    .sgpr_spill_count: 0
    .symbol:         _ZL32rocblas_gemvt_warp_reduce_kernelILb0ELi256ElPKffKPfEviiT3_lPKT2_lT1_lS7_lS8_lS4_lPT4_lS8_li.kd
    .uniform_work_group_size: 1
    .uses_dynamic_stack: false
    .vgpr_count:     11
    .vgpr_spill_count: 0
    .wavefront_size: 32
    .workgroup_processor_mode: 1
  - .args:
      - .offset:         0
        .size:           4
        .value_kind:     by_value
      - .offset:         4
        .size:           4
        .value_kind:     by_value
      - .address_space:  global
        .offset:         8
        .size:           8
        .value_kind:     global_buffer
      - .offset:         16
        .size:           8
        .value_kind:     by_value
      - .address_space:  global
        .offset:         24
        .size:           8
        .value_kind:     global_buffer
      - .offset:         32
        .size:           8
        .value_kind:     by_value
      - .offset:         40
        .size:           4
        .value_kind:     by_value
      - .offset:         48
        .size:           8
        .value_kind:     by_value
      - .address_space:  global
        .offset:         56
        .size:           8
        .value_kind:     global_buffer
      - .offset:         64
        .size:           8
        .value_kind:     by_value
      - .offset:         72
        .size:           4
        .value_kind:     by_value
      - .offset:         80
        .size:           8
        .value_kind:     by_value
      - .address_space:  global
        .offset:         88
        .size:           8
        .value_kind:     global_buffer
      - .offset:         96
        .size:           8
        .value_kind:     by_value
      - .address_space:  global
        .offset:         104
        .size:           8
        .value_kind:     global_buffer
      - .offset:         112
        .size:           8
        .value_kind:     by_value
      - .offset:         120
        .size:           4
        .value_kind:     by_value
      - .offset:         128
        .size:           8
        .value_kind:     by_value
      - .offset:         136
        .size:           4
        .value_kind:     by_value
    .group_segment_fixed_size: 1024
    .kernarg_segment_align: 8
    .kernarg_segment_size: 140
    .language:       OpenCL C
    .language_version:
      - 2
      - 0
    .max_flat_workgroup_size: 256
    .name:           _ZL20rocblas_gemvt_kernelILb0ELi256EPKfS1_KPfEviiT2_lPKT1_lilS7_lilS4_lPT3_lili
    .private_segment_fixed_size: 0
    .sgpr_count:     26
    .sgpr_spill_count: 0
    .symbol:         _ZL20rocblas_gemvt_kernelILb0ELi256EPKfS1_KPfEviiT2_lPKT1_lilS7_lilS4_lPT3_lili.kd
    .uniform_work_group_size: 1
    .uses_dynamic_stack: false
    .vgpr_count:     10
    .vgpr_spill_count: 0
    .wavefront_size: 32
    .workgroup_processor_mode: 1
  - .args:
      - .offset:         0
        .size:           4
        .value_kind:     by_value
      - .offset:         4
        .size:           4
        .value_kind:     by_value
      - .offset:         8
        .size:           4
        .value_kind:     by_value
      - .offset:         16
        .size:           8
        .value_kind:     by_value
      - .address_space:  global
        .offset:         24
        .size:           8
        .value_kind:     global_buffer
      - .offset:         32
        .size:           8
        .value_kind:     by_value
      - .offset:         40
        .size:           4
        .value_kind:     by_value
      - .offset:         48
        .size:           8
        .value_kind:     by_value
      - .address_space:  global
        .offset:         56
        .size:           8
        .value_kind:     global_buffer
      - .offset:         64
        .size:           8
        .value_kind:     by_value
      - .offset:         72
        .size:           4
        .value_kind:     by_value
      - .offset:         80
        .size:           8
        .value_kind:     by_value
      - .offset:         88
        .size:           4
        .value_kind:     by_value
      - .offset:         96
        .size:           8
        .value_kind:     by_value
      - .address_space:  global
        .offset:         104
        .size:           8
        .value_kind:     global_buffer
      - .offset:         112
        .size:           8
        .value_kind:     by_value
      - .offset:         120
        .size:           4
        .value_kind:     by_value
      - .offset:         128
        .size:           8
        .value_kind:     by_value
      - .offset:         136
        .size:           4
        .value_kind:     by_value
    .group_segment_fixed_size: 1024
    .kernarg_segment_align: 8
    .kernarg_segment_size: 140
    .language:       OpenCL C
    .language_version:
      - 2
      - 0
    .max_flat_workgroup_size: 256
    .name:           _ZL20rocblas_gemvt_kernelILb0ELi256EPKffKPfEviiT2_lPKT1_lilS7_lilS4_lPT3_lili
    .private_segment_fixed_size: 0
    .sgpr_count:     26
    .sgpr_spill_count: 0
    .symbol:         _ZL20rocblas_gemvt_kernelILb0ELi256EPKffKPfEviiT2_lPKT1_lilS7_lilS4_lPT3_lili.kd
    .uniform_work_group_size: 1
    .uses_dynamic_stack: false
    .vgpr_count:     10
    .vgpr_spill_count: 0
    .wavefront_size: 32
    .workgroup_processor_mode: 1
  - .args:
      - .offset:         0
        .size:           4
        .value_kind:     by_value
      - .offset:         4
        .size:           4
        .value_kind:     by_value
      - .address_space:  global
        .offset:         8
        .size:           8
        .value_kind:     global_buffer
      - .offset:         16
        .size:           8
        .value_kind:     by_value
      - .address_space:  global
        .offset:         24
        .size:           8
        .value_kind:     global_buffer
      - .offset:         32
        .size:           8
        .value_kind:     by_value
      - .offset:         40
        .size:           4
        .value_kind:     by_value
      - .offset:         48
        .size:           8
        .value_kind:     by_value
      - .address_space:  global
        .offset:         56
        .size:           8
        .value_kind:     global_buffer
      - .offset:         64
        .size:           8
        .value_kind:     by_value
      - .offset:         72
        .size:           4
        .value_kind:     by_value
      - .offset:         80
        .size:           8
        .value_kind:     by_value
      - .address_space:  global
        .offset:         88
        .size:           8
        .value_kind:     global_buffer
      - .offset:         96
        .size:           8
        .value_kind:     by_value
      - .address_space:  global
        .offset:         104
        .size:           8
        .value_kind:     global_buffer
      - .offset:         112
        .size:           8
        .value_kind:     by_value
      - .offset:         120
        .size:           4
        .value_kind:     by_value
      - .offset:         128
        .size:           8
        .value_kind:     by_value
      - .offset:         136
        .size:           4
        .value_kind:     by_value
    .group_segment_fixed_size: 128
    .kernarg_segment_align: 8
    .kernarg_segment_size: 140
    .language:       OpenCL C
    .language_version:
      - 2
      - 0
    .max_flat_workgroup_size: 1024
    .name:           _ZL32rocblas_gemvt_warp_reduce_kernelILb0ELi1024EiPKfS1_KPfEviiT3_lPKT2_lT1_lS7_lS8_lS4_lPT4_lS8_li
    .private_segment_fixed_size: 0
    .sgpr_count:     26
    .sgpr_spill_count: 0
    .symbol:         _ZL32rocblas_gemvt_warp_reduce_kernelILb0ELi1024EiPKfS1_KPfEviiT3_lPKT2_lT1_lS7_lS8_lS4_lPT4_lS8_li.kd
    .uniform_work_group_size: 1
    .uses_dynamic_stack: false
    .vgpr_count:     11
    .vgpr_spill_count: 0
    .wavefront_size: 32
    .workgroup_processor_mode: 1
  - .args:
      - .offset:         0
        .size:           4
        .value_kind:     by_value
      - .offset:         4
        .size:           4
        .value_kind:     by_value
      - .address_space:  global
        .offset:         8
        .size:           8
        .value_kind:     global_buffer
      - .offset:         16
        .size:           8
        .value_kind:     by_value
      - .address_space:  global
        .offset:         24
        .size:           8
        .value_kind:     global_buffer
      - .offset:         32
        .size:           8
        .value_kind:     by_value
      - .offset:         40
        .size:           8
        .value_kind:     by_value
      - .offset:         48
        .size:           8
        .value_kind:     by_value
      - .address_space:  global
        .offset:         56
        .size:           8
        .value_kind:     global_buffer
      - .offset:         64
        .size:           8
        .value_kind:     by_value
      - .offset:         72
        .size:           8
        .value_kind:     by_value
      - .offset:         80
        .size:           8
        .value_kind:     by_value
      - .address_space:  global
        .offset:         88
        .size:           8
        .value_kind:     global_buffer
      - .offset:         96
        .size:           8
        .value_kind:     by_value
      - .address_space:  global
        .offset:         104
        .size:           8
        .value_kind:     global_buffer
      - .offset:         112
        .size:           8
        .value_kind:     by_value
      - .offset:         120
        .size:           8
        .value_kind:     by_value
      - .offset:         128
        .size:           8
        .value_kind:     by_value
      - .offset:         136
        .size:           4
        .value_kind:     by_value
    .group_segment_fixed_size: 128
    .kernarg_segment_align: 8
    .kernarg_segment_size: 140
    .language:       OpenCL C
    .language_version:
      - 2
      - 0
    .max_flat_workgroup_size: 1024
    .name:           _ZL32rocblas_gemvt_warp_reduce_kernelILb0ELi1024ElPKfS1_KPfEviiT3_lPKT2_lT1_lS7_lS8_lS4_lPT4_lS8_li
    .private_segment_fixed_size: 0
    .sgpr_count:     33
    .sgpr_spill_count: 0
    .symbol:         _ZL32rocblas_gemvt_warp_reduce_kernelILb0ELi1024ElPKfS1_KPfEviiT3_lPKT2_lT1_lS7_lS8_lS4_lPT4_lS8_li.kd
    .uniform_work_group_size: 1
    .uses_dynamic_stack: false
    .vgpr_count:     11
    .vgpr_spill_count: 0
    .wavefront_size: 32
    .workgroup_processor_mode: 1
  - .args:
      - .offset:         0
        .size:           4
        .value_kind:     by_value
      - .offset:         4
        .size:           4
        .value_kind:     by_value
      - .offset:         8
        .size:           4
        .value_kind:     by_value
      - .offset:         16
        .size:           8
        .value_kind:     by_value
      - .address_space:  global
        .offset:         24
        .size:           8
        .value_kind:     global_buffer
      - .offset:         32
        .size:           8
        .value_kind:     by_value
      - .offset:         40
        .size:           4
        .value_kind:     by_value
      - .offset:         48
        .size:           8
        .value_kind:     by_value
      - .address_space:  global
        .offset:         56
        .size:           8
        .value_kind:     global_buffer
      - .offset:         64
        .size:           8
        .value_kind:     by_value
      - .offset:         72
        .size:           4
        .value_kind:     by_value
      - .offset:         80
        .size:           8
        .value_kind:     by_value
      - .offset:         88
        .size:           4
        .value_kind:     by_value
      - .offset:         96
        .size:           8
        .value_kind:     by_value
      - .address_space:  global
        .offset:         104
        .size:           8
        .value_kind:     global_buffer
      - .offset:         112
        .size:           8
        .value_kind:     by_value
      - .offset:         120
        .size:           4
        .value_kind:     by_value
      - .offset:         128
        .size:           8
        .value_kind:     by_value
      - .offset:         136
        .size:           4
        .value_kind:     by_value
    .group_segment_fixed_size: 128
    .kernarg_segment_align: 8
    .kernarg_segment_size: 140
    .language:       OpenCL C
    .language_version:
      - 2
      - 0
    .max_flat_workgroup_size: 1024
    .name:           _ZL32rocblas_gemvt_warp_reduce_kernelILb0ELi1024EiPKffKPfEviiT3_lPKT2_lT1_lS7_lS8_lS4_lPT4_lS8_li
    .private_segment_fixed_size: 0
    .sgpr_count:     22
    .sgpr_spill_count: 0
    .symbol:         _ZL32rocblas_gemvt_warp_reduce_kernelILb0ELi1024EiPKffKPfEviiT3_lPKT2_lT1_lS7_lS8_lS4_lPT4_lS8_li.kd
    .uniform_work_group_size: 1
    .uses_dynamic_stack: false
    .vgpr_count:     11
    .vgpr_spill_count: 0
    .wavefront_size: 32
    .workgroup_processor_mode: 1
  - .args:
      - .offset:         0
        .size:           4
        .value_kind:     by_value
      - .offset:         4
        .size:           4
        .value_kind:     by_value
      - .offset:         8
        .size:           4
        .value_kind:     by_value
      - .offset:         16
        .size:           8
        .value_kind:     by_value
      - .address_space:  global
        .offset:         24
        .size:           8
        .value_kind:     global_buffer
      - .offset:         32
        .size:           8
        .value_kind:     by_value
      - .offset:         40
        .size:           8
        .value_kind:     by_value
      - .offset:         48
        .size:           8
        .value_kind:     by_value
      - .address_space:  global
        .offset:         56
        .size:           8
        .value_kind:     global_buffer
      - .offset:         64
        .size:           8
        .value_kind:     by_value
      - .offset:         72
        .size:           8
        .value_kind:     by_value
      - .offset:         80
        .size:           8
        .value_kind:     by_value
      - .offset:         88
        .size:           4
        .value_kind:     by_value
      - .offset:         96
        .size:           8
        .value_kind:     by_value
      - .address_space:  global
        .offset:         104
        .size:           8
        .value_kind:     global_buffer
      - .offset:         112
        .size:           8
        .value_kind:     by_value
      - .offset:         120
        .size:           8
        .value_kind:     by_value
      - .offset:         128
        .size:           8
        .value_kind:     by_value
      - .offset:         136
        .size:           4
        .value_kind:     by_value
    .group_segment_fixed_size: 128
    .kernarg_segment_align: 8
    .kernarg_segment_size: 140
    .language:       OpenCL C
    .language_version:
      - 2
      - 0
    .max_flat_workgroup_size: 1024
    .name:           _ZL32rocblas_gemvt_warp_reduce_kernelILb0ELi1024ElPKffKPfEviiT3_lPKT2_lT1_lS7_lS8_lS4_lPT4_lS8_li
    .private_segment_fixed_size: 0
    .sgpr_count:     30
    .sgpr_spill_count: 0
    .symbol:         _ZL32rocblas_gemvt_warp_reduce_kernelILb0ELi1024ElPKffKPfEviiT3_lPKT2_lT1_lS7_lS8_lS4_lPT4_lS8_li.kd
    .uniform_work_group_size: 1
    .uses_dynamic_stack: false
    .vgpr_count:     11
    .vgpr_spill_count: 0
    .wavefront_size: 32
    .workgroup_processor_mode: 1
  - .args:
      - .offset:         0
        .size:           4
        .value_kind:     by_value
      - .offset:         4
        .size:           4
        .value_kind:     by_value
      - .address_space:  global
        .offset:         8
        .size:           8
        .value_kind:     global_buffer
      - .offset:         16
        .size:           8
        .value_kind:     by_value
      - .address_space:  global
        .offset:         24
        .size:           8
        .value_kind:     global_buffer
      - .offset:         32
        .size:           8
        .value_kind:     by_value
      - .offset:         40
        .size:           4
        .value_kind:     by_value
      - .offset:         48
        .size:           8
        .value_kind:     by_value
      - .address_space:  global
        .offset:         56
        .size:           8
        .value_kind:     global_buffer
      - .offset:         64
        .size:           8
        .value_kind:     by_value
      - .offset:         72
        .size:           4
        .value_kind:     by_value
      - .offset:         80
        .size:           8
        .value_kind:     by_value
      - .address_space:  global
        .offset:         88
        .size:           8
        .value_kind:     global_buffer
      - .offset:         96
        .size:           8
        .value_kind:     by_value
      - .address_space:  global
        .offset:         104
        .size:           8
        .value_kind:     global_buffer
      - .offset:         112
        .size:           8
        .value_kind:     by_value
      - .offset:         120
        .size:           4
        .value_kind:     by_value
      - .offset:         128
        .size:           8
        .value_kind:     by_value
    .group_segment_fixed_size: 256
    .kernarg_segment_align: 8
    .kernarg_segment_size: 136
    .language:       OpenCL C
    .language_version:
      - 2
      - 0
    .max_flat_workgroup_size: 256
    .name:           _ZL22rocblas_gemvtsm_kernelILb1ELi256EPKfS1_KPfEviiT2_lPKT1_lilS7_lilS4_lPT3_lil
    .private_segment_fixed_size: 0
    .sgpr_count:     26
    .sgpr_spill_count: 0
    .symbol:         _ZL22rocblas_gemvtsm_kernelILb1ELi256EPKfS1_KPfEviiT2_lPKT1_lilS7_lilS4_lPT3_lil.kd
    .uniform_work_group_size: 1
    .uses_dynamic_stack: false
    .vgpr_count:     24
    .vgpr_spill_count: 0
    .wavefront_size: 32
    .workgroup_processor_mode: 1
  - .args:
      - .offset:         0
        .size:           4
        .value_kind:     by_value
      - .offset:         4
        .size:           4
        .value_kind:     by_value
      - .offset:         8
        .size:           4
        .value_kind:     by_value
      - .offset:         16
        .size:           8
        .value_kind:     by_value
      - .address_space:  global
        .offset:         24
        .size:           8
        .value_kind:     global_buffer
      - .offset:         32
        .size:           8
        .value_kind:     by_value
      - .offset:         40
        .size:           4
        .value_kind:     by_value
      - .offset:         48
        .size:           8
        .value_kind:     by_value
      - .address_space:  global
        .offset:         56
        .size:           8
        .value_kind:     global_buffer
      - .offset:         64
        .size:           8
        .value_kind:     by_value
      - .offset:         72
        .size:           4
        .value_kind:     by_value
      - .offset:         80
        .size:           8
        .value_kind:     by_value
      - .offset:         88
        .size:           4
        .value_kind:     by_value
      - .offset:         96
        .size:           8
        .value_kind:     by_value
      - .address_space:  global
        .offset:         104
        .size:           8
        .value_kind:     global_buffer
      - .offset:         112
        .size:           8
        .value_kind:     by_value
      - .offset:         120
        .size:           4
        .value_kind:     by_value
      - .offset:         128
        .size:           8
        .value_kind:     by_value
    .group_segment_fixed_size: 256
    .kernarg_segment_align: 8
    .kernarg_segment_size: 136
    .language:       OpenCL C
    .language_version:
      - 2
      - 0
    .max_flat_workgroup_size: 256
    .name:           _ZL22rocblas_gemvtsm_kernelILb1ELi256EPKffKPfEviiT2_lPKT1_lilS7_lilS4_lPT3_lil
    .private_segment_fixed_size: 0
    .sgpr_count:     26
    .sgpr_spill_count: 0
    .symbol:         _ZL22rocblas_gemvtsm_kernelILb1ELi256EPKffKPfEviiT2_lPKT1_lilS7_lilS4_lPT3_lil.kd
    .uniform_work_group_size: 1
    .uses_dynamic_stack: false
    .vgpr_count:     24
    .vgpr_spill_count: 0
    .wavefront_size: 32
    .workgroup_processor_mode: 1
  - .args:
      - .offset:         0
        .size:           4
        .value_kind:     by_value
      - .offset:         4
        .size:           4
        .value_kind:     by_value
      - .address_space:  global
        .offset:         8
        .size:           8
        .value_kind:     global_buffer
      - .offset:         16
        .size:           8
        .value_kind:     by_value
      - .address_space:  global
        .offset:         24
        .size:           8
        .value_kind:     global_buffer
      - .offset:         32
        .size:           8
        .value_kind:     by_value
      - .offset:         40
        .size:           4
        .value_kind:     by_value
      - .offset:         48
        .size:           8
        .value_kind:     by_value
      - .address_space:  global
        .offset:         56
        .size:           8
        .value_kind:     global_buffer
      - .offset:         64
        .size:           8
        .value_kind:     by_value
      - .offset:         72
        .size:           4
        .value_kind:     by_value
      - .offset:         80
        .size:           8
        .value_kind:     by_value
      - .address_space:  global
        .offset:         88
        .size:           8
        .value_kind:     global_buffer
      - .offset:         96
        .size:           4
        .value_kind:     by_value
      - .offset:         104
        .size:           4
        .value_kind:     hidden_block_count_x
      - .offset:         108
        .size:           4
        .value_kind:     hidden_block_count_y
      - .offset:         112
        .size:           4
        .value_kind:     hidden_block_count_z
      - .offset:         116
        .size:           2
        .value_kind:     hidden_group_size_x
      - .offset:         118
        .size:           2
        .value_kind:     hidden_group_size_y
      - .offset:         120
        .size:           2
        .value_kind:     hidden_group_size_z
      - .offset:         122
        .size:           2
        .value_kind:     hidden_remainder_x
      - .offset:         124
        .size:           2
        .value_kind:     hidden_remainder_y
      - .offset:         126
        .size:           2
        .value_kind:     hidden_remainder_z
      - .offset:         144
        .size:           8
        .value_kind:     hidden_global_offset_x
      - .offset:         152
        .size:           8
        .value_kind:     hidden_global_offset_y
      - .offset:         160
        .size:           8
        .value_kind:     hidden_global_offset_z
      - .offset:         168
        .size:           2
        .value_kind:     hidden_grid_dims
    .group_segment_fixed_size: 128
    .kernarg_segment_align: 8
    .kernarg_segment_size: 360
    .language:       OpenCL C
    .language_version:
      - 2
      - 0
    .max_flat_workgroup_size: 256
    .name:           _ZL23rocblas_gemvt_sn_kernelILb1ELi256ELi4EiPKfS1_fEviiT4_lPKT3_lilS5_lilPT5_i
    .private_segment_fixed_size: 0
    .sgpr_count:     46
    .sgpr_spill_count: 0
    .symbol:         _ZL23rocblas_gemvt_sn_kernelILb1ELi256ELi4EiPKfS1_fEviiT4_lPKT3_lilS5_lilPT5_i.kd
    .uniform_work_group_size: 1
    .uses_dynamic_stack: false
    .vgpr_count:     51
    .vgpr_spill_count: 0
    .wavefront_size: 32
    .workgroup_processor_mode: 1
  - .args:
      - .offset:         0
        .size:           4
        .value_kind:     by_value
      - .offset:         4
        .size:           4
        .value_kind:     by_value
      - .address_space:  global
        .offset:         8
        .size:           8
        .value_kind:     global_buffer
      - .offset:         16
        .size:           8
        .value_kind:     by_value
      - .address_space:  global
        .offset:         24
        .size:           8
        .value_kind:     global_buffer
      - .offset:         32
        .size:           8
        .value_kind:     by_value
      - .offset:         40
        .size:           4
        .value_kind:     by_value
      - .offset:         48
        .size:           8
        .value_kind:     by_value
      - .address_space:  global
        .offset:         56
        .size:           8
        .value_kind:     global_buffer
      - .offset:         64
        .size:           8
        .value_kind:     by_value
      - .offset:         72
        .size:           4
        .value_kind:     by_value
      - .offset:         80
        .size:           8
        .value_kind:     by_value
      - .address_space:  global
        .offset:         88
        .size:           8
        .value_kind:     global_buffer
      - .offset:         96
        .size:           4
        .value_kind:     by_value
      - .offset:         104
        .size:           4
        .value_kind:     hidden_block_count_x
      - .offset:         108
        .size:           4
        .value_kind:     hidden_block_count_y
      - .offset:         112
        .size:           4
        .value_kind:     hidden_block_count_z
      - .offset:         116
        .size:           2
        .value_kind:     hidden_group_size_x
      - .offset:         118
        .size:           2
        .value_kind:     hidden_group_size_y
      - .offset:         120
        .size:           2
        .value_kind:     hidden_group_size_z
      - .offset:         122
        .size:           2
        .value_kind:     hidden_remainder_x
      - .offset:         124
        .size:           2
        .value_kind:     hidden_remainder_y
      - .offset:         126
        .size:           2
        .value_kind:     hidden_remainder_z
      - .offset:         144
        .size:           8
        .value_kind:     hidden_global_offset_x
      - .offset:         152
        .size:           8
        .value_kind:     hidden_global_offset_y
      - .offset:         160
        .size:           8
        .value_kind:     hidden_global_offset_z
      - .offset:         168
        .size:           2
        .value_kind:     hidden_grid_dims
    .group_segment_fixed_size: 128
    .kernarg_segment_align: 8
    .kernarg_segment_size: 360
    .language:       OpenCL C
    .language_version:
      - 2
      - 0
    .max_flat_workgroup_size: 256
    .name:           _ZL23rocblas_gemvt_sn_kernelILb1ELi256ELi4ElPKfS1_fEviiT4_lPKT3_lilS5_lilPT5_i
    .private_segment_fixed_size: 0
    .sgpr_count:     48
    .sgpr_spill_count: 0
    .symbol:         _ZL23rocblas_gemvt_sn_kernelILb1ELi256ELi4ElPKfS1_fEviiT4_lPKT3_lilS5_lilPT5_i.kd
    .uniform_work_group_size: 1
    .uses_dynamic_stack: false
    .vgpr_count:     57
    .vgpr_spill_count: 0
    .wavefront_size: 32
    .workgroup_processor_mode: 1
  - .args:
      - .offset:         0
        .size:           4
        .value_kind:     by_value
      - .offset:         4
        .size:           4
        .value_kind:     by_value
      - .offset:         8
        .size:           4
        .value_kind:     by_value
      - .offset:         16
        .size:           8
        .value_kind:     by_value
      - .address_space:  global
        .offset:         24
        .size:           8
        .value_kind:     global_buffer
      - .offset:         32
        .size:           8
        .value_kind:     by_value
      - .offset:         40
        .size:           4
        .value_kind:     by_value
      - .offset:         48
        .size:           8
        .value_kind:     by_value
      - .address_space:  global
        .offset:         56
        .size:           8
        .value_kind:     global_buffer
      - .offset:         64
        .size:           8
        .value_kind:     by_value
      - .offset:         72
        .size:           4
        .value_kind:     by_value
      - .offset:         80
        .size:           8
        .value_kind:     by_value
      - .address_space:  global
        .offset:         88
        .size:           8
        .value_kind:     global_buffer
      - .offset:         96
        .size:           4
        .value_kind:     by_value
      - .offset:         104
        .size:           4
        .value_kind:     hidden_block_count_x
      - .offset:         108
        .size:           4
        .value_kind:     hidden_block_count_y
      - .offset:         112
        .size:           4
        .value_kind:     hidden_block_count_z
      - .offset:         116
        .size:           2
        .value_kind:     hidden_group_size_x
      - .offset:         118
        .size:           2
        .value_kind:     hidden_group_size_y
      - .offset:         120
        .size:           2
        .value_kind:     hidden_group_size_z
      - .offset:         122
        .size:           2
        .value_kind:     hidden_remainder_x
      - .offset:         124
        .size:           2
        .value_kind:     hidden_remainder_y
      - .offset:         126
        .size:           2
        .value_kind:     hidden_remainder_z
      - .offset:         144
        .size:           8
        .value_kind:     hidden_global_offset_x
      - .offset:         152
        .size:           8
        .value_kind:     hidden_global_offset_y
      - .offset:         160
        .size:           8
        .value_kind:     hidden_global_offset_z
      - .offset:         168
        .size:           2
        .value_kind:     hidden_grid_dims
    .group_segment_fixed_size: 128
    .kernarg_segment_align: 8
    .kernarg_segment_size: 360
    .language:       OpenCL C
    .language_version:
      - 2
      - 0
    .max_flat_workgroup_size: 256
    .name:           _ZL23rocblas_gemvt_sn_kernelILb1ELi256ELi4EiPKfffEviiT4_lPKT3_lilS5_lilPT5_i
    .private_segment_fixed_size: 0
    .sgpr_count:     46
    .sgpr_spill_count: 0
    .symbol:         _ZL23rocblas_gemvt_sn_kernelILb1ELi256ELi4EiPKfffEviiT4_lPKT3_lilS5_lilPT5_i.kd
    .uniform_work_group_size: 1
    .uses_dynamic_stack: false
    .vgpr_count:     51
    .vgpr_spill_count: 0
    .wavefront_size: 32
    .workgroup_processor_mode: 1
  - .args:
      - .offset:         0
        .size:           4
        .value_kind:     by_value
      - .offset:         4
        .size:           4
        .value_kind:     by_value
      - .offset:         8
        .size:           4
        .value_kind:     by_value
      - .offset:         16
        .size:           8
        .value_kind:     by_value
      - .address_space:  global
        .offset:         24
        .size:           8
        .value_kind:     global_buffer
      - .offset:         32
        .size:           8
        .value_kind:     by_value
      - .offset:         40
        .size:           4
        .value_kind:     by_value
      - .offset:         48
        .size:           8
        .value_kind:     by_value
      - .address_space:  global
        .offset:         56
        .size:           8
        .value_kind:     global_buffer
      - .offset:         64
        .size:           8
        .value_kind:     by_value
      - .offset:         72
        .size:           4
        .value_kind:     by_value
      - .offset:         80
        .size:           8
        .value_kind:     by_value
      - .address_space:  global
        .offset:         88
        .size:           8
        .value_kind:     global_buffer
      - .offset:         96
        .size:           4
        .value_kind:     by_value
      - .offset:         104
        .size:           4
        .value_kind:     hidden_block_count_x
      - .offset:         108
        .size:           4
        .value_kind:     hidden_block_count_y
      - .offset:         112
        .size:           4
        .value_kind:     hidden_block_count_z
      - .offset:         116
        .size:           2
        .value_kind:     hidden_group_size_x
      - .offset:         118
        .size:           2
        .value_kind:     hidden_group_size_y
      - .offset:         120
        .size:           2
        .value_kind:     hidden_group_size_z
      - .offset:         122
        .size:           2
        .value_kind:     hidden_remainder_x
      - .offset:         124
        .size:           2
        .value_kind:     hidden_remainder_y
      - .offset:         126
        .size:           2
        .value_kind:     hidden_remainder_z
      - .offset:         144
        .size:           8
        .value_kind:     hidden_global_offset_x
      - .offset:         152
        .size:           8
        .value_kind:     hidden_global_offset_y
      - .offset:         160
        .size:           8
        .value_kind:     hidden_global_offset_z
      - .offset:         168
        .size:           2
        .value_kind:     hidden_grid_dims
    .group_segment_fixed_size: 128
    .kernarg_segment_align: 8
    .kernarg_segment_size: 360
    .language:       OpenCL C
    .language_version:
      - 2
      - 0
    .max_flat_workgroup_size: 256
    .name:           _ZL23rocblas_gemvt_sn_kernelILb1ELi256ELi4ElPKfffEviiT4_lPKT3_lilS5_lilPT5_i
    .private_segment_fixed_size: 0
    .sgpr_count:     48
    .sgpr_spill_count: 0
    .symbol:         _ZL23rocblas_gemvt_sn_kernelILb1ELi256ELi4ElPKfffEviiT4_lPKT3_lilS5_lilPT5_i.kd
    .uniform_work_group_size: 1
    .uses_dynamic_stack: false
    .vgpr_count:     57
    .vgpr_spill_count: 0
    .wavefront_size: 32
    .workgroup_processor_mode: 1
  - .args:
      - .offset:         0
        .size:           4
        .value_kind:     by_value
      - .offset:         4
        .size:           4
        .value_kind:     by_value
      - .address_space:  global
        .offset:         8
        .size:           8
        .value_kind:     global_buffer
      - .offset:         16
        .size:           8
        .value_kind:     by_value
      - .address_space:  global
        .offset:         24
        .size:           8
        .value_kind:     global_buffer
      - .offset:         32
        .size:           8
        .value_kind:     by_value
      - .offset:         40
        .size:           4
        .value_kind:     by_value
      - .offset:         48
        .size:           8
        .value_kind:     by_value
      - .address_space:  global
        .offset:         56
        .size:           8
        .value_kind:     global_buffer
      - .offset:         64
        .size:           8
        .value_kind:     by_value
      - .offset:         72
        .size:           4
        .value_kind:     by_value
      - .offset:         80
        .size:           8
        .value_kind:     by_value
      - .address_space:  global
        .offset:         88
        .size:           8
        .value_kind:     global_buffer
      - .offset:         96
        .size:           8
        .value_kind:     by_value
      - .offset:         104
        .size:           4
        .value_kind:     by_value
      - .offset:         112
        .size:           8
        .value_kind:     by_value
      - .offset:         120
        .size:           4
        .value_kind:     by_value
      - .offset:         128
        .size:           4
        .value_kind:     hidden_block_count_x
      - .offset:         132
        .size:           4
        .value_kind:     hidden_block_count_y
      - .offset:         136
        .size:           4
        .value_kind:     hidden_block_count_z
      - .offset:         140
        .size:           2
        .value_kind:     hidden_group_size_x
      - .offset:         142
        .size:           2
        .value_kind:     hidden_group_size_y
      - .offset:         144
        .size:           2
        .value_kind:     hidden_group_size_z
      - .offset:         146
        .size:           2
        .value_kind:     hidden_remainder_x
      - .offset:         148
        .size:           2
        .value_kind:     hidden_remainder_y
      - .offset:         150
        .size:           2
        .value_kind:     hidden_remainder_z
      - .offset:         168
        .size:           8
        .value_kind:     hidden_global_offset_x
      - .offset:         176
        .size:           8
        .value_kind:     hidden_global_offset_y
      - .offset:         184
        .size:           8
        .value_kind:     hidden_global_offset_z
      - .offset:         192
        .size:           2
        .value_kind:     hidden_grid_dims
    .group_segment_fixed_size: 32768
    .kernarg_segment_align: 8
    .kernarg_segment_size: 384
    .language:       OpenCL C
    .language_version:
      - 2
      - 0
    .max_flat_workgroup_size: 1024
    .name:           _ZL36rocblas_gemvt_double_buffered_kernelILb1ELi128ELi8ELi8EPKfS1_KPfEviiT4_lPKT3_lilS7_lilPT5_lili
    .private_segment_fixed_size: 0
    .sgpr_count:     32
    .sgpr_spill_count: 0
    .symbol:         _ZL36rocblas_gemvt_double_buffered_kernelILb1ELi128ELi8ELi8EPKfS1_KPfEviiT4_lPKT3_lilS7_lilPT5_lili.kd
    .uniform_work_group_size: 1
    .uses_dynamic_stack: false
    .vgpr_count:     69
    .vgpr_spill_count: 0
    .wavefront_size: 32
    .workgroup_processor_mode: 1
  - .args:
      - .offset:         0
        .size:           4
        .value_kind:     by_value
      - .offset:         4
        .size:           4
        .value_kind:     by_value
      - .offset:         8
        .size:           4
        .value_kind:     by_value
      - .offset:         16
        .size:           8
        .value_kind:     by_value
      - .address_space:  global
        .offset:         24
        .size:           8
        .value_kind:     global_buffer
      - .offset:         32
        .size:           8
        .value_kind:     by_value
      - .offset:         40
        .size:           4
        .value_kind:     by_value
      - .offset:         48
        .size:           8
        .value_kind:     by_value
      - .address_space:  global
        .offset:         56
        .size:           8
        .value_kind:     global_buffer
      - .offset:         64
        .size:           8
        .value_kind:     by_value
      - .offset:         72
        .size:           4
        .value_kind:     by_value
      - .offset:         80
        .size:           8
        .value_kind:     by_value
      - .address_space:  global
        .offset:         88
        .size:           8
        .value_kind:     global_buffer
      - .offset:         96
        .size:           8
        .value_kind:     by_value
      - .offset:         104
        .size:           4
        .value_kind:     by_value
      - .offset:         112
        .size:           8
        .value_kind:     by_value
      - .offset:         120
        .size:           4
        .value_kind:     by_value
      - .offset:         128
        .size:           4
        .value_kind:     hidden_block_count_x
      - .offset:         132
        .size:           4
        .value_kind:     hidden_block_count_y
      - .offset:         136
        .size:           4
        .value_kind:     hidden_block_count_z
      - .offset:         140
        .size:           2
        .value_kind:     hidden_group_size_x
      - .offset:         142
        .size:           2
        .value_kind:     hidden_group_size_y
      - .offset:         144
        .size:           2
        .value_kind:     hidden_group_size_z
      - .offset:         146
        .size:           2
        .value_kind:     hidden_remainder_x
      - .offset:         148
        .size:           2
        .value_kind:     hidden_remainder_y
      - .offset:         150
        .size:           2
        .value_kind:     hidden_remainder_z
      - .offset:         168
        .size:           8
        .value_kind:     hidden_global_offset_x
      - .offset:         176
        .size:           8
        .value_kind:     hidden_global_offset_y
      - .offset:         184
        .size:           8
        .value_kind:     hidden_global_offset_z
      - .offset:         192
        .size:           2
        .value_kind:     hidden_grid_dims
    .group_segment_fixed_size: 32768
    .kernarg_segment_align: 8
    .kernarg_segment_size: 384
    .language:       OpenCL C
    .language_version:
      - 2
      - 0
    .max_flat_workgroup_size: 1024
    .name:           _ZL36rocblas_gemvt_double_buffered_kernelILb1ELi128ELi8ELi8EPKffKPfEviiT4_lPKT3_lilS7_lilPT5_lili
    .private_segment_fixed_size: 0
    .sgpr_count:     34
    .sgpr_spill_count: 0
    .symbol:         _ZL36rocblas_gemvt_double_buffered_kernelILb1ELi128ELi8ELi8EPKffKPfEviiT4_lPKT3_lilS7_lilPT5_lili.kd
    .uniform_work_group_size: 1
    .uses_dynamic_stack: false
    .vgpr_count:     69
    .vgpr_spill_count: 0
    .wavefront_size: 32
    .workgroup_processor_mode: 1
  - .args:
      - .offset:         0
        .size:           4
        .value_kind:     by_value
      - .offset:         4
        .size:           4
        .value_kind:     by_value
      - .address_space:  global
        .offset:         8
        .size:           8
        .value_kind:     global_buffer
      - .offset:         16
        .size:           8
        .value_kind:     by_value
      - .address_space:  global
        .offset:         24
        .size:           8
        .value_kind:     global_buffer
      - .offset:         32
        .size:           8
        .value_kind:     by_value
      - .offset:         40
        .size:           4
        .value_kind:     by_value
      - .offset:         48
        .size:           8
        .value_kind:     by_value
      - .address_space:  global
        .offset:         56
        .size:           8
        .value_kind:     global_buffer
      - .offset:         64
        .size:           8
        .value_kind:     by_value
      - .offset:         72
        .size:           4
        .value_kind:     by_value
      - .offset:         80
        .size:           8
        .value_kind:     by_value
      - .address_space:  global
        .offset:         88
        .size:           8
        .value_kind:     global_buffer
      - .offset:         96
        .size:           8
        .value_kind:     by_value
      - .address_space:  global
        .offset:         104
        .size:           8
        .value_kind:     global_buffer
      - .offset:         112
        .size:           8
        .value_kind:     by_value
      - .offset:         120
        .size:           4
        .value_kind:     by_value
      - .offset:         128
        .size:           8
        .value_kind:     by_value
      - .offset:         136
        .size:           4
        .value_kind:     by_value
    .group_segment_fixed_size: 1024
    .kernarg_segment_align: 8
    .kernarg_segment_size: 140
    .language:       OpenCL C
    .language_version:
      - 2
      - 0
    .max_flat_workgroup_size: 256
    .name:           _ZL20rocblas_gemvt_kernelILb1ELi256EPKfS1_KPfEviiT2_lPKT1_lilS7_lilS4_lPT3_lili
    .private_segment_fixed_size: 0
    .sgpr_count:     26
    .sgpr_spill_count: 0
    .symbol:         _ZL20rocblas_gemvt_kernelILb1ELi256EPKfS1_KPfEviiT2_lPKT1_lilS7_lilS4_lPT3_lili.kd
    .uniform_work_group_size: 1
    .uses_dynamic_stack: false
    .vgpr_count:     10
    .vgpr_spill_count: 0
    .wavefront_size: 32
    .workgroup_processor_mode: 1
  - .args:
      - .offset:         0
        .size:           4
        .value_kind:     by_value
      - .offset:         4
        .size:           4
        .value_kind:     by_value
      - .offset:         8
        .size:           4
        .value_kind:     by_value
      - .offset:         16
        .size:           8
        .value_kind:     by_value
      - .address_space:  global
        .offset:         24
        .size:           8
        .value_kind:     global_buffer
      - .offset:         32
        .size:           8
        .value_kind:     by_value
      - .offset:         40
        .size:           4
        .value_kind:     by_value
      - .offset:         48
        .size:           8
        .value_kind:     by_value
      - .address_space:  global
        .offset:         56
        .size:           8
        .value_kind:     global_buffer
      - .offset:         64
        .size:           8
        .value_kind:     by_value
      - .offset:         72
        .size:           4
        .value_kind:     by_value
      - .offset:         80
        .size:           8
        .value_kind:     by_value
      - .offset:         88
        .size:           4
        .value_kind:     by_value
      - .offset:         96
        .size:           8
        .value_kind:     by_value
      - .address_space:  global
        .offset:         104
        .size:           8
        .value_kind:     global_buffer
      - .offset:         112
        .size:           8
        .value_kind:     by_value
      - .offset:         120
        .size:           4
        .value_kind:     by_value
      - .offset:         128
        .size:           8
        .value_kind:     by_value
      - .offset:         136
        .size:           4
        .value_kind:     by_value
    .group_segment_fixed_size: 1024
    .kernarg_segment_align: 8
    .kernarg_segment_size: 140
    .language:       OpenCL C
    .language_version:
      - 2
      - 0
    .max_flat_workgroup_size: 256
    .name:           _ZL20rocblas_gemvt_kernelILb1ELi256EPKffKPfEviiT2_lPKT1_lilS7_lilS4_lPT3_lili
    .private_segment_fixed_size: 0
    .sgpr_count:     26
    .sgpr_spill_count: 0
    .symbol:         _ZL20rocblas_gemvt_kernelILb1ELi256EPKffKPfEviiT2_lPKT1_lilS7_lilS4_lPT3_lili.kd
    .uniform_work_group_size: 1
    .uses_dynamic_stack: false
    .vgpr_count:     10
    .vgpr_spill_count: 0
    .wavefront_size: 32
    .workgroup_processor_mode: 1
  - .args:
      - .offset:         0
        .size:           4
        .value_kind:     by_value
      - .offset:         4
        .size:           4
        .value_kind:     by_value
      - .address_space:  global
        .offset:         8
        .size:           8
        .value_kind:     global_buffer
      - .offset:         16
        .size:           8
        .value_kind:     by_value
      - .address_space:  global
        .offset:         24
        .size:           8
        .value_kind:     global_buffer
      - .offset:         32
        .size:           8
        .value_kind:     by_value
      - .offset:         40
        .size:           4
        .value_kind:     by_value
      - .offset:         48
        .size:           8
        .value_kind:     by_value
      - .address_space:  global
        .offset:         56
        .size:           8
        .value_kind:     global_buffer
      - .offset:         64
        .size:           8
        .value_kind:     by_value
      - .offset:         72
        .size:           4
        .value_kind:     by_value
      - .offset:         80
        .size:           8
        .value_kind:     by_value
      - .address_space:  global
        .offset:         88
        .size:           8
        .value_kind:     global_buffer
      - .offset:         96
        .size:           8
        .value_kind:     by_value
      - .address_space:  global
        .offset:         104
        .size:           8
        .value_kind:     global_buffer
      - .offset:         112
        .size:           8
        .value_kind:     by_value
      - .offset:         120
        .size:           4
        .value_kind:     by_value
      - .offset:         128
        .size:           8
        .value_kind:     by_value
      - .offset:         136
        .size:           4
        .value_kind:     by_value
    .group_segment_fixed_size: 128
    .kernarg_segment_align: 8
    .kernarg_segment_size: 140
    .language:       OpenCL C
    .language_version:
      - 2
      - 0
    .max_flat_workgroup_size: 1024
    .name:           _ZL32rocblas_gemvt_warp_reduce_kernelILb1ELi1024EiPKfS1_KPfEviiT3_lPKT2_lT1_lS7_lS8_lS4_lPT4_lS8_li
    .private_segment_fixed_size: 0
    .sgpr_count:     26
    .sgpr_spill_count: 0
    .symbol:         _ZL32rocblas_gemvt_warp_reduce_kernelILb1ELi1024EiPKfS1_KPfEviiT3_lPKT2_lT1_lS7_lS8_lS4_lPT4_lS8_li.kd
    .uniform_work_group_size: 1
    .uses_dynamic_stack: false
    .vgpr_count:     11
    .vgpr_spill_count: 0
    .wavefront_size: 32
    .workgroup_processor_mode: 1
  - .args:
      - .offset:         0
        .size:           4
        .value_kind:     by_value
      - .offset:         4
        .size:           4
        .value_kind:     by_value
      - .address_space:  global
        .offset:         8
        .size:           8
        .value_kind:     global_buffer
      - .offset:         16
        .size:           8
        .value_kind:     by_value
      - .address_space:  global
        .offset:         24
        .size:           8
        .value_kind:     global_buffer
      - .offset:         32
        .size:           8
        .value_kind:     by_value
      - .offset:         40
        .size:           8
        .value_kind:     by_value
      - .offset:         48
        .size:           8
        .value_kind:     by_value
      - .address_space:  global
        .offset:         56
        .size:           8
        .value_kind:     global_buffer
      - .offset:         64
        .size:           8
        .value_kind:     by_value
      - .offset:         72
        .size:           8
        .value_kind:     by_value
      - .offset:         80
        .size:           8
        .value_kind:     by_value
      - .address_space:  global
        .offset:         88
        .size:           8
        .value_kind:     global_buffer
      - .offset:         96
        .size:           8
        .value_kind:     by_value
      - .address_space:  global
        .offset:         104
        .size:           8
        .value_kind:     global_buffer
      - .offset:         112
        .size:           8
        .value_kind:     by_value
      - .offset:         120
        .size:           8
        .value_kind:     by_value
      - .offset:         128
        .size:           8
        .value_kind:     by_value
      - .offset:         136
        .size:           4
        .value_kind:     by_value
    .group_segment_fixed_size: 128
    .kernarg_segment_align: 8
    .kernarg_segment_size: 140
    .language:       OpenCL C
    .language_version:
      - 2
      - 0
    .max_flat_workgroup_size: 1024
    .name:           _ZL32rocblas_gemvt_warp_reduce_kernelILb1ELi1024ElPKfS1_KPfEviiT3_lPKT2_lT1_lS7_lS8_lS4_lPT4_lS8_li
    .private_segment_fixed_size: 0
    .sgpr_count:     33
    .sgpr_spill_count: 0
    .symbol:         _ZL32rocblas_gemvt_warp_reduce_kernelILb1ELi1024ElPKfS1_KPfEviiT3_lPKT2_lT1_lS7_lS8_lS4_lPT4_lS8_li.kd
    .uniform_work_group_size: 1
    .uses_dynamic_stack: false
    .vgpr_count:     11
    .vgpr_spill_count: 0
    .wavefront_size: 32
    .workgroup_processor_mode: 1
  - .args:
      - .offset:         0
        .size:           4
        .value_kind:     by_value
      - .offset:         4
        .size:           4
        .value_kind:     by_value
      - .offset:         8
        .size:           4
        .value_kind:     by_value
      - .offset:         16
        .size:           8
        .value_kind:     by_value
      - .address_space:  global
        .offset:         24
        .size:           8
        .value_kind:     global_buffer
      - .offset:         32
        .size:           8
        .value_kind:     by_value
      - .offset:         40
        .size:           4
        .value_kind:     by_value
      - .offset:         48
        .size:           8
        .value_kind:     by_value
      - .address_space:  global
        .offset:         56
        .size:           8
        .value_kind:     global_buffer
      - .offset:         64
        .size:           8
        .value_kind:     by_value
      - .offset:         72
        .size:           4
        .value_kind:     by_value
      - .offset:         80
        .size:           8
        .value_kind:     by_value
      - .offset:         88
        .size:           4
        .value_kind:     by_value
      - .offset:         96
        .size:           8
        .value_kind:     by_value
      - .address_space:  global
        .offset:         104
        .size:           8
        .value_kind:     global_buffer
      - .offset:         112
        .size:           8
        .value_kind:     by_value
      - .offset:         120
        .size:           4
        .value_kind:     by_value
      - .offset:         128
        .size:           8
        .value_kind:     by_value
      - .offset:         136
        .size:           4
        .value_kind:     by_value
    .group_segment_fixed_size: 128
    .kernarg_segment_align: 8
    .kernarg_segment_size: 140
    .language:       OpenCL C
    .language_version:
      - 2
      - 0
    .max_flat_workgroup_size: 1024
    .name:           _ZL32rocblas_gemvt_warp_reduce_kernelILb1ELi1024EiPKffKPfEviiT3_lPKT2_lT1_lS7_lS8_lS4_lPT4_lS8_li
    .private_segment_fixed_size: 0
    .sgpr_count:     22
    .sgpr_spill_count: 0
    .symbol:         _ZL32rocblas_gemvt_warp_reduce_kernelILb1ELi1024EiPKffKPfEviiT3_lPKT2_lT1_lS7_lS8_lS4_lPT4_lS8_li.kd
    .uniform_work_group_size: 1
    .uses_dynamic_stack: false
    .vgpr_count:     11
    .vgpr_spill_count: 0
    .wavefront_size: 32
    .workgroup_processor_mode: 1
  - .args:
      - .offset:         0
        .size:           4
        .value_kind:     by_value
      - .offset:         4
        .size:           4
        .value_kind:     by_value
      - .offset:         8
        .size:           4
        .value_kind:     by_value
      - .offset:         16
        .size:           8
        .value_kind:     by_value
      - .address_space:  global
        .offset:         24
        .size:           8
        .value_kind:     global_buffer
      - .offset:         32
        .size:           8
        .value_kind:     by_value
      - .offset:         40
        .size:           8
        .value_kind:     by_value
      - .offset:         48
        .size:           8
        .value_kind:     by_value
      - .address_space:  global
        .offset:         56
        .size:           8
        .value_kind:     global_buffer
      - .offset:         64
        .size:           8
        .value_kind:     by_value
      - .offset:         72
        .size:           8
        .value_kind:     by_value
      - .offset:         80
        .size:           8
        .value_kind:     by_value
      - .offset:         88
        .size:           4
        .value_kind:     by_value
      - .offset:         96
        .size:           8
        .value_kind:     by_value
      - .address_space:  global
        .offset:         104
        .size:           8
        .value_kind:     global_buffer
      - .offset:         112
        .size:           8
        .value_kind:     by_value
      - .offset:         120
        .size:           8
        .value_kind:     by_value
      - .offset:         128
        .size:           8
        .value_kind:     by_value
      - .offset:         136
        .size:           4
        .value_kind:     by_value
    .group_segment_fixed_size: 128
    .kernarg_segment_align: 8
    .kernarg_segment_size: 140
    .language:       OpenCL C
    .language_version:
      - 2
      - 0
    .max_flat_workgroup_size: 1024
    .name:           _ZL32rocblas_gemvt_warp_reduce_kernelILb1ELi1024ElPKffKPfEviiT3_lPKT2_lT1_lS7_lS8_lS4_lPT4_lS8_li
    .private_segment_fixed_size: 0
    .sgpr_count:     30
    .sgpr_spill_count: 0
    .symbol:         _ZL32rocblas_gemvt_warp_reduce_kernelILb1ELi1024ElPKffKPfEviiT3_lPKT2_lT1_lS7_lS8_lS4_lPT4_lS8_li.kd
    .uniform_work_group_size: 1
    .uses_dynamic_stack: false
    .vgpr_count:     11
    .vgpr_spill_count: 0
    .wavefront_size: 32
    .workgroup_processor_mode: 1
  - .args:
      - .offset:         0
        .size:           4
        .value_kind:     by_value
      - .offset:         4
        .size:           4
        .value_kind:     by_value
      - .address_space:  global
        .offset:         8
        .size:           8
        .value_kind:     global_buffer
      - .offset:         16
        .size:           8
        .value_kind:     by_value
      - .address_space:  global
        .offset:         24
        .size:           8
        .value_kind:     global_buffer
      - .offset:         32
        .size:           8
        .value_kind:     by_value
      - .offset:         40
        .size:           4
        .value_kind:     by_value
      - .offset:         48
        .size:           8
        .value_kind:     by_value
      - .address_space:  global
        .offset:         56
        .size:           8
        .value_kind:     global_buffer
      - .offset:         64
        .size:           8
        .value_kind:     by_value
      - .offset:         72
        .size:           4
        .value_kind:     by_value
      - .offset:         80
        .size:           8
        .value_kind:     by_value
      - .address_space:  global
        .offset:         88
        .size:           8
        .value_kind:     global_buffer
      - .offset:         96
        .size:           8
        .value_kind:     by_value
      - .address_space:  global
        .offset:         104
        .size:           8
        .value_kind:     global_buffer
      - .offset:         112
        .size:           8
        .value_kind:     by_value
      - .offset:         120
        .size:           4
        .value_kind:     by_value
      - .offset:         128
        .size:           8
        .value_kind:     by_value
      - .offset:         136
        .size:           4
        .value_kind:     by_value
    .group_segment_fixed_size: 0
    .kernarg_segment_align: 8
    .kernarg_segment_size: 140
    .language:       OpenCL C
    .language_version:
      - 2
      - 0
    .max_flat_workgroup_size: 768
    .name:           _ZL34rocblas_gemvn_sm_mn_batched_kernelILi32ELi24EPKdS1_KPdEviiT2_lPKT1_lilS7_lilS4_lPT3_lili
    .private_segment_fixed_size: 0
    .sgpr_count:     0
    .sgpr_spill_count: 0
    .symbol:         _ZL34rocblas_gemvn_sm_mn_batched_kernelILi32ELi24EPKdS1_KPdEviiT2_lPKT1_lilS7_lilS4_lPT3_lili.kd
    .uniform_work_group_size: 1
    .uses_dynamic_stack: false
    .vgpr_count:     0
    .vgpr_spill_count: 0
    .wavefront_size: 32
    .workgroup_processor_mode: 1
  - .args:
      - .offset:         0
        .size:           4
        .value_kind:     by_value
      - .offset:         4
        .size:           4
        .value_kind:     by_value
      - .offset:         8
        .size:           8
        .value_kind:     by_value
      - .offset:         16
        .size:           8
        .value_kind:     by_value
      - .address_space:  global
        .offset:         24
        .size:           8
        .value_kind:     global_buffer
      - .offset:         32
        .size:           8
        .value_kind:     by_value
      - .offset:         40
        .size:           4
        .value_kind:     by_value
      - .offset:         48
        .size:           8
        .value_kind:     by_value
      - .address_space:  global
        .offset:         56
        .size:           8
        .value_kind:     global_buffer
      - .offset:         64
        .size:           8
        .value_kind:     by_value
      - .offset:         72
        .size:           4
        .value_kind:     by_value
      - .offset:         80
        .size:           8
        .value_kind:     by_value
      - .offset:         88
        .size:           8
        .value_kind:     by_value
      - .offset:         96
        .size:           8
        .value_kind:     by_value
      - .address_space:  global
        .offset:         104
        .size:           8
        .value_kind:     global_buffer
      - .offset:         112
        .size:           8
        .value_kind:     by_value
      - .offset:         120
        .size:           4
        .value_kind:     by_value
      - .offset:         128
        .size:           8
        .value_kind:     by_value
      - .offset:         136
        .size:           4
        .value_kind:     by_value
    .group_segment_fixed_size: 0
    .kernarg_segment_align: 8
    .kernarg_segment_size: 140
    .language:       OpenCL C
    .language_version:
      - 2
      - 0
    .max_flat_workgroup_size: 768
    .name:           _ZL34rocblas_gemvn_sm_mn_batched_kernelILi32ELi24EPKddKPdEviiT2_lPKT1_lilS7_lilS4_lPT3_lili
    .private_segment_fixed_size: 0
    .sgpr_count:     0
    .sgpr_spill_count: 0
    .symbol:         _ZL34rocblas_gemvn_sm_mn_batched_kernelILi32ELi24EPKddKPdEviiT2_lPKT1_lilS7_lilS4_lPT3_lili.kd
    .uniform_work_group_size: 1
    .uses_dynamic_stack: false
    .vgpr_count:     0
    .vgpr_spill_count: 0
    .wavefront_size: 32
    .workgroup_processor_mode: 1
  - .args:
      - .offset:         0
        .size:           4
        .value_kind:     by_value
      - .offset:         4
        .size:           4
        .value_kind:     by_value
      - .address_space:  global
        .offset:         8
        .size:           8
        .value_kind:     global_buffer
      - .offset:         16
        .size:           8
        .value_kind:     by_value
      - .address_space:  global
        .offset:         24
        .size:           8
        .value_kind:     global_buffer
      - .offset:         32
        .size:           8
        .value_kind:     by_value
      - .offset:         40
        .size:           4
        .value_kind:     by_value
      - .offset:         48
        .size:           8
        .value_kind:     by_value
      - .address_space:  global
        .offset:         56
        .size:           8
        .value_kind:     global_buffer
      - .offset:         64
        .size:           8
        .value_kind:     by_value
      - .offset:         72
        .size:           4
        .value_kind:     by_value
      - .offset:         80
        .size:           8
        .value_kind:     by_value
      - .address_space:  global
        .offset:         88
        .size:           8
        .value_kind:     global_buffer
      - .offset:         96
        .size:           8
        .value_kind:     by_value
      - .address_space:  global
        .offset:         104
        .size:           8
        .value_kind:     global_buffer
      - .offset:         112
        .size:           8
        .value_kind:     by_value
      - .offset:         120
        .size:           4
        .value_kind:     by_value
      - .offset:         128
        .size:           8
        .value_kind:     by_value
      - .offset:         136
        .size:           4
        .value_kind:     by_value
      - .offset:         144
        .size:           4
        .value_kind:     hidden_block_count_x
      - .offset:         148
        .size:           4
        .value_kind:     hidden_block_count_y
      - .offset:         152
        .size:           4
        .value_kind:     hidden_block_count_z
      - .offset:         156
        .size:           2
        .value_kind:     hidden_group_size_x
      - .offset:         158
        .size:           2
        .value_kind:     hidden_group_size_y
      - .offset:         160
        .size:           2
        .value_kind:     hidden_group_size_z
      - .offset:         162
        .size:           2
        .value_kind:     hidden_remainder_x
      - .offset:         164
        .size:           2
        .value_kind:     hidden_remainder_y
      - .offset:         166
        .size:           2
        .value_kind:     hidden_remainder_z
      - .offset:         184
        .size:           8
        .value_kind:     hidden_global_offset_x
      - .offset:         192
        .size:           8
        .value_kind:     hidden_global_offset_y
      - .offset:         200
        .size:           8
        .value_kind:     hidden_global_offset_z
      - .offset:         208
        .size:           2
        .value_kind:     hidden_grid_dims
    .group_segment_fixed_size: 8192
    .kernarg_segment_align: 8
    .kernarg_segment_size: 400
    .language:       OpenCL C
    .language_version:
      - 2
      - 0
    .max_flat_workgroup_size: 256
    .name:           _ZL20rocblas_gemvn_kernelILi64ELi4EiPKdS1_KPdEviiT3_lPKT2_lT1_lS7_lS8_lS4_lPT4_lS8_li
    .private_segment_fixed_size: 0
    .sgpr_count:     32
    .sgpr_spill_count: 0
    .symbol:         _ZL20rocblas_gemvn_kernelILi64ELi4EiPKdS1_KPdEviiT3_lPKT2_lT1_lS7_lS8_lS4_lPT4_lS8_li.kd
    .uniform_work_group_size: 1
    .uses_dynamic_stack: false
    .vgpr_count:     62
    .vgpr_spill_count: 0
    .wavefront_size: 32
    .workgroup_processor_mode: 1
  - .args:
      - .offset:         0
        .size:           4
        .value_kind:     by_value
      - .offset:         4
        .size:           4
        .value_kind:     by_value
      - .address_space:  global
        .offset:         8
        .size:           8
        .value_kind:     global_buffer
      - .offset:         16
        .size:           8
        .value_kind:     by_value
      - .address_space:  global
        .offset:         24
        .size:           8
        .value_kind:     global_buffer
      - .offset:         32
        .size:           8
        .value_kind:     by_value
      - .offset:         40
        .size:           8
        .value_kind:     by_value
      - .offset:         48
        .size:           8
        .value_kind:     by_value
      - .address_space:  global
        .offset:         56
        .size:           8
        .value_kind:     global_buffer
      - .offset:         64
        .size:           8
        .value_kind:     by_value
      - .offset:         72
        .size:           8
        .value_kind:     by_value
      - .offset:         80
        .size:           8
        .value_kind:     by_value
      - .address_space:  global
        .offset:         88
        .size:           8
        .value_kind:     global_buffer
      - .offset:         96
        .size:           8
        .value_kind:     by_value
      - .address_space:  global
        .offset:         104
        .size:           8
        .value_kind:     global_buffer
      - .offset:         112
        .size:           8
        .value_kind:     by_value
      - .offset:         120
        .size:           8
        .value_kind:     by_value
      - .offset:         128
        .size:           8
        .value_kind:     by_value
      - .offset:         136
        .size:           4
        .value_kind:     by_value
      - .offset:         144
        .size:           4
        .value_kind:     hidden_block_count_x
      - .offset:         148
        .size:           4
        .value_kind:     hidden_block_count_y
      - .offset:         152
        .size:           4
        .value_kind:     hidden_block_count_z
      - .offset:         156
        .size:           2
        .value_kind:     hidden_group_size_x
      - .offset:         158
        .size:           2
        .value_kind:     hidden_group_size_y
      - .offset:         160
        .size:           2
        .value_kind:     hidden_group_size_z
      - .offset:         162
        .size:           2
        .value_kind:     hidden_remainder_x
      - .offset:         164
        .size:           2
        .value_kind:     hidden_remainder_y
      - .offset:         166
        .size:           2
        .value_kind:     hidden_remainder_z
      - .offset:         184
        .size:           8
        .value_kind:     hidden_global_offset_x
      - .offset:         192
        .size:           8
        .value_kind:     hidden_global_offset_y
      - .offset:         200
        .size:           8
        .value_kind:     hidden_global_offset_z
      - .offset:         208
        .size:           2
        .value_kind:     hidden_grid_dims
    .group_segment_fixed_size: 8192
    .kernarg_segment_align: 8
    .kernarg_segment_size: 400
    .language:       OpenCL C
    .language_version:
      - 2
      - 0
    .max_flat_workgroup_size: 256
    .name:           _ZL20rocblas_gemvn_kernelILi64ELi4ElPKdS1_KPdEviiT3_lPKT2_lT1_lS7_lS8_lS4_lPT4_lS8_li
    .private_segment_fixed_size: 0
    .sgpr_count:     39
    .sgpr_spill_count: 0
    .symbol:         _ZL20rocblas_gemvn_kernelILi64ELi4ElPKdS1_KPdEviiT3_lPKT2_lT1_lS7_lS8_lS4_lPT4_lS8_li.kd
    .uniform_work_group_size: 1
    .uses_dynamic_stack: false
    .vgpr_count:     72
    .vgpr_spill_count: 0
    .wavefront_size: 32
    .workgroup_processor_mode: 1
  - .args:
      - .offset:         0
        .size:           4
        .value_kind:     by_value
      - .offset:         4
        .size:           4
        .value_kind:     by_value
      - .offset:         8
        .size:           8
        .value_kind:     by_value
      - .offset:         16
        .size:           8
        .value_kind:     by_value
      - .address_space:  global
        .offset:         24
        .size:           8
        .value_kind:     global_buffer
      - .offset:         32
        .size:           8
        .value_kind:     by_value
      - .offset:         40
        .size:           4
        .value_kind:     by_value
      - .offset:         48
        .size:           8
        .value_kind:     by_value
      - .address_space:  global
        .offset:         56
        .size:           8
        .value_kind:     global_buffer
      - .offset:         64
        .size:           8
        .value_kind:     by_value
      - .offset:         72
        .size:           4
        .value_kind:     by_value
      - .offset:         80
        .size:           8
        .value_kind:     by_value
      - .offset:         88
        .size:           8
        .value_kind:     by_value
      - .offset:         96
        .size:           8
        .value_kind:     by_value
      - .address_space:  global
        .offset:         104
        .size:           8
        .value_kind:     global_buffer
      - .offset:         112
        .size:           8
        .value_kind:     by_value
      - .offset:         120
        .size:           4
        .value_kind:     by_value
      - .offset:         128
        .size:           8
        .value_kind:     by_value
      - .offset:         136
        .size:           4
        .value_kind:     by_value
      - .offset:         144
        .size:           4
        .value_kind:     hidden_block_count_x
      - .offset:         148
        .size:           4
        .value_kind:     hidden_block_count_y
      - .offset:         152
        .size:           4
        .value_kind:     hidden_block_count_z
      - .offset:         156
        .size:           2
        .value_kind:     hidden_group_size_x
      - .offset:         158
        .size:           2
        .value_kind:     hidden_group_size_y
      - .offset:         160
        .size:           2
        .value_kind:     hidden_group_size_z
      - .offset:         162
        .size:           2
        .value_kind:     hidden_remainder_x
      - .offset:         164
        .size:           2
        .value_kind:     hidden_remainder_y
      - .offset:         166
        .size:           2
        .value_kind:     hidden_remainder_z
      - .offset:         184
        .size:           8
        .value_kind:     hidden_global_offset_x
      - .offset:         192
        .size:           8
        .value_kind:     hidden_global_offset_y
      - .offset:         200
        .size:           8
        .value_kind:     hidden_global_offset_z
      - .offset:         208
        .size:           2
        .value_kind:     hidden_grid_dims
    .group_segment_fixed_size: 8192
    .kernarg_segment_align: 8
    .kernarg_segment_size: 400
    .language:       OpenCL C
    .language_version:
      - 2
      - 0
    .max_flat_workgroup_size: 256
    .name:           _ZL20rocblas_gemvn_kernelILi64ELi4EiPKddKPdEviiT3_lPKT2_lT1_lS7_lS8_lS4_lPT4_lS8_li
    .private_segment_fixed_size: 0
    .sgpr_count:     32
    .sgpr_spill_count: 0
    .symbol:         _ZL20rocblas_gemvn_kernelILi64ELi4EiPKddKPdEviiT3_lPKT2_lT1_lS7_lS8_lS4_lPT4_lS8_li.kd
    .uniform_work_group_size: 1
    .uses_dynamic_stack: false
    .vgpr_count:     62
    .vgpr_spill_count: 0
    .wavefront_size: 32
    .workgroup_processor_mode: 1
  - .args:
      - .offset:         0
        .size:           4
        .value_kind:     by_value
      - .offset:         4
        .size:           4
        .value_kind:     by_value
      - .offset:         8
        .size:           8
        .value_kind:     by_value
      - .offset:         16
        .size:           8
        .value_kind:     by_value
      - .address_space:  global
        .offset:         24
        .size:           8
        .value_kind:     global_buffer
      - .offset:         32
        .size:           8
        .value_kind:     by_value
      - .offset:         40
        .size:           8
        .value_kind:     by_value
      - .offset:         48
        .size:           8
        .value_kind:     by_value
      - .address_space:  global
        .offset:         56
        .size:           8
        .value_kind:     global_buffer
      - .offset:         64
        .size:           8
        .value_kind:     by_value
      - .offset:         72
        .size:           8
        .value_kind:     by_value
      - .offset:         80
        .size:           8
        .value_kind:     by_value
      - .offset:         88
        .size:           8
        .value_kind:     by_value
      - .offset:         96
        .size:           8
        .value_kind:     by_value
      - .address_space:  global
        .offset:         104
        .size:           8
        .value_kind:     global_buffer
      - .offset:         112
        .size:           8
        .value_kind:     by_value
      - .offset:         120
        .size:           8
        .value_kind:     by_value
      - .offset:         128
        .size:           8
        .value_kind:     by_value
      - .offset:         136
        .size:           4
        .value_kind:     by_value
      - .offset:         144
        .size:           4
        .value_kind:     hidden_block_count_x
      - .offset:         148
        .size:           4
        .value_kind:     hidden_block_count_y
      - .offset:         152
        .size:           4
        .value_kind:     hidden_block_count_z
      - .offset:         156
        .size:           2
        .value_kind:     hidden_group_size_x
      - .offset:         158
        .size:           2
        .value_kind:     hidden_group_size_y
      - .offset:         160
        .size:           2
        .value_kind:     hidden_group_size_z
      - .offset:         162
        .size:           2
        .value_kind:     hidden_remainder_x
      - .offset:         164
        .size:           2
        .value_kind:     hidden_remainder_y
      - .offset:         166
        .size:           2
        .value_kind:     hidden_remainder_z
      - .offset:         184
        .size:           8
        .value_kind:     hidden_global_offset_x
      - .offset:         192
        .size:           8
        .value_kind:     hidden_global_offset_y
      - .offset:         200
        .size:           8
        .value_kind:     hidden_global_offset_z
      - .offset:         208
        .size:           2
        .value_kind:     hidden_grid_dims
    .group_segment_fixed_size: 8192
    .kernarg_segment_align: 8
    .kernarg_segment_size: 400
    .language:       OpenCL C
    .language_version:
      - 2
      - 0
    .max_flat_workgroup_size: 256
    .name:           _ZL20rocblas_gemvn_kernelILi64ELi4ElPKddKPdEviiT3_lPKT2_lT1_lS7_lS8_lS4_lPT4_lS8_li
    .private_segment_fixed_size: 0
    .sgpr_count:     39
    .sgpr_spill_count: 0
    .symbol:         _ZL20rocblas_gemvn_kernelILi64ELi4ElPKddKPdEviiT3_lPKT2_lT1_lS7_lS8_lS4_lPT4_lS8_li.kd
    .uniform_work_group_size: 1
    .uses_dynamic_stack: false
    .vgpr_count:     72
    .vgpr_spill_count: 0
    .wavefront_size: 32
    .workgroup_processor_mode: 1
  - .args:
      - .offset:         0
        .size:           4
        .value_kind:     by_value
      - .address_space:  global
        .offset:         8
        .size:           8
        .value_kind:     global_buffer
      - .offset:         16
        .size:           8
        .value_kind:     by_value
      - .address_space:  global
        .offset:         24
        .size:           8
        .value_kind:     global_buffer
      - .offset:         32
        .size:           8
        .value_kind:     by_value
      - .offset:         40
        .size:           4
        .value_kind:     by_value
      - .offset:         48
        .size:           8
        .value_kind:     by_value
      - .offset:         56
        .size:           4
        .value_kind:     by_value
      - .offset:         64
        .size:           4
        .value_kind:     hidden_block_count_x
      - .offset:         68
        .size:           4
        .value_kind:     hidden_block_count_y
      - .offset:         72
        .size:           4
        .value_kind:     hidden_block_count_z
      - .offset:         76
        .size:           2
        .value_kind:     hidden_group_size_x
      - .offset:         78
        .size:           2
        .value_kind:     hidden_group_size_y
      - .offset:         80
        .size:           2
        .value_kind:     hidden_group_size_z
      - .offset:         82
        .size:           2
        .value_kind:     hidden_remainder_x
      - .offset:         84
        .size:           2
        .value_kind:     hidden_remainder_y
      - .offset:         86
        .size:           2
        .value_kind:     hidden_remainder_z
      - .offset:         104
        .size:           8
        .value_kind:     hidden_global_offset_x
      - .offset:         112
        .size:           8
        .value_kind:     hidden_global_offset_y
      - .offset:         120
        .size:           8
        .value_kind:     hidden_global_offset_z
      - .offset:         128
        .size:           2
        .value_kind:     hidden_grid_dims
    .group_segment_fixed_size: 0
    .kernarg_segment_align: 8
    .kernarg_segment_size: 320
    .language:       OpenCL C
    .language_version:
      - 2
      - 0
    .max_flat_workgroup_size: 256
    .name:           _ZL24rocblas_gemv_scal_kernelILi256EPKdPKPdEviT0_lT1_lili
    .private_segment_fixed_size: 0
    .sgpr_count:     18
    .sgpr_spill_count: 0
    .symbol:         _ZL24rocblas_gemv_scal_kernelILi256EPKdPKPdEviT0_lT1_lili.kd
    .uniform_work_group_size: 1
    .uses_dynamic_stack: false
    .vgpr_count:     4
    .vgpr_spill_count: 0
    .wavefront_size: 32
    .workgroup_processor_mode: 1
  - .args:
      - .offset:         0
        .size:           4
        .value_kind:     by_value
      - .offset:         8
        .size:           8
        .value_kind:     by_value
      - .offset:         16
        .size:           8
        .value_kind:     by_value
      - .address_space:  global
        .offset:         24
        .size:           8
        .value_kind:     global_buffer
      - .offset:         32
        .size:           8
        .value_kind:     by_value
      - .offset:         40
        .size:           4
        .value_kind:     by_value
      - .offset:         48
        .size:           8
        .value_kind:     by_value
      - .offset:         56
        .size:           4
        .value_kind:     by_value
      - .offset:         64
        .size:           4
        .value_kind:     hidden_block_count_x
      - .offset:         68
        .size:           4
        .value_kind:     hidden_block_count_y
      - .offset:         72
        .size:           4
        .value_kind:     hidden_block_count_z
      - .offset:         76
        .size:           2
        .value_kind:     hidden_group_size_x
      - .offset:         78
        .size:           2
        .value_kind:     hidden_group_size_y
      - .offset:         80
        .size:           2
        .value_kind:     hidden_group_size_z
      - .offset:         82
        .size:           2
        .value_kind:     hidden_remainder_x
      - .offset:         84
        .size:           2
        .value_kind:     hidden_remainder_y
      - .offset:         86
        .size:           2
        .value_kind:     hidden_remainder_z
      - .offset:         104
        .size:           8
        .value_kind:     hidden_global_offset_x
      - .offset:         112
        .size:           8
        .value_kind:     hidden_global_offset_y
      - .offset:         120
        .size:           8
        .value_kind:     hidden_global_offset_z
      - .offset:         128
        .size:           2
        .value_kind:     hidden_grid_dims
    .group_segment_fixed_size: 0
    .kernarg_segment_align: 8
    .kernarg_segment_size: 320
    .language:       OpenCL C
    .language_version:
      - 2
      - 0
    .max_flat_workgroup_size: 256
    .name:           _ZL24rocblas_gemv_scal_kernelILi256EdPKPdEviT0_lT1_lili
    .private_segment_fixed_size: 0
    .sgpr_count:     12
    .sgpr_spill_count: 0
    .symbol:         _ZL24rocblas_gemv_scal_kernelILi256EdPKPdEviT0_lT1_lili.kd
    .uniform_work_group_size: 1
    .uses_dynamic_stack: false
    .vgpr_count:     4
    .vgpr_spill_count: 0
    .wavefront_size: 32
    .workgroup_processor_mode: 1
  - .args:
      - .offset:         0
        .size:           4
        .value_kind:     by_value
      - .offset:         4
        .size:           4
        .value_kind:     by_value
      - .address_space:  global
        .offset:         8
        .size:           8
        .value_kind:     global_buffer
      - .offset:         16
        .size:           8
        .value_kind:     by_value
      - .address_space:  global
        .offset:         24
        .size:           8
        .value_kind:     global_buffer
      - .offset:         32
        .size:           8
        .value_kind:     by_value
      - .offset:         40
        .size:           4
        .value_kind:     by_value
      - .offset:         48
        .size:           8
        .value_kind:     by_value
      - .address_space:  global
        .offset:         56
        .size:           8
        .value_kind:     global_buffer
      - .offset:         64
        .size:           8
        .value_kind:     by_value
      - .offset:         72
        .size:           4
        .value_kind:     by_value
      - .offset:         80
        .size:           8
        .value_kind:     by_value
      - .address_space:  global
        .offset:         88
        .size:           8
        .value_kind:     global_buffer
      - .offset:         96
        .size:           8
        .value_kind:     by_value
      - .offset:         104
        .size:           4
        .value_kind:     by_value
      - .offset:         112
        .size:           8
        .value_kind:     by_value
      - .offset:         120
        .size:           4
        .value_kind:     by_value
      - .offset:         128
        .size:           4
        .value_kind:     hidden_block_count_x
      - .offset:         132
        .size:           4
        .value_kind:     hidden_block_count_y
      - .offset:         136
        .size:           4
        .value_kind:     hidden_block_count_z
      - .offset:         140
        .size:           2
        .value_kind:     hidden_group_size_x
      - .offset:         142
        .size:           2
        .value_kind:     hidden_group_size_y
      - .offset:         144
        .size:           2
        .value_kind:     hidden_group_size_z
      - .offset:         146
        .size:           2
        .value_kind:     hidden_remainder_x
      - .offset:         148
        .size:           2
        .value_kind:     hidden_remainder_y
      - .offset:         150
        .size:           2
        .value_kind:     hidden_remainder_z
      - .offset:         168
        .size:           8
        .value_kind:     hidden_global_offset_x
      - .offset:         176
        .size:           8
        .value_kind:     hidden_global_offset_y
      - .offset:         184
        .size:           8
        .value_kind:     hidden_global_offset_z
      - .offset:         192
        .size:           2
        .value_kind:     hidden_grid_dims
    .group_segment_fixed_size: 8192
    .kernarg_segment_align: 8
    .kernarg_segment_size: 384
    .language:       OpenCL C
    .language_version:
      - 2
      - 0
    .max_flat_workgroup_size: 512
    .name:           _ZL36rocblas_gemvn_double_buffered_kernelILi128ELi4ELi16EPKdS1_KPdEviiT3_lPKT2_lilS7_lilPT4_lili
    .private_segment_fixed_size: 0
    .sgpr_count:     38
    .sgpr_spill_count: 0
    .symbol:         _ZL36rocblas_gemvn_double_buffered_kernelILi128ELi4ELi16EPKdS1_KPdEviiT3_lPKT2_lilS7_lilPT4_lili.kd
    .uniform_work_group_size: 1
    .uses_dynamic_stack: false
    .vgpr_count:     178
    .vgpr_spill_count: 0
    .wavefront_size: 32
    .workgroup_processor_mode: 1
  - .args:
      - .offset:         0
        .size:           4
        .value_kind:     by_value
      - .offset:         4
        .size:           4
        .value_kind:     by_value
      - .offset:         8
        .size:           8
        .value_kind:     by_value
      - .offset:         16
        .size:           8
        .value_kind:     by_value
      - .address_space:  global
        .offset:         24
        .size:           8
        .value_kind:     global_buffer
      - .offset:         32
        .size:           8
        .value_kind:     by_value
      - .offset:         40
        .size:           4
        .value_kind:     by_value
      - .offset:         48
        .size:           8
        .value_kind:     by_value
      - .address_space:  global
        .offset:         56
        .size:           8
        .value_kind:     global_buffer
      - .offset:         64
        .size:           8
        .value_kind:     by_value
      - .offset:         72
        .size:           4
        .value_kind:     by_value
      - .offset:         80
        .size:           8
        .value_kind:     by_value
      - .address_space:  global
        .offset:         88
        .size:           8
        .value_kind:     global_buffer
      - .offset:         96
        .size:           8
        .value_kind:     by_value
      - .offset:         104
        .size:           4
        .value_kind:     by_value
      - .offset:         112
        .size:           8
        .value_kind:     by_value
      - .offset:         120
        .size:           4
        .value_kind:     by_value
      - .offset:         128
        .size:           4
        .value_kind:     hidden_block_count_x
      - .offset:         132
        .size:           4
        .value_kind:     hidden_block_count_y
      - .offset:         136
        .size:           4
        .value_kind:     hidden_block_count_z
      - .offset:         140
        .size:           2
        .value_kind:     hidden_group_size_x
      - .offset:         142
        .size:           2
        .value_kind:     hidden_group_size_y
      - .offset:         144
        .size:           2
        .value_kind:     hidden_group_size_z
      - .offset:         146
        .size:           2
        .value_kind:     hidden_remainder_x
      - .offset:         148
        .size:           2
        .value_kind:     hidden_remainder_y
      - .offset:         150
        .size:           2
        .value_kind:     hidden_remainder_z
      - .offset:         168
        .size:           8
        .value_kind:     hidden_global_offset_x
      - .offset:         176
        .size:           8
        .value_kind:     hidden_global_offset_y
      - .offset:         184
        .size:           8
        .value_kind:     hidden_global_offset_z
      - .offset:         192
        .size:           2
        .value_kind:     hidden_grid_dims
    .group_segment_fixed_size: 8192
    .kernarg_segment_align: 8
    .kernarg_segment_size: 384
    .language:       OpenCL C
    .language_version:
      - 2
      - 0
    .max_flat_workgroup_size: 512
    .name:           _ZL36rocblas_gemvn_double_buffered_kernelILi128ELi4ELi16EPKddKPdEviiT3_lPKT2_lilS7_lilPT4_lili
    .private_segment_fixed_size: 0
    .sgpr_count:     38
    .sgpr_spill_count: 0
    .symbol:         _ZL36rocblas_gemvn_double_buffered_kernelILi128ELi4ELi16EPKddKPdEviiT3_lPKT2_lilS7_lilPT4_lili.kd
    .uniform_work_group_size: 1
    .uses_dynamic_stack: false
    .vgpr_count:     178
    .vgpr_spill_count: 0
    .wavefront_size: 32
    .workgroup_processor_mode: 1
  - .args:
      - .offset:         0
        .size:           4
        .value_kind:     by_value
      - .offset:         4
        .size:           4
        .value_kind:     by_value
      - .address_space:  global
        .offset:         8
        .size:           8
        .value_kind:     global_buffer
      - .offset:         16
        .size:           8
        .value_kind:     by_value
      - .address_space:  global
        .offset:         24
        .size:           8
        .value_kind:     global_buffer
      - .offset:         32
        .size:           8
        .value_kind:     by_value
      - .offset:         40
        .size:           4
        .value_kind:     by_value
      - .offset:         48
        .size:           8
        .value_kind:     by_value
      - .address_space:  global
        .offset:         56
        .size:           8
        .value_kind:     global_buffer
      - .offset:         64
        .size:           8
        .value_kind:     by_value
      - .offset:         72
        .size:           4
        .value_kind:     by_value
      - .offset:         80
        .size:           8
        .value_kind:     by_value
      - .address_space:  global
        .offset:         88
        .size:           8
        .value_kind:     global_buffer
      - .offset:         96
        .size:           8
        .value_kind:     by_value
      - .address_space:  global
        .offset:         104
        .size:           8
        .value_kind:     global_buffer
      - .offset:         112
        .size:           8
        .value_kind:     by_value
      - .offset:         120
        .size:           4
        .value_kind:     by_value
      - .offset:         128
        .size:           8
        .value_kind:     by_value
      - .offset:         136
        .size:           4
        .value_kind:     by_value
      - .offset:         144
        .size:           4
        .value_kind:     hidden_block_count_x
      - .offset:         148
        .size:           4
        .value_kind:     hidden_block_count_y
      - .offset:         152
        .size:           4
        .value_kind:     hidden_block_count_z
      - .offset:         156
        .size:           2
        .value_kind:     hidden_group_size_x
      - .offset:         158
        .size:           2
        .value_kind:     hidden_group_size_y
      - .offset:         160
        .size:           2
        .value_kind:     hidden_group_size_z
      - .offset:         162
        .size:           2
        .value_kind:     hidden_remainder_x
      - .offset:         164
        .size:           2
        .value_kind:     hidden_remainder_y
      - .offset:         166
        .size:           2
        .value_kind:     hidden_remainder_z
      - .offset:         184
        .size:           8
        .value_kind:     hidden_global_offset_x
      - .offset:         192
        .size:           8
        .value_kind:     hidden_global_offset_y
      - .offset:         200
        .size:           8
        .value_kind:     hidden_global_offset_z
      - .offset:         208
        .size:           2
        .value_kind:     hidden_grid_dims
    .group_segment_fixed_size: 16384
    .kernarg_segment_align: 8
    .kernarg_segment_size: 400
    .language:       OpenCL C
    .language_version:
      - 2
      - 0
    .max_flat_workgroup_size: 512
    .name:           _ZL20rocblas_gemvn_kernelILi32ELi16EiPKdS1_KPdEviiT3_lPKT2_lT1_lS7_lS8_lS4_lPT4_lS8_li
    .private_segment_fixed_size: 0
    .sgpr_count:     32
    .sgpr_spill_count: 0
    .symbol:         _ZL20rocblas_gemvn_kernelILi32ELi16EiPKdS1_KPdEviiT3_lPKT2_lT1_lS7_lS8_lS4_lPT4_lS8_li.kd
    .uniform_work_group_size: 1
    .uses_dynamic_stack: false
    .vgpr_count:     62
    .vgpr_spill_count: 0
    .wavefront_size: 32
    .workgroup_processor_mode: 1
  - .args:
      - .offset:         0
        .size:           4
        .value_kind:     by_value
      - .offset:         4
        .size:           4
        .value_kind:     by_value
      - .address_space:  global
        .offset:         8
        .size:           8
        .value_kind:     global_buffer
      - .offset:         16
        .size:           8
        .value_kind:     by_value
      - .address_space:  global
        .offset:         24
        .size:           8
        .value_kind:     global_buffer
      - .offset:         32
        .size:           8
        .value_kind:     by_value
      - .offset:         40
        .size:           8
        .value_kind:     by_value
      - .offset:         48
        .size:           8
        .value_kind:     by_value
      - .address_space:  global
        .offset:         56
        .size:           8
        .value_kind:     global_buffer
      - .offset:         64
        .size:           8
        .value_kind:     by_value
      - .offset:         72
        .size:           8
        .value_kind:     by_value
      - .offset:         80
        .size:           8
        .value_kind:     by_value
      - .address_space:  global
        .offset:         88
        .size:           8
        .value_kind:     global_buffer
      - .offset:         96
        .size:           8
        .value_kind:     by_value
      - .address_space:  global
        .offset:         104
        .size:           8
        .value_kind:     global_buffer
      - .offset:         112
        .size:           8
        .value_kind:     by_value
      - .offset:         120
        .size:           8
        .value_kind:     by_value
      - .offset:         128
        .size:           8
        .value_kind:     by_value
      - .offset:         136
        .size:           4
        .value_kind:     by_value
      - .offset:         144
        .size:           4
        .value_kind:     hidden_block_count_x
      - .offset:         148
        .size:           4
        .value_kind:     hidden_block_count_y
      - .offset:         152
        .size:           4
        .value_kind:     hidden_block_count_z
      - .offset:         156
        .size:           2
        .value_kind:     hidden_group_size_x
      - .offset:         158
        .size:           2
        .value_kind:     hidden_group_size_y
      - .offset:         160
        .size:           2
        .value_kind:     hidden_group_size_z
      - .offset:         162
        .size:           2
        .value_kind:     hidden_remainder_x
      - .offset:         164
        .size:           2
        .value_kind:     hidden_remainder_y
      - .offset:         166
        .size:           2
        .value_kind:     hidden_remainder_z
      - .offset:         184
        .size:           8
        .value_kind:     hidden_global_offset_x
      - .offset:         192
        .size:           8
        .value_kind:     hidden_global_offset_y
      - .offset:         200
        .size:           8
        .value_kind:     hidden_global_offset_z
      - .offset:         208
        .size:           2
        .value_kind:     hidden_grid_dims
    .group_segment_fixed_size: 16384
    .kernarg_segment_align: 8
    .kernarg_segment_size: 400
    .language:       OpenCL C
    .language_version:
      - 2
      - 0
    .max_flat_workgroup_size: 512
    .name:           _ZL20rocblas_gemvn_kernelILi32ELi16ElPKdS1_KPdEviiT3_lPKT2_lT1_lS7_lS8_lS4_lPT4_lS8_li
    .private_segment_fixed_size: 0
    .sgpr_count:     39
    .sgpr_spill_count: 0
    .symbol:         _ZL20rocblas_gemvn_kernelILi32ELi16ElPKdS1_KPdEviiT3_lPKT2_lT1_lS7_lS8_lS4_lPT4_lS8_li.kd
    .uniform_work_group_size: 1
    .uses_dynamic_stack: false
    .vgpr_count:     72
    .vgpr_spill_count: 0
    .wavefront_size: 32
    .workgroup_processor_mode: 1
  - .args:
      - .offset:         0
        .size:           4
        .value_kind:     by_value
      - .offset:         4
        .size:           4
        .value_kind:     by_value
      - .offset:         8
        .size:           8
        .value_kind:     by_value
      - .offset:         16
        .size:           8
        .value_kind:     by_value
      - .address_space:  global
        .offset:         24
        .size:           8
        .value_kind:     global_buffer
      - .offset:         32
        .size:           8
        .value_kind:     by_value
      - .offset:         40
        .size:           4
        .value_kind:     by_value
      - .offset:         48
        .size:           8
        .value_kind:     by_value
      - .address_space:  global
        .offset:         56
        .size:           8
        .value_kind:     global_buffer
      - .offset:         64
        .size:           8
        .value_kind:     by_value
      - .offset:         72
        .size:           4
        .value_kind:     by_value
      - .offset:         80
        .size:           8
        .value_kind:     by_value
      - .offset:         88
        .size:           8
        .value_kind:     by_value
      - .offset:         96
        .size:           8
        .value_kind:     by_value
      - .address_space:  global
        .offset:         104
        .size:           8
        .value_kind:     global_buffer
      - .offset:         112
        .size:           8
        .value_kind:     by_value
      - .offset:         120
        .size:           4
        .value_kind:     by_value
      - .offset:         128
        .size:           8
        .value_kind:     by_value
      - .offset:         136
        .size:           4
        .value_kind:     by_value
      - .offset:         144
        .size:           4
        .value_kind:     hidden_block_count_x
      - .offset:         148
        .size:           4
        .value_kind:     hidden_block_count_y
      - .offset:         152
        .size:           4
        .value_kind:     hidden_block_count_z
      - .offset:         156
        .size:           2
        .value_kind:     hidden_group_size_x
      - .offset:         158
        .size:           2
        .value_kind:     hidden_group_size_y
      - .offset:         160
        .size:           2
        .value_kind:     hidden_group_size_z
      - .offset:         162
        .size:           2
        .value_kind:     hidden_remainder_x
      - .offset:         164
        .size:           2
        .value_kind:     hidden_remainder_y
      - .offset:         166
        .size:           2
        .value_kind:     hidden_remainder_z
      - .offset:         184
        .size:           8
        .value_kind:     hidden_global_offset_x
      - .offset:         192
        .size:           8
        .value_kind:     hidden_global_offset_y
      - .offset:         200
        .size:           8
        .value_kind:     hidden_global_offset_z
      - .offset:         208
        .size:           2
        .value_kind:     hidden_grid_dims
    .group_segment_fixed_size: 16384
    .kernarg_segment_align: 8
    .kernarg_segment_size: 400
    .language:       OpenCL C
    .language_version:
      - 2
      - 0
    .max_flat_workgroup_size: 512
    .name:           _ZL20rocblas_gemvn_kernelILi32ELi16EiPKddKPdEviiT3_lPKT2_lT1_lS7_lS8_lS4_lPT4_lS8_li
    .private_segment_fixed_size: 0
    .sgpr_count:     32
    .sgpr_spill_count: 0
    .symbol:         _ZL20rocblas_gemvn_kernelILi32ELi16EiPKddKPdEviiT3_lPKT2_lT1_lS7_lS8_lS4_lPT4_lS8_li.kd
    .uniform_work_group_size: 1
    .uses_dynamic_stack: false
    .vgpr_count:     62
    .vgpr_spill_count: 0
    .wavefront_size: 32
    .workgroup_processor_mode: 1
  - .args:
      - .offset:         0
        .size:           4
        .value_kind:     by_value
      - .offset:         4
        .size:           4
        .value_kind:     by_value
      - .offset:         8
        .size:           8
        .value_kind:     by_value
      - .offset:         16
        .size:           8
        .value_kind:     by_value
      - .address_space:  global
        .offset:         24
        .size:           8
        .value_kind:     global_buffer
      - .offset:         32
        .size:           8
        .value_kind:     by_value
      - .offset:         40
        .size:           8
        .value_kind:     by_value
      - .offset:         48
        .size:           8
        .value_kind:     by_value
      - .address_space:  global
        .offset:         56
        .size:           8
        .value_kind:     global_buffer
      - .offset:         64
        .size:           8
        .value_kind:     by_value
      - .offset:         72
        .size:           8
        .value_kind:     by_value
      - .offset:         80
        .size:           8
        .value_kind:     by_value
      - .offset:         88
        .size:           8
        .value_kind:     by_value
      - .offset:         96
        .size:           8
        .value_kind:     by_value
      - .address_space:  global
        .offset:         104
        .size:           8
        .value_kind:     global_buffer
      - .offset:         112
        .size:           8
        .value_kind:     by_value
      - .offset:         120
        .size:           8
        .value_kind:     by_value
      - .offset:         128
        .size:           8
        .value_kind:     by_value
      - .offset:         136
        .size:           4
        .value_kind:     by_value
      - .offset:         144
        .size:           4
        .value_kind:     hidden_block_count_x
      - .offset:         148
        .size:           4
        .value_kind:     hidden_block_count_y
      - .offset:         152
        .size:           4
        .value_kind:     hidden_block_count_z
      - .offset:         156
        .size:           2
        .value_kind:     hidden_group_size_x
      - .offset:         158
        .size:           2
        .value_kind:     hidden_group_size_y
      - .offset:         160
        .size:           2
        .value_kind:     hidden_group_size_z
      - .offset:         162
        .size:           2
        .value_kind:     hidden_remainder_x
      - .offset:         164
        .size:           2
        .value_kind:     hidden_remainder_y
      - .offset:         166
        .size:           2
        .value_kind:     hidden_remainder_z
      - .offset:         184
        .size:           8
        .value_kind:     hidden_global_offset_x
      - .offset:         192
        .size:           8
        .value_kind:     hidden_global_offset_y
      - .offset:         200
        .size:           8
        .value_kind:     hidden_global_offset_z
      - .offset:         208
        .size:           2
        .value_kind:     hidden_grid_dims
    .group_segment_fixed_size: 16384
    .kernarg_segment_align: 8
    .kernarg_segment_size: 400
    .language:       OpenCL C
    .language_version:
      - 2
      - 0
    .max_flat_workgroup_size: 512
    .name:           _ZL20rocblas_gemvn_kernelILi32ELi16ElPKddKPdEviiT3_lPKT2_lT1_lS7_lS8_lS4_lPT4_lS8_li
    .private_segment_fixed_size: 0
    .sgpr_count:     39
    .sgpr_spill_count: 0
    .symbol:         _ZL20rocblas_gemvn_kernelILi32ELi16ElPKddKPdEviiT3_lPKT2_lT1_lS7_lS8_lS4_lPT4_lS8_li.kd
    .uniform_work_group_size: 1
    .uses_dynamic_stack: false
    .vgpr_count:     72
    .vgpr_spill_count: 0
    .wavefront_size: 32
    .workgroup_processor_mode: 1
  - .args:
      - .offset:         0
        .size:           4
        .value_kind:     by_value
      - .offset:         4
        .size:           4
        .value_kind:     by_value
      - .address_space:  global
        .offset:         8
        .size:           8
        .value_kind:     global_buffer
      - .offset:         16
        .size:           8
        .value_kind:     by_value
      - .address_space:  global
        .offset:         24
        .size:           8
        .value_kind:     global_buffer
      - .offset:         32
        .size:           8
        .value_kind:     by_value
      - .offset:         40
        .size:           4
        .value_kind:     by_value
      - .offset:         48
        .size:           8
        .value_kind:     by_value
      - .address_space:  global
        .offset:         56
        .size:           8
        .value_kind:     global_buffer
      - .offset:         64
        .size:           8
        .value_kind:     by_value
      - .offset:         72
        .size:           4
        .value_kind:     by_value
      - .offset:         80
        .size:           8
        .value_kind:     by_value
      - .address_space:  global
        .offset:         88
        .size:           8
        .value_kind:     global_buffer
      - .offset:         96
        .size:           8
        .value_kind:     by_value
      - .address_space:  global
        .offset:         104
        .size:           8
        .value_kind:     global_buffer
      - .offset:         112
        .size:           8
        .value_kind:     by_value
      - .offset:         120
        .size:           4
        .value_kind:     by_value
      - .offset:         128
        .size:           8
        .value_kind:     by_value
      - .offset:         136
        .size:           4
        .value_kind:     by_value
      - .offset:         144
        .size:           4
        .value_kind:     hidden_block_count_x
      - .offset:         148
        .size:           4
        .value_kind:     hidden_block_count_y
      - .offset:         152
        .size:           4
        .value_kind:     hidden_block_count_z
      - .offset:         156
        .size:           2
        .value_kind:     hidden_group_size_x
      - .offset:         158
        .size:           2
        .value_kind:     hidden_group_size_y
      - .offset:         160
        .size:           2
        .value_kind:     hidden_group_size_z
      - .offset:         162
        .size:           2
        .value_kind:     hidden_remainder_x
      - .offset:         164
        .size:           2
        .value_kind:     hidden_remainder_y
      - .offset:         166
        .size:           2
        .value_kind:     hidden_remainder_z
      - .offset:         184
        .size:           8
        .value_kind:     hidden_global_offset_x
      - .offset:         192
        .size:           8
        .value_kind:     hidden_global_offset_y
      - .offset:         200
        .size:           8
        .value_kind:     hidden_global_offset_z
      - .offset:         208
        .size:           2
        .value_kind:     hidden_grid_dims
    .group_segment_fixed_size: 32768
    .kernarg_segment_align: 8
    .kernarg_segment_size: 400
    .language:       OpenCL C
    .language_version:
      - 2
      - 0
    .max_flat_workgroup_size: 1024
    .name:           _ZL20rocblas_gemvn_kernelILi64ELi16EiPKdS1_KPdEviiT3_lPKT2_lT1_lS7_lS8_lS4_lPT4_lS8_li
    .private_segment_fixed_size: 0
    .sgpr_count:     32
    .sgpr_spill_count: 0
    .symbol:         _ZL20rocblas_gemvn_kernelILi64ELi16EiPKdS1_KPdEviiT3_lPKT2_lT1_lS7_lS8_lS4_lPT4_lS8_li.kd
    .uniform_work_group_size: 1
    .uses_dynamic_stack: false
    .vgpr_count:     62
    .vgpr_spill_count: 0
    .wavefront_size: 32
    .workgroup_processor_mode: 1
  - .args:
      - .offset:         0
        .size:           4
        .value_kind:     by_value
      - .offset:         4
        .size:           4
        .value_kind:     by_value
      - .address_space:  global
        .offset:         8
        .size:           8
        .value_kind:     global_buffer
      - .offset:         16
        .size:           8
        .value_kind:     by_value
      - .address_space:  global
        .offset:         24
        .size:           8
        .value_kind:     global_buffer
      - .offset:         32
        .size:           8
        .value_kind:     by_value
      - .offset:         40
        .size:           8
        .value_kind:     by_value
      - .offset:         48
        .size:           8
        .value_kind:     by_value
      - .address_space:  global
        .offset:         56
        .size:           8
        .value_kind:     global_buffer
      - .offset:         64
        .size:           8
        .value_kind:     by_value
      - .offset:         72
        .size:           8
        .value_kind:     by_value
      - .offset:         80
        .size:           8
        .value_kind:     by_value
      - .address_space:  global
        .offset:         88
        .size:           8
        .value_kind:     global_buffer
      - .offset:         96
        .size:           8
        .value_kind:     by_value
      - .address_space:  global
        .offset:         104
        .size:           8
        .value_kind:     global_buffer
      - .offset:         112
        .size:           8
        .value_kind:     by_value
      - .offset:         120
        .size:           8
        .value_kind:     by_value
      - .offset:         128
        .size:           8
        .value_kind:     by_value
      - .offset:         136
        .size:           4
        .value_kind:     by_value
      - .offset:         144
        .size:           4
        .value_kind:     hidden_block_count_x
      - .offset:         148
        .size:           4
        .value_kind:     hidden_block_count_y
      - .offset:         152
        .size:           4
        .value_kind:     hidden_block_count_z
      - .offset:         156
        .size:           2
        .value_kind:     hidden_group_size_x
      - .offset:         158
        .size:           2
        .value_kind:     hidden_group_size_y
      - .offset:         160
        .size:           2
        .value_kind:     hidden_group_size_z
      - .offset:         162
        .size:           2
        .value_kind:     hidden_remainder_x
      - .offset:         164
        .size:           2
        .value_kind:     hidden_remainder_y
      - .offset:         166
        .size:           2
        .value_kind:     hidden_remainder_z
      - .offset:         184
        .size:           8
        .value_kind:     hidden_global_offset_x
      - .offset:         192
        .size:           8
        .value_kind:     hidden_global_offset_y
      - .offset:         200
        .size:           8
        .value_kind:     hidden_global_offset_z
      - .offset:         208
        .size:           2
        .value_kind:     hidden_grid_dims
    .group_segment_fixed_size: 32768
    .kernarg_segment_align: 8
    .kernarg_segment_size: 400
    .language:       OpenCL C
    .language_version:
      - 2
      - 0
    .max_flat_workgroup_size: 1024
    .name:           _ZL20rocblas_gemvn_kernelILi64ELi16ElPKdS1_KPdEviiT3_lPKT2_lT1_lS7_lS8_lS4_lPT4_lS8_li
    .private_segment_fixed_size: 0
    .sgpr_count:     39
    .sgpr_spill_count: 0
    .symbol:         _ZL20rocblas_gemvn_kernelILi64ELi16ElPKdS1_KPdEviiT3_lPKT2_lT1_lS7_lS8_lS4_lPT4_lS8_li.kd
    .uniform_work_group_size: 1
    .uses_dynamic_stack: false
    .vgpr_count:     72
    .vgpr_spill_count: 0
    .wavefront_size: 32
    .workgroup_processor_mode: 1
  - .args:
      - .offset:         0
        .size:           4
        .value_kind:     by_value
      - .offset:         4
        .size:           4
        .value_kind:     by_value
      - .offset:         8
        .size:           8
        .value_kind:     by_value
      - .offset:         16
        .size:           8
        .value_kind:     by_value
      - .address_space:  global
        .offset:         24
        .size:           8
        .value_kind:     global_buffer
      - .offset:         32
        .size:           8
        .value_kind:     by_value
      - .offset:         40
        .size:           4
        .value_kind:     by_value
      - .offset:         48
        .size:           8
        .value_kind:     by_value
      - .address_space:  global
        .offset:         56
        .size:           8
        .value_kind:     global_buffer
      - .offset:         64
        .size:           8
        .value_kind:     by_value
      - .offset:         72
        .size:           4
        .value_kind:     by_value
      - .offset:         80
        .size:           8
        .value_kind:     by_value
      - .offset:         88
        .size:           8
        .value_kind:     by_value
      - .offset:         96
        .size:           8
        .value_kind:     by_value
      - .address_space:  global
        .offset:         104
        .size:           8
        .value_kind:     global_buffer
      - .offset:         112
        .size:           8
        .value_kind:     by_value
      - .offset:         120
        .size:           4
        .value_kind:     by_value
      - .offset:         128
        .size:           8
        .value_kind:     by_value
      - .offset:         136
        .size:           4
        .value_kind:     by_value
      - .offset:         144
        .size:           4
        .value_kind:     hidden_block_count_x
      - .offset:         148
        .size:           4
        .value_kind:     hidden_block_count_y
      - .offset:         152
        .size:           4
        .value_kind:     hidden_block_count_z
      - .offset:         156
        .size:           2
        .value_kind:     hidden_group_size_x
      - .offset:         158
        .size:           2
        .value_kind:     hidden_group_size_y
      - .offset:         160
        .size:           2
        .value_kind:     hidden_group_size_z
      - .offset:         162
        .size:           2
        .value_kind:     hidden_remainder_x
      - .offset:         164
        .size:           2
        .value_kind:     hidden_remainder_y
      - .offset:         166
        .size:           2
        .value_kind:     hidden_remainder_z
      - .offset:         184
        .size:           8
        .value_kind:     hidden_global_offset_x
      - .offset:         192
        .size:           8
        .value_kind:     hidden_global_offset_y
      - .offset:         200
        .size:           8
        .value_kind:     hidden_global_offset_z
      - .offset:         208
        .size:           2
        .value_kind:     hidden_grid_dims
    .group_segment_fixed_size: 32768
    .kernarg_segment_align: 8
    .kernarg_segment_size: 400
    .language:       OpenCL C
    .language_version:
      - 2
      - 0
    .max_flat_workgroup_size: 1024
    .name:           _ZL20rocblas_gemvn_kernelILi64ELi16EiPKddKPdEviiT3_lPKT2_lT1_lS7_lS8_lS4_lPT4_lS8_li
    .private_segment_fixed_size: 0
    .sgpr_count:     32
    .sgpr_spill_count: 0
    .symbol:         _ZL20rocblas_gemvn_kernelILi64ELi16EiPKddKPdEviiT3_lPKT2_lT1_lS7_lS8_lS4_lPT4_lS8_li.kd
    .uniform_work_group_size: 1
    .uses_dynamic_stack: false
    .vgpr_count:     62
    .vgpr_spill_count: 0
    .wavefront_size: 32
    .workgroup_processor_mode: 1
  - .args:
      - .offset:         0
        .size:           4
        .value_kind:     by_value
      - .offset:         4
        .size:           4
        .value_kind:     by_value
      - .offset:         8
        .size:           8
        .value_kind:     by_value
      - .offset:         16
        .size:           8
        .value_kind:     by_value
      - .address_space:  global
        .offset:         24
        .size:           8
        .value_kind:     global_buffer
      - .offset:         32
        .size:           8
        .value_kind:     by_value
      - .offset:         40
        .size:           8
        .value_kind:     by_value
      - .offset:         48
        .size:           8
        .value_kind:     by_value
      - .address_space:  global
        .offset:         56
        .size:           8
        .value_kind:     global_buffer
      - .offset:         64
        .size:           8
        .value_kind:     by_value
      - .offset:         72
        .size:           8
        .value_kind:     by_value
      - .offset:         80
        .size:           8
        .value_kind:     by_value
      - .offset:         88
        .size:           8
        .value_kind:     by_value
      - .offset:         96
        .size:           8
        .value_kind:     by_value
      - .address_space:  global
        .offset:         104
        .size:           8
        .value_kind:     global_buffer
      - .offset:         112
        .size:           8
        .value_kind:     by_value
      - .offset:         120
        .size:           8
        .value_kind:     by_value
      - .offset:         128
        .size:           8
        .value_kind:     by_value
      - .offset:         136
        .size:           4
        .value_kind:     by_value
      - .offset:         144
        .size:           4
        .value_kind:     hidden_block_count_x
      - .offset:         148
        .size:           4
        .value_kind:     hidden_block_count_y
      - .offset:         152
        .size:           4
        .value_kind:     hidden_block_count_z
      - .offset:         156
        .size:           2
        .value_kind:     hidden_group_size_x
      - .offset:         158
        .size:           2
        .value_kind:     hidden_group_size_y
      - .offset:         160
        .size:           2
        .value_kind:     hidden_group_size_z
      - .offset:         162
        .size:           2
        .value_kind:     hidden_remainder_x
      - .offset:         164
        .size:           2
        .value_kind:     hidden_remainder_y
      - .offset:         166
        .size:           2
        .value_kind:     hidden_remainder_z
      - .offset:         184
        .size:           8
        .value_kind:     hidden_global_offset_x
      - .offset:         192
        .size:           8
        .value_kind:     hidden_global_offset_y
      - .offset:         200
        .size:           8
        .value_kind:     hidden_global_offset_z
      - .offset:         208
        .size:           2
        .value_kind:     hidden_grid_dims
    .group_segment_fixed_size: 32768
    .kernarg_segment_align: 8
    .kernarg_segment_size: 400
    .language:       OpenCL C
    .language_version:
      - 2
      - 0
    .max_flat_workgroup_size: 1024
    .name:           _ZL20rocblas_gemvn_kernelILi64ELi16ElPKddKPdEviiT3_lPKT2_lT1_lS7_lS8_lS4_lPT4_lS8_li
    .private_segment_fixed_size: 0
    .sgpr_count:     39
    .sgpr_spill_count: 0
    .symbol:         _ZL20rocblas_gemvn_kernelILi64ELi16ElPKddKPdEviiT3_lPKT2_lT1_lS7_lS8_lS4_lPT4_lS8_li.kd
    .uniform_work_group_size: 1
    .uses_dynamic_stack: false
    .vgpr_count:     72
    .vgpr_spill_count: 0
    .wavefront_size: 32
    .workgroup_processor_mode: 1
  - .args:
      - .offset:         0
        .size:           4
        .value_kind:     by_value
      - .offset:         4
        .size:           4
        .value_kind:     by_value
      - .address_space:  global
        .offset:         8
        .size:           8
        .value_kind:     global_buffer
      - .offset:         16
        .size:           8
        .value_kind:     by_value
      - .address_space:  global
        .offset:         24
        .size:           8
        .value_kind:     global_buffer
      - .offset:         32
        .size:           8
        .value_kind:     by_value
      - .offset:         40
        .size:           4
        .value_kind:     by_value
      - .offset:         48
        .size:           8
        .value_kind:     by_value
      - .address_space:  global
        .offset:         56
        .size:           8
        .value_kind:     global_buffer
      - .offset:         64
        .size:           8
        .value_kind:     by_value
      - .offset:         72
        .size:           4
        .value_kind:     by_value
      - .offset:         80
        .size:           8
        .value_kind:     by_value
      - .address_space:  global
        .offset:         88
        .size:           8
        .value_kind:     global_buffer
      - .offset:         96
        .size:           8
        .value_kind:     by_value
      - .address_space:  global
        .offset:         104
        .size:           8
        .value_kind:     global_buffer
      - .offset:         112
        .size:           8
        .value_kind:     by_value
      - .offset:         120
        .size:           4
        .value_kind:     by_value
      - .offset:         128
        .size:           8
        .value_kind:     by_value
    .group_segment_fixed_size: 512
    .kernarg_segment_align: 8
    .kernarg_segment_size: 136
    .language:       OpenCL C
    .language_version:
      - 2
      - 0
    .max_flat_workgroup_size: 256
    .name:           _ZL22rocblas_gemvtsm_kernelILb0ELi256EPKdS1_KPdEviiT2_lPKT1_lilS7_lilS4_lPT3_lil
    .private_segment_fixed_size: 0
    .sgpr_count:     26
    .sgpr_spill_count: 0
    .symbol:         _ZL22rocblas_gemvtsm_kernelILb0ELi256EPKdS1_KPdEviiT2_lPKT1_lilS7_lilS4_lPT3_lil.kd
    .uniform_work_group_size: 1
    .uses_dynamic_stack: false
    .vgpr_count:     34
    .vgpr_spill_count: 0
    .wavefront_size: 32
    .workgroup_processor_mode: 1
  - .args:
      - .offset:         0
        .size:           4
        .value_kind:     by_value
      - .offset:         4
        .size:           4
        .value_kind:     by_value
      - .offset:         8
        .size:           8
        .value_kind:     by_value
      - .offset:         16
        .size:           8
        .value_kind:     by_value
      - .address_space:  global
        .offset:         24
        .size:           8
        .value_kind:     global_buffer
      - .offset:         32
        .size:           8
        .value_kind:     by_value
      - .offset:         40
        .size:           4
        .value_kind:     by_value
      - .offset:         48
        .size:           8
        .value_kind:     by_value
      - .address_space:  global
        .offset:         56
        .size:           8
        .value_kind:     global_buffer
      - .offset:         64
        .size:           8
        .value_kind:     by_value
      - .offset:         72
        .size:           4
        .value_kind:     by_value
      - .offset:         80
        .size:           8
        .value_kind:     by_value
      - .offset:         88
        .size:           8
        .value_kind:     by_value
      - .offset:         96
        .size:           8
        .value_kind:     by_value
      - .address_space:  global
        .offset:         104
        .size:           8
        .value_kind:     global_buffer
      - .offset:         112
        .size:           8
        .value_kind:     by_value
      - .offset:         120
        .size:           4
        .value_kind:     by_value
      - .offset:         128
        .size:           8
        .value_kind:     by_value
    .group_segment_fixed_size: 512
    .kernarg_segment_align: 8
    .kernarg_segment_size: 136
    .language:       OpenCL C
    .language_version:
      - 2
      - 0
    .max_flat_workgroup_size: 256
    .name:           _ZL22rocblas_gemvtsm_kernelILb0ELi256EPKddKPdEviiT2_lPKT1_lilS7_lilS4_lPT3_lil
    .private_segment_fixed_size: 0
    .sgpr_count:     26
    .sgpr_spill_count: 0
    .symbol:         _ZL22rocblas_gemvtsm_kernelILb0ELi256EPKddKPdEviiT2_lPKT1_lilS7_lilS4_lPT3_lil.kd
    .uniform_work_group_size: 1
    .uses_dynamic_stack: false
    .vgpr_count:     34
    .vgpr_spill_count: 0
    .wavefront_size: 32
    .workgroup_processor_mode: 1
  - .args:
      - .offset:         0
        .size:           4
        .value_kind:     by_value
      - .offset:         4
        .size:           4
        .value_kind:     by_value
      - .address_space:  global
        .offset:         8
        .size:           8
        .value_kind:     global_buffer
      - .offset:         16
        .size:           8
        .value_kind:     by_value
      - .address_space:  global
        .offset:         24
        .size:           8
        .value_kind:     global_buffer
      - .offset:         32
        .size:           8
        .value_kind:     by_value
      - .offset:         40
        .size:           4
        .value_kind:     by_value
      - .offset:         48
        .size:           8
        .value_kind:     by_value
      - .address_space:  global
        .offset:         56
        .size:           8
        .value_kind:     global_buffer
      - .offset:         64
        .size:           8
        .value_kind:     by_value
      - .offset:         72
        .size:           4
        .value_kind:     by_value
      - .offset:         80
        .size:           8
        .value_kind:     by_value
      - .address_space:  global
        .offset:         88
        .size:           8
        .value_kind:     global_buffer
      - .offset:         96
        .size:           4
        .value_kind:     by_value
      - .offset:         104
        .size:           4
        .value_kind:     hidden_block_count_x
      - .offset:         108
        .size:           4
        .value_kind:     hidden_block_count_y
      - .offset:         112
        .size:           4
        .value_kind:     hidden_block_count_z
      - .offset:         116
        .size:           2
        .value_kind:     hidden_group_size_x
      - .offset:         118
        .size:           2
        .value_kind:     hidden_group_size_y
      - .offset:         120
        .size:           2
        .value_kind:     hidden_group_size_z
      - .offset:         122
        .size:           2
        .value_kind:     hidden_remainder_x
      - .offset:         124
        .size:           2
        .value_kind:     hidden_remainder_y
      - .offset:         126
        .size:           2
        .value_kind:     hidden_remainder_z
      - .offset:         144
        .size:           8
        .value_kind:     hidden_global_offset_x
      - .offset:         152
        .size:           8
        .value_kind:     hidden_global_offset_y
      - .offset:         160
        .size:           8
        .value_kind:     hidden_global_offset_z
      - .offset:         168
        .size:           2
        .value_kind:     hidden_grid_dims
    .group_segment_fixed_size: 256
    .kernarg_segment_align: 8
    .kernarg_segment_size: 360
    .language:       OpenCL C
    .language_version:
      - 2
      - 0
    .max_flat_workgroup_size: 256
    .name:           _ZL23rocblas_gemvt_sn_kernelILb0ELi256ELi4EiPKdS1_dEviiT4_lPKT3_lilS5_lilPT5_i
    .private_segment_fixed_size: 0
    .sgpr_count:     48
    .sgpr_spill_count: 0
    .symbol:         _ZL23rocblas_gemvt_sn_kernelILb0ELi256ELi4EiPKdS1_dEviiT4_lPKT3_lilS5_lilPT5_i.kd
    .uniform_work_group_size: 1
    .uses_dynamic_stack: false
    .vgpr_count:     67
    .vgpr_spill_count: 0
    .wavefront_size: 32
    .workgroup_processor_mode: 1
  - .args:
      - .offset:         0
        .size:           4
        .value_kind:     by_value
      - .offset:         4
        .size:           4
        .value_kind:     by_value
      - .address_space:  global
        .offset:         8
        .size:           8
        .value_kind:     global_buffer
      - .offset:         16
        .size:           8
        .value_kind:     by_value
      - .address_space:  global
        .offset:         24
        .size:           8
        .value_kind:     global_buffer
      - .offset:         32
        .size:           8
        .value_kind:     by_value
      - .offset:         40
        .size:           4
        .value_kind:     by_value
      - .offset:         48
        .size:           8
        .value_kind:     by_value
      - .address_space:  global
        .offset:         56
        .size:           8
        .value_kind:     global_buffer
      - .offset:         64
        .size:           8
        .value_kind:     by_value
      - .offset:         72
        .size:           4
        .value_kind:     by_value
      - .offset:         80
        .size:           8
        .value_kind:     by_value
      - .address_space:  global
        .offset:         88
        .size:           8
        .value_kind:     global_buffer
      - .offset:         96
        .size:           4
        .value_kind:     by_value
      - .offset:         104
        .size:           4
        .value_kind:     hidden_block_count_x
      - .offset:         108
        .size:           4
        .value_kind:     hidden_block_count_y
      - .offset:         112
        .size:           4
        .value_kind:     hidden_block_count_z
      - .offset:         116
        .size:           2
        .value_kind:     hidden_group_size_x
      - .offset:         118
        .size:           2
        .value_kind:     hidden_group_size_y
      - .offset:         120
        .size:           2
        .value_kind:     hidden_group_size_z
      - .offset:         122
        .size:           2
        .value_kind:     hidden_remainder_x
      - .offset:         124
        .size:           2
        .value_kind:     hidden_remainder_y
      - .offset:         126
        .size:           2
        .value_kind:     hidden_remainder_z
      - .offset:         144
        .size:           8
        .value_kind:     hidden_global_offset_x
      - .offset:         152
        .size:           8
        .value_kind:     hidden_global_offset_y
      - .offset:         160
        .size:           8
        .value_kind:     hidden_global_offset_z
      - .offset:         168
        .size:           2
        .value_kind:     hidden_grid_dims
    .group_segment_fixed_size: 256
    .kernarg_segment_align: 8
    .kernarg_segment_size: 360
    .language:       OpenCL C
    .language_version:
      - 2
      - 0
    .max_flat_workgroup_size: 256
    .name:           _ZL23rocblas_gemvt_sn_kernelILb0ELi256ELi4ElPKdS1_dEviiT4_lPKT3_lilS5_lilPT5_i
    .private_segment_fixed_size: 0
    .sgpr_count:     52
    .sgpr_spill_count: 0
    .symbol:         _ZL23rocblas_gemvt_sn_kernelILb0ELi256ELi4ElPKdS1_dEviiT4_lPKT3_lilS5_lilPT5_i.kd
    .uniform_work_group_size: 1
    .uses_dynamic_stack: false
    .vgpr_count:     73
    .vgpr_spill_count: 0
    .wavefront_size: 32
    .workgroup_processor_mode: 1
  - .args:
      - .offset:         0
        .size:           4
        .value_kind:     by_value
      - .address_space:  global
        .offset:         8
        .size:           8
        .value_kind:     global_buffer
      - .offset:         16
        .size:           8
        .value_kind:     by_value
      - .address_space:  global
        .offset:         24
        .size:           8
        .value_kind:     global_buffer
      - .offset:         32
        .size:           8
        .value_kind:     by_value
      - .offset:         40
        .size:           4
        .value_kind:     by_value
      - .offset:         48
        .size:           8
        .value_kind:     by_value
      - .actual_access:  read_only
        .address_space:  global
        .offset:         56
        .size:           8
        .value_kind:     global_buffer
      - .offset:         64
        .size:           4
        .value_kind:     by_value
      - .offset:         72
        .size:           4
        .value_kind:     hidden_block_count_x
      - .offset:         76
        .size:           4
        .value_kind:     hidden_block_count_y
      - .offset:         80
        .size:           4
        .value_kind:     hidden_block_count_z
      - .offset:         84
        .size:           2
        .value_kind:     hidden_group_size_x
      - .offset:         86
        .size:           2
        .value_kind:     hidden_group_size_y
      - .offset:         88
        .size:           2
        .value_kind:     hidden_group_size_z
      - .offset:         90
        .size:           2
        .value_kind:     hidden_remainder_x
      - .offset:         92
        .size:           2
        .value_kind:     hidden_remainder_y
      - .offset:         94
        .size:           2
        .value_kind:     hidden_remainder_z
      - .offset:         112
        .size:           8
        .value_kind:     hidden_global_offset_x
      - .offset:         120
        .size:           8
        .value_kind:     hidden_global_offset_y
      - .offset:         128
        .size:           8
        .value_kind:     hidden_global_offset_z
      - .offset:         136
        .size:           2
        .value_kind:     hidden_grid_dims
    .group_segment_fixed_size: 256
    .kernarg_segment_align: 8
    .kernarg_segment_size: 328
    .language:       OpenCL C
    .language_version:
      - 2
      - 0
    .max_flat_workgroup_size: 256
    .name:           _ZL23rocblas_gemvt_sn_reduceILi256ELi8EdPKdKPdEviT2_lPT3_lilPT1_i
    .private_segment_fixed_size: 0
    .sgpr_count:     24
    .sgpr_spill_count: 0
    .symbol:         _ZL23rocblas_gemvt_sn_reduceILi256ELi8EdPKdKPdEviT2_lPT3_lilPT1_i.kd
    .uniform_work_group_size: 1
    .uses_dynamic_stack: false
    .vgpr_count:     22
    .vgpr_spill_count: 0
    .wavefront_size: 32
    .workgroup_processor_mode: 1
  - .args:
      - .offset:         0
        .size:           4
        .value_kind:     by_value
      - .offset:         4
        .size:           4
        .value_kind:     by_value
      - .offset:         8
        .size:           8
        .value_kind:     by_value
      - .offset:         16
        .size:           8
        .value_kind:     by_value
      - .address_space:  global
        .offset:         24
        .size:           8
        .value_kind:     global_buffer
      - .offset:         32
        .size:           8
        .value_kind:     by_value
      - .offset:         40
        .size:           4
        .value_kind:     by_value
      - .offset:         48
        .size:           8
        .value_kind:     by_value
      - .address_space:  global
        .offset:         56
        .size:           8
        .value_kind:     global_buffer
      - .offset:         64
        .size:           8
        .value_kind:     by_value
      - .offset:         72
        .size:           4
        .value_kind:     by_value
      - .offset:         80
        .size:           8
        .value_kind:     by_value
      - .address_space:  global
        .offset:         88
        .size:           8
        .value_kind:     global_buffer
      - .offset:         96
        .size:           4
        .value_kind:     by_value
      - .offset:         104
        .size:           4
        .value_kind:     hidden_block_count_x
      - .offset:         108
        .size:           4
        .value_kind:     hidden_block_count_y
      - .offset:         112
        .size:           4
        .value_kind:     hidden_block_count_z
      - .offset:         116
        .size:           2
        .value_kind:     hidden_group_size_x
      - .offset:         118
        .size:           2
        .value_kind:     hidden_group_size_y
      - .offset:         120
        .size:           2
        .value_kind:     hidden_group_size_z
      - .offset:         122
        .size:           2
        .value_kind:     hidden_remainder_x
      - .offset:         124
        .size:           2
        .value_kind:     hidden_remainder_y
      - .offset:         126
        .size:           2
        .value_kind:     hidden_remainder_z
      - .offset:         144
        .size:           8
        .value_kind:     hidden_global_offset_x
      - .offset:         152
        .size:           8
        .value_kind:     hidden_global_offset_y
      - .offset:         160
        .size:           8
        .value_kind:     hidden_global_offset_z
      - .offset:         168
        .size:           2
        .value_kind:     hidden_grid_dims
    .group_segment_fixed_size: 256
    .kernarg_segment_align: 8
    .kernarg_segment_size: 360
    .language:       OpenCL C
    .language_version:
      - 2
      - 0
    .max_flat_workgroup_size: 256
    .name:           _ZL23rocblas_gemvt_sn_kernelILb0ELi256ELi4EiPKdddEviiT4_lPKT3_lilS5_lilPT5_i
    .private_segment_fixed_size: 0
    .sgpr_count:     48
    .sgpr_spill_count: 0
    .symbol:         _ZL23rocblas_gemvt_sn_kernelILb0ELi256ELi4EiPKdddEviiT4_lPKT3_lilS5_lilPT5_i.kd
    .uniform_work_group_size: 1
    .uses_dynamic_stack: false
    .vgpr_count:     67
    .vgpr_spill_count: 0
    .wavefront_size: 32
    .workgroup_processor_mode: 1
  - .args:
      - .offset:         0
        .size:           4
        .value_kind:     by_value
      - .offset:         4
        .size:           4
        .value_kind:     by_value
      - .offset:         8
        .size:           8
        .value_kind:     by_value
      - .offset:         16
        .size:           8
        .value_kind:     by_value
      - .address_space:  global
        .offset:         24
        .size:           8
        .value_kind:     global_buffer
      - .offset:         32
        .size:           8
        .value_kind:     by_value
      - .offset:         40
        .size:           4
        .value_kind:     by_value
      - .offset:         48
        .size:           8
        .value_kind:     by_value
      - .address_space:  global
        .offset:         56
        .size:           8
        .value_kind:     global_buffer
      - .offset:         64
        .size:           8
        .value_kind:     by_value
      - .offset:         72
        .size:           4
        .value_kind:     by_value
      - .offset:         80
        .size:           8
        .value_kind:     by_value
      - .address_space:  global
        .offset:         88
        .size:           8
        .value_kind:     global_buffer
      - .offset:         96
        .size:           4
        .value_kind:     by_value
      - .offset:         104
        .size:           4
        .value_kind:     hidden_block_count_x
      - .offset:         108
        .size:           4
        .value_kind:     hidden_block_count_y
      - .offset:         112
        .size:           4
        .value_kind:     hidden_block_count_z
      - .offset:         116
        .size:           2
        .value_kind:     hidden_group_size_x
      - .offset:         118
        .size:           2
        .value_kind:     hidden_group_size_y
      - .offset:         120
        .size:           2
        .value_kind:     hidden_group_size_z
      - .offset:         122
        .size:           2
        .value_kind:     hidden_remainder_x
      - .offset:         124
        .size:           2
        .value_kind:     hidden_remainder_y
      - .offset:         126
        .size:           2
        .value_kind:     hidden_remainder_z
      - .offset:         144
        .size:           8
        .value_kind:     hidden_global_offset_x
      - .offset:         152
        .size:           8
        .value_kind:     hidden_global_offset_y
      - .offset:         160
        .size:           8
        .value_kind:     hidden_global_offset_z
      - .offset:         168
        .size:           2
        .value_kind:     hidden_grid_dims
    .group_segment_fixed_size: 256
    .kernarg_segment_align: 8
    .kernarg_segment_size: 360
    .language:       OpenCL C
    .language_version:
      - 2
      - 0
    .max_flat_workgroup_size: 256
    .name:           _ZL23rocblas_gemvt_sn_kernelILb0ELi256ELi4ElPKdddEviiT4_lPKT3_lilS5_lilPT5_i
    .private_segment_fixed_size: 0
    .sgpr_count:     52
    .sgpr_spill_count: 0
    .symbol:         _ZL23rocblas_gemvt_sn_kernelILb0ELi256ELi4ElPKdddEviiT4_lPKT3_lilS5_lilPT5_i.kd
    .uniform_work_group_size: 1
    .uses_dynamic_stack: false
    .vgpr_count:     73
    .vgpr_spill_count: 0
    .wavefront_size: 32
    .workgroup_processor_mode: 1
  - .args:
      - .offset:         0
        .size:           4
        .value_kind:     by_value
      - .offset:         8
        .size:           8
        .value_kind:     by_value
      - .offset:         16
        .size:           8
        .value_kind:     by_value
      - .address_space:  global
        .offset:         24
        .size:           8
        .value_kind:     global_buffer
      - .offset:         32
        .size:           8
        .value_kind:     by_value
      - .offset:         40
        .size:           4
        .value_kind:     by_value
      - .offset:         48
        .size:           8
        .value_kind:     by_value
      - .actual_access:  read_only
        .address_space:  global
        .offset:         56
        .size:           8
        .value_kind:     global_buffer
      - .offset:         64
        .size:           4
        .value_kind:     by_value
      - .offset:         72
        .size:           4
        .value_kind:     hidden_block_count_x
      - .offset:         76
        .size:           4
        .value_kind:     hidden_block_count_y
      - .offset:         80
        .size:           4
        .value_kind:     hidden_block_count_z
      - .offset:         84
        .size:           2
        .value_kind:     hidden_group_size_x
      - .offset:         86
        .size:           2
        .value_kind:     hidden_group_size_y
      - .offset:         88
        .size:           2
        .value_kind:     hidden_group_size_z
      - .offset:         90
        .size:           2
        .value_kind:     hidden_remainder_x
      - .offset:         92
        .size:           2
        .value_kind:     hidden_remainder_y
      - .offset:         94
        .size:           2
        .value_kind:     hidden_remainder_z
      - .offset:         112
        .size:           8
        .value_kind:     hidden_global_offset_x
      - .offset:         120
        .size:           8
        .value_kind:     hidden_global_offset_y
      - .offset:         128
        .size:           8
        .value_kind:     hidden_global_offset_z
      - .offset:         136
        .size:           2
        .value_kind:     hidden_grid_dims
    .group_segment_fixed_size: 256
    .kernarg_segment_align: 8
    .kernarg_segment_size: 328
    .language:       OpenCL C
    .language_version:
      - 2
      - 0
    .max_flat_workgroup_size: 256
    .name:           _ZL23rocblas_gemvt_sn_reduceILi256ELi8EddKPdEviT2_lPT3_lilPT1_i
    .private_segment_fixed_size: 0
    .sgpr_count:     22
    .sgpr_spill_count: 0
    .symbol:         _ZL23rocblas_gemvt_sn_reduceILi256ELi8EddKPdEviT2_lPT3_lilPT1_i.kd
    .uniform_work_group_size: 1
    .uses_dynamic_stack: false
    .vgpr_count:     22
    .vgpr_spill_count: 0
    .wavefront_size: 32
    .workgroup_processor_mode: 1
  - .args:
      - .offset:         0
        .size:           4
        .value_kind:     by_value
      - .offset:         4
        .size:           4
        .value_kind:     by_value
      - .address_space:  global
        .offset:         8
        .size:           8
        .value_kind:     global_buffer
      - .offset:         16
        .size:           8
        .value_kind:     by_value
      - .address_space:  global
        .offset:         24
        .size:           8
        .value_kind:     global_buffer
      - .offset:         32
        .size:           8
        .value_kind:     by_value
      - .offset:         40
        .size:           4
        .value_kind:     by_value
      - .offset:         48
        .size:           8
        .value_kind:     by_value
      - .address_space:  global
        .offset:         56
        .size:           8
        .value_kind:     global_buffer
      - .offset:         64
        .size:           8
        .value_kind:     by_value
      - .offset:         72
        .size:           4
        .value_kind:     by_value
      - .offset:         80
        .size:           8
        .value_kind:     by_value
      - .address_space:  global
        .offset:         88
        .size:           8
        .value_kind:     global_buffer
      - .offset:         96
        .size:           8
        .value_kind:     by_value
      - .offset:         104
        .size:           4
        .value_kind:     by_value
      - .offset:         112
        .size:           8
        .value_kind:     by_value
      - .offset:         120
        .size:           4
        .value_kind:     by_value
      - .offset:         128
        .size:           4
        .value_kind:     hidden_block_count_x
      - .offset:         132
        .size:           4
        .value_kind:     hidden_block_count_y
      - .offset:         136
        .size:           4
        .value_kind:     hidden_block_count_z
      - .offset:         140
        .size:           2
        .value_kind:     hidden_group_size_x
      - .offset:         142
        .size:           2
        .value_kind:     hidden_group_size_y
      - .offset:         144
        .size:           2
        .value_kind:     hidden_group_size_z
      - .offset:         146
        .size:           2
        .value_kind:     hidden_remainder_x
      - .offset:         148
        .size:           2
        .value_kind:     hidden_remainder_y
      - .offset:         150
        .size:           2
        .value_kind:     hidden_remainder_z
      - .offset:         168
        .size:           8
        .value_kind:     hidden_global_offset_x
      - .offset:         176
        .size:           8
        .value_kind:     hidden_global_offset_y
      - .offset:         184
        .size:           8
        .value_kind:     hidden_global_offset_z
      - .offset:         192
        .size:           2
        .value_kind:     hidden_grid_dims
    .group_segment_fixed_size: 65536
    .kernarg_segment_align: 8
    .kernarg_segment_size: 384
    .language:       OpenCL C
    .language_version:
      - 2
      - 0
    .max_flat_workgroup_size: 512
    .name:           _ZL36rocblas_gemvt_double_buffered_kernelILb0ELi128ELi4ELi16EPKdS1_KPdEviiT4_lPKT3_lilS7_lilPT5_lili
    .private_segment_fixed_size: 0
    .sgpr_count:     34
    .sgpr_spill_count: 0
    .symbol:         _ZL36rocblas_gemvt_double_buffered_kernelILb0ELi128ELi4ELi16EPKdS1_KPdEviiT4_lPKT3_lilS7_lilPT5_lili.kd
    .uniform_work_group_size: 1
    .uses_dynamic_stack: false
    .vgpr_count:     174
    .vgpr_spill_count: 0
    .wavefront_size: 32
    .workgroup_processor_mode: 1
  - .args:
      - .offset:         0
        .size:           4
        .value_kind:     by_value
      - .offset:         4
        .size:           4
        .value_kind:     by_value
      - .offset:         8
        .size:           8
        .value_kind:     by_value
      - .offset:         16
        .size:           8
        .value_kind:     by_value
      - .address_space:  global
        .offset:         24
        .size:           8
        .value_kind:     global_buffer
      - .offset:         32
        .size:           8
        .value_kind:     by_value
      - .offset:         40
        .size:           4
        .value_kind:     by_value
      - .offset:         48
        .size:           8
        .value_kind:     by_value
      - .address_space:  global
        .offset:         56
        .size:           8
        .value_kind:     global_buffer
      - .offset:         64
        .size:           8
        .value_kind:     by_value
      - .offset:         72
        .size:           4
        .value_kind:     by_value
      - .offset:         80
        .size:           8
        .value_kind:     by_value
      - .address_space:  global
        .offset:         88
        .size:           8
        .value_kind:     global_buffer
      - .offset:         96
        .size:           8
        .value_kind:     by_value
      - .offset:         104
        .size:           4
        .value_kind:     by_value
      - .offset:         112
        .size:           8
        .value_kind:     by_value
      - .offset:         120
        .size:           4
        .value_kind:     by_value
      - .offset:         128
        .size:           4
        .value_kind:     hidden_block_count_x
      - .offset:         132
        .size:           4
        .value_kind:     hidden_block_count_y
      - .offset:         136
        .size:           4
        .value_kind:     hidden_block_count_z
      - .offset:         140
        .size:           2
        .value_kind:     hidden_group_size_x
      - .offset:         142
        .size:           2
        .value_kind:     hidden_group_size_y
      - .offset:         144
        .size:           2
        .value_kind:     hidden_group_size_z
      - .offset:         146
        .size:           2
        .value_kind:     hidden_remainder_x
      - .offset:         148
        .size:           2
        .value_kind:     hidden_remainder_y
      - .offset:         150
        .size:           2
        .value_kind:     hidden_remainder_z
      - .offset:         168
        .size:           8
        .value_kind:     hidden_global_offset_x
      - .offset:         176
        .size:           8
        .value_kind:     hidden_global_offset_y
      - .offset:         184
        .size:           8
        .value_kind:     hidden_global_offset_z
      - .offset:         192
        .size:           2
        .value_kind:     hidden_grid_dims
    .group_segment_fixed_size: 65536
    .kernarg_segment_align: 8
    .kernarg_segment_size: 384
    .language:       OpenCL C
    .language_version:
      - 2
      - 0
    .max_flat_workgroup_size: 512
    .name:           _ZL36rocblas_gemvt_double_buffered_kernelILb0ELi128ELi4ELi16EPKddKPdEviiT4_lPKT3_lilS7_lilPT5_lili
    .private_segment_fixed_size: 0
    .sgpr_count:     34
    .sgpr_spill_count: 0
    .symbol:         _ZL36rocblas_gemvt_double_buffered_kernelILb0ELi128ELi4ELi16EPKddKPdEviiT4_lPKT3_lilS7_lilPT5_lili.kd
    .uniform_work_group_size: 1
    .uses_dynamic_stack: false
    .vgpr_count:     174
    .vgpr_spill_count: 0
    .wavefront_size: 32
    .workgroup_processor_mode: 1
  - .args:
      - .offset:         0
        .size:           4
        .value_kind:     by_value
      - .offset:         4
        .size:           4
        .value_kind:     by_value
      - .address_space:  global
        .offset:         8
        .size:           8
        .value_kind:     global_buffer
      - .offset:         16
        .size:           8
        .value_kind:     by_value
      - .address_space:  global
        .offset:         24
        .size:           8
        .value_kind:     global_buffer
      - .offset:         32
        .size:           8
        .value_kind:     by_value
      - .offset:         40
        .size:           4
        .value_kind:     by_value
      - .offset:         48
        .size:           8
        .value_kind:     by_value
      - .address_space:  global
        .offset:         56
        .size:           8
        .value_kind:     global_buffer
      - .offset:         64
        .size:           8
        .value_kind:     by_value
      - .offset:         72
        .size:           4
        .value_kind:     by_value
      - .offset:         80
        .size:           8
        .value_kind:     by_value
      - .address_space:  global
        .offset:         88
        .size:           8
        .value_kind:     global_buffer
      - .offset:         96
        .size:           8
        .value_kind:     by_value
      - .address_space:  global
        .offset:         104
        .size:           8
        .value_kind:     global_buffer
      - .offset:         112
        .size:           8
        .value_kind:     by_value
      - .offset:         120
        .size:           4
        .value_kind:     by_value
      - .offset:         128
        .size:           8
        .value_kind:     by_value
      - .offset:         136
        .size:           4
        .value_kind:     by_value
    .group_segment_fixed_size: 256
    .kernarg_segment_align: 8
    .kernarg_segment_size: 140
    .language:       OpenCL C
    .language_version:
      - 2
      - 0
    .max_flat_workgroup_size: 256
    .name:           _ZL32rocblas_gemvt_warp_reduce_kernelILb0ELi256EiPKdS1_KPdEviiT3_lPKT2_lT1_lS7_lS8_lS4_lPT4_lS8_li
    .private_segment_fixed_size: 0
    .sgpr_count:     26
    .sgpr_spill_count: 0
    .symbol:         _ZL32rocblas_gemvt_warp_reduce_kernelILb0ELi256EiPKdS1_KPdEviiT3_lPKT2_lT1_lS7_lS8_lS4_lPT4_lS8_li.kd
    .uniform_work_group_size: 1
    .uses_dynamic_stack: false
    .vgpr_count:     14
    .vgpr_spill_count: 0
    .wavefront_size: 32
    .workgroup_processor_mode: 1
  - .args:
      - .offset:         0
        .size:           4
        .value_kind:     by_value
      - .offset:         4
        .size:           4
        .value_kind:     by_value
      - .address_space:  global
        .offset:         8
        .size:           8
        .value_kind:     global_buffer
      - .offset:         16
        .size:           8
        .value_kind:     by_value
      - .address_space:  global
        .offset:         24
        .size:           8
        .value_kind:     global_buffer
      - .offset:         32
        .size:           8
        .value_kind:     by_value
      - .offset:         40
        .size:           8
        .value_kind:     by_value
      - .offset:         48
        .size:           8
        .value_kind:     by_value
      - .address_space:  global
        .offset:         56
        .size:           8
        .value_kind:     global_buffer
      - .offset:         64
        .size:           8
        .value_kind:     by_value
      - .offset:         72
        .size:           8
        .value_kind:     by_value
      - .offset:         80
        .size:           8
        .value_kind:     by_value
      - .address_space:  global
        .offset:         88
        .size:           8
        .value_kind:     global_buffer
      - .offset:         96
        .size:           8
        .value_kind:     by_value
      - .address_space:  global
        .offset:         104
        .size:           8
        .value_kind:     global_buffer
      - .offset:         112
        .size:           8
        .value_kind:     by_value
      - .offset:         120
        .size:           8
        .value_kind:     by_value
      - .offset:         128
        .size:           8
        .value_kind:     by_value
      - .offset:         136
        .size:           4
        .value_kind:     by_value
    .group_segment_fixed_size: 256
    .kernarg_segment_align: 8
    .kernarg_segment_size: 140
    .language:       OpenCL C
    .language_version:
      - 2
      - 0
    .max_flat_workgroup_size: 256
    .name:           _ZL32rocblas_gemvt_warp_reduce_kernelILb0ELi256ElPKdS1_KPdEviiT3_lPKT2_lT1_lS7_lS8_lS4_lPT4_lS8_li
    .private_segment_fixed_size: 0
    .sgpr_count:     33
    .sgpr_spill_count: 0
    .symbol:         _ZL32rocblas_gemvt_warp_reduce_kernelILb0ELi256ElPKdS1_KPdEviiT3_lPKT2_lT1_lS7_lS8_lS4_lPT4_lS8_li.kd
    .uniform_work_group_size: 1
    .uses_dynamic_stack: false
    .vgpr_count:     14
    .vgpr_spill_count: 0
    .wavefront_size: 32
    .workgroup_processor_mode: 1
  - .args:
      - .offset:         0
        .size:           4
        .value_kind:     by_value
      - .offset:         4
        .size:           4
        .value_kind:     by_value
      - .offset:         8
        .size:           8
        .value_kind:     by_value
      - .offset:         16
        .size:           8
        .value_kind:     by_value
      - .address_space:  global
        .offset:         24
        .size:           8
        .value_kind:     global_buffer
      - .offset:         32
        .size:           8
        .value_kind:     by_value
      - .offset:         40
        .size:           4
        .value_kind:     by_value
      - .offset:         48
        .size:           8
        .value_kind:     by_value
      - .address_space:  global
        .offset:         56
        .size:           8
        .value_kind:     global_buffer
      - .offset:         64
        .size:           8
        .value_kind:     by_value
      - .offset:         72
        .size:           4
        .value_kind:     by_value
      - .offset:         80
        .size:           8
        .value_kind:     by_value
      - .offset:         88
        .size:           8
        .value_kind:     by_value
      - .offset:         96
        .size:           8
        .value_kind:     by_value
      - .address_space:  global
        .offset:         104
        .size:           8
        .value_kind:     global_buffer
      - .offset:         112
        .size:           8
        .value_kind:     by_value
      - .offset:         120
        .size:           4
        .value_kind:     by_value
      - .offset:         128
        .size:           8
        .value_kind:     by_value
      - .offset:         136
        .size:           4
        .value_kind:     by_value
    .group_segment_fixed_size: 256
    .kernarg_segment_align: 8
    .kernarg_segment_size: 140
    .language:       OpenCL C
    .language_version:
      - 2
      - 0
    .max_flat_workgroup_size: 256
    .name:           _ZL32rocblas_gemvt_warp_reduce_kernelILb0ELi256EiPKddKPdEviiT3_lPKT2_lT1_lS7_lS8_lS4_lPT4_lS8_li
    .private_segment_fixed_size: 0
    .sgpr_count:     26
    .sgpr_spill_count: 0
    .symbol:         _ZL32rocblas_gemvt_warp_reduce_kernelILb0ELi256EiPKddKPdEviiT3_lPKT2_lT1_lS7_lS8_lS4_lPT4_lS8_li.kd
    .uniform_work_group_size: 1
    .uses_dynamic_stack: false
    .vgpr_count:     14
    .vgpr_spill_count: 0
    .wavefront_size: 32
    .workgroup_processor_mode: 1
  - .args:
      - .offset:         0
        .size:           4
        .value_kind:     by_value
      - .offset:         4
        .size:           4
        .value_kind:     by_value
      - .offset:         8
        .size:           8
        .value_kind:     by_value
      - .offset:         16
        .size:           8
        .value_kind:     by_value
      - .address_space:  global
        .offset:         24
        .size:           8
        .value_kind:     global_buffer
      - .offset:         32
        .size:           8
        .value_kind:     by_value
      - .offset:         40
        .size:           8
        .value_kind:     by_value
      - .offset:         48
        .size:           8
        .value_kind:     by_value
      - .address_space:  global
        .offset:         56
        .size:           8
        .value_kind:     global_buffer
      - .offset:         64
        .size:           8
        .value_kind:     by_value
      - .offset:         72
        .size:           8
        .value_kind:     by_value
      - .offset:         80
        .size:           8
        .value_kind:     by_value
      - .offset:         88
        .size:           8
        .value_kind:     by_value
      - .offset:         96
        .size:           8
        .value_kind:     by_value
      - .address_space:  global
        .offset:         104
        .size:           8
        .value_kind:     global_buffer
      - .offset:         112
        .size:           8
        .value_kind:     by_value
      - .offset:         120
        .size:           8
        .value_kind:     by_value
      - .offset:         128
        .size:           8
        .value_kind:     by_value
      - .offset:         136
        .size:           4
        .value_kind:     by_value
    .group_segment_fixed_size: 256
    .kernarg_segment_align: 8
    .kernarg_segment_size: 140
    .language:       OpenCL C
    .language_version:
      - 2
      - 0
    .max_flat_workgroup_size: 256
    .name:           _ZL32rocblas_gemvt_warp_reduce_kernelILb0ELi256ElPKddKPdEviiT3_lPKT2_lT1_lS7_lS8_lS4_lPT4_lS8_li
    .private_segment_fixed_size: 0
    .sgpr_count:     30
    .sgpr_spill_count: 0
    .symbol:         _ZL32rocblas_gemvt_warp_reduce_kernelILb0ELi256ElPKddKPdEviiT3_lPKT2_lT1_lS7_lS8_lS4_lPT4_lS8_li.kd
    .uniform_work_group_size: 1
    .uses_dynamic_stack: false
    .vgpr_count:     14
    .vgpr_spill_count: 0
    .wavefront_size: 32
    .workgroup_processor_mode: 1
  - .args:
      - .offset:         0
        .size:           4
        .value_kind:     by_value
      - .offset:         4
        .size:           4
        .value_kind:     by_value
      - .address_space:  global
        .offset:         8
        .size:           8
        .value_kind:     global_buffer
      - .offset:         16
        .size:           8
        .value_kind:     by_value
      - .address_space:  global
        .offset:         24
        .size:           8
        .value_kind:     global_buffer
      - .offset:         32
        .size:           8
        .value_kind:     by_value
      - .offset:         40
        .size:           4
        .value_kind:     by_value
      - .offset:         48
        .size:           8
        .value_kind:     by_value
      - .address_space:  global
        .offset:         56
        .size:           8
        .value_kind:     global_buffer
      - .offset:         64
        .size:           8
        .value_kind:     by_value
      - .offset:         72
        .size:           4
        .value_kind:     by_value
      - .offset:         80
        .size:           8
        .value_kind:     by_value
      - .address_space:  global
        .offset:         88
        .size:           8
        .value_kind:     global_buffer
      - .offset:         96
        .size:           8
        .value_kind:     by_value
      - .address_space:  global
        .offset:         104
        .size:           8
        .value_kind:     global_buffer
      - .offset:         112
        .size:           8
        .value_kind:     by_value
      - .offset:         120
        .size:           4
        .value_kind:     by_value
      - .offset:         128
        .size:           8
        .value_kind:     by_value
      - .offset:         136
        .size:           4
        .value_kind:     by_value
    .group_segment_fixed_size: 2048
    .kernarg_segment_align: 8
    .kernarg_segment_size: 140
    .language:       OpenCL C
    .language_version:
      - 2
      - 0
    .max_flat_workgroup_size: 256
    .name:           _ZL20rocblas_gemvt_kernelILb0ELi256EPKdS1_KPdEviiT2_lPKT1_lilS7_lilS4_lPT3_lili
    .private_segment_fixed_size: 0
    .sgpr_count:     26
    .sgpr_spill_count: 0
    .symbol:         _ZL20rocblas_gemvt_kernelILb0ELi256EPKdS1_KPdEviiT2_lPKT1_lilS7_lilS4_lPT3_lili.kd
    .uniform_work_group_size: 1
    .uses_dynamic_stack: false
    .vgpr_count:     13
    .vgpr_spill_count: 0
    .wavefront_size: 32
    .workgroup_processor_mode: 1
  - .args:
      - .offset:         0
        .size:           4
        .value_kind:     by_value
      - .offset:         4
        .size:           4
        .value_kind:     by_value
      - .offset:         8
        .size:           8
        .value_kind:     by_value
      - .offset:         16
        .size:           8
        .value_kind:     by_value
      - .address_space:  global
        .offset:         24
        .size:           8
        .value_kind:     global_buffer
      - .offset:         32
        .size:           8
        .value_kind:     by_value
      - .offset:         40
        .size:           4
        .value_kind:     by_value
      - .offset:         48
        .size:           8
        .value_kind:     by_value
      - .address_space:  global
        .offset:         56
        .size:           8
        .value_kind:     global_buffer
      - .offset:         64
        .size:           8
        .value_kind:     by_value
      - .offset:         72
        .size:           4
        .value_kind:     by_value
      - .offset:         80
        .size:           8
        .value_kind:     by_value
      - .offset:         88
        .size:           8
        .value_kind:     by_value
      - .offset:         96
        .size:           8
        .value_kind:     by_value
      - .address_space:  global
        .offset:         104
        .size:           8
        .value_kind:     global_buffer
      - .offset:         112
        .size:           8
        .value_kind:     by_value
      - .offset:         120
        .size:           4
        .value_kind:     by_value
      - .offset:         128
        .size:           8
        .value_kind:     by_value
      - .offset:         136
        .size:           4
        .value_kind:     by_value
    .group_segment_fixed_size: 2048
    .kernarg_segment_align: 8
    .kernarg_segment_size: 140
    .language:       OpenCL C
    .language_version:
      - 2
      - 0
    .max_flat_workgroup_size: 256
    .name:           _ZL20rocblas_gemvt_kernelILb0ELi256EPKddKPdEviiT2_lPKT1_lilS7_lilS4_lPT3_lili
    .private_segment_fixed_size: 0
    .sgpr_count:     26
    .sgpr_spill_count: 0
    .symbol:         _ZL20rocblas_gemvt_kernelILb0ELi256EPKddKPdEviiT2_lPKT1_lilS7_lilS4_lPT3_lili.kd
    .uniform_work_group_size: 1
    .uses_dynamic_stack: false
    .vgpr_count:     13
    .vgpr_spill_count: 0
    .wavefront_size: 32
    .workgroup_processor_mode: 1
  - .args:
      - .offset:         0
        .size:           4
        .value_kind:     by_value
      - .offset:         4
        .size:           4
        .value_kind:     by_value
      - .address_space:  global
        .offset:         8
        .size:           8
        .value_kind:     global_buffer
      - .offset:         16
        .size:           8
        .value_kind:     by_value
      - .address_space:  global
        .offset:         24
        .size:           8
        .value_kind:     global_buffer
      - .offset:         32
        .size:           8
        .value_kind:     by_value
      - .offset:         40
        .size:           4
        .value_kind:     by_value
      - .offset:         48
        .size:           8
        .value_kind:     by_value
      - .address_space:  global
        .offset:         56
        .size:           8
        .value_kind:     global_buffer
      - .offset:         64
        .size:           8
        .value_kind:     by_value
      - .offset:         72
        .size:           4
        .value_kind:     by_value
      - .offset:         80
        .size:           8
        .value_kind:     by_value
      - .address_space:  global
        .offset:         88
        .size:           8
        .value_kind:     global_buffer
      - .offset:         96
        .size:           8
        .value_kind:     by_value
      - .address_space:  global
        .offset:         104
        .size:           8
        .value_kind:     global_buffer
      - .offset:         112
        .size:           8
        .value_kind:     by_value
      - .offset:         120
        .size:           4
        .value_kind:     by_value
      - .offset:         128
        .size:           8
        .value_kind:     by_value
      - .offset:         136
        .size:           4
        .value_kind:     by_value
    .group_segment_fixed_size: 256
    .kernarg_segment_align: 8
    .kernarg_segment_size: 140
    .language:       OpenCL C
    .language_version:
      - 2
      - 0
    .max_flat_workgroup_size: 1024
    .name:           _ZL32rocblas_gemvt_warp_reduce_kernelILb0ELi1024EiPKdS1_KPdEviiT3_lPKT2_lT1_lS7_lS8_lS4_lPT4_lS8_li
    .private_segment_fixed_size: 0
    .sgpr_count:     26
    .sgpr_spill_count: 0
    .symbol:         _ZL32rocblas_gemvt_warp_reduce_kernelILb0ELi1024EiPKdS1_KPdEviiT3_lPKT2_lT1_lS7_lS8_lS4_lPT4_lS8_li.kd
    .uniform_work_group_size: 1
    .uses_dynamic_stack: false
    .vgpr_count:     14
    .vgpr_spill_count: 0
    .wavefront_size: 32
    .workgroup_processor_mode: 1
  - .args:
      - .offset:         0
        .size:           4
        .value_kind:     by_value
      - .offset:         4
        .size:           4
        .value_kind:     by_value
      - .address_space:  global
        .offset:         8
        .size:           8
        .value_kind:     global_buffer
      - .offset:         16
        .size:           8
        .value_kind:     by_value
      - .address_space:  global
        .offset:         24
        .size:           8
        .value_kind:     global_buffer
      - .offset:         32
        .size:           8
        .value_kind:     by_value
      - .offset:         40
        .size:           8
        .value_kind:     by_value
      - .offset:         48
        .size:           8
        .value_kind:     by_value
      - .address_space:  global
        .offset:         56
        .size:           8
        .value_kind:     global_buffer
      - .offset:         64
        .size:           8
        .value_kind:     by_value
      - .offset:         72
        .size:           8
        .value_kind:     by_value
      - .offset:         80
        .size:           8
        .value_kind:     by_value
      - .address_space:  global
        .offset:         88
        .size:           8
        .value_kind:     global_buffer
      - .offset:         96
        .size:           8
        .value_kind:     by_value
      - .address_space:  global
        .offset:         104
        .size:           8
        .value_kind:     global_buffer
      - .offset:         112
        .size:           8
        .value_kind:     by_value
      - .offset:         120
        .size:           8
        .value_kind:     by_value
      - .offset:         128
        .size:           8
        .value_kind:     by_value
      - .offset:         136
        .size:           4
        .value_kind:     by_value
    .group_segment_fixed_size: 256
    .kernarg_segment_align: 8
    .kernarg_segment_size: 140
    .language:       OpenCL C
    .language_version:
      - 2
      - 0
    .max_flat_workgroup_size: 1024
    .name:           _ZL32rocblas_gemvt_warp_reduce_kernelILb0ELi1024ElPKdS1_KPdEviiT3_lPKT2_lT1_lS7_lS8_lS4_lPT4_lS8_li
    .private_segment_fixed_size: 0
    .sgpr_count:     33
    .sgpr_spill_count: 0
    .symbol:         _ZL32rocblas_gemvt_warp_reduce_kernelILb0ELi1024ElPKdS1_KPdEviiT3_lPKT2_lT1_lS7_lS8_lS4_lPT4_lS8_li.kd
    .uniform_work_group_size: 1
    .uses_dynamic_stack: false
    .vgpr_count:     14
    .vgpr_spill_count: 0
    .wavefront_size: 32
    .workgroup_processor_mode: 1
  - .args:
      - .offset:         0
        .size:           4
        .value_kind:     by_value
      - .offset:         4
        .size:           4
        .value_kind:     by_value
      - .offset:         8
        .size:           8
        .value_kind:     by_value
      - .offset:         16
        .size:           8
        .value_kind:     by_value
      - .address_space:  global
        .offset:         24
        .size:           8
        .value_kind:     global_buffer
      - .offset:         32
        .size:           8
        .value_kind:     by_value
      - .offset:         40
        .size:           4
        .value_kind:     by_value
      - .offset:         48
        .size:           8
        .value_kind:     by_value
      - .address_space:  global
        .offset:         56
        .size:           8
        .value_kind:     global_buffer
      - .offset:         64
        .size:           8
        .value_kind:     by_value
      - .offset:         72
        .size:           4
        .value_kind:     by_value
      - .offset:         80
        .size:           8
        .value_kind:     by_value
      - .offset:         88
        .size:           8
        .value_kind:     by_value
      - .offset:         96
        .size:           8
        .value_kind:     by_value
      - .address_space:  global
        .offset:         104
        .size:           8
        .value_kind:     global_buffer
      - .offset:         112
        .size:           8
        .value_kind:     by_value
      - .offset:         120
        .size:           4
        .value_kind:     by_value
      - .offset:         128
        .size:           8
        .value_kind:     by_value
      - .offset:         136
        .size:           4
        .value_kind:     by_value
    .group_segment_fixed_size: 256
    .kernarg_segment_align: 8
    .kernarg_segment_size: 140
    .language:       OpenCL C
    .language_version:
      - 2
      - 0
    .max_flat_workgroup_size: 1024
    .name:           _ZL32rocblas_gemvt_warp_reduce_kernelILb0ELi1024EiPKddKPdEviiT3_lPKT2_lT1_lS7_lS8_lS4_lPT4_lS8_li
    .private_segment_fixed_size: 0
    .sgpr_count:     26
    .sgpr_spill_count: 0
    .symbol:         _ZL32rocblas_gemvt_warp_reduce_kernelILb0ELi1024EiPKddKPdEviiT3_lPKT2_lT1_lS7_lS8_lS4_lPT4_lS8_li.kd
    .uniform_work_group_size: 1
    .uses_dynamic_stack: false
    .vgpr_count:     14
    .vgpr_spill_count: 0
    .wavefront_size: 32
    .workgroup_processor_mode: 1
  - .args:
      - .offset:         0
        .size:           4
        .value_kind:     by_value
      - .offset:         4
        .size:           4
        .value_kind:     by_value
      - .offset:         8
        .size:           8
        .value_kind:     by_value
      - .offset:         16
        .size:           8
        .value_kind:     by_value
      - .address_space:  global
        .offset:         24
        .size:           8
        .value_kind:     global_buffer
      - .offset:         32
        .size:           8
        .value_kind:     by_value
      - .offset:         40
        .size:           8
        .value_kind:     by_value
      - .offset:         48
        .size:           8
        .value_kind:     by_value
      - .address_space:  global
        .offset:         56
        .size:           8
        .value_kind:     global_buffer
      - .offset:         64
        .size:           8
        .value_kind:     by_value
      - .offset:         72
        .size:           8
        .value_kind:     by_value
      - .offset:         80
        .size:           8
        .value_kind:     by_value
      - .offset:         88
        .size:           8
        .value_kind:     by_value
      - .offset:         96
        .size:           8
        .value_kind:     by_value
      - .address_space:  global
        .offset:         104
        .size:           8
        .value_kind:     global_buffer
      - .offset:         112
        .size:           8
        .value_kind:     by_value
      - .offset:         120
        .size:           8
        .value_kind:     by_value
      - .offset:         128
        .size:           8
        .value_kind:     by_value
      - .offset:         136
        .size:           4
        .value_kind:     by_value
    .group_segment_fixed_size: 256
    .kernarg_segment_align: 8
    .kernarg_segment_size: 140
    .language:       OpenCL C
    .language_version:
      - 2
      - 0
    .max_flat_workgroup_size: 1024
    .name:           _ZL32rocblas_gemvt_warp_reduce_kernelILb0ELi1024ElPKddKPdEviiT3_lPKT2_lT1_lS7_lS8_lS4_lPT4_lS8_li
    .private_segment_fixed_size: 0
    .sgpr_count:     30
    .sgpr_spill_count: 0
    .symbol:         _ZL32rocblas_gemvt_warp_reduce_kernelILb0ELi1024ElPKddKPdEviiT3_lPKT2_lT1_lS7_lS8_lS4_lPT4_lS8_li.kd
    .uniform_work_group_size: 1
    .uses_dynamic_stack: false
    .vgpr_count:     14
    .vgpr_spill_count: 0
    .wavefront_size: 32
    .workgroup_processor_mode: 1
  - .args:
      - .offset:         0
        .size:           4
        .value_kind:     by_value
      - .offset:         4
        .size:           4
        .value_kind:     by_value
      - .address_space:  global
        .offset:         8
        .size:           8
        .value_kind:     global_buffer
      - .offset:         16
        .size:           8
        .value_kind:     by_value
      - .address_space:  global
        .offset:         24
        .size:           8
        .value_kind:     global_buffer
      - .offset:         32
        .size:           8
        .value_kind:     by_value
      - .offset:         40
        .size:           4
        .value_kind:     by_value
      - .offset:         48
        .size:           8
        .value_kind:     by_value
      - .address_space:  global
        .offset:         56
        .size:           8
        .value_kind:     global_buffer
      - .offset:         64
        .size:           8
        .value_kind:     by_value
      - .offset:         72
        .size:           4
        .value_kind:     by_value
      - .offset:         80
        .size:           8
        .value_kind:     by_value
      - .address_space:  global
        .offset:         88
        .size:           8
        .value_kind:     global_buffer
      - .offset:         96
        .size:           8
        .value_kind:     by_value
      - .address_space:  global
        .offset:         104
        .size:           8
        .value_kind:     global_buffer
      - .offset:         112
        .size:           8
        .value_kind:     by_value
      - .offset:         120
        .size:           4
        .value_kind:     by_value
      - .offset:         128
        .size:           8
        .value_kind:     by_value
    .group_segment_fixed_size: 512
    .kernarg_segment_align: 8
    .kernarg_segment_size: 136
    .language:       OpenCL C
    .language_version:
      - 2
      - 0
    .max_flat_workgroup_size: 256
    .name:           _ZL22rocblas_gemvtsm_kernelILb1ELi256EPKdS1_KPdEviiT2_lPKT1_lilS7_lilS4_lPT3_lil
    .private_segment_fixed_size: 0
    .sgpr_count:     26
    .sgpr_spill_count: 0
    .symbol:         _ZL22rocblas_gemvtsm_kernelILb1ELi256EPKdS1_KPdEviiT2_lPKT1_lilS7_lilS4_lPT3_lil.kd
    .uniform_work_group_size: 1
    .uses_dynamic_stack: false
    .vgpr_count:     34
    .vgpr_spill_count: 0
    .wavefront_size: 32
    .workgroup_processor_mode: 1
  - .args:
      - .offset:         0
        .size:           4
        .value_kind:     by_value
      - .offset:         4
        .size:           4
        .value_kind:     by_value
      - .offset:         8
        .size:           8
        .value_kind:     by_value
      - .offset:         16
        .size:           8
        .value_kind:     by_value
      - .address_space:  global
        .offset:         24
        .size:           8
        .value_kind:     global_buffer
      - .offset:         32
        .size:           8
        .value_kind:     by_value
      - .offset:         40
        .size:           4
        .value_kind:     by_value
      - .offset:         48
        .size:           8
        .value_kind:     by_value
      - .address_space:  global
        .offset:         56
        .size:           8
        .value_kind:     global_buffer
      - .offset:         64
        .size:           8
        .value_kind:     by_value
      - .offset:         72
        .size:           4
        .value_kind:     by_value
      - .offset:         80
        .size:           8
        .value_kind:     by_value
      - .offset:         88
        .size:           8
        .value_kind:     by_value
      - .offset:         96
        .size:           8
        .value_kind:     by_value
      - .address_space:  global
        .offset:         104
        .size:           8
        .value_kind:     global_buffer
      - .offset:         112
        .size:           8
        .value_kind:     by_value
      - .offset:         120
        .size:           4
        .value_kind:     by_value
      - .offset:         128
        .size:           8
        .value_kind:     by_value
    .group_segment_fixed_size: 512
    .kernarg_segment_align: 8
    .kernarg_segment_size: 136
    .language:       OpenCL C
    .language_version:
      - 2
      - 0
    .max_flat_workgroup_size: 256
    .name:           _ZL22rocblas_gemvtsm_kernelILb1ELi256EPKddKPdEviiT2_lPKT1_lilS7_lilS4_lPT3_lil
    .private_segment_fixed_size: 0
    .sgpr_count:     26
    .sgpr_spill_count: 0
    .symbol:         _ZL22rocblas_gemvtsm_kernelILb1ELi256EPKddKPdEviiT2_lPKT1_lilS7_lilS4_lPT3_lil.kd
    .uniform_work_group_size: 1
    .uses_dynamic_stack: false
    .vgpr_count:     34
    .vgpr_spill_count: 0
    .wavefront_size: 32
    .workgroup_processor_mode: 1
  - .args:
      - .offset:         0
        .size:           4
        .value_kind:     by_value
      - .offset:         4
        .size:           4
        .value_kind:     by_value
      - .address_space:  global
        .offset:         8
        .size:           8
        .value_kind:     global_buffer
      - .offset:         16
        .size:           8
        .value_kind:     by_value
      - .address_space:  global
        .offset:         24
        .size:           8
        .value_kind:     global_buffer
      - .offset:         32
        .size:           8
        .value_kind:     by_value
      - .offset:         40
        .size:           4
        .value_kind:     by_value
      - .offset:         48
        .size:           8
        .value_kind:     by_value
      - .address_space:  global
        .offset:         56
        .size:           8
        .value_kind:     global_buffer
      - .offset:         64
        .size:           8
        .value_kind:     by_value
      - .offset:         72
        .size:           4
        .value_kind:     by_value
      - .offset:         80
        .size:           8
        .value_kind:     by_value
      - .address_space:  global
        .offset:         88
        .size:           8
        .value_kind:     global_buffer
      - .offset:         96
        .size:           4
        .value_kind:     by_value
      - .offset:         104
        .size:           4
        .value_kind:     hidden_block_count_x
      - .offset:         108
        .size:           4
        .value_kind:     hidden_block_count_y
      - .offset:         112
        .size:           4
        .value_kind:     hidden_block_count_z
      - .offset:         116
        .size:           2
        .value_kind:     hidden_group_size_x
      - .offset:         118
        .size:           2
        .value_kind:     hidden_group_size_y
      - .offset:         120
        .size:           2
        .value_kind:     hidden_group_size_z
      - .offset:         122
        .size:           2
        .value_kind:     hidden_remainder_x
      - .offset:         124
        .size:           2
        .value_kind:     hidden_remainder_y
      - .offset:         126
        .size:           2
        .value_kind:     hidden_remainder_z
      - .offset:         144
        .size:           8
        .value_kind:     hidden_global_offset_x
      - .offset:         152
        .size:           8
        .value_kind:     hidden_global_offset_y
      - .offset:         160
        .size:           8
        .value_kind:     hidden_global_offset_z
      - .offset:         168
        .size:           2
        .value_kind:     hidden_grid_dims
    .group_segment_fixed_size: 256
    .kernarg_segment_align: 8
    .kernarg_segment_size: 360
    .language:       OpenCL C
    .language_version:
      - 2
      - 0
    .max_flat_workgroup_size: 256
    .name:           _ZL23rocblas_gemvt_sn_kernelILb1ELi256ELi4EiPKdS1_dEviiT4_lPKT3_lilS5_lilPT5_i
    .private_segment_fixed_size: 0
    .sgpr_count:     48
    .sgpr_spill_count: 0
    .symbol:         _ZL23rocblas_gemvt_sn_kernelILb1ELi256ELi4EiPKdS1_dEviiT4_lPKT3_lilS5_lilPT5_i.kd
    .uniform_work_group_size: 1
    .uses_dynamic_stack: false
    .vgpr_count:     67
    .vgpr_spill_count: 0
    .wavefront_size: 32
    .workgroup_processor_mode: 1
  - .args:
      - .offset:         0
        .size:           4
        .value_kind:     by_value
      - .offset:         4
        .size:           4
        .value_kind:     by_value
      - .address_space:  global
        .offset:         8
        .size:           8
        .value_kind:     global_buffer
      - .offset:         16
        .size:           8
        .value_kind:     by_value
      - .address_space:  global
        .offset:         24
        .size:           8
        .value_kind:     global_buffer
      - .offset:         32
        .size:           8
        .value_kind:     by_value
      - .offset:         40
        .size:           4
        .value_kind:     by_value
      - .offset:         48
        .size:           8
        .value_kind:     by_value
      - .address_space:  global
        .offset:         56
        .size:           8
        .value_kind:     global_buffer
      - .offset:         64
        .size:           8
        .value_kind:     by_value
      - .offset:         72
        .size:           4
        .value_kind:     by_value
      - .offset:         80
        .size:           8
        .value_kind:     by_value
      - .address_space:  global
        .offset:         88
        .size:           8
        .value_kind:     global_buffer
      - .offset:         96
        .size:           4
        .value_kind:     by_value
      - .offset:         104
        .size:           4
        .value_kind:     hidden_block_count_x
      - .offset:         108
        .size:           4
        .value_kind:     hidden_block_count_y
      - .offset:         112
        .size:           4
        .value_kind:     hidden_block_count_z
      - .offset:         116
        .size:           2
        .value_kind:     hidden_group_size_x
      - .offset:         118
        .size:           2
        .value_kind:     hidden_group_size_y
      - .offset:         120
        .size:           2
        .value_kind:     hidden_group_size_z
      - .offset:         122
        .size:           2
        .value_kind:     hidden_remainder_x
      - .offset:         124
        .size:           2
        .value_kind:     hidden_remainder_y
      - .offset:         126
        .size:           2
        .value_kind:     hidden_remainder_z
      - .offset:         144
        .size:           8
        .value_kind:     hidden_global_offset_x
      - .offset:         152
        .size:           8
        .value_kind:     hidden_global_offset_y
      - .offset:         160
        .size:           8
        .value_kind:     hidden_global_offset_z
      - .offset:         168
        .size:           2
        .value_kind:     hidden_grid_dims
    .group_segment_fixed_size: 256
    .kernarg_segment_align: 8
    .kernarg_segment_size: 360
    .language:       OpenCL C
    .language_version:
      - 2
      - 0
    .max_flat_workgroup_size: 256
    .name:           _ZL23rocblas_gemvt_sn_kernelILb1ELi256ELi4ElPKdS1_dEviiT4_lPKT3_lilS5_lilPT5_i
    .private_segment_fixed_size: 0
    .sgpr_count:     52
    .sgpr_spill_count: 0
    .symbol:         _ZL23rocblas_gemvt_sn_kernelILb1ELi256ELi4ElPKdS1_dEviiT4_lPKT3_lilS5_lilPT5_i.kd
    .uniform_work_group_size: 1
    .uses_dynamic_stack: false
    .vgpr_count:     73
    .vgpr_spill_count: 0
    .wavefront_size: 32
    .workgroup_processor_mode: 1
  - .args:
      - .offset:         0
        .size:           4
        .value_kind:     by_value
      - .offset:         4
        .size:           4
        .value_kind:     by_value
      - .offset:         8
        .size:           8
        .value_kind:     by_value
      - .offset:         16
        .size:           8
        .value_kind:     by_value
      - .address_space:  global
        .offset:         24
        .size:           8
        .value_kind:     global_buffer
      - .offset:         32
        .size:           8
        .value_kind:     by_value
      - .offset:         40
        .size:           4
        .value_kind:     by_value
      - .offset:         48
        .size:           8
        .value_kind:     by_value
      - .address_space:  global
        .offset:         56
        .size:           8
        .value_kind:     global_buffer
      - .offset:         64
        .size:           8
        .value_kind:     by_value
      - .offset:         72
        .size:           4
        .value_kind:     by_value
      - .offset:         80
        .size:           8
        .value_kind:     by_value
      - .address_space:  global
        .offset:         88
        .size:           8
        .value_kind:     global_buffer
      - .offset:         96
        .size:           4
        .value_kind:     by_value
      - .offset:         104
        .size:           4
        .value_kind:     hidden_block_count_x
      - .offset:         108
        .size:           4
        .value_kind:     hidden_block_count_y
      - .offset:         112
        .size:           4
        .value_kind:     hidden_block_count_z
      - .offset:         116
        .size:           2
        .value_kind:     hidden_group_size_x
      - .offset:         118
        .size:           2
        .value_kind:     hidden_group_size_y
      - .offset:         120
        .size:           2
        .value_kind:     hidden_group_size_z
      - .offset:         122
        .size:           2
        .value_kind:     hidden_remainder_x
      - .offset:         124
        .size:           2
        .value_kind:     hidden_remainder_y
      - .offset:         126
        .size:           2
        .value_kind:     hidden_remainder_z
      - .offset:         144
        .size:           8
        .value_kind:     hidden_global_offset_x
      - .offset:         152
        .size:           8
        .value_kind:     hidden_global_offset_y
      - .offset:         160
        .size:           8
        .value_kind:     hidden_global_offset_z
      - .offset:         168
        .size:           2
        .value_kind:     hidden_grid_dims
    .group_segment_fixed_size: 256
    .kernarg_segment_align: 8
    .kernarg_segment_size: 360
    .language:       OpenCL C
    .language_version:
      - 2
      - 0
    .max_flat_workgroup_size: 256
    .name:           _ZL23rocblas_gemvt_sn_kernelILb1ELi256ELi4EiPKdddEviiT4_lPKT3_lilS5_lilPT5_i
    .private_segment_fixed_size: 0
    .sgpr_count:     48
    .sgpr_spill_count: 0
    .symbol:         _ZL23rocblas_gemvt_sn_kernelILb1ELi256ELi4EiPKdddEviiT4_lPKT3_lilS5_lilPT5_i.kd
    .uniform_work_group_size: 1
    .uses_dynamic_stack: false
    .vgpr_count:     67
    .vgpr_spill_count: 0
    .wavefront_size: 32
    .workgroup_processor_mode: 1
  - .args:
      - .offset:         0
        .size:           4
        .value_kind:     by_value
      - .offset:         4
        .size:           4
        .value_kind:     by_value
      - .offset:         8
        .size:           8
        .value_kind:     by_value
      - .offset:         16
        .size:           8
        .value_kind:     by_value
      - .address_space:  global
        .offset:         24
        .size:           8
        .value_kind:     global_buffer
      - .offset:         32
        .size:           8
        .value_kind:     by_value
      - .offset:         40
        .size:           4
        .value_kind:     by_value
      - .offset:         48
        .size:           8
        .value_kind:     by_value
      - .address_space:  global
        .offset:         56
        .size:           8
        .value_kind:     global_buffer
      - .offset:         64
        .size:           8
        .value_kind:     by_value
      - .offset:         72
        .size:           4
        .value_kind:     by_value
      - .offset:         80
        .size:           8
        .value_kind:     by_value
      - .address_space:  global
        .offset:         88
        .size:           8
        .value_kind:     global_buffer
      - .offset:         96
        .size:           4
        .value_kind:     by_value
      - .offset:         104
        .size:           4
        .value_kind:     hidden_block_count_x
      - .offset:         108
        .size:           4
        .value_kind:     hidden_block_count_y
      - .offset:         112
        .size:           4
        .value_kind:     hidden_block_count_z
      - .offset:         116
        .size:           2
        .value_kind:     hidden_group_size_x
      - .offset:         118
        .size:           2
        .value_kind:     hidden_group_size_y
      - .offset:         120
        .size:           2
        .value_kind:     hidden_group_size_z
      - .offset:         122
        .size:           2
        .value_kind:     hidden_remainder_x
      - .offset:         124
        .size:           2
        .value_kind:     hidden_remainder_y
      - .offset:         126
        .size:           2
        .value_kind:     hidden_remainder_z
      - .offset:         144
        .size:           8
        .value_kind:     hidden_global_offset_x
      - .offset:         152
        .size:           8
        .value_kind:     hidden_global_offset_y
      - .offset:         160
        .size:           8
        .value_kind:     hidden_global_offset_z
      - .offset:         168
        .size:           2
        .value_kind:     hidden_grid_dims
    .group_segment_fixed_size: 256
    .kernarg_segment_align: 8
    .kernarg_segment_size: 360
    .language:       OpenCL C
    .language_version:
      - 2
      - 0
    .max_flat_workgroup_size: 256
    .name:           _ZL23rocblas_gemvt_sn_kernelILb1ELi256ELi4ElPKdddEviiT4_lPKT3_lilS5_lilPT5_i
    .private_segment_fixed_size: 0
    .sgpr_count:     52
    .sgpr_spill_count: 0
    .symbol:         _ZL23rocblas_gemvt_sn_kernelILb1ELi256ELi4ElPKdddEviiT4_lPKT3_lilS5_lilPT5_i.kd
    .uniform_work_group_size: 1
    .uses_dynamic_stack: false
    .vgpr_count:     73
    .vgpr_spill_count: 0
    .wavefront_size: 32
    .workgroup_processor_mode: 1
  - .args:
      - .offset:         0
        .size:           4
        .value_kind:     by_value
      - .offset:         4
        .size:           4
        .value_kind:     by_value
      - .address_space:  global
        .offset:         8
        .size:           8
        .value_kind:     global_buffer
      - .offset:         16
        .size:           8
        .value_kind:     by_value
      - .address_space:  global
        .offset:         24
        .size:           8
        .value_kind:     global_buffer
      - .offset:         32
        .size:           8
        .value_kind:     by_value
      - .offset:         40
        .size:           4
        .value_kind:     by_value
      - .offset:         48
        .size:           8
        .value_kind:     by_value
      - .address_space:  global
        .offset:         56
        .size:           8
        .value_kind:     global_buffer
      - .offset:         64
        .size:           8
        .value_kind:     by_value
      - .offset:         72
        .size:           4
        .value_kind:     by_value
      - .offset:         80
        .size:           8
        .value_kind:     by_value
      - .address_space:  global
        .offset:         88
        .size:           8
        .value_kind:     global_buffer
      - .offset:         96
        .size:           8
        .value_kind:     by_value
      - .offset:         104
        .size:           4
        .value_kind:     by_value
      - .offset:         112
        .size:           8
        .value_kind:     by_value
      - .offset:         120
        .size:           4
        .value_kind:     by_value
      - .offset:         128
        .size:           4
        .value_kind:     hidden_block_count_x
      - .offset:         132
        .size:           4
        .value_kind:     hidden_block_count_y
      - .offset:         136
        .size:           4
        .value_kind:     hidden_block_count_z
      - .offset:         140
        .size:           2
        .value_kind:     hidden_group_size_x
      - .offset:         142
        .size:           2
        .value_kind:     hidden_group_size_y
      - .offset:         144
        .size:           2
        .value_kind:     hidden_group_size_z
      - .offset:         146
        .size:           2
        .value_kind:     hidden_remainder_x
      - .offset:         148
        .size:           2
        .value_kind:     hidden_remainder_y
      - .offset:         150
        .size:           2
        .value_kind:     hidden_remainder_z
      - .offset:         168
        .size:           8
        .value_kind:     hidden_global_offset_x
      - .offset:         176
        .size:           8
        .value_kind:     hidden_global_offset_y
      - .offset:         184
        .size:           8
        .value_kind:     hidden_global_offset_z
      - .offset:         192
        .size:           2
        .value_kind:     hidden_grid_dims
    .group_segment_fixed_size: 65536
    .kernarg_segment_align: 8
    .kernarg_segment_size: 384
    .language:       OpenCL C
    .language_version:
      - 2
      - 0
    .max_flat_workgroup_size: 512
    .name:           _ZL36rocblas_gemvt_double_buffered_kernelILb1ELi128ELi4ELi16EPKdS1_KPdEviiT4_lPKT3_lilS7_lilPT5_lili
    .private_segment_fixed_size: 0
    .sgpr_count:     34
    .sgpr_spill_count: 0
    .symbol:         _ZL36rocblas_gemvt_double_buffered_kernelILb1ELi128ELi4ELi16EPKdS1_KPdEviiT4_lPKT3_lilS7_lilPT5_lili.kd
    .uniform_work_group_size: 1
    .uses_dynamic_stack: false
    .vgpr_count:     174
    .vgpr_spill_count: 0
    .wavefront_size: 32
    .workgroup_processor_mode: 1
  - .args:
      - .offset:         0
        .size:           4
        .value_kind:     by_value
      - .offset:         4
        .size:           4
        .value_kind:     by_value
      - .offset:         8
        .size:           8
        .value_kind:     by_value
      - .offset:         16
        .size:           8
        .value_kind:     by_value
      - .address_space:  global
        .offset:         24
        .size:           8
        .value_kind:     global_buffer
      - .offset:         32
        .size:           8
        .value_kind:     by_value
      - .offset:         40
        .size:           4
        .value_kind:     by_value
      - .offset:         48
        .size:           8
        .value_kind:     by_value
      - .address_space:  global
        .offset:         56
        .size:           8
        .value_kind:     global_buffer
      - .offset:         64
        .size:           8
        .value_kind:     by_value
      - .offset:         72
        .size:           4
        .value_kind:     by_value
      - .offset:         80
        .size:           8
        .value_kind:     by_value
      - .address_space:  global
        .offset:         88
        .size:           8
        .value_kind:     global_buffer
      - .offset:         96
        .size:           8
        .value_kind:     by_value
      - .offset:         104
        .size:           4
        .value_kind:     by_value
      - .offset:         112
        .size:           8
        .value_kind:     by_value
      - .offset:         120
        .size:           4
        .value_kind:     by_value
      - .offset:         128
        .size:           4
        .value_kind:     hidden_block_count_x
      - .offset:         132
        .size:           4
        .value_kind:     hidden_block_count_y
      - .offset:         136
        .size:           4
        .value_kind:     hidden_block_count_z
      - .offset:         140
        .size:           2
        .value_kind:     hidden_group_size_x
      - .offset:         142
        .size:           2
        .value_kind:     hidden_group_size_y
      - .offset:         144
        .size:           2
        .value_kind:     hidden_group_size_z
      - .offset:         146
        .size:           2
        .value_kind:     hidden_remainder_x
      - .offset:         148
        .size:           2
        .value_kind:     hidden_remainder_y
      - .offset:         150
        .size:           2
        .value_kind:     hidden_remainder_z
      - .offset:         168
        .size:           8
        .value_kind:     hidden_global_offset_x
      - .offset:         176
        .size:           8
        .value_kind:     hidden_global_offset_y
      - .offset:         184
        .size:           8
        .value_kind:     hidden_global_offset_z
      - .offset:         192
        .size:           2
        .value_kind:     hidden_grid_dims
    .group_segment_fixed_size: 65536
    .kernarg_segment_align: 8
    .kernarg_segment_size: 384
    .language:       OpenCL C
    .language_version:
      - 2
      - 0
    .max_flat_workgroup_size: 512
    .name:           _ZL36rocblas_gemvt_double_buffered_kernelILb1ELi128ELi4ELi16EPKddKPdEviiT4_lPKT3_lilS7_lilPT5_lili
    .private_segment_fixed_size: 0
    .sgpr_count:     34
    .sgpr_spill_count: 0
    .symbol:         _ZL36rocblas_gemvt_double_buffered_kernelILb1ELi128ELi4ELi16EPKddKPdEviiT4_lPKT3_lilS7_lilPT5_lili.kd
    .uniform_work_group_size: 1
    .uses_dynamic_stack: false
    .vgpr_count:     174
    .vgpr_spill_count: 0
    .wavefront_size: 32
    .workgroup_processor_mode: 1
  - .args:
      - .offset:         0
        .size:           4
        .value_kind:     by_value
      - .offset:         4
        .size:           4
        .value_kind:     by_value
      - .address_space:  global
        .offset:         8
        .size:           8
        .value_kind:     global_buffer
      - .offset:         16
        .size:           8
        .value_kind:     by_value
      - .address_space:  global
        .offset:         24
        .size:           8
        .value_kind:     global_buffer
      - .offset:         32
        .size:           8
        .value_kind:     by_value
      - .offset:         40
        .size:           4
        .value_kind:     by_value
      - .offset:         48
        .size:           8
        .value_kind:     by_value
      - .address_space:  global
        .offset:         56
        .size:           8
        .value_kind:     global_buffer
      - .offset:         64
        .size:           8
        .value_kind:     by_value
      - .offset:         72
        .size:           4
        .value_kind:     by_value
      - .offset:         80
        .size:           8
        .value_kind:     by_value
      - .address_space:  global
        .offset:         88
        .size:           8
        .value_kind:     global_buffer
      - .offset:         96
        .size:           8
        .value_kind:     by_value
      - .address_space:  global
        .offset:         104
        .size:           8
        .value_kind:     global_buffer
      - .offset:         112
        .size:           8
        .value_kind:     by_value
      - .offset:         120
        .size:           4
        .value_kind:     by_value
      - .offset:         128
        .size:           8
        .value_kind:     by_value
      - .offset:         136
        .size:           4
        .value_kind:     by_value
    .group_segment_fixed_size: 2048
    .kernarg_segment_align: 8
    .kernarg_segment_size: 140
    .language:       OpenCL C
    .language_version:
      - 2
      - 0
    .max_flat_workgroup_size: 256
    .name:           _ZL20rocblas_gemvt_kernelILb1ELi256EPKdS1_KPdEviiT2_lPKT1_lilS7_lilS4_lPT3_lili
    .private_segment_fixed_size: 0
    .sgpr_count:     26
    .sgpr_spill_count: 0
    .symbol:         _ZL20rocblas_gemvt_kernelILb1ELi256EPKdS1_KPdEviiT2_lPKT1_lilS7_lilS4_lPT3_lili.kd
    .uniform_work_group_size: 1
    .uses_dynamic_stack: false
    .vgpr_count:     13
    .vgpr_spill_count: 0
    .wavefront_size: 32
    .workgroup_processor_mode: 1
  - .args:
      - .offset:         0
        .size:           4
        .value_kind:     by_value
      - .offset:         4
        .size:           4
        .value_kind:     by_value
      - .offset:         8
        .size:           8
        .value_kind:     by_value
      - .offset:         16
        .size:           8
        .value_kind:     by_value
      - .address_space:  global
        .offset:         24
        .size:           8
        .value_kind:     global_buffer
      - .offset:         32
        .size:           8
        .value_kind:     by_value
      - .offset:         40
        .size:           4
        .value_kind:     by_value
      - .offset:         48
        .size:           8
        .value_kind:     by_value
      - .address_space:  global
        .offset:         56
        .size:           8
        .value_kind:     global_buffer
      - .offset:         64
        .size:           8
        .value_kind:     by_value
      - .offset:         72
        .size:           4
        .value_kind:     by_value
      - .offset:         80
        .size:           8
        .value_kind:     by_value
      - .offset:         88
        .size:           8
        .value_kind:     by_value
      - .offset:         96
        .size:           8
        .value_kind:     by_value
      - .address_space:  global
        .offset:         104
        .size:           8
        .value_kind:     global_buffer
      - .offset:         112
        .size:           8
        .value_kind:     by_value
      - .offset:         120
        .size:           4
        .value_kind:     by_value
      - .offset:         128
        .size:           8
        .value_kind:     by_value
      - .offset:         136
        .size:           4
        .value_kind:     by_value
    .group_segment_fixed_size: 2048
    .kernarg_segment_align: 8
    .kernarg_segment_size: 140
    .language:       OpenCL C
    .language_version:
      - 2
      - 0
    .max_flat_workgroup_size: 256
    .name:           _ZL20rocblas_gemvt_kernelILb1ELi256EPKddKPdEviiT2_lPKT1_lilS7_lilS4_lPT3_lili
    .private_segment_fixed_size: 0
    .sgpr_count:     26
    .sgpr_spill_count: 0
    .symbol:         _ZL20rocblas_gemvt_kernelILb1ELi256EPKddKPdEviiT2_lPKT1_lilS7_lilS4_lPT3_lili.kd
    .uniform_work_group_size: 1
    .uses_dynamic_stack: false
    .vgpr_count:     13
    .vgpr_spill_count: 0
    .wavefront_size: 32
    .workgroup_processor_mode: 1
  - .args:
      - .offset:         0
        .size:           4
        .value_kind:     by_value
      - .offset:         4
        .size:           4
        .value_kind:     by_value
      - .address_space:  global
        .offset:         8
        .size:           8
        .value_kind:     global_buffer
      - .offset:         16
        .size:           8
        .value_kind:     by_value
      - .address_space:  global
        .offset:         24
        .size:           8
        .value_kind:     global_buffer
      - .offset:         32
        .size:           8
        .value_kind:     by_value
      - .offset:         40
        .size:           4
        .value_kind:     by_value
      - .offset:         48
        .size:           8
        .value_kind:     by_value
      - .address_space:  global
        .offset:         56
        .size:           8
        .value_kind:     global_buffer
      - .offset:         64
        .size:           8
        .value_kind:     by_value
      - .offset:         72
        .size:           4
        .value_kind:     by_value
      - .offset:         80
        .size:           8
        .value_kind:     by_value
      - .address_space:  global
        .offset:         88
        .size:           8
        .value_kind:     global_buffer
      - .offset:         96
        .size:           8
        .value_kind:     by_value
      - .address_space:  global
        .offset:         104
        .size:           8
        .value_kind:     global_buffer
      - .offset:         112
        .size:           8
        .value_kind:     by_value
      - .offset:         120
        .size:           4
        .value_kind:     by_value
      - .offset:         128
        .size:           8
        .value_kind:     by_value
      - .offset:         136
        .size:           4
        .value_kind:     by_value
    .group_segment_fixed_size: 256
    .kernarg_segment_align: 8
    .kernarg_segment_size: 140
    .language:       OpenCL C
    .language_version:
      - 2
      - 0
    .max_flat_workgroup_size: 1024
    .name:           _ZL32rocblas_gemvt_warp_reduce_kernelILb1ELi1024EiPKdS1_KPdEviiT3_lPKT2_lT1_lS7_lS8_lS4_lPT4_lS8_li
    .private_segment_fixed_size: 0
    .sgpr_count:     26
    .sgpr_spill_count: 0
    .symbol:         _ZL32rocblas_gemvt_warp_reduce_kernelILb1ELi1024EiPKdS1_KPdEviiT3_lPKT2_lT1_lS7_lS8_lS4_lPT4_lS8_li.kd
    .uniform_work_group_size: 1
    .uses_dynamic_stack: false
    .vgpr_count:     14
    .vgpr_spill_count: 0
    .wavefront_size: 32
    .workgroup_processor_mode: 1
  - .args:
      - .offset:         0
        .size:           4
        .value_kind:     by_value
      - .offset:         4
        .size:           4
        .value_kind:     by_value
      - .address_space:  global
        .offset:         8
        .size:           8
        .value_kind:     global_buffer
      - .offset:         16
        .size:           8
        .value_kind:     by_value
      - .address_space:  global
        .offset:         24
        .size:           8
        .value_kind:     global_buffer
      - .offset:         32
        .size:           8
        .value_kind:     by_value
      - .offset:         40
        .size:           8
        .value_kind:     by_value
      - .offset:         48
        .size:           8
        .value_kind:     by_value
      - .address_space:  global
        .offset:         56
        .size:           8
        .value_kind:     global_buffer
      - .offset:         64
        .size:           8
        .value_kind:     by_value
      - .offset:         72
        .size:           8
        .value_kind:     by_value
      - .offset:         80
        .size:           8
        .value_kind:     by_value
      - .address_space:  global
        .offset:         88
        .size:           8
        .value_kind:     global_buffer
      - .offset:         96
        .size:           8
        .value_kind:     by_value
      - .address_space:  global
        .offset:         104
        .size:           8
        .value_kind:     global_buffer
      - .offset:         112
        .size:           8
        .value_kind:     by_value
      - .offset:         120
        .size:           8
        .value_kind:     by_value
      - .offset:         128
        .size:           8
        .value_kind:     by_value
      - .offset:         136
        .size:           4
        .value_kind:     by_value
    .group_segment_fixed_size: 256
    .kernarg_segment_align: 8
    .kernarg_segment_size: 140
    .language:       OpenCL C
    .language_version:
      - 2
      - 0
    .max_flat_workgroup_size: 1024
    .name:           _ZL32rocblas_gemvt_warp_reduce_kernelILb1ELi1024ElPKdS1_KPdEviiT3_lPKT2_lT1_lS7_lS8_lS4_lPT4_lS8_li
    .private_segment_fixed_size: 0
    .sgpr_count:     33
    .sgpr_spill_count: 0
    .symbol:         _ZL32rocblas_gemvt_warp_reduce_kernelILb1ELi1024ElPKdS1_KPdEviiT3_lPKT2_lT1_lS7_lS8_lS4_lPT4_lS8_li.kd
    .uniform_work_group_size: 1
    .uses_dynamic_stack: false
    .vgpr_count:     14
    .vgpr_spill_count: 0
    .wavefront_size: 32
    .workgroup_processor_mode: 1
  - .args:
      - .offset:         0
        .size:           4
        .value_kind:     by_value
      - .offset:         4
        .size:           4
        .value_kind:     by_value
      - .offset:         8
        .size:           8
        .value_kind:     by_value
      - .offset:         16
        .size:           8
        .value_kind:     by_value
      - .address_space:  global
        .offset:         24
        .size:           8
        .value_kind:     global_buffer
      - .offset:         32
        .size:           8
        .value_kind:     by_value
      - .offset:         40
        .size:           4
        .value_kind:     by_value
      - .offset:         48
        .size:           8
        .value_kind:     by_value
      - .address_space:  global
        .offset:         56
        .size:           8
        .value_kind:     global_buffer
      - .offset:         64
        .size:           8
        .value_kind:     by_value
      - .offset:         72
        .size:           4
        .value_kind:     by_value
      - .offset:         80
        .size:           8
        .value_kind:     by_value
      - .offset:         88
        .size:           8
        .value_kind:     by_value
      - .offset:         96
        .size:           8
        .value_kind:     by_value
      - .address_space:  global
        .offset:         104
        .size:           8
        .value_kind:     global_buffer
      - .offset:         112
        .size:           8
        .value_kind:     by_value
      - .offset:         120
        .size:           4
        .value_kind:     by_value
      - .offset:         128
        .size:           8
        .value_kind:     by_value
      - .offset:         136
        .size:           4
        .value_kind:     by_value
    .group_segment_fixed_size: 256
    .kernarg_segment_align: 8
    .kernarg_segment_size: 140
    .language:       OpenCL C
    .language_version:
      - 2
      - 0
    .max_flat_workgroup_size: 1024
    .name:           _ZL32rocblas_gemvt_warp_reduce_kernelILb1ELi1024EiPKddKPdEviiT3_lPKT2_lT1_lS7_lS8_lS4_lPT4_lS8_li
    .private_segment_fixed_size: 0
    .sgpr_count:     26
    .sgpr_spill_count: 0
    .symbol:         _ZL32rocblas_gemvt_warp_reduce_kernelILb1ELi1024EiPKddKPdEviiT3_lPKT2_lT1_lS7_lS8_lS4_lPT4_lS8_li.kd
    .uniform_work_group_size: 1
    .uses_dynamic_stack: false
    .vgpr_count:     14
    .vgpr_spill_count: 0
    .wavefront_size: 32
    .workgroup_processor_mode: 1
  - .args:
      - .offset:         0
        .size:           4
        .value_kind:     by_value
      - .offset:         4
        .size:           4
        .value_kind:     by_value
      - .offset:         8
        .size:           8
        .value_kind:     by_value
      - .offset:         16
        .size:           8
        .value_kind:     by_value
      - .address_space:  global
        .offset:         24
        .size:           8
        .value_kind:     global_buffer
      - .offset:         32
        .size:           8
        .value_kind:     by_value
      - .offset:         40
        .size:           8
        .value_kind:     by_value
      - .offset:         48
        .size:           8
        .value_kind:     by_value
      - .address_space:  global
        .offset:         56
        .size:           8
        .value_kind:     global_buffer
      - .offset:         64
        .size:           8
        .value_kind:     by_value
      - .offset:         72
        .size:           8
        .value_kind:     by_value
      - .offset:         80
        .size:           8
        .value_kind:     by_value
      - .offset:         88
        .size:           8
        .value_kind:     by_value
      - .offset:         96
        .size:           8
        .value_kind:     by_value
      - .address_space:  global
        .offset:         104
        .size:           8
        .value_kind:     global_buffer
      - .offset:         112
        .size:           8
        .value_kind:     by_value
      - .offset:         120
        .size:           8
        .value_kind:     by_value
      - .offset:         128
        .size:           8
        .value_kind:     by_value
      - .offset:         136
        .size:           4
        .value_kind:     by_value
    .group_segment_fixed_size: 256
    .kernarg_segment_align: 8
    .kernarg_segment_size: 140
    .language:       OpenCL C
    .language_version:
      - 2
      - 0
    .max_flat_workgroup_size: 1024
    .name:           _ZL32rocblas_gemvt_warp_reduce_kernelILb1ELi1024ElPKddKPdEviiT3_lPKT2_lT1_lS7_lS8_lS4_lPT4_lS8_li
    .private_segment_fixed_size: 0
    .sgpr_count:     30
    .sgpr_spill_count: 0
    .symbol:         _ZL32rocblas_gemvt_warp_reduce_kernelILb1ELi1024ElPKddKPdEviiT3_lPKT2_lT1_lS7_lS8_lS4_lPT4_lS8_li.kd
    .uniform_work_group_size: 1
    .uses_dynamic_stack: false
    .vgpr_count:     14
    .vgpr_spill_count: 0
    .wavefront_size: 32
    .workgroup_processor_mode: 1
  - .args:
      - .offset:         0
        .size:           4
        .value_kind:     by_value
      - .offset:         4
        .size:           4
        .value_kind:     by_value
      - .address_space:  global
        .offset:         8
        .size:           8
        .value_kind:     global_buffer
      - .offset:         16
        .size:           8
        .value_kind:     by_value
      - .address_space:  global
        .offset:         24
        .size:           8
        .value_kind:     global_buffer
      - .offset:         32
        .size:           8
        .value_kind:     by_value
      - .offset:         40
        .size:           4
        .value_kind:     by_value
      - .offset:         48
        .size:           8
        .value_kind:     by_value
      - .address_space:  global
        .offset:         56
        .size:           8
        .value_kind:     global_buffer
      - .offset:         64
        .size:           8
        .value_kind:     by_value
      - .offset:         72
        .size:           4
        .value_kind:     by_value
      - .offset:         80
        .size:           8
        .value_kind:     by_value
      - .address_space:  global
        .offset:         88
        .size:           8
        .value_kind:     global_buffer
      - .offset:         96
        .size:           8
        .value_kind:     by_value
      - .address_space:  global
        .offset:         104
        .size:           8
        .value_kind:     global_buffer
      - .offset:         112
        .size:           8
        .value_kind:     by_value
      - .offset:         120
        .size:           4
        .value_kind:     by_value
      - .offset:         128
        .size:           8
        .value_kind:     by_value
      - .offset:         136
        .size:           4
        .value_kind:     by_value
    .group_segment_fixed_size: 0
    .kernarg_segment_align: 8
    .kernarg_segment_size: 140
    .language:       OpenCL C
    .language_version:
      - 2
      - 0
    .max_flat_workgroup_size: 768
    .name:           _ZL34rocblas_gemvn_sm_mn_batched_kernelILi32ELi24EPK19rocblas_complex_numIfES3_KPS1_EviiT2_lPKT1_lilS9_lilS6_lPT3_lili
    .private_segment_fixed_size: 0
    .sgpr_count:     0
    .sgpr_spill_count: 0
    .symbol:         _ZL34rocblas_gemvn_sm_mn_batched_kernelILi32ELi24EPK19rocblas_complex_numIfES3_KPS1_EviiT2_lPKT1_lilS9_lilS6_lPT3_lili.kd
    .uniform_work_group_size: 1
    .uses_dynamic_stack: false
    .vgpr_count:     0
    .vgpr_spill_count: 0
    .wavefront_size: 32
    .workgroup_processor_mode: 1
  - .args:
      - .offset:         0
        .size:           4
        .value_kind:     by_value
      - .offset:         4
        .size:           4
        .value_kind:     by_value
      - .offset:         8
        .size:           8
        .value_kind:     by_value
      - .offset:         16
        .size:           8
        .value_kind:     by_value
      - .address_space:  global
        .offset:         24
        .size:           8
        .value_kind:     global_buffer
      - .offset:         32
        .size:           8
        .value_kind:     by_value
      - .offset:         40
        .size:           4
        .value_kind:     by_value
      - .offset:         48
        .size:           8
        .value_kind:     by_value
      - .address_space:  global
        .offset:         56
        .size:           8
        .value_kind:     global_buffer
      - .offset:         64
        .size:           8
        .value_kind:     by_value
      - .offset:         72
        .size:           4
        .value_kind:     by_value
      - .offset:         80
        .size:           8
        .value_kind:     by_value
      - .offset:         88
        .size:           8
        .value_kind:     by_value
      - .offset:         96
        .size:           8
        .value_kind:     by_value
      - .address_space:  global
        .offset:         104
        .size:           8
        .value_kind:     global_buffer
      - .offset:         112
        .size:           8
        .value_kind:     by_value
      - .offset:         120
        .size:           4
        .value_kind:     by_value
      - .offset:         128
        .size:           8
        .value_kind:     by_value
      - .offset:         136
        .size:           4
        .value_kind:     by_value
    .group_segment_fixed_size: 0
    .kernarg_segment_align: 8
    .kernarg_segment_size: 140
    .language:       OpenCL C
    .language_version:
      - 2
      - 0
    .max_flat_workgroup_size: 768
    .name:           _ZL34rocblas_gemvn_sm_mn_batched_kernelILi32ELi24EPK19rocblas_complex_numIfES1_KPS1_EviiT2_lPKT1_lilS9_lilS6_lPT3_lili
    .private_segment_fixed_size: 0
    .sgpr_count:     0
    .sgpr_spill_count: 0
    .symbol:         _ZL34rocblas_gemvn_sm_mn_batched_kernelILi32ELi24EPK19rocblas_complex_numIfES1_KPS1_EviiT2_lPKT1_lilS9_lilS6_lPT3_lili.kd
    .uniform_work_group_size: 1
    .uses_dynamic_stack: false
    .vgpr_count:     0
    .vgpr_spill_count: 0
    .wavefront_size: 32
    .workgroup_processor_mode: 1
  - .args:
      - .offset:         0
        .size:           4
        .value_kind:     by_value
      - .offset:         4
        .size:           4
        .value_kind:     by_value
      - .address_space:  global
        .offset:         8
        .size:           8
        .value_kind:     global_buffer
      - .offset:         16
        .size:           8
        .value_kind:     by_value
      - .address_space:  global
        .offset:         24
        .size:           8
        .value_kind:     global_buffer
      - .offset:         32
        .size:           8
        .value_kind:     by_value
      - .offset:         40
        .size:           4
        .value_kind:     by_value
      - .offset:         48
        .size:           8
        .value_kind:     by_value
      - .address_space:  global
        .offset:         56
        .size:           8
        .value_kind:     global_buffer
      - .offset:         64
        .size:           8
        .value_kind:     by_value
      - .offset:         72
        .size:           4
        .value_kind:     by_value
      - .offset:         80
        .size:           8
        .value_kind:     by_value
      - .address_space:  global
        .offset:         88
        .size:           8
        .value_kind:     global_buffer
      - .offset:         96
        .size:           8
        .value_kind:     by_value
      - .address_space:  global
        .offset:         104
        .size:           8
        .value_kind:     global_buffer
      - .offset:         112
        .size:           8
        .value_kind:     by_value
      - .offset:         120
        .size:           4
        .value_kind:     by_value
      - .offset:         128
        .size:           8
        .value_kind:     by_value
      - .offset:         136
        .size:           4
        .value_kind:     by_value
      - .offset:         144
        .size:           4
        .value_kind:     hidden_block_count_x
      - .offset:         148
        .size:           4
        .value_kind:     hidden_block_count_y
      - .offset:         152
        .size:           4
        .value_kind:     hidden_block_count_z
      - .offset:         156
        .size:           2
        .value_kind:     hidden_group_size_x
      - .offset:         158
        .size:           2
        .value_kind:     hidden_group_size_y
      - .offset:         160
        .size:           2
        .value_kind:     hidden_group_size_z
      - .offset:         162
        .size:           2
        .value_kind:     hidden_remainder_x
      - .offset:         164
        .size:           2
        .value_kind:     hidden_remainder_y
      - .offset:         166
        .size:           2
        .value_kind:     hidden_remainder_z
      - .offset:         184
        .size:           8
        .value_kind:     hidden_global_offset_x
      - .offset:         192
        .size:           8
        .value_kind:     hidden_global_offset_y
      - .offset:         200
        .size:           8
        .value_kind:     hidden_global_offset_z
      - .offset:         208
        .size:           2
        .value_kind:     hidden_grid_dims
    .group_segment_fixed_size: 8192
    .kernarg_segment_align: 8
    .kernarg_segment_size: 400
    .language:       OpenCL C
    .language_version:
      - 2
      - 0
    .max_flat_workgroup_size: 256
    .name:           _ZL20rocblas_gemvn_kernelILi64ELi4EiPK19rocblas_complex_numIfES3_KPS1_EviiT3_lPKT2_lT1_lS9_lSA_lS6_lPT4_lSA_li
    .private_segment_fixed_size: 0
    .sgpr_count:     31
    .sgpr_spill_count: 0
    .symbol:         _ZL20rocblas_gemvn_kernelILi64ELi4EiPK19rocblas_complex_numIfES3_KPS1_EviiT3_lPKT2_lT1_lS9_lSA_lS6_lPT4_lSA_li.kd
    .uniform_work_group_size: 1
    .uses_dynamic_stack: false
    .vgpr_count:     65
    .vgpr_spill_count: 0
    .wavefront_size: 32
    .workgroup_processor_mode: 1
  - .args:
      - .offset:         0
        .size:           4
        .value_kind:     by_value
      - .offset:         4
        .size:           4
        .value_kind:     by_value
      - .address_space:  global
        .offset:         8
        .size:           8
        .value_kind:     global_buffer
      - .offset:         16
        .size:           8
        .value_kind:     by_value
      - .address_space:  global
        .offset:         24
        .size:           8
        .value_kind:     global_buffer
      - .offset:         32
        .size:           8
        .value_kind:     by_value
      - .offset:         40
        .size:           8
        .value_kind:     by_value
      - .offset:         48
        .size:           8
        .value_kind:     by_value
      - .address_space:  global
        .offset:         56
        .size:           8
        .value_kind:     global_buffer
      - .offset:         64
        .size:           8
        .value_kind:     by_value
      - .offset:         72
        .size:           8
        .value_kind:     by_value
      - .offset:         80
        .size:           8
        .value_kind:     by_value
      - .address_space:  global
        .offset:         88
        .size:           8
        .value_kind:     global_buffer
      - .offset:         96
        .size:           8
        .value_kind:     by_value
      - .address_space:  global
        .offset:         104
        .size:           8
        .value_kind:     global_buffer
      - .offset:         112
        .size:           8
        .value_kind:     by_value
      - .offset:         120
        .size:           8
        .value_kind:     by_value
      - .offset:         128
        .size:           8
        .value_kind:     by_value
      - .offset:         136
        .size:           4
        .value_kind:     by_value
      - .offset:         144
        .size:           4
        .value_kind:     hidden_block_count_x
      - .offset:         148
        .size:           4
        .value_kind:     hidden_block_count_y
      - .offset:         152
        .size:           4
        .value_kind:     hidden_block_count_z
      - .offset:         156
        .size:           2
        .value_kind:     hidden_group_size_x
      - .offset:         158
        .size:           2
        .value_kind:     hidden_group_size_y
      - .offset:         160
        .size:           2
        .value_kind:     hidden_group_size_z
      - .offset:         162
        .size:           2
        .value_kind:     hidden_remainder_x
      - .offset:         164
        .size:           2
        .value_kind:     hidden_remainder_y
      - .offset:         166
        .size:           2
        .value_kind:     hidden_remainder_z
      - .offset:         184
        .size:           8
        .value_kind:     hidden_global_offset_x
      - .offset:         192
        .size:           8
        .value_kind:     hidden_global_offset_y
      - .offset:         200
        .size:           8
        .value_kind:     hidden_global_offset_z
      - .offset:         208
        .size:           2
        .value_kind:     hidden_grid_dims
    .group_segment_fixed_size: 8192
    .kernarg_segment_align: 8
    .kernarg_segment_size: 400
    .language:       OpenCL C
    .language_version:
      - 2
      - 0
    .max_flat_workgroup_size: 256
    .name:           _ZL20rocblas_gemvn_kernelILi64ELi4ElPK19rocblas_complex_numIfES3_KPS1_EviiT3_lPKT2_lT1_lS9_lSA_lS6_lPT4_lSA_li
    .private_segment_fixed_size: 0
    .sgpr_count:     38
    .sgpr_spill_count: 0
    .symbol:         _ZL20rocblas_gemvn_kernelILi64ELi4ElPK19rocblas_complex_numIfES3_KPS1_EviiT3_lPKT2_lT1_lS9_lSA_lS6_lPT4_lSA_li.kd
    .uniform_work_group_size: 1
    .uses_dynamic_stack: false
    .vgpr_count:     69
    .vgpr_spill_count: 0
    .wavefront_size: 32
    .workgroup_processor_mode: 1
  - .args:
      - .offset:         0
        .size:           4
        .value_kind:     by_value
      - .offset:         4
        .size:           4
        .value_kind:     by_value
      - .offset:         8
        .size:           8
        .value_kind:     by_value
      - .offset:         16
        .size:           8
        .value_kind:     by_value
      - .address_space:  global
        .offset:         24
        .size:           8
        .value_kind:     global_buffer
      - .offset:         32
        .size:           8
        .value_kind:     by_value
      - .offset:         40
        .size:           4
        .value_kind:     by_value
      - .offset:         48
        .size:           8
        .value_kind:     by_value
      - .address_space:  global
        .offset:         56
        .size:           8
        .value_kind:     global_buffer
      - .offset:         64
        .size:           8
        .value_kind:     by_value
      - .offset:         72
        .size:           4
        .value_kind:     by_value
      - .offset:         80
        .size:           8
        .value_kind:     by_value
      - .offset:         88
        .size:           8
        .value_kind:     by_value
      - .offset:         96
        .size:           8
        .value_kind:     by_value
      - .address_space:  global
        .offset:         104
        .size:           8
        .value_kind:     global_buffer
      - .offset:         112
        .size:           8
        .value_kind:     by_value
      - .offset:         120
        .size:           4
        .value_kind:     by_value
      - .offset:         128
        .size:           8
        .value_kind:     by_value
      - .offset:         136
        .size:           4
        .value_kind:     by_value
      - .offset:         144
        .size:           4
        .value_kind:     hidden_block_count_x
      - .offset:         148
        .size:           4
        .value_kind:     hidden_block_count_y
      - .offset:         152
        .size:           4
        .value_kind:     hidden_block_count_z
      - .offset:         156
        .size:           2
        .value_kind:     hidden_group_size_x
      - .offset:         158
        .size:           2
        .value_kind:     hidden_group_size_y
      - .offset:         160
        .size:           2
        .value_kind:     hidden_group_size_z
      - .offset:         162
        .size:           2
        .value_kind:     hidden_remainder_x
      - .offset:         164
        .size:           2
        .value_kind:     hidden_remainder_y
      - .offset:         166
        .size:           2
        .value_kind:     hidden_remainder_z
      - .offset:         184
        .size:           8
        .value_kind:     hidden_global_offset_x
      - .offset:         192
        .size:           8
        .value_kind:     hidden_global_offset_y
      - .offset:         200
        .size:           8
        .value_kind:     hidden_global_offset_z
      - .offset:         208
        .size:           2
        .value_kind:     hidden_grid_dims
    .group_segment_fixed_size: 8192
    .kernarg_segment_align: 8
    .kernarg_segment_size: 400
    .language:       OpenCL C
    .language_version:
      - 2
      - 0
    .max_flat_workgroup_size: 256
    .name:           _ZL20rocblas_gemvn_kernelILi64ELi4EiPK19rocblas_complex_numIfES1_KPS1_EviiT3_lPKT2_lT1_lS9_lSA_lS6_lPT4_lSA_li
    .private_segment_fixed_size: 0
    .sgpr_count:     31
    .sgpr_spill_count: 0
    .symbol:         _ZL20rocblas_gemvn_kernelILi64ELi4EiPK19rocblas_complex_numIfES1_KPS1_EviiT3_lPKT2_lT1_lS9_lSA_lS6_lPT4_lSA_li.kd
    .uniform_work_group_size: 1
    .uses_dynamic_stack: false
    .vgpr_count:     65
    .vgpr_spill_count: 0
    .wavefront_size: 32
    .workgroup_processor_mode: 1
  - .args:
      - .offset:         0
        .size:           4
        .value_kind:     by_value
      - .offset:         4
        .size:           4
        .value_kind:     by_value
      - .offset:         8
        .size:           8
        .value_kind:     by_value
      - .offset:         16
        .size:           8
        .value_kind:     by_value
      - .address_space:  global
        .offset:         24
        .size:           8
        .value_kind:     global_buffer
      - .offset:         32
        .size:           8
        .value_kind:     by_value
      - .offset:         40
        .size:           8
        .value_kind:     by_value
      - .offset:         48
        .size:           8
        .value_kind:     by_value
      - .address_space:  global
        .offset:         56
        .size:           8
        .value_kind:     global_buffer
      - .offset:         64
        .size:           8
        .value_kind:     by_value
      - .offset:         72
        .size:           8
        .value_kind:     by_value
      - .offset:         80
        .size:           8
        .value_kind:     by_value
      - .offset:         88
        .size:           8
        .value_kind:     by_value
      - .offset:         96
        .size:           8
        .value_kind:     by_value
      - .address_space:  global
        .offset:         104
        .size:           8
        .value_kind:     global_buffer
      - .offset:         112
        .size:           8
        .value_kind:     by_value
      - .offset:         120
        .size:           8
        .value_kind:     by_value
      - .offset:         128
        .size:           8
        .value_kind:     by_value
      - .offset:         136
        .size:           4
        .value_kind:     by_value
      - .offset:         144
        .size:           4
        .value_kind:     hidden_block_count_x
      - .offset:         148
        .size:           4
        .value_kind:     hidden_block_count_y
      - .offset:         152
        .size:           4
        .value_kind:     hidden_block_count_z
      - .offset:         156
        .size:           2
        .value_kind:     hidden_group_size_x
      - .offset:         158
        .size:           2
        .value_kind:     hidden_group_size_y
      - .offset:         160
        .size:           2
        .value_kind:     hidden_group_size_z
      - .offset:         162
        .size:           2
        .value_kind:     hidden_remainder_x
      - .offset:         164
        .size:           2
        .value_kind:     hidden_remainder_y
      - .offset:         166
        .size:           2
        .value_kind:     hidden_remainder_z
      - .offset:         184
        .size:           8
        .value_kind:     hidden_global_offset_x
      - .offset:         192
        .size:           8
        .value_kind:     hidden_global_offset_y
      - .offset:         200
        .size:           8
        .value_kind:     hidden_global_offset_z
      - .offset:         208
        .size:           2
        .value_kind:     hidden_grid_dims
    .group_segment_fixed_size: 8192
    .kernarg_segment_align: 8
    .kernarg_segment_size: 400
    .language:       OpenCL C
    .language_version:
      - 2
      - 0
    .max_flat_workgroup_size: 256
    .name:           _ZL20rocblas_gemvn_kernelILi64ELi4ElPK19rocblas_complex_numIfES1_KPS1_EviiT3_lPKT2_lT1_lS9_lSA_lS6_lPT4_lSA_li
    .private_segment_fixed_size: 0
    .sgpr_count:     38
    .sgpr_spill_count: 0
    .symbol:         _ZL20rocblas_gemvn_kernelILi64ELi4ElPK19rocblas_complex_numIfES1_KPS1_EviiT3_lPKT2_lT1_lS9_lSA_lS6_lPT4_lSA_li.kd
    .uniform_work_group_size: 1
    .uses_dynamic_stack: false
    .vgpr_count:     69
    .vgpr_spill_count: 0
    .wavefront_size: 32
    .workgroup_processor_mode: 1
  - .args:
      - .offset:         0
        .size:           4
        .value_kind:     by_value
      - .offset:         4
        .size:           4
        .value_kind:     by_value
      - .address_space:  global
        .offset:         8
        .size:           8
        .value_kind:     global_buffer
      - .offset:         16
        .size:           8
        .value_kind:     by_value
      - .address_space:  global
        .offset:         24
        .size:           8
        .value_kind:     global_buffer
      - .offset:         32
        .size:           8
        .value_kind:     by_value
      - .offset:         40
        .size:           4
        .value_kind:     by_value
      - .offset:         48
        .size:           8
        .value_kind:     by_value
      - .address_space:  global
        .offset:         56
        .size:           8
        .value_kind:     global_buffer
      - .offset:         64
        .size:           8
        .value_kind:     by_value
      - .offset:         72
        .size:           4
        .value_kind:     by_value
      - .offset:         80
        .size:           8
        .value_kind:     by_value
      - .address_space:  global
        .offset:         88
        .size:           8
        .value_kind:     global_buffer
      - .offset:         96
        .size:           8
        .value_kind:     by_value
      - .address_space:  global
        .offset:         104
        .size:           8
        .value_kind:     global_buffer
      - .offset:         112
        .size:           8
        .value_kind:     by_value
      - .offset:         120
        .size:           4
        .value_kind:     by_value
      - .offset:         128
        .size:           8
        .value_kind:     by_value
      - .offset:         136
        .size:           4
        .value_kind:     by_value
      - .offset:         144
        .size:           4
        .value_kind:     hidden_block_count_x
      - .offset:         148
        .size:           4
        .value_kind:     hidden_block_count_y
      - .offset:         152
        .size:           4
        .value_kind:     hidden_block_count_z
      - .offset:         156
        .size:           2
        .value_kind:     hidden_group_size_x
      - .offset:         158
        .size:           2
        .value_kind:     hidden_group_size_y
      - .offset:         160
        .size:           2
        .value_kind:     hidden_group_size_z
      - .offset:         162
        .size:           2
        .value_kind:     hidden_remainder_x
      - .offset:         164
        .size:           2
        .value_kind:     hidden_remainder_y
      - .offset:         166
        .size:           2
        .value_kind:     hidden_remainder_z
      - .offset:         184
        .size:           8
        .value_kind:     hidden_global_offset_x
      - .offset:         192
        .size:           8
        .value_kind:     hidden_global_offset_y
      - .offset:         200
        .size:           8
        .value_kind:     hidden_global_offset_z
      - .offset:         208
        .size:           2
        .value_kind:     hidden_grid_dims
    .group_segment_fixed_size: 16384
    .kernarg_segment_align: 8
    .kernarg_segment_size: 400
    .language:       OpenCL C
    .language_version:
      - 2
      - 0
    .max_flat_workgroup_size: 512
    .name:           _ZL20rocblas_gemvn_kernelILi32ELi16EiPK19rocblas_complex_numIfES3_KPS1_EviiT3_lPKT2_lT1_lS9_lSA_lS6_lPT4_lSA_li
    .private_segment_fixed_size: 0
    .sgpr_count:     31
    .sgpr_spill_count: 0
    .symbol:         _ZL20rocblas_gemvn_kernelILi32ELi16EiPK19rocblas_complex_numIfES3_KPS1_EviiT3_lPKT2_lT1_lS9_lSA_lS6_lPT4_lSA_li.kd
    .uniform_work_group_size: 1
    .uses_dynamic_stack: false
    .vgpr_count:     65
    .vgpr_spill_count: 0
    .wavefront_size: 32
    .workgroup_processor_mode: 1
  - .args:
      - .offset:         0
        .size:           4
        .value_kind:     by_value
      - .offset:         4
        .size:           4
        .value_kind:     by_value
      - .address_space:  global
        .offset:         8
        .size:           8
        .value_kind:     global_buffer
      - .offset:         16
        .size:           8
        .value_kind:     by_value
      - .address_space:  global
        .offset:         24
        .size:           8
        .value_kind:     global_buffer
      - .offset:         32
        .size:           8
        .value_kind:     by_value
      - .offset:         40
        .size:           8
        .value_kind:     by_value
      - .offset:         48
        .size:           8
        .value_kind:     by_value
      - .address_space:  global
        .offset:         56
        .size:           8
        .value_kind:     global_buffer
      - .offset:         64
        .size:           8
        .value_kind:     by_value
      - .offset:         72
        .size:           8
        .value_kind:     by_value
      - .offset:         80
        .size:           8
        .value_kind:     by_value
      - .address_space:  global
        .offset:         88
        .size:           8
        .value_kind:     global_buffer
      - .offset:         96
        .size:           8
        .value_kind:     by_value
      - .address_space:  global
        .offset:         104
        .size:           8
        .value_kind:     global_buffer
      - .offset:         112
        .size:           8
        .value_kind:     by_value
      - .offset:         120
        .size:           8
        .value_kind:     by_value
      - .offset:         128
        .size:           8
        .value_kind:     by_value
      - .offset:         136
        .size:           4
        .value_kind:     by_value
      - .offset:         144
        .size:           4
        .value_kind:     hidden_block_count_x
      - .offset:         148
        .size:           4
        .value_kind:     hidden_block_count_y
      - .offset:         152
        .size:           4
        .value_kind:     hidden_block_count_z
      - .offset:         156
        .size:           2
        .value_kind:     hidden_group_size_x
      - .offset:         158
        .size:           2
        .value_kind:     hidden_group_size_y
      - .offset:         160
        .size:           2
        .value_kind:     hidden_group_size_z
      - .offset:         162
        .size:           2
        .value_kind:     hidden_remainder_x
      - .offset:         164
        .size:           2
        .value_kind:     hidden_remainder_y
      - .offset:         166
        .size:           2
        .value_kind:     hidden_remainder_z
      - .offset:         184
        .size:           8
        .value_kind:     hidden_global_offset_x
      - .offset:         192
        .size:           8
        .value_kind:     hidden_global_offset_y
      - .offset:         200
        .size:           8
        .value_kind:     hidden_global_offset_z
      - .offset:         208
        .size:           2
        .value_kind:     hidden_grid_dims
    .group_segment_fixed_size: 16384
    .kernarg_segment_align: 8
    .kernarg_segment_size: 400
    .language:       OpenCL C
    .language_version:
      - 2
      - 0
    .max_flat_workgroup_size: 512
    .name:           _ZL20rocblas_gemvn_kernelILi32ELi16ElPK19rocblas_complex_numIfES3_KPS1_EviiT3_lPKT2_lT1_lS9_lSA_lS6_lPT4_lSA_li
    .private_segment_fixed_size: 0
    .sgpr_count:     38
    .sgpr_spill_count: 0
    .symbol:         _ZL20rocblas_gemvn_kernelILi32ELi16ElPK19rocblas_complex_numIfES3_KPS1_EviiT3_lPKT2_lT1_lS9_lSA_lS6_lPT4_lSA_li.kd
    .uniform_work_group_size: 1
    .uses_dynamic_stack: false
    .vgpr_count:     69
    .vgpr_spill_count: 0
    .wavefront_size: 32
    .workgroup_processor_mode: 1
  - .args:
      - .offset:         0
        .size:           4
        .value_kind:     by_value
      - .offset:         4
        .size:           4
        .value_kind:     by_value
      - .offset:         8
        .size:           8
        .value_kind:     by_value
      - .offset:         16
        .size:           8
        .value_kind:     by_value
      - .address_space:  global
        .offset:         24
        .size:           8
        .value_kind:     global_buffer
      - .offset:         32
        .size:           8
        .value_kind:     by_value
      - .offset:         40
        .size:           4
        .value_kind:     by_value
      - .offset:         48
        .size:           8
        .value_kind:     by_value
      - .address_space:  global
        .offset:         56
        .size:           8
        .value_kind:     global_buffer
      - .offset:         64
        .size:           8
        .value_kind:     by_value
      - .offset:         72
        .size:           4
        .value_kind:     by_value
      - .offset:         80
        .size:           8
        .value_kind:     by_value
      - .offset:         88
        .size:           8
        .value_kind:     by_value
      - .offset:         96
        .size:           8
        .value_kind:     by_value
      - .address_space:  global
        .offset:         104
        .size:           8
        .value_kind:     global_buffer
      - .offset:         112
        .size:           8
        .value_kind:     by_value
      - .offset:         120
        .size:           4
        .value_kind:     by_value
      - .offset:         128
        .size:           8
        .value_kind:     by_value
      - .offset:         136
        .size:           4
        .value_kind:     by_value
      - .offset:         144
        .size:           4
        .value_kind:     hidden_block_count_x
      - .offset:         148
        .size:           4
        .value_kind:     hidden_block_count_y
      - .offset:         152
        .size:           4
        .value_kind:     hidden_block_count_z
      - .offset:         156
        .size:           2
        .value_kind:     hidden_group_size_x
      - .offset:         158
        .size:           2
        .value_kind:     hidden_group_size_y
      - .offset:         160
        .size:           2
        .value_kind:     hidden_group_size_z
      - .offset:         162
        .size:           2
        .value_kind:     hidden_remainder_x
      - .offset:         164
        .size:           2
        .value_kind:     hidden_remainder_y
      - .offset:         166
        .size:           2
        .value_kind:     hidden_remainder_z
      - .offset:         184
        .size:           8
        .value_kind:     hidden_global_offset_x
      - .offset:         192
        .size:           8
        .value_kind:     hidden_global_offset_y
      - .offset:         200
        .size:           8
        .value_kind:     hidden_global_offset_z
      - .offset:         208
        .size:           2
        .value_kind:     hidden_grid_dims
    .group_segment_fixed_size: 16384
    .kernarg_segment_align: 8
    .kernarg_segment_size: 400
    .language:       OpenCL C
    .language_version:
      - 2
      - 0
    .max_flat_workgroup_size: 512
    .name:           _ZL20rocblas_gemvn_kernelILi32ELi16EiPK19rocblas_complex_numIfES1_KPS1_EviiT3_lPKT2_lT1_lS9_lSA_lS6_lPT4_lSA_li
    .private_segment_fixed_size: 0
    .sgpr_count:     31
    .sgpr_spill_count: 0
    .symbol:         _ZL20rocblas_gemvn_kernelILi32ELi16EiPK19rocblas_complex_numIfES1_KPS1_EviiT3_lPKT2_lT1_lS9_lSA_lS6_lPT4_lSA_li.kd
    .uniform_work_group_size: 1
    .uses_dynamic_stack: false
    .vgpr_count:     65
    .vgpr_spill_count: 0
    .wavefront_size: 32
    .workgroup_processor_mode: 1
  - .args:
      - .offset:         0
        .size:           4
        .value_kind:     by_value
      - .offset:         4
        .size:           4
        .value_kind:     by_value
      - .offset:         8
        .size:           8
        .value_kind:     by_value
      - .offset:         16
        .size:           8
        .value_kind:     by_value
      - .address_space:  global
        .offset:         24
        .size:           8
        .value_kind:     global_buffer
      - .offset:         32
        .size:           8
        .value_kind:     by_value
      - .offset:         40
        .size:           8
        .value_kind:     by_value
      - .offset:         48
        .size:           8
        .value_kind:     by_value
      - .address_space:  global
        .offset:         56
        .size:           8
        .value_kind:     global_buffer
      - .offset:         64
        .size:           8
        .value_kind:     by_value
      - .offset:         72
        .size:           8
        .value_kind:     by_value
      - .offset:         80
        .size:           8
        .value_kind:     by_value
      - .offset:         88
        .size:           8
        .value_kind:     by_value
      - .offset:         96
        .size:           8
        .value_kind:     by_value
      - .address_space:  global
        .offset:         104
        .size:           8
        .value_kind:     global_buffer
      - .offset:         112
        .size:           8
        .value_kind:     by_value
      - .offset:         120
        .size:           8
        .value_kind:     by_value
      - .offset:         128
        .size:           8
        .value_kind:     by_value
      - .offset:         136
        .size:           4
        .value_kind:     by_value
      - .offset:         144
        .size:           4
        .value_kind:     hidden_block_count_x
      - .offset:         148
        .size:           4
        .value_kind:     hidden_block_count_y
      - .offset:         152
        .size:           4
        .value_kind:     hidden_block_count_z
      - .offset:         156
        .size:           2
        .value_kind:     hidden_group_size_x
      - .offset:         158
        .size:           2
        .value_kind:     hidden_group_size_y
      - .offset:         160
        .size:           2
        .value_kind:     hidden_group_size_z
      - .offset:         162
        .size:           2
        .value_kind:     hidden_remainder_x
      - .offset:         164
        .size:           2
        .value_kind:     hidden_remainder_y
      - .offset:         166
        .size:           2
        .value_kind:     hidden_remainder_z
      - .offset:         184
        .size:           8
        .value_kind:     hidden_global_offset_x
      - .offset:         192
        .size:           8
        .value_kind:     hidden_global_offset_y
      - .offset:         200
        .size:           8
        .value_kind:     hidden_global_offset_z
      - .offset:         208
        .size:           2
        .value_kind:     hidden_grid_dims
    .group_segment_fixed_size: 16384
    .kernarg_segment_align: 8
    .kernarg_segment_size: 400
    .language:       OpenCL C
    .language_version:
      - 2
      - 0
    .max_flat_workgroup_size: 512
    .name:           _ZL20rocblas_gemvn_kernelILi32ELi16ElPK19rocblas_complex_numIfES1_KPS1_EviiT3_lPKT2_lT1_lS9_lSA_lS6_lPT4_lSA_li
    .private_segment_fixed_size: 0
    .sgpr_count:     38
    .sgpr_spill_count: 0
    .symbol:         _ZL20rocblas_gemvn_kernelILi32ELi16ElPK19rocblas_complex_numIfES1_KPS1_EviiT3_lPKT2_lT1_lS9_lSA_lS6_lPT4_lSA_li.kd
    .uniform_work_group_size: 1
    .uses_dynamic_stack: false
    .vgpr_count:     69
    .vgpr_spill_count: 0
    .wavefront_size: 32
    .workgroup_processor_mode: 1
  - .args:
      - .offset:         0
        .size:           4
        .value_kind:     by_value
      - .offset:         4
        .size:           4
        .value_kind:     by_value
      - .address_space:  global
        .offset:         8
        .size:           8
        .value_kind:     global_buffer
      - .offset:         16
        .size:           8
        .value_kind:     by_value
      - .address_space:  global
        .offset:         24
        .size:           8
        .value_kind:     global_buffer
      - .offset:         32
        .size:           8
        .value_kind:     by_value
      - .offset:         40
        .size:           4
        .value_kind:     by_value
      - .offset:         48
        .size:           8
        .value_kind:     by_value
      - .address_space:  global
        .offset:         56
        .size:           8
        .value_kind:     global_buffer
      - .offset:         64
        .size:           8
        .value_kind:     by_value
      - .offset:         72
        .size:           4
        .value_kind:     by_value
      - .offset:         80
        .size:           8
        .value_kind:     by_value
      - .address_space:  global
        .offset:         88
        .size:           8
        .value_kind:     global_buffer
      - .offset:         96
        .size:           8
        .value_kind:     by_value
      - .address_space:  global
        .offset:         104
        .size:           8
        .value_kind:     global_buffer
      - .offset:         112
        .size:           8
        .value_kind:     by_value
      - .offset:         120
        .size:           4
        .value_kind:     by_value
      - .offset:         128
        .size:           8
        .value_kind:     by_value
      - .offset:         136
        .size:           4
        .value_kind:     by_value
      - .offset:         144
        .size:           4
        .value_kind:     hidden_block_count_x
      - .offset:         148
        .size:           4
        .value_kind:     hidden_block_count_y
      - .offset:         152
        .size:           4
        .value_kind:     hidden_block_count_z
      - .offset:         156
        .size:           2
        .value_kind:     hidden_group_size_x
      - .offset:         158
        .size:           2
        .value_kind:     hidden_group_size_y
      - .offset:         160
        .size:           2
        .value_kind:     hidden_group_size_z
      - .offset:         162
        .size:           2
        .value_kind:     hidden_remainder_x
      - .offset:         164
        .size:           2
        .value_kind:     hidden_remainder_y
      - .offset:         166
        .size:           2
        .value_kind:     hidden_remainder_z
      - .offset:         184
        .size:           8
        .value_kind:     hidden_global_offset_x
      - .offset:         192
        .size:           8
        .value_kind:     hidden_global_offset_y
      - .offset:         200
        .size:           8
        .value_kind:     hidden_global_offset_z
      - .offset:         208
        .size:           2
        .value_kind:     hidden_grid_dims
    .group_segment_fixed_size: 32768
    .kernarg_segment_align: 8
    .kernarg_segment_size: 400
    .language:       OpenCL C
    .language_version:
      - 2
      - 0
    .max_flat_workgroup_size: 1024
    .name:           _ZL20rocblas_gemvn_kernelILi64ELi16EiPK19rocblas_complex_numIfES3_KPS1_EviiT3_lPKT2_lT1_lS9_lSA_lS6_lPT4_lSA_li
    .private_segment_fixed_size: 0
    .sgpr_count:     31
    .sgpr_spill_count: 0
    .symbol:         _ZL20rocblas_gemvn_kernelILi64ELi16EiPK19rocblas_complex_numIfES3_KPS1_EviiT3_lPKT2_lT1_lS9_lSA_lS6_lPT4_lSA_li.kd
    .uniform_work_group_size: 1
    .uses_dynamic_stack: false
    .vgpr_count:     65
    .vgpr_spill_count: 0
    .wavefront_size: 32
    .workgroup_processor_mode: 1
  - .args:
      - .offset:         0
        .size:           4
        .value_kind:     by_value
      - .offset:         4
        .size:           4
        .value_kind:     by_value
      - .address_space:  global
        .offset:         8
        .size:           8
        .value_kind:     global_buffer
      - .offset:         16
        .size:           8
        .value_kind:     by_value
      - .address_space:  global
        .offset:         24
        .size:           8
        .value_kind:     global_buffer
      - .offset:         32
        .size:           8
        .value_kind:     by_value
      - .offset:         40
        .size:           8
        .value_kind:     by_value
      - .offset:         48
        .size:           8
        .value_kind:     by_value
      - .address_space:  global
        .offset:         56
        .size:           8
        .value_kind:     global_buffer
      - .offset:         64
        .size:           8
        .value_kind:     by_value
      - .offset:         72
        .size:           8
        .value_kind:     by_value
      - .offset:         80
        .size:           8
        .value_kind:     by_value
      - .address_space:  global
        .offset:         88
        .size:           8
        .value_kind:     global_buffer
      - .offset:         96
        .size:           8
        .value_kind:     by_value
      - .address_space:  global
        .offset:         104
        .size:           8
        .value_kind:     global_buffer
      - .offset:         112
        .size:           8
        .value_kind:     by_value
      - .offset:         120
        .size:           8
        .value_kind:     by_value
      - .offset:         128
        .size:           8
        .value_kind:     by_value
      - .offset:         136
        .size:           4
        .value_kind:     by_value
      - .offset:         144
        .size:           4
        .value_kind:     hidden_block_count_x
      - .offset:         148
        .size:           4
        .value_kind:     hidden_block_count_y
      - .offset:         152
        .size:           4
        .value_kind:     hidden_block_count_z
      - .offset:         156
        .size:           2
        .value_kind:     hidden_group_size_x
      - .offset:         158
        .size:           2
        .value_kind:     hidden_group_size_y
      - .offset:         160
        .size:           2
        .value_kind:     hidden_group_size_z
      - .offset:         162
        .size:           2
        .value_kind:     hidden_remainder_x
      - .offset:         164
        .size:           2
        .value_kind:     hidden_remainder_y
      - .offset:         166
        .size:           2
        .value_kind:     hidden_remainder_z
      - .offset:         184
        .size:           8
        .value_kind:     hidden_global_offset_x
      - .offset:         192
        .size:           8
        .value_kind:     hidden_global_offset_y
      - .offset:         200
        .size:           8
        .value_kind:     hidden_global_offset_z
      - .offset:         208
        .size:           2
        .value_kind:     hidden_grid_dims
    .group_segment_fixed_size: 32768
    .kernarg_segment_align: 8
    .kernarg_segment_size: 400
    .language:       OpenCL C
    .language_version:
      - 2
      - 0
    .max_flat_workgroup_size: 1024
    .name:           _ZL20rocblas_gemvn_kernelILi64ELi16ElPK19rocblas_complex_numIfES3_KPS1_EviiT3_lPKT2_lT1_lS9_lSA_lS6_lPT4_lSA_li
    .private_segment_fixed_size: 0
    .sgpr_count:     38
    .sgpr_spill_count: 0
    .symbol:         _ZL20rocblas_gemvn_kernelILi64ELi16ElPK19rocblas_complex_numIfES3_KPS1_EviiT3_lPKT2_lT1_lS9_lSA_lS6_lPT4_lSA_li.kd
    .uniform_work_group_size: 1
    .uses_dynamic_stack: false
    .vgpr_count:     69
    .vgpr_spill_count: 0
    .wavefront_size: 32
    .workgroup_processor_mode: 1
  - .args:
      - .offset:         0
        .size:           4
        .value_kind:     by_value
      - .offset:         4
        .size:           4
        .value_kind:     by_value
      - .offset:         8
        .size:           8
        .value_kind:     by_value
      - .offset:         16
        .size:           8
        .value_kind:     by_value
      - .address_space:  global
        .offset:         24
        .size:           8
        .value_kind:     global_buffer
      - .offset:         32
        .size:           8
        .value_kind:     by_value
      - .offset:         40
        .size:           4
        .value_kind:     by_value
      - .offset:         48
        .size:           8
        .value_kind:     by_value
      - .address_space:  global
        .offset:         56
        .size:           8
        .value_kind:     global_buffer
      - .offset:         64
        .size:           8
        .value_kind:     by_value
      - .offset:         72
        .size:           4
        .value_kind:     by_value
      - .offset:         80
        .size:           8
        .value_kind:     by_value
      - .offset:         88
        .size:           8
        .value_kind:     by_value
      - .offset:         96
        .size:           8
        .value_kind:     by_value
      - .address_space:  global
        .offset:         104
        .size:           8
        .value_kind:     global_buffer
      - .offset:         112
        .size:           8
        .value_kind:     by_value
      - .offset:         120
        .size:           4
        .value_kind:     by_value
      - .offset:         128
        .size:           8
        .value_kind:     by_value
      - .offset:         136
        .size:           4
        .value_kind:     by_value
      - .offset:         144
        .size:           4
        .value_kind:     hidden_block_count_x
      - .offset:         148
        .size:           4
        .value_kind:     hidden_block_count_y
      - .offset:         152
        .size:           4
        .value_kind:     hidden_block_count_z
      - .offset:         156
        .size:           2
        .value_kind:     hidden_group_size_x
      - .offset:         158
        .size:           2
        .value_kind:     hidden_group_size_y
      - .offset:         160
        .size:           2
        .value_kind:     hidden_group_size_z
      - .offset:         162
        .size:           2
        .value_kind:     hidden_remainder_x
      - .offset:         164
        .size:           2
        .value_kind:     hidden_remainder_y
      - .offset:         166
        .size:           2
        .value_kind:     hidden_remainder_z
      - .offset:         184
        .size:           8
        .value_kind:     hidden_global_offset_x
      - .offset:         192
        .size:           8
        .value_kind:     hidden_global_offset_y
      - .offset:         200
        .size:           8
        .value_kind:     hidden_global_offset_z
      - .offset:         208
        .size:           2
        .value_kind:     hidden_grid_dims
    .group_segment_fixed_size: 32768
    .kernarg_segment_align: 8
    .kernarg_segment_size: 400
    .language:       OpenCL C
    .language_version:
      - 2
      - 0
    .max_flat_workgroup_size: 1024
    .name:           _ZL20rocblas_gemvn_kernelILi64ELi16EiPK19rocblas_complex_numIfES1_KPS1_EviiT3_lPKT2_lT1_lS9_lSA_lS6_lPT4_lSA_li
    .private_segment_fixed_size: 0
    .sgpr_count:     31
    .sgpr_spill_count: 0
    .symbol:         _ZL20rocblas_gemvn_kernelILi64ELi16EiPK19rocblas_complex_numIfES1_KPS1_EviiT3_lPKT2_lT1_lS9_lSA_lS6_lPT4_lSA_li.kd
    .uniform_work_group_size: 1
    .uses_dynamic_stack: false
    .vgpr_count:     65
    .vgpr_spill_count: 0
    .wavefront_size: 32
    .workgroup_processor_mode: 1
  - .args:
      - .offset:         0
        .size:           4
        .value_kind:     by_value
      - .offset:         4
        .size:           4
        .value_kind:     by_value
      - .offset:         8
        .size:           8
        .value_kind:     by_value
      - .offset:         16
        .size:           8
        .value_kind:     by_value
      - .address_space:  global
        .offset:         24
        .size:           8
        .value_kind:     global_buffer
      - .offset:         32
        .size:           8
        .value_kind:     by_value
      - .offset:         40
        .size:           8
        .value_kind:     by_value
      - .offset:         48
        .size:           8
        .value_kind:     by_value
      - .address_space:  global
        .offset:         56
        .size:           8
        .value_kind:     global_buffer
      - .offset:         64
        .size:           8
        .value_kind:     by_value
      - .offset:         72
        .size:           8
        .value_kind:     by_value
      - .offset:         80
        .size:           8
        .value_kind:     by_value
      - .offset:         88
        .size:           8
        .value_kind:     by_value
      - .offset:         96
        .size:           8
        .value_kind:     by_value
      - .address_space:  global
        .offset:         104
        .size:           8
        .value_kind:     global_buffer
      - .offset:         112
        .size:           8
        .value_kind:     by_value
      - .offset:         120
        .size:           8
        .value_kind:     by_value
      - .offset:         128
        .size:           8
        .value_kind:     by_value
      - .offset:         136
        .size:           4
        .value_kind:     by_value
      - .offset:         144
        .size:           4
        .value_kind:     hidden_block_count_x
      - .offset:         148
        .size:           4
        .value_kind:     hidden_block_count_y
      - .offset:         152
        .size:           4
        .value_kind:     hidden_block_count_z
      - .offset:         156
        .size:           2
        .value_kind:     hidden_group_size_x
      - .offset:         158
        .size:           2
        .value_kind:     hidden_group_size_y
      - .offset:         160
        .size:           2
        .value_kind:     hidden_group_size_z
      - .offset:         162
        .size:           2
        .value_kind:     hidden_remainder_x
      - .offset:         164
        .size:           2
        .value_kind:     hidden_remainder_y
      - .offset:         166
        .size:           2
        .value_kind:     hidden_remainder_z
      - .offset:         184
        .size:           8
        .value_kind:     hidden_global_offset_x
      - .offset:         192
        .size:           8
        .value_kind:     hidden_global_offset_y
      - .offset:         200
        .size:           8
        .value_kind:     hidden_global_offset_z
      - .offset:         208
        .size:           2
        .value_kind:     hidden_grid_dims
    .group_segment_fixed_size: 32768
    .kernarg_segment_align: 8
    .kernarg_segment_size: 400
    .language:       OpenCL C
    .language_version:
      - 2
      - 0
    .max_flat_workgroup_size: 1024
    .name:           _ZL20rocblas_gemvn_kernelILi64ELi16ElPK19rocblas_complex_numIfES1_KPS1_EviiT3_lPKT2_lT1_lS9_lSA_lS6_lPT4_lSA_li
    .private_segment_fixed_size: 0
    .sgpr_count:     38
    .sgpr_spill_count: 0
    .symbol:         _ZL20rocblas_gemvn_kernelILi64ELi16ElPK19rocblas_complex_numIfES1_KPS1_EviiT3_lPKT2_lT1_lS9_lSA_lS6_lPT4_lSA_li.kd
    .uniform_work_group_size: 1
    .uses_dynamic_stack: false
    .vgpr_count:     69
    .vgpr_spill_count: 0
    .wavefront_size: 32
    .workgroup_processor_mode: 1
  - .args:
      - .offset:         0
        .size:           4
        .value_kind:     by_value
      - .offset:         4
        .size:           4
        .value_kind:     by_value
      - .address_space:  global
        .offset:         8
        .size:           8
        .value_kind:     global_buffer
      - .offset:         16
        .size:           8
        .value_kind:     by_value
      - .address_space:  global
        .offset:         24
        .size:           8
        .value_kind:     global_buffer
      - .offset:         32
        .size:           8
        .value_kind:     by_value
      - .offset:         40
        .size:           4
        .value_kind:     by_value
      - .offset:         48
        .size:           8
        .value_kind:     by_value
      - .address_space:  global
        .offset:         56
        .size:           8
        .value_kind:     global_buffer
      - .offset:         64
        .size:           8
        .value_kind:     by_value
      - .offset:         72
        .size:           4
        .value_kind:     by_value
      - .offset:         80
        .size:           8
        .value_kind:     by_value
      - .address_space:  global
        .offset:         88
        .size:           8
        .value_kind:     global_buffer
      - .offset:         96
        .size:           8
        .value_kind:     by_value
      - .address_space:  global
        .offset:         104
        .size:           8
        .value_kind:     global_buffer
      - .offset:         112
        .size:           8
        .value_kind:     by_value
      - .offset:         120
        .size:           4
        .value_kind:     by_value
      - .offset:         128
        .size:           8
        .value_kind:     by_value
    .group_segment_fixed_size: 512
    .kernarg_segment_align: 8
    .kernarg_segment_size: 136
    .language:       OpenCL C
    .language_version:
      - 2
      - 0
    .max_flat_workgroup_size: 256
    .name:           _ZL22rocblas_gemvtsm_kernelILb0ELi256EPK19rocblas_complex_numIfES3_KPS1_EviiT2_lPKT1_lilS9_lilS6_lPT3_lil
    .private_segment_fixed_size: 0
    .sgpr_count:     26
    .sgpr_spill_count: 0
    .symbol:         _ZL22rocblas_gemvtsm_kernelILb0ELi256EPK19rocblas_complex_numIfES3_KPS1_EviiT2_lPKT1_lilS9_lilS6_lPT3_lil.kd
    .uniform_work_group_size: 1
    .uses_dynamic_stack: false
    .vgpr_count:     49
    .vgpr_spill_count: 0
    .wavefront_size: 32
    .workgroup_processor_mode: 1
  - .args:
      - .offset:         0
        .size:           4
        .value_kind:     by_value
      - .offset:         4
        .size:           4
        .value_kind:     by_value
      - .offset:         8
        .size:           8
        .value_kind:     by_value
      - .offset:         16
        .size:           8
        .value_kind:     by_value
      - .address_space:  global
        .offset:         24
        .size:           8
        .value_kind:     global_buffer
      - .offset:         32
        .size:           8
        .value_kind:     by_value
      - .offset:         40
        .size:           4
        .value_kind:     by_value
      - .offset:         48
        .size:           8
        .value_kind:     by_value
      - .address_space:  global
        .offset:         56
        .size:           8
        .value_kind:     global_buffer
      - .offset:         64
        .size:           8
        .value_kind:     by_value
      - .offset:         72
        .size:           4
        .value_kind:     by_value
      - .offset:         80
        .size:           8
        .value_kind:     by_value
      - .offset:         88
        .size:           8
        .value_kind:     by_value
      - .offset:         96
        .size:           8
        .value_kind:     by_value
      - .address_space:  global
        .offset:         104
        .size:           8
        .value_kind:     global_buffer
      - .offset:         112
        .size:           8
        .value_kind:     by_value
      - .offset:         120
        .size:           4
        .value_kind:     by_value
      - .offset:         128
        .size:           8
        .value_kind:     by_value
    .group_segment_fixed_size: 512
    .kernarg_segment_align: 8
    .kernarg_segment_size: 136
    .language:       OpenCL C
    .language_version:
      - 2
      - 0
    .max_flat_workgroup_size: 256
    .name:           _ZL22rocblas_gemvtsm_kernelILb0ELi256EPK19rocblas_complex_numIfES1_KPS1_EviiT2_lPKT1_lilS9_lilS6_lPT3_lil
    .private_segment_fixed_size: 0
    .sgpr_count:     26
    .sgpr_spill_count: 0
    .symbol:         _ZL22rocblas_gemvtsm_kernelILb0ELi256EPK19rocblas_complex_numIfES1_KPS1_EviiT2_lPKT1_lilS9_lilS6_lPT3_lil.kd
    .uniform_work_group_size: 1
    .uses_dynamic_stack: false
    .vgpr_count:     49
    .vgpr_spill_count: 0
    .wavefront_size: 32
    .workgroup_processor_mode: 1
  - .args:
      - .offset:         0
        .size:           4
        .value_kind:     by_value
      - .offset:         4
        .size:           4
        .value_kind:     by_value
      - .address_space:  global
        .offset:         8
        .size:           8
        .value_kind:     global_buffer
      - .offset:         16
        .size:           8
        .value_kind:     by_value
      - .address_space:  global
        .offset:         24
        .size:           8
        .value_kind:     global_buffer
      - .offset:         32
        .size:           8
        .value_kind:     by_value
      - .offset:         40
        .size:           4
        .value_kind:     by_value
      - .offset:         48
        .size:           8
        .value_kind:     by_value
      - .address_space:  global
        .offset:         56
        .size:           8
        .value_kind:     global_buffer
      - .offset:         64
        .size:           8
        .value_kind:     by_value
      - .offset:         72
        .size:           4
        .value_kind:     by_value
      - .offset:         80
        .size:           8
        .value_kind:     by_value
      - .address_space:  global
        .offset:         88
        .size:           8
        .value_kind:     global_buffer
      - .offset:         96
        .size:           4
        .value_kind:     by_value
      - .offset:         104
        .size:           4
        .value_kind:     hidden_block_count_x
      - .offset:         108
        .size:           4
        .value_kind:     hidden_block_count_y
      - .offset:         112
        .size:           4
        .value_kind:     hidden_block_count_z
      - .offset:         116
        .size:           2
        .value_kind:     hidden_group_size_x
      - .offset:         118
        .size:           2
        .value_kind:     hidden_group_size_y
      - .offset:         120
        .size:           2
        .value_kind:     hidden_group_size_z
      - .offset:         122
        .size:           2
        .value_kind:     hidden_remainder_x
      - .offset:         124
        .size:           2
        .value_kind:     hidden_remainder_y
      - .offset:         126
        .size:           2
        .value_kind:     hidden_remainder_z
      - .offset:         144
        .size:           8
        .value_kind:     hidden_global_offset_x
      - .offset:         152
        .size:           8
        .value_kind:     hidden_global_offset_y
      - .offset:         160
        .size:           8
        .value_kind:     hidden_global_offset_z
      - .offset:         168
        .size:           2
        .value_kind:     hidden_grid_dims
    .group_segment_fixed_size: 256
    .kernarg_segment_align: 8
    .kernarg_segment_size: 360
    .language:       OpenCL C
    .language_version:
      - 2
      - 0
    .max_flat_workgroup_size: 256
    .name:           _ZL23rocblas_gemvt_sn_kernelILb0ELi256ELi4EiPK19rocblas_complex_numIfES3_S1_EviiT4_lPKT3_lilS7_lilPT5_i
    .private_segment_fixed_size: 48
    .sgpr_count:     52
    .sgpr_spill_count: 0
    .symbol:         _ZL23rocblas_gemvt_sn_kernelILb0ELi256ELi4EiPK19rocblas_complex_numIfES3_S1_EviiT4_lPKT3_lilS7_lilPT5_i.kd
    .uniform_work_group_size: 1
    .uses_dynamic_stack: false
    .vgpr_count:     61
    .vgpr_spill_count: 0
    .wavefront_size: 32
    .workgroup_processor_mode: 1
  - .args:
      - .offset:         0
        .size:           4
        .value_kind:     by_value
      - .offset:         4
        .size:           4
        .value_kind:     by_value
      - .address_space:  global
        .offset:         8
        .size:           8
        .value_kind:     global_buffer
      - .offset:         16
        .size:           8
        .value_kind:     by_value
      - .address_space:  global
        .offset:         24
        .size:           8
        .value_kind:     global_buffer
      - .offset:         32
        .size:           8
        .value_kind:     by_value
      - .offset:         40
        .size:           4
        .value_kind:     by_value
      - .offset:         48
        .size:           8
        .value_kind:     by_value
      - .address_space:  global
        .offset:         56
        .size:           8
        .value_kind:     global_buffer
      - .offset:         64
        .size:           8
        .value_kind:     by_value
      - .offset:         72
        .size:           4
        .value_kind:     by_value
      - .offset:         80
        .size:           8
        .value_kind:     by_value
      - .address_space:  global
        .offset:         88
        .size:           8
        .value_kind:     global_buffer
      - .offset:         96
        .size:           4
        .value_kind:     by_value
      - .offset:         104
        .size:           4
        .value_kind:     hidden_block_count_x
      - .offset:         108
        .size:           4
        .value_kind:     hidden_block_count_y
      - .offset:         112
        .size:           4
        .value_kind:     hidden_block_count_z
      - .offset:         116
        .size:           2
        .value_kind:     hidden_group_size_x
      - .offset:         118
        .size:           2
        .value_kind:     hidden_group_size_y
      - .offset:         120
        .size:           2
        .value_kind:     hidden_group_size_z
      - .offset:         122
        .size:           2
        .value_kind:     hidden_remainder_x
      - .offset:         124
        .size:           2
        .value_kind:     hidden_remainder_y
      - .offset:         126
        .size:           2
        .value_kind:     hidden_remainder_z
      - .offset:         144
        .size:           8
        .value_kind:     hidden_global_offset_x
      - .offset:         152
        .size:           8
        .value_kind:     hidden_global_offset_y
      - .offset:         160
        .size:           8
        .value_kind:     hidden_global_offset_z
      - .offset:         168
        .size:           2
        .value_kind:     hidden_grid_dims
    .group_segment_fixed_size: 256
    .kernarg_segment_align: 8
    .kernarg_segment_size: 360
    .language:       OpenCL C
    .language_version:
      - 2
      - 0
    .max_flat_workgroup_size: 256
    .name:           _ZL23rocblas_gemvt_sn_kernelILb0ELi256ELi4ElPK19rocblas_complex_numIfES3_S1_EviiT4_lPKT3_lilS7_lilPT5_i
    .private_segment_fixed_size: 48
    .sgpr_count:     52
    .sgpr_spill_count: 0
    .symbol:         _ZL23rocblas_gemvt_sn_kernelILb0ELi256ELi4ElPK19rocblas_complex_numIfES3_S1_EviiT4_lPKT3_lilS7_lilPT5_i.kd
    .uniform_work_group_size: 1
    .uses_dynamic_stack: false
    .vgpr_count:     77
    .vgpr_spill_count: 0
    .wavefront_size: 32
    .workgroup_processor_mode: 1
  - .args:
      - .offset:         0
        .size:           4
        .value_kind:     by_value
      - .address_space:  global
        .offset:         8
        .size:           8
        .value_kind:     global_buffer
      - .offset:         16
        .size:           8
        .value_kind:     by_value
      - .address_space:  global
        .offset:         24
        .size:           8
        .value_kind:     global_buffer
      - .offset:         32
        .size:           8
        .value_kind:     by_value
      - .offset:         40
        .size:           4
        .value_kind:     by_value
      - .offset:         48
        .size:           8
        .value_kind:     by_value
      - .actual_access:  read_only
        .address_space:  global
        .offset:         56
        .size:           8
        .value_kind:     global_buffer
      - .offset:         64
        .size:           4
        .value_kind:     by_value
      - .offset:         72
        .size:           4
        .value_kind:     hidden_block_count_x
      - .offset:         76
        .size:           4
        .value_kind:     hidden_block_count_y
      - .offset:         80
        .size:           4
        .value_kind:     hidden_block_count_z
      - .offset:         84
        .size:           2
        .value_kind:     hidden_group_size_x
      - .offset:         86
        .size:           2
        .value_kind:     hidden_group_size_y
      - .offset:         88
        .size:           2
        .value_kind:     hidden_group_size_z
      - .offset:         90
        .size:           2
        .value_kind:     hidden_remainder_x
      - .offset:         92
        .size:           2
        .value_kind:     hidden_remainder_y
      - .offset:         94
        .size:           2
        .value_kind:     hidden_remainder_z
      - .offset:         112
        .size:           8
        .value_kind:     hidden_global_offset_x
      - .offset:         120
        .size:           8
        .value_kind:     hidden_global_offset_y
      - .offset:         128
        .size:           8
        .value_kind:     hidden_global_offset_z
      - .offset:         136
        .size:           2
        .value_kind:     hidden_grid_dims
    .group_segment_fixed_size: 256
    .kernarg_segment_align: 8
    .kernarg_segment_size: 328
    .language:       OpenCL C
    .language_version:
      - 2
      - 0
    .max_flat_workgroup_size: 256
    .name:           _ZL23rocblas_gemvt_sn_reduceILi256ELi8E19rocblas_complex_numIfEPKS1_KPS1_EviT2_lPT3_lilPT1_i
    .private_segment_fixed_size: 0
    .sgpr_count:     24
    .sgpr_spill_count: 0
    .symbol:         _ZL23rocblas_gemvt_sn_reduceILi256ELi8E19rocblas_complex_numIfEPKS1_KPS1_EviT2_lPT3_lilPT1_i.kd
    .uniform_work_group_size: 1
    .uses_dynamic_stack: false
    .vgpr_count:     22
    .vgpr_spill_count: 0
    .wavefront_size: 32
    .workgroup_processor_mode: 1
  - .args:
      - .offset:         0
        .size:           4
        .value_kind:     by_value
      - .offset:         4
        .size:           4
        .value_kind:     by_value
      - .offset:         8
        .size:           8
        .value_kind:     by_value
      - .offset:         16
        .size:           8
        .value_kind:     by_value
      - .address_space:  global
        .offset:         24
        .size:           8
        .value_kind:     global_buffer
      - .offset:         32
        .size:           8
        .value_kind:     by_value
      - .offset:         40
        .size:           4
        .value_kind:     by_value
      - .offset:         48
        .size:           8
        .value_kind:     by_value
      - .address_space:  global
        .offset:         56
        .size:           8
        .value_kind:     global_buffer
      - .offset:         64
        .size:           8
        .value_kind:     by_value
      - .offset:         72
        .size:           4
        .value_kind:     by_value
      - .offset:         80
        .size:           8
        .value_kind:     by_value
      - .address_space:  global
        .offset:         88
        .size:           8
        .value_kind:     global_buffer
      - .offset:         96
        .size:           4
        .value_kind:     by_value
      - .offset:         104
        .size:           4
        .value_kind:     hidden_block_count_x
      - .offset:         108
        .size:           4
        .value_kind:     hidden_block_count_y
      - .offset:         112
        .size:           4
        .value_kind:     hidden_block_count_z
      - .offset:         116
        .size:           2
        .value_kind:     hidden_group_size_x
      - .offset:         118
        .size:           2
        .value_kind:     hidden_group_size_y
      - .offset:         120
        .size:           2
        .value_kind:     hidden_group_size_z
      - .offset:         122
        .size:           2
        .value_kind:     hidden_remainder_x
      - .offset:         124
        .size:           2
        .value_kind:     hidden_remainder_y
      - .offset:         126
        .size:           2
        .value_kind:     hidden_remainder_z
      - .offset:         144
        .size:           8
        .value_kind:     hidden_global_offset_x
      - .offset:         152
        .size:           8
        .value_kind:     hidden_global_offset_y
      - .offset:         160
        .size:           8
        .value_kind:     hidden_global_offset_z
      - .offset:         168
        .size:           2
        .value_kind:     hidden_grid_dims
    .group_segment_fixed_size: 256
    .kernarg_segment_align: 8
    .kernarg_segment_size: 360
    .language:       OpenCL C
    .language_version:
      - 2
      - 0
    .max_flat_workgroup_size: 256
    .name:           _ZL23rocblas_gemvt_sn_kernelILb0ELi256ELi4EiPK19rocblas_complex_numIfES1_S1_EviiT4_lPKT3_lilS7_lilPT5_i
    .private_segment_fixed_size: 48
    .sgpr_count:     52
    .sgpr_spill_count: 0
    .symbol:         _ZL23rocblas_gemvt_sn_kernelILb0ELi256ELi4EiPK19rocblas_complex_numIfES1_S1_EviiT4_lPKT3_lilS7_lilPT5_i.kd
    .uniform_work_group_size: 1
    .uses_dynamic_stack: false
    .vgpr_count:     61
    .vgpr_spill_count: 0
    .wavefront_size: 32
    .workgroup_processor_mode: 1
  - .args:
      - .offset:         0
        .size:           4
        .value_kind:     by_value
      - .offset:         4
        .size:           4
        .value_kind:     by_value
      - .offset:         8
        .size:           8
        .value_kind:     by_value
      - .offset:         16
        .size:           8
        .value_kind:     by_value
      - .address_space:  global
        .offset:         24
        .size:           8
        .value_kind:     global_buffer
      - .offset:         32
        .size:           8
        .value_kind:     by_value
      - .offset:         40
        .size:           4
        .value_kind:     by_value
      - .offset:         48
        .size:           8
        .value_kind:     by_value
      - .address_space:  global
        .offset:         56
        .size:           8
        .value_kind:     global_buffer
      - .offset:         64
        .size:           8
        .value_kind:     by_value
      - .offset:         72
        .size:           4
        .value_kind:     by_value
      - .offset:         80
        .size:           8
        .value_kind:     by_value
      - .address_space:  global
        .offset:         88
        .size:           8
        .value_kind:     global_buffer
      - .offset:         96
        .size:           4
        .value_kind:     by_value
      - .offset:         104
        .size:           4
        .value_kind:     hidden_block_count_x
      - .offset:         108
        .size:           4
        .value_kind:     hidden_block_count_y
      - .offset:         112
        .size:           4
        .value_kind:     hidden_block_count_z
      - .offset:         116
        .size:           2
        .value_kind:     hidden_group_size_x
      - .offset:         118
        .size:           2
        .value_kind:     hidden_group_size_y
      - .offset:         120
        .size:           2
        .value_kind:     hidden_group_size_z
      - .offset:         122
        .size:           2
        .value_kind:     hidden_remainder_x
      - .offset:         124
        .size:           2
        .value_kind:     hidden_remainder_y
      - .offset:         126
        .size:           2
        .value_kind:     hidden_remainder_z
      - .offset:         144
        .size:           8
        .value_kind:     hidden_global_offset_x
      - .offset:         152
        .size:           8
        .value_kind:     hidden_global_offset_y
      - .offset:         160
        .size:           8
        .value_kind:     hidden_global_offset_z
      - .offset:         168
        .size:           2
        .value_kind:     hidden_grid_dims
    .group_segment_fixed_size: 256
    .kernarg_segment_align: 8
    .kernarg_segment_size: 360
    .language:       OpenCL C
    .language_version:
      - 2
      - 0
    .max_flat_workgroup_size: 256
    .name:           _ZL23rocblas_gemvt_sn_kernelILb0ELi256ELi4ElPK19rocblas_complex_numIfES1_S1_EviiT4_lPKT3_lilS7_lilPT5_i
    .private_segment_fixed_size: 48
    .sgpr_count:     52
    .sgpr_spill_count: 0
    .symbol:         _ZL23rocblas_gemvt_sn_kernelILb0ELi256ELi4ElPK19rocblas_complex_numIfES1_S1_EviiT4_lPKT3_lilS7_lilPT5_i.kd
    .uniform_work_group_size: 1
    .uses_dynamic_stack: false
    .vgpr_count:     77
    .vgpr_spill_count: 0
    .wavefront_size: 32
    .workgroup_processor_mode: 1
  - .args:
      - .offset:         0
        .size:           4
        .value_kind:     by_value
      - .offset:         4
        .size:           8
        .value_kind:     by_value
      - .offset:         16
        .size:           8
        .value_kind:     by_value
      - .address_space:  global
        .offset:         24
        .size:           8
        .value_kind:     global_buffer
      - .offset:         32
        .size:           8
        .value_kind:     by_value
      - .offset:         40
        .size:           4
        .value_kind:     by_value
      - .offset:         48
        .size:           8
        .value_kind:     by_value
      - .actual_access:  read_only
        .address_space:  global
        .offset:         56
        .size:           8
        .value_kind:     global_buffer
      - .offset:         64
        .size:           4
        .value_kind:     by_value
      - .offset:         72
        .size:           4
        .value_kind:     hidden_block_count_x
      - .offset:         76
        .size:           4
        .value_kind:     hidden_block_count_y
      - .offset:         80
        .size:           4
        .value_kind:     hidden_block_count_z
      - .offset:         84
        .size:           2
        .value_kind:     hidden_group_size_x
      - .offset:         86
        .size:           2
        .value_kind:     hidden_group_size_y
      - .offset:         88
        .size:           2
        .value_kind:     hidden_group_size_z
      - .offset:         90
        .size:           2
        .value_kind:     hidden_remainder_x
      - .offset:         92
        .size:           2
        .value_kind:     hidden_remainder_y
      - .offset:         94
        .size:           2
        .value_kind:     hidden_remainder_z
      - .offset:         112
        .size:           8
        .value_kind:     hidden_global_offset_x
      - .offset:         120
        .size:           8
        .value_kind:     hidden_global_offset_y
      - .offset:         128
        .size:           8
        .value_kind:     hidden_global_offset_z
      - .offset:         136
        .size:           2
        .value_kind:     hidden_grid_dims
    .group_segment_fixed_size: 256
    .kernarg_segment_align: 8
    .kernarg_segment_size: 328
    .language:       OpenCL C
    .language_version:
      - 2
      - 0
    .max_flat_workgroup_size: 256
    .name:           _ZL23rocblas_gemvt_sn_reduceILi256ELi8E19rocblas_complex_numIfES1_KPS1_EviT2_lPT3_lilPT1_i
    .private_segment_fixed_size: 0
    .sgpr_count:     24
    .sgpr_spill_count: 0
    .symbol:         _ZL23rocblas_gemvt_sn_reduceILi256ELi8E19rocblas_complex_numIfES1_KPS1_EviT2_lPT3_lilPT1_i.kd
    .uniform_work_group_size: 1
    .uses_dynamic_stack: false
    .vgpr_count:     22
    .vgpr_spill_count: 0
    .wavefront_size: 32
    .workgroup_processor_mode: 1
  - .args:
      - .offset:         0
        .size:           4
        .value_kind:     by_value
      - .offset:         4
        .size:           4
        .value_kind:     by_value
      - .address_space:  global
        .offset:         8
        .size:           8
        .value_kind:     global_buffer
      - .offset:         16
        .size:           8
        .value_kind:     by_value
      - .address_space:  global
        .offset:         24
        .size:           8
        .value_kind:     global_buffer
      - .offset:         32
        .size:           8
        .value_kind:     by_value
      - .offset:         40
        .size:           4
        .value_kind:     by_value
      - .offset:         48
        .size:           8
        .value_kind:     by_value
      - .address_space:  global
        .offset:         56
        .size:           8
        .value_kind:     global_buffer
      - .offset:         64
        .size:           8
        .value_kind:     by_value
      - .offset:         72
        .size:           4
        .value_kind:     by_value
      - .offset:         80
        .size:           8
        .value_kind:     by_value
      - .address_space:  global
        .offset:         88
        .size:           8
        .value_kind:     global_buffer
      - .offset:         96
        .size:           8
        .value_kind:     by_value
      - .address_space:  global
        .offset:         104
        .size:           8
        .value_kind:     global_buffer
      - .offset:         112
        .size:           8
        .value_kind:     by_value
      - .offset:         120
        .size:           4
        .value_kind:     by_value
      - .offset:         128
        .size:           8
        .value_kind:     by_value
      - .offset:         136
        .size:           4
        .value_kind:     by_value
    .group_segment_fixed_size: 256
    .kernarg_segment_align: 8
    .kernarg_segment_size: 140
    .language:       OpenCL C
    .language_version:
      - 2
      - 0
    .max_flat_workgroup_size: 256
    .name:           _ZL32rocblas_gemvt_warp_reduce_kernelILb0ELi256EiPK19rocblas_complex_numIfES3_KPS1_EviiT3_lPKT2_lT1_lS9_lSA_lS6_lPT4_lSA_li
    .private_segment_fixed_size: 0
    .sgpr_count:     26
    .sgpr_spill_count: 0
    .symbol:         _ZL32rocblas_gemvt_warp_reduce_kernelILb0ELi256EiPK19rocblas_complex_numIfES3_KPS1_EviiT3_lPKT2_lT1_lS9_lSA_lS6_lPT4_lSA_li.kd
    .uniform_work_group_size: 1
    .uses_dynamic_stack: false
    .vgpr_count:     14
    .vgpr_spill_count: 0
    .wavefront_size: 32
    .workgroup_processor_mode: 1
  - .args:
      - .offset:         0
        .size:           4
        .value_kind:     by_value
      - .offset:         4
        .size:           4
        .value_kind:     by_value
      - .address_space:  global
        .offset:         8
        .size:           8
        .value_kind:     global_buffer
      - .offset:         16
        .size:           8
        .value_kind:     by_value
      - .address_space:  global
        .offset:         24
        .size:           8
        .value_kind:     global_buffer
      - .offset:         32
        .size:           8
        .value_kind:     by_value
      - .offset:         40
        .size:           8
        .value_kind:     by_value
      - .offset:         48
        .size:           8
        .value_kind:     by_value
      - .address_space:  global
        .offset:         56
        .size:           8
        .value_kind:     global_buffer
      - .offset:         64
        .size:           8
        .value_kind:     by_value
      - .offset:         72
        .size:           8
        .value_kind:     by_value
      - .offset:         80
        .size:           8
        .value_kind:     by_value
      - .address_space:  global
        .offset:         88
        .size:           8
        .value_kind:     global_buffer
      - .offset:         96
        .size:           8
        .value_kind:     by_value
      - .address_space:  global
        .offset:         104
        .size:           8
        .value_kind:     global_buffer
      - .offset:         112
        .size:           8
        .value_kind:     by_value
      - .offset:         120
        .size:           8
        .value_kind:     by_value
      - .offset:         128
        .size:           8
        .value_kind:     by_value
      - .offset:         136
        .size:           4
        .value_kind:     by_value
    .group_segment_fixed_size: 256
    .kernarg_segment_align: 8
    .kernarg_segment_size: 140
    .language:       OpenCL C
    .language_version:
      - 2
      - 0
    .max_flat_workgroup_size: 256
    .name:           _ZL32rocblas_gemvt_warp_reduce_kernelILb0ELi256ElPK19rocblas_complex_numIfES3_KPS1_EviiT3_lPKT2_lT1_lS9_lSA_lS6_lPT4_lSA_li
    .private_segment_fixed_size: 0
    .sgpr_count:     33
    .sgpr_spill_count: 0
    .symbol:         _ZL32rocblas_gemvt_warp_reduce_kernelILb0ELi256ElPK19rocblas_complex_numIfES3_KPS1_EviiT3_lPKT2_lT1_lS9_lSA_lS6_lPT4_lSA_li.kd
    .uniform_work_group_size: 1
    .uses_dynamic_stack: false
    .vgpr_count:     15
    .vgpr_spill_count: 0
    .wavefront_size: 32
    .workgroup_processor_mode: 1
  - .args:
      - .offset:         0
        .size:           4
        .value_kind:     by_value
      - .offset:         4
        .size:           4
        .value_kind:     by_value
      - .offset:         8
        .size:           8
        .value_kind:     by_value
      - .offset:         16
        .size:           8
        .value_kind:     by_value
      - .address_space:  global
        .offset:         24
        .size:           8
        .value_kind:     global_buffer
      - .offset:         32
        .size:           8
        .value_kind:     by_value
      - .offset:         40
        .size:           4
        .value_kind:     by_value
      - .offset:         48
        .size:           8
        .value_kind:     by_value
      - .address_space:  global
        .offset:         56
        .size:           8
        .value_kind:     global_buffer
      - .offset:         64
        .size:           8
        .value_kind:     by_value
      - .offset:         72
        .size:           4
        .value_kind:     by_value
      - .offset:         80
        .size:           8
        .value_kind:     by_value
      - .offset:         88
        .size:           8
        .value_kind:     by_value
      - .offset:         96
        .size:           8
        .value_kind:     by_value
      - .address_space:  global
        .offset:         104
        .size:           8
        .value_kind:     global_buffer
      - .offset:         112
        .size:           8
        .value_kind:     by_value
      - .offset:         120
        .size:           4
        .value_kind:     by_value
      - .offset:         128
        .size:           8
        .value_kind:     by_value
      - .offset:         136
        .size:           4
        .value_kind:     by_value
    .group_segment_fixed_size: 256
    .kernarg_segment_align: 8
    .kernarg_segment_size: 140
    .language:       OpenCL C
    .language_version:
      - 2
      - 0
    .max_flat_workgroup_size: 256
    .name:           _ZL32rocblas_gemvt_warp_reduce_kernelILb0ELi256EiPK19rocblas_complex_numIfES1_KPS1_EviiT3_lPKT2_lT1_lS9_lSA_lS6_lPT4_lSA_li
    .private_segment_fixed_size: 0
    .sgpr_count:     26
    .sgpr_spill_count: 0
    .symbol:         _ZL32rocblas_gemvt_warp_reduce_kernelILb0ELi256EiPK19rocblas_complex_numIfES1_KPS1_EviiT3_lPKT2_lT1_lS9_lSA_lS6_lPT4_lSA_li.kd
    .uniform_work_group_size: 1
    .uses_dynamic_stack: false
    .vgpr_count:     14
    .vgpr_spill_count: 0
    .wavefront_size: 32
    .workgroup_processor_mode: 1
  - .args:
      - .offset:         0
        .size:           4
        .value_kind:     by_value
      - .offset:         4
        .size:           4
        .value_kind:     by_value
      - .offset:         8
        .size:           8
        .value_kind:     by_value
      - .offset:         16
        .size:           8
        .value_kind:     by_value
      - .address_space:  global
        .offset:         24
        .size:           8
        .value_kind:     global_buffer
      - .offset:         32
        .size:           8
        .value_kind:     by_value
      - .offset:         40
        .size:           8
        .value_kind:     by_value
      - .offset:         48
        .size:           8
        .value_kind:     by_value
      - .address_space:  global
        .offset:         56
        .size:           8
        .value_kind:     global_buffer
      - .offset:         64
        .size:           8
        .value_kind:     by_value
      - .offset:         72
        .size:           8
        .value_kind:     by_value
      - .offset:         80
        .size:           8
        .value_kind:     by_value
      - .offset:         88
        .size:           8
        .value_kind:     by_value
      - .offset:         96
        .size:           8
        .value_kind:     by_value
      - .address_space:  global
        .offset:         104
        .size:           8
        .value_kind:     global_buffer
      - .offset:         112
        .size:           8
        .value_kind:     by_value
      - .offset:         120
        .size:           8
        .value_kind:     by_value
      - .offset:         128
        .size:           8
        .value_kind:     by_value
      - .offset:         136
        .size:           4
        .value_kind:     by_value
    .group_segment_fixed_size: 256
    .kernarg_segment_align: 8
    .kernarg_segment_size: 140
    .language:       OpenCL C
    .language_version:
      - 2
      - 0
    .max_flat_workgroup_size: 256
    .name:           _ZL32rocblas_gemvt_warp_reduce_kernelILb0ELi256ElPK19rocblas_complex_numIfES1_KPS1_EviiT3_lPKT2_lT1_lS9_lSA_lS6_lPT4_lSA_li
    .private_segment_fixed_size: 0
    .sgpr_count:     30
    .sgpr_spill_count: 0
    .symbol:         _ZL32rocblas_gemvt_warp_reduce_kernelILb0ELi256ElPK19rocblas_complex_numIfES1_KPS1_EviiT3_lPKT2_lT1_lS9_lSA_lS6_lPT4_lSA_li.kd
    .uniform_work_group_size: 1
    .uses_dynamic_stack: false
    .vgpr_count:     15
    .vgpr_spill_count: 0
    .wavefront_size: 32
    .workgroup_processor_mode: 1
  - .args:
      - .offset:         0
        .size:           4
        .value_kind:     by_value
      - .offset:         4
        .size:           4
        .value_kind:     by_value
      - .address_space:  global
        .offset:         8
        .size:           8
        .value_kind:     global_buffer
      - .offset:         16
        .size:           8
        .value_kind:     by_value
      - .address_space:  global
        .offset:         24
        .size:           8
        .value_kind:     global_buffer
      - .offset:         32
        .size:           8
        .value_kind:     by_value
      - .offset:         40
        .size:           4
        .value_kind:     by_value
      - .offset:         48
        .size:           8
        .value_kind:     by_value
      - .address_space:  global
        .offset:         56
        .size:           8
        .value_kind:     global_buffer
      - .offset:         64
        .size:           8
        .value_kind:     by_value
      - .offset:         72
        .size:           4
        .value_kind:     by_value
      - .offset:         80
        .size:           8
        .value_kind:     by_value
      - .address_space:  global
        .offset:         88
        .size:           8
        .value_kind:     global_buffer
      - .offset:         96
        .size:           8
        .value_kind:     by_value
      - .address_space:  global
        .offset:         104
        .size:           8
        .value_kind:     global_buffer
      - .offset:         112
        .size:           8
        .value_kind:     by_value
      - .offset:         120
        .size:           4
        .value_kind:     by_value
      - .offset:         128
        .size:           8
        .value_kind:     by_value
      - .offset:         136
        .size:           4
        .value_kind:     by_value
    .group_segment_fixed_size: 2048
    .kernarg_segment_align: 8
    .kernarg_segment_size: 140
    .language:       OpenCL C
    .language_version:
      - 2
      - 0
    .max_flat_workgroup_size: 256
    .name:           _ZL20rocblas_gemvt_kernelILb0ELi256EPK19rocblas_complex_numIfES3_KPS1_EviiT2_lPKT1_lilS9_lilS6_lPT3_lili
    .private_segment_fixed_size: 0
    .sgpr_count:     26
    .sgpr_spill_count: 0
    .symbol:         _ZL20rocblas_gemvt_kernelILb0ELi256EPK19rocblas_complex_numIfES3_KPS1_EviiT2_lPKT1_lilS9_lilS6_lPT3_lili.kd
    .uniform_work_group_size: 1
    .uses_dynamic_stack: false
    .vgpr_count:     14
    .vgpr_spill_count: 0
    .wavefront_size: 32
    .workgroup_processor_mode: 1
  - .args:
      - .offset:         0
        .size:           4
        .value_kind:     by_value
      - .offset:         4
        .size:           4
        .value_kind:     by_value
      - .offset:         8
        .size:           8
        .value_kind:     by_value
      - .offset:         16
        .size:           8
        .value_kind:     by_value
      - .address_space:  global
        .offset:         24
        .size:           8
        .value_kind:     global_buffer
      - .offset:         32
        .size:           8
        .value_kind:     by_value
      - .offset:         40
        .size:           4
        .value_kind:     by_value
      - .offset:         48
        .size:           8
        .value_kind:     by_value
      - .address_space:  global
        .offset:         56
        .size:           8
        .value_kind:     global_buffer
      - .offset:         64
        .size:           8
        .value_kind:     by_value
      - .offset:         72
        .size:           4
        .value_kind:     by_value
      - .offset:         80
        .size:           8
        .value_kind:     by_value
      - .offset:         88
        .size:           8
        .value_kind:     by_value
      - .offset:         96
        .size:           8
        .value_kind:     by_value
      - .address_space:  global
        .offset:         104
        .size:           8
        .value_kind:     global_buffer
      - .offset:         112
        .size:           8
        .value_kind:     by_value
      - .offset:         120
        .size:           4
        .value_kind:     by_value
      - .offset:         128
        .size:           8
        .value_kind:     by_value
      - .offset:         136
        .size:           4
        .value_kind:     by_value
    .group_segment_fixed_size: 2048
    .kernarg_segment_align: 8
    .kernarg_segment_size: 140
    .language:       OpenCL C
    .language_version:
      - 2
      - 0
    .max_flat_workgroup_size: 256
    .name:           _ZL20rocblas_gemvt_kernelILb0ELi256EPK19rocblas_complex_numIfES1_KPS1_EviiT2_lPKT1_lilS9_lilS6_lPT3_lili
    .private_segment_fixed_size: 0
    .sgpr_count:     26
    .sgpr_spill_count: 0
    .symbol:         _ZL20rocblas_gemvt_kernelILb0ELi256EPK19rocblas_complex_numIfES1_KPS1_EviiT2_lPKT1_lilS9_lilS6_lPT3_lili.kd
    .uniform_work_group_size: 1
    .uses_dynamic_stack: false
    .vgpr_count:     14
    .vgpr_spill_count: 0
    .wavefront_size: 32
    .workgroup_processor_mode: 1
  - .args:
      - .offset:         0
        .size:           4
        .value_kind:     by_value
      - .offset:         4
        .size:           4
        .value_kind:     by_value
      - .address_space:  global
        .offset:         8
        .size:           8
        .value_kind:     global_buffer
      - .offset:         16
        .size:           8
        .value_kind:     by_value
      - .address_space:  global
        .offset:         24
        .size:           8
        .value_kind:     global_buffer
      - .offset:         32
        .size:           8
        .value_kind:     by_value
      - .offset:         40
        .size:           4
        .value_kind:     by_value
      - .offset:         48
        .size:           8
        .value_kind:     by_value
      - .address_space:  global
        .offset:         56
        .size:           8
        .value_kind:     global_buffer
      - .offset:         64
        .size:           8
        .value_kind:     by_value
      - .offset:         72
        .size:           4
        .value_kind:     by_value
      - .offset:         80
        .size:           8
        .value_kind:     by_value
      - .address_space:  global
        .offset:         88
        .size:           8
        .value_kind:     global_buffer
      - .offset:         96
        .size:           8
        .value_kind:     by_value
      - .address_space:  global
        .offset:         104
        .size:           8
        .value_kind:     global_buffer
      - .offset:         112
        .size:           8
        .value_kind:     by_value
      - .offset:         120
        .size:           4
        .value_kind:     by_value
      - .offset:         128
        .size:           8
        .value_kind:     by_value
      - .offset:         136
        .size:           4
        .value_kind:     by_value
    .group_segment_fixed_size: 256
    .kernarg_segment_align: 8
    .kernarg_segment_size: 140
    .language:       OpenCL C
    .language_version:
      - 2
      - 0
    .max_flat_workgroup_size: 1024
    .name:           _ZL32rocblas_gemvt_warp_reduce_kernelILb0ELi1024EiPK19rocblas_complex_numIfES3_KPS1_EviiT3_lPKT2_lT1_lS9_lSA_lS6_lPT4_lSA_li
    .private_segment_fixed_size: 0
    .sgpr_count:     26
    .sgpr_spill_count: 0
    .symbol:         _ZL32rocblas_gemvt_warp_reduce_kernelILb0ELi1024EiPK19rocblas_complex_numIfES3_KPS1_EviiT3_lPKT2_lT1_lS9_lSA_lS6_lPT4_lSA_li.kd
    .uniform_work_group_size: 1
    .uses_dynamic_stack: false
    .vgpr_count:     14
    .vgpr_spill_count: 0
    .wavefront_size: 32
    .workgroup_processor_mode: 1
  - .args:
      - .offset:         0
        .size:           4
        .value_kind:     by_value
      - .offset:         4
        .size:           4
        .value_kind:     by_value
      - .address_space:  global
        .offset:         8
        .size:           8
        .value_kind:     global_buffer
      - .offset:         16
        .size:           8
        .value_kind:     by_value
      - .address_space:  global
        .offset:         24
        .size:           8
        .value_kind:     global_buffer
      - .offset:         32
        .size:           8
        .value_kind:     by_value
      - .offset:         40
        .size:           8
        .value_kind:     by_value
      - .offset:         48
        .size:           8
        .value_kind:     by_value
      - .address_space:  global
        .offset:         56
        .size:           8
        .value_kind:     global_buffer
      - .offset:         64
        .size:           8
        .value_kind:     by_value
      - .offset:         72
        .size:           8
        .value_kind:     by_value
      - .offset:         80
        .size:           8
        .value_kind:     by_value
      - .address_space:  global
        .offset:         88
        .size:           8
        .value_kind:     global_buffer
      - .offset:         96
        .size:           8
        .value_kind:     by_value
      - .address_space:  global
        .offset:         104
        .size:           8
        .value_kind:     global_buffer
      - .offset:         112
        .size:           8
        .value_kind:     by_value
      - .offset:         120
        .size:           8
        .value_kind:     by_value
      - .offset:         128
        .size:           8
        .value_kind:     by_value
      - .offset:         136
        .size:           4
        .value_kind:     by_value
    .group_segment_fixed_size: 256
    .kernarg_segment_align: 8
    .kernarg_segment_size: 140
    .language:       OpenCL C
    .language_version:
      - 2
      - 0
    .max_flat_workgroup_size: 1024
    .name:           _ZL32rocblas_gemvt_warp_reduce_kernelILb0ELi1024ElPK19rocblas_complex_numIfES3_KPS1_EviiT3_lPKT2_lT1_lS9_lSA_lS6_lPT4_lSA_li
    .private_segment_fixed_size: 0
    .sgpr_count:     33
    .sgpr_spill_count: 0
    .symbol:         _ZL32rocblas_gemvt_warp_reduce_kernelILb0ELi1024ElPK19rocblas_complex_numIfES3_KPS1_EviiT3_lPKT2_lT1_lS9_lSA_lS6_lPT4_lSA_li.kd
    .uniform_work_group_size: 1
    .uses_dynamic_stack: false
    .vgpr_count:     15
    .vgpr_spill_count: 0
    .wavefront_size: 32
    .workgroup_processor_mode: 1
  - .args:
      - .offset:         0
        .size:           4
        .value_kind:     by_value
      - .offset:         4
        .size:           4
        .value_kind:     by_value
      - .offset:         8
        .size:           8
        .value_kind:     by_value
      - .offset:         16
        .size:           8
        .value_kind:     by_value
      - .address_space:  global
        .offset:         24
        .size:           8
        .value_kind:     global_buffer
      - .offset:         32
        .size:           8
        .value_kind:     by_value
      - .offset:         40
        .size:           4
        .value_kind:     by_value
      - .offset:         48
        .size:           8
        .value_kind:     by_value
      - .address_space:  global
        .offset:         56
        .size:           8
        .value_kind:     global_buffer
      - .offset:         64
        .size:           8
        .value_kind:     by_value
      - .offset:         72
        .size:           4
        .value_kind:     by_value
      - .offset:         80
        .size:           8
        .value_kind:     by_value
      - .offset:         88
        .size:           8
        .value_kind:     by_value
      - .offset:         96
        .size:           8
        .value_kind:     by_value
      - .address_space:  global
        .offset:         104
        .size:           8
        .value_kind:     global_buffer
      - .offset:         112
        .size:           8
        .value_kind:     by_value
      - .offset:         120
        .size:           4
        .value_kind:     by_value
      - .offset:         128
        .size:           8
        .value_kind:     by_value
      - .offset:         136
        .size:           4
        .value_kind:     by_value
    .group_segment_fixed_size: 256
    .kernarg_segment_align: 8
    .kernarg_segment_size: 140
    .language:       OpenCL C
    .language_version:
      - 2
      - 0
    .max_flat_workgroup_size: 1024
    .name:           _ZL32rocblas_gemvt_warp_reduce_kernelILb0ELi1024EiPK19rocblas_complex_numIfES1_KPS1_EviiT3_lPKT2_lT1_lS9_lSA_lS6_lPT4_lSA_li
    .private_segment_fixed_size: 0
    .sgpr_count:     26
    .sgpr_spill_count: 0
    .symbol:         _ZL32rocblas_gemvt_warp_reduce_kernelILb0ELi1024EiPK19rocblas_complex_numIfES1_KPS1_EviiT3_lPKT2_lT1_lS9_lSA_lS6_lPT4_lSA_li.kd
    .uniform_work_group_size: 1
    .uses_dynamic_stack: false
    .vgpr_count:     14
    .vgpr_spill_count: 0
    .wavefront_size: 32
    .workgroup_processor_mode: 1
  - .args:
      - .offset:         0
        .size:           4
        .value_kind:     by_value
      - .offset:         4
        .size:           4
        .value_kind:     by_value
      - .offset:         8
        .size:           8
        .value_kind:     by_value
      - .offset:         16
        .size:           8
        .value_kind:     by_value
      - .address_space:  global
        .offset:         24
        .size:           8
        .value_kind:     global_buffer
      - .offset:         32
        .size:           8
        .value_kind:     by_value
      - .offset:         40
        .size:           8
        .value_kind:     by_value
      - .offset:         48
        .size:           8
        .value_kind:     by_value
      - .address_space:  global
        .offset:         56
        .size:           8
        .value_kind:     global_buffer
      - .offset:         64
        .size:           8
        .value_kind:     by_value
      - .offset:         72
        .size:           8
        .value_kind:     by_value
      - .offset:         80
        .size:           8
        .value_kind:     by_value
      - .offset:         88
        .size:           8
        .value_kind:     by_value
      - .offset:         96
        .size:           8
        .value_kind:     by_value
      - .address_space:  global
        .offset:         104
        .size:           8
        .value_kind:     global_buffer
      - .offset:         112
        .size:           8
        .value_kind:     by_value
      - .offset:         120
        .size:           8
        .value_kind:     by_value
      - .offset:         128
        .size:           8
        .value_kind:     by_value
      - .offset:         136
        .size:           4
        .value_kind:     by_value
    .group_segment_fixed_size: 256
    .kernarg_segment_align: 8
    .kernarg_segment_size: 140
    .language:       OpenCL C
    .language_version:
      - 2
      - 0
    .max_flat_workgroup_size: 1024
    .name:           _ZL32rocblas_gemvt_warp_reduce_kernelILb0ELi1024ElPK19rocblas_complex_numIfES1_KPS1_EviiT3_lPKT2_lT1_lS9_lSA_lS6_lPT4_lSA_li
    .private_segment_fixed_size: 0
    .sgpr_count:     30
    .sgpr_spill_count: 0
    .symbol:         _ZL32rocblas_gemvt_warp_reduce_kernelILb0ELi1024ElPK19rocblas_complex_numIfES1_KPS1_EviiT3_lPKT2_lT1_lS9_lSA_lS6_lPT4_lSA_li.kd
    .uniform_work_group_size: 1
    .uses_dynamic_stack: false
    .vgpr_count:     15
    .vgpr_spill_count: 0
    .wavefront_size: 32
    .workgroup_processor_mode: 1
  - .args:
      - .offset:         0
        .size:           4
        .value_kind:     by_value
      - .offset:         4
        .size:           4
        .value_kind:     by_value
      - .address_space:  global
        .offset:         8
        .size:           8
        .value_kind:     global_buffer
      - .offset:         16
        .size:           8
        .value_kind:     by_value
      - .address_space:  global
        .offset:         24
        .size:           8
        .value_kind:     global_buffer
      - .offset:         32
        .size:           8
        .value_kind:     by_value
      - .offset:         40
        .size:           4
        .value_kind:     by_value
      - .offset:         48
        .size:           8
        .value_kind:     by_value
      - .address_space:  global
        .offset:         56
        .size:           8
        .value_kind:     global_buffer
      - .offset:         64
        .size:           8
        .value_kind:     by_value
      - .offset:         72
        .size:           4
        .value_kind:     by_value
      - .offset:         80
        .size:           8
        .value_kind:     by_value
      - .address_space:  global
        .offset:         88
        .size:           8
        .value_kind:     global_buffer
      - .offset:         96
        .size:           8
        .value_kind:     by_value
      - .address_space:  global
        .offset:         104
        .size:           8
        .value_kind:     global_buffer
      - .offset:         112
        .size:           8
        .value_kind:     by_value
      - .offset:         120
        .size:           4
        .value_kind:     by_value
      - .offset:         128
        .size:           8
        .value_kind:     by_value
    .group_segment_fixed_size: 512
    .kernarg_segment_align: 8
    .kernarg_segment_size: 136
    .language:       OpenCL C
    .language_version:
      - 2
      - 0
    .max_flat_workgroup_size: 256
    .name:           _ZL22rocblas_gemvtsm_kernelILb1ELi256EPK19rocblas_complex_numIfES3_KPS1_EviiT2_lPKT1_lilS9_lilS6_lPT3_lil
    .private_segment_fixed_size: 0
    .sgpr_count:     26
    .sgpr_spill_count: 0
    .symbol:         _ZL22rocblas_gemvtsm_kernelILb1ELi256EPK19rocblas_complex_numIfES3_KPS1_EviiT2_lPKT1_lilS9_lilS6_lPT3_lil.kd
    .uniform_work_group_size: 1
    .uses_dynamic_stack: false
    .vgpr_count:     49
    .vgpr_spill_count: 0
    .wavefront_size: 32
    .workgroup_processor_mode: 1
  - .args:
      - .offset:         0
        .size:           4
        .value_kind:     by_value
      - .offset:         4
        .size:           4
        .value_kind:     by_value
      - .offset:         8
        .size:           8
        .value_kind:     by_value
      - .offset:         16
        .size:           8
        .value_kind:     by_value
      - .address_space:  global
        .offset:         24
        .size:           8
        .value_kind:     global_buffer
      - .offset:         32
        .size:           8
        .value_kind:     by_value
      - .offset:         40
        .size:           4
        .value_kind:     by_value
      - .offset:         48
        .size:           8
        .value_kind:     by_value
      - .address_space:  global
        .offset:         56
        .size:           8
        .value_kind:     global_buffer
      - .offset:         64
        .size:           8
        .value_kind:     by_value
      - .offset:         72
        .size:           4
        .value_kind:     by_value
      - .offset:         80
        .size:           8
        .value_kind:     by_value
      - .offset:         88
        .size:           8
        .value_kind:     by_value
      - .offset:         96
        .size:           8
        .value_kind:     by_value
      - .address_space:  global
        .offset:         104
        .size:           8
        .value_kind:     global_buffer
      - .offset:         112
        .size:           8
        .value_kind:     by_value
      - .offset:         120
        .size:           4
        .value_kind:     by_value
      - .offset:         128
        .size:           8
        .value_kind:     by_value
    .group_segment_fixed_size: 512
    .kernarg_segment_align: 8
    .kernarg_segment_size: 136
    .language:       OpenCL C
    .language_version:
      - 2
      - 0
    .max_flat_workgroup_size: 256
    .name:           _ZL22rocblas_gemvtsm_kernelILb1ELi256EPK19rocblas_complex_numIfES1_KPS1_EviiT2_lPKT1_lilS9_lilS6_lPT3_lil
    .private_segment_fixed_size: 0
    .sgpr_count:     26
    .sgpr_spill_count: 0
    .symbol:         _ZL22rocblas_gemvtsm_kernelILb1ELi256EPK19rocblas_complex_numIfES1_KPS1_EviiT2_lPKT1_lilS9_lilS6_lPT3_lil.kd
    .uniform_work_group_size: 1
    .uses_dynamic_stack: false
    .vgpr_count:     49
    .vgpr_spill_count: 0
    .wavefront_size: 32
    .workgroup_processor_mode: 1
  - .args:
      - .offset:         0
        .size:           4
        .value_kind:     by_value
      - .offset:         4
        .size:           4
        .value_kind:     by_value
      - .address_space:  global
        .offset:         8
        .size:           8
        .value_kind:     global_buffer
      - .offset:         16
        .size:           8
        .value_kind:     by_value
      - .address_space:  global
        .offset:         24
        .size:           8
        .value_kind:     global_buffer
      - .offset:         32
        .size:           8
        .value_kind:     by_value
      - .offset:         40
        .size:           4
        .value_kind:     by_value
      - .offset:         48
        .size:           8
        .value_kind:     by_value
      - .address_space:  global
        .offset:         56
        .size:           8
        .value_kind:     global_buffer
      - .offset:         64
        .size:           8
        .value_kind:     by_value
      - .offset:         72
        .size:           4
        .value_kind:     by_value
      - .offset:         80
        .size:           8
        .value_kind:     by_value
      - .address_space:  global
        .offset:         88
        .size:           8
        .value_kind:     global_buffer
      - .offset:         96
        .size:           4
        .value_kind:     by_value
      - .offset:         104
        .size:           4
        .value_kind:     hidden_block_count_x
      - .offset:         108
        .size:           4
        .value_kind:     hidden_block_count_y
      - .offset:         112
        .size:           4
        .value_kind:     hidden_block_count_z
      - .offset:         116
        .size:           2
        .value_kind:     hidden_group_size_x
      - .offset:         118
        .size:           2
        .value_kind:     hidden_group_size_y
      - .offset:         120
        .size:           2
        .value_kind:     hidden_group_size_z
      - .offset:         122
        .size:           2
        .value_kind:     hidden_remainder_x
      - .offset:         124
        .size:           2
        .value_kind:     hidden_remainder_y
      - .offset:         126
        .size:           2
        .value_kind:     hidden_remainder_z
      - .offset:         144
        .size:           8
        .value_kind:     hidden_global_offset_x
      - .offset:         152
        .size:           8
        .value_kind:     hidden_global_offset_y
      - .offset:         160
        .size:           8
        .value_kind:     hidden_global_offset_z
      - .offset:         168
        .size:           2
        .value_kind:     hidden_grid_dims
    .group_segment_fixed_size: 256
    .kernarg_segment_align: 8
    .kernarg_segment_size: 360
    .language:       OpenCL C
    .language_version:
      - 2
      - 0
    .max_flat_workgroup_size: 256
    .name:           _ZL23rocblas_gemvt_sn_kernelILb1ELi256ELi4EiPK19rocblas_complex_numIfES3_S1_EviiT4_lPKT3_lilS7_lilPT5_i
    .private_segment_fixed_size: 48
    .sgpr_count:     52
    .sgpr_spill_count: 0
    .symbol:         _ZL23rocblas_gemvt_sn_kernelILb1ELi256ELi4EiPK19rocblas_complex_numIfES3_S1_EviiT4_lPKT3_lilS7_lilPT5_i.kd
    .uniform_work_group_size: 1
    .uses_dynamic_stack: false
    .vgpr_count:     61
    .vgpr_spill_count: 0
    .wavefront_size: 32
    .workgroup_processor_mode: 1
  - .args:
      - .offset:         0
        .size:           4
        .value_kind:     by_value
      - .offset:         4
        .size:           4
        .value_kind:     by_value
      - .address_space:  global
        .offset:         8
        .size:           8
        .value_kind:     global_buffer
      - .offset:         16
        .size:           8
        .value_kind:     by_value
      - .address_space:  global
        .offset:         24
        .size:           8
        .value_kind:     global_buffer
      - .offset:         32
        .size:           8
        .value_kind:     by_value
      - .offset:         40
        .size:           4
        .value_kind:     by_value
      - .offset:         48
        .size:           8
        .value_kind:     by_value
      - .address_space:  global
        .offset:         56
        .size:           8
        .value_kind:     global_buffer
      - .offset:         64
        .size:           8
        .value_kind:     by_value
      - .offset:         72
        .size:           4
        .value_kind:     by_value
      - .offset:         80
        .size:           8
        .value_kind:     by_value
      - .address_space:  global
        .offset:         88
        .size:           8
        .value_kind:     global_buffer
      - .offset:         96
        .size:           4
        .value_kind:     by_value
      - .offset:         104
        .size:           4
        .value_kind:     hidden_block_count_x
      - .offset:         108
        .size:           4
        .value_kind:     hidden_block_count_y
      - .offset:         112
        .size:           4
        .value_kind:     hidden_block_count_z
      - .offset:         116
        .size:           2
        .value_kind:     hidden_group_size_x
      - .offset:         118
        .size:           2
        .value_kind:     hidden_group_size_y
      - .offset:         120
        .size:           2
        .value_kind:     hidden_group_size_z
      - .offset:         122
        .size:           2
        .value_kind:     hidden_remainder_x
      - .offset:         124
        .size:           2
        .value_kind:     hidden_remainder_y
      - .offset:         126
        .size:           2
        .value_kind:     hidden_remainder_z
      - .offset:         144
        .size:           8
        .value_kind:     hidden_global_offset_x
      - .offset:         152
        .size:           8
        .value_kind:     hidden_global_offset_y
      - .offset:         160
        .size:           8
        .value_kind:     hidden_global_offset_z
      - .offset:         168
        .size:           2
        .value_kind:     hidden_grid_dims
    .group_segment_fixed_size: 256
    .kernarg_segment_align: 8
    .kernarg_segment_size: 360
    .language:       OpenCL C
    .language_version:
      - 2
      - 0
    .max_flat_workgroup_size: 256
    .name:           _ZL23rocblas_gemvt_sn_kernelILb1ELi256ELi4ElPK19rocblas_complex_numIfES3_S1_EviiT4_lPKT3_lilS7_lilPT5_i
    .private_segment_fixed_size: 48
    .sgpr_count:     48
    .sgpr_spill_count: 0
    .symbol:         _ZL23rocblas_gemvt_sn_kernelILb1ELi256ELi4ElPK19rocblas_complex_numIfES3_S1_EviiT4_lPKT3_lilS7_lilPT5_i.kd
    .uniform_work_group_size: 1
    .uses_dynamic_stack: false
    .vgpr_count:     77
    .vgpr_spill_count: 0
    .wavefront_size: 32
    .workgroup_processor_mode: 1
  - .args:
      - .offset:         0
        .size:           4
        .value_kind:     by_value
      - .offset:         4
        .size:           4
        .value_kind:     by_value
      - .offset:         8
        .size:           8
        .value_kind:     by_value
      - .offset:         16
        .size:           8
        .value_kind:     by_value
      - .address_space:  global
        .offset:         24
        .size:           8
        .value_kind:     global_buffer
      - .offset:         32
        .size:           8
        .value_kind:     by_value
      - .offset:         40
        .size:           4
        .value_kind:     by_value
      - .offset:         48
        .size:           8
        .value_kind:     by_value
      - .address_space:  global
        .offset:         56
        .size:           8
        .value_kind:     global_buffer
      - .offset:         64
        .size:           8
        .value_kind:     by_value
      - .offset:         72
        .size:           4
        .value_kind:     by_value
      - .offset:         80
        .size:           8
        .value_kind:     by_value
      - .address_space:  global
        .offset:         88
        .size:           8
        .value_kind:     global_buffer
      - .offset:         96
        .size:           4
        .value_kind:     by_value
      - .offset:         104
        .size:           4
        .value_kind:     hidden_block_count_x
      - .offset:         108
        .size:           4
        .value_kind:     hidden_block_count_y
      - .offset:         112
        .size:           4
        .value_kind:     hidden_block_count_z
      - .offset:         116
        .size:           2
        .value_kind:     hidden_group_size_x
      - .offset:         118
        .size:           2
        .value_kind:     hidden_group_size_y
      - .offset:         120
        .size:           2
        .value_kind:     hidden_group_size_z
      - .offset:         122
        .size:           2
        .value_kind:     hidden_remainder_x
      - .offset:         124
        .size:           2
        .value_kind:     hidden_remainder_y
      - .offset:         126
        .size:           2
        .value_kind:     hidden_remainder_z
      - .offset:         144
        .size:           8
        .value_kind:     hidden_global_offset_x
      - .offset:         152
        .size:           8
        .value_kind:     hidden_global_offset_y
      - .offset:         160
        .size:           8
        .value_kind:     hidden_global_offset_z
      - .offset:         168
        .size:           2
        .value_kind:     hidden_grid_dims
    .group_segment_fixed_size: 256
    .kernarg_segment_align: 8
    .kernarg_segment_size: 360
    .language:       OpenCL C
    .language_version:
      - 2
      - 0
    .max_flat_workgroup_size: 256
    .name:           _ZL23rocblas_gemvt_sn_kernelILb1ELi256ELi4EiPK19rocblas_complex_numIfES1_S1_EviiT4_lPKT3_lilS7_lilPT5_i
    .private_segment_fixed_size: 48
    .sgpr_count:     52
    .sgpr_spill_count: 0
    .symbol:         _ZL23rocblas_gemvt_sn_kernelILb1ELi256ELi4EiPK19rocblas_complex_numIfES1_S1_EviiT4_lPKT3_lilS7_lilPT5_i.kd
    .uniform_work_group_size: 1
    .uses_dynamic_stack: false
    .vgpr_count:     61
    .vgpr_spill_count: 0
    .wavefront_size: 32
    .workgroup_processor_mode: 1
  - .args:
      - .offset:         0
        .size:           4
        .value_kind:     by_value
      - .offset:         4
        .size:           4
        .value_kind:     by_value
      - .offset:         8
        .size:           8
        .value_kind:     by_value
      - .offset:         16
        .size:           8
        .value_kind:     by_value
      - .address_space:  global
        .offset:         24
        .size:           8
        .value_kind:     global_buffer
      - .offset:         32
        .size:           8
        .value_kind:     by_value
      - .offset:         40
        .size:           4
        .value_kind:     by_value
      - .offset:         48
        .size:           8
        .value_kind:     by_value
      - .address_space:  global
        .offset:         56
        .size:           8
        .value_kind:     global_buffer
      - .offset:         64
        .size:           8
        .value_kind:     by_value
      - .offset:         72
        .size:           4
        .value_kind:     by_value
      - .offset:         80
        .size:           8
        .value_kind:     by_value
      - .address_space:  global
        .offset:         88
        .size:           8
        .value_kind:     global_buffer
      - .offset:         96
        .size:           4
        .value_kind:     by_value
      - .offset:         104
        .size:           4
        .value_kind:     hidden_block_count_x
      - .offset:         108
        .size:           4
        .value_kind:     hidden_block_count_y
      - .offset:         112
        .size:           4
        .value_kind:     hidden_block_count_z
      - .offset:         116
        .size:           2
        .value_kind:     hidden_group_size_x
      - .offset:         118
        .size:           2
        .value_kind:     hidden_group_size_y
      - .offset:         120
        .size:           2
        .value_kind:     hidden_group_size_z
      - .offset:         122
        .size:           2
        .value_kind:     hidden_remainder_x
      - .offset:         124
        .size:           2
        .value_kind:     hidden_remainder_y
      - .offset:         126
        .size:           2
        .value_kind:     hidden_remainder_z
      - .offset:         144
        .size:           8
        .value_kind:     hidden_global_offset_x
      - .offset:         152
        .size:           8
        .value_kind:     hidden_global_offset_y
      - .offset:         160
        .size:           8
        .value_kind:     hidden_global_offset_z
      - .offset:         168
        .size:           2
        .value_kind:     hidden_grid_dims
    .group_segment_fixed_size: 256
    .kernarg_segment_align: 8
    .kernarg_segment_size: 360
    .language:       OpenCL C
    .language_version:
      - 2
      - 0
    .max_flat_workgroup_size: 256
    .name:           _ZL23rocblas_gemvt_sn_kernelILb1ELi256ELi4ElPK19rocblas_complex_numIfES1_S1_EviiT4_lPKT3_lilS7_lilPT5_i
    .private_segment_fixed_size: 48
    .sgpr_count:     48
    .sgpr_spill_count: 0
    .symbol:         _ZL23rocblas_gemvt_sn_kernelILb1ELi256ELi4ElPK19rocblas_complex_numIfES1_S1_EviiT4_lPKT3_lilS7_lilPT5_i.kd
    .uniform_work_group_size: 1
    .uses_dynamic_stack: false
    .vgpr_count:     77
    .vgpr_spill_count: 0
    .wavefront_size: 32
    .workgroup_processor_mode: 1
  - .args:
      - .offset:         0
        .size:           4
        .value_kind:     by_value
      - .offset:         4
        .size:           4
        .value_kind:     by_value
      - .address_space:  global
        .offset:         8
        .size:           8
        .value_kind:     global_buffer
      - .offset:         16
        .size:           8
        .value_kind:     by_value
      - .address_space:  global
        .offset:         24
        .size:           8
        .value_kind:     global_buffer
      - .offset:         32
        .size:           8
        .value_kind:     by_value
      - .offset:         40
        .size:           4
        .value_kind:     by_value
      - .offset:         48
        .size:           8
        .value_kind:     by_value
      - .address_space:  global
        .offset:         56
        .size:           8
        .value_kind:     global_buffer
      - .offset:         64
        .size:           8
        .value_kind:     by_value
      - .offset:         72
        .size:           4
        .value_kind:     by_value
      - .offset:         80
        .size:           8
        .value_kind:     by_value
      - .address_space:  global
        .offset:         88
        .size:           8
        .value_kind:     global_buffer
      - .offset:         96
        .size:           8
        .value_kind:     by_value
      - .address_space:  global
        .offset:         104
        .size:           8
        .value_kind:     global_buffer
      - .offset:         112
        .size:           8
        .value_kind:     by_value
      - .offset:         120
        .size:           4
        .value_kind:     by_value
      - .offset:         128
        .size:           8
        .value_kind:     by_value
      - .offset:         136
        .size:           4
        .value_kind:     by_value
    .group_segment_fixed_size: 2048
    .kernarg_segment_align: 8
    .kernarg_segment_size: 140
    .language:       OpenCL C
    .language_version:
      - 2
      - 0
    .max_flat_workgroup_size: 256
    .name:           _ZL20rocblas_gemvt_kernelILb1ELi256EPK19rocblas_complex_numIfES3_KPS1_EviiT2_lPKT1_lilS9_lilS6_lPT3_lili
    .private_segment_fixed_size: 0
    .sgpr_count:     26
    .sgpr_spill_count: 0
    .symbol:         _ZL20rocblas_gemvt_kernelILb1ELi256EPK19rocblas_complex_numIfES3_KPS1_EviiT2_lPKT1_lilS9_lilS6_lPT3_lili.kd
    .uniform_work_group_size: 1
    .uses_dynamic_stack: false
    .vgpr_count:     14
    .vgpr_spill_count: 0
    .wavefront_size: 32
    .workgroup_processor_mode: 1
  - .args:
      - .offset:         0
        .size:           4
        .value_kind:     by_value
      - .offset:         4
        .size:           4
        .value_kind:     by_value
      - .offset:         8
        .size:           8
        .value_kind:     by_value
      - .offset:         16
        .size:           8
        .value_kind:     by_value
      - .address_space:  global
        .offset:         24
        .size:           8
        .value_kind:     global_buffer
      - .offset:         32
        .size:           8
        .value_kind:     by_value
      - .offset:         40
        .size:           4
        .value_kind:     by_value
      - .offset:         48
        .size:           8
        .value_kind:     by_value
      - .address_space:  global
        .offset:         56
        .size:           8
        .value_kind:     global_buffer
      - .offset:         64
        .size:           8
        .value_kind:     by_value
      - .offset:         72
        .size:           4
        .value_kind:     by_value
      - .offset:         80
        .size:           8
        .value_kind:     by_value
      - .offset:         88
        .size:           8
        .value_kind:     by_value
      - .offset:         96
        .size:           8
        .value_kind:     by_value
      - .address_space:  global
        .offset:         104
        .size:           8
        .value_kind:     global_buffer
      - .offset:         112
        .size:           8
        .value_kind:     by_value
      - .offset:         120
        .size:           4
        .value_kind:     by_value
      - .offset:         128
        .size:           8
        .value_kind:     by_value
      - .offset:         136
        .size:           4
        .value_kind:     by_value
    .group_segment_fixed_size: 2048
    .kernarg_segment_align: 8
    .kernarg_segment_size: 140
    .language:       OpenCL C
    .language_version:
      - 2
      - 0
    .max_flat_workgroup_size: 256
    .name:           _ZL20rocblas_gemvt_kernelILb1ELi256EPK19rocblas_complex_numIfES1_KPS1_EviiT2_lPKT1_lilS9_lilS6_lPT3_lili
    .private_segment_fixed_size: 0
    .sgpr_count:     26
    .sgpr_spill_count: 0
    .symbol:         _ZL20rocblas_gemvt_kernelILb1ELi256EPK19rocblas_complex_numIfES1_KPS1_EviiT2_lPKT1_lilS9_lilS6_lPT3_lili.kd
    .uniform_work_group_size: 1
    .uses_dynamic_stack: false
    .vgpr_count:     14
    .vgpr_spill_count: 0
    .wavefront_size: 32
    .workgroup_processor_mode: 1
  - .args:
      - .offset:         0
        .size:           4
        .value_kind:     by_value
      - .offset:         4
        .size:           4
        .value_kind:     by_value
      - .address_space:  global
        .offset:         8
        .size:           8
        .value_kind:     global_buffer
      - .offset:         16
        .size:           8
        .value_kind:     by_value
      - .address_space:  global
        .offset:         24
        .size:           8
        .value_kind:     global_buffer
      - .offset:         32
        .size:           8
        .value_kind:     by_value
      - .offset:         40
        .size:           4
        .value_kind:     by_value
      - .offset:         48
        .size:           8
        .value_kind:     by_value
      - .address_space:  global
        .offset:         56
        .size:           8
        .value_kind:     global_buffer
      - .offset:         64
        .size:           8
        .value_kind:     by_value
      - .offset:         72
        .size:           4
        .value_kind:     by_value
      - .offset:         80
        .size:           8
        .value_kind:     by_value
      - .address_space:  global
        .offset:         88
        .size:           8
        .value_kind:     global_buffer
      - .offset:         96
        .size:           8
        .value_kind:     by_value
      - .address_space:  global
        .offset:         104
        .size:           8
        .value_kind:     global_buffer
      - .offset:         112
        .size:           8
        .value_kind:     by_value
      - .offset:         120
        .size:           4
        .value_kind:     by_value
      - .offset:         128
        .size:           8
        .value_kind:     by_value
      - .offset:         136
        .size:           4
        .value_kind:     by_value
    .group_segment_fixed_size: 256
    .kernarg_segment_align: 8
    .kernarg_segment_size: 140
    .language:       OpenCL C
    .language_version:
      - 2
      - 0
    .max_flat_workgroup_size: 1024
    .name:           _ZL32rocblas_gemvt_warp_reduce_kernelILb1ELi1024EiPK19rocblas_complex_numIfES3_KPS1_EviiT3_lPKT2_lT1_lS9_lSA_lS6_lPT4_lSA_li
    .private_segment_fixed_size: 0
    .sgpr_count:     26
    .sgpr_spill_count: 0
    .symbol:         _ZL32rocblas_gemvt_warp_reduce_kernelILb1ELi1024EiPK19rocblas_complex_numIfES3_KPS1_EviiT3_lPKT2_lT1_lS9_lSA_lS6_lPT4_lSA_li.kd
    .uniform_work_group_size: 1
    .uses_dynamic_stack: false
    .vgpr_count:     14
    .vgpr_spill_count: 0
    .wavefront_size: 32
    .workgroup_processor_mode: 1
  - .args:
      - .offset:         0
        .size:           4
        .value_kind:     by_value
      - .offset:         4
        .size:           4
        .value_kind:     by_value
      - .address_space:  global
        .offset:         8
        .size:           8
        .value_kind:     global_buffer
      - .offset:         16
        .size:           8
        .value_kind:     by_value
      - .address_space:  global
        .offset:         24
        .size:           8
        .value_kind:     global_buffer
      - .offset:         32
        .size:           8
        .value_kind:     by_value
      - .offset:         40
        .size:           8
        .value_kind:     by_value
      - .offset:         48
        .size:           8
        .value_kind:     by_value
      - .address_space:  global
        .offset:         56
        .size:           8
        .value_kind:     global_buffer
      - .offset:         64
        .size:           8
        .value_kind:     by_value
      - .offset:         72
        .size:           8
        .value_kind:     by_value
      - .offset:         80
        .size:           8
        .value_kind:     by_value
      - .address_space:  global
        .offset:         88
        .size:           8
        .value_kind:     global_buffer
      - .offset:         96
        .size:           8
        .value_kind:     by_value
      - .address_space:  global
        .offset:         104
        .size:           8
        .value_kind:     global_buffer
      - .offset:         112
        .size:           8
        .value_kind:     by_value
      - .offset:         120
        .size:           8
        .value_kind:     by_value
      - .offset:         128
        .size:           8
        .value_kind:     by_value
      - .offset:         136
        .size:           4
        .value_kind:     by_value
    .group_segment_fixed_size: 256
    .kernarg_segment_align: 8
    .kernarg_segment_size: 140
    .language:       OpenCL C
    .language_version:
      - 2
      - 0
    .max_flat_workgroup_size: 1024
    .name:           _ZL32rocblas_gemvt_warp_reduce_kernelILb1ELi1024ElPK19rocblas_complex_numIfES3_KPS1_EviiT3_lPKT2_lT1_lS9_lSA_lS6_lPT4_lSA_li
    .private_segment_fixed_size: 0
    .sgpr_count:     33
    .sgpr_spill_count: 0
    .symbol:         _ZL32rocblas_gemvt_warp_reduce_kernelILb1ELi1024ElPK19rocblas_complex_numIfES3_KPS1_EviiT3_lPKT2_lT1_lS9_lSA_lS6_lPT4_lSA_li.kd
    .uniform_work_group_size: 1
    .uses_dynamic_stack: false
    .vgpr_count:     15
    .vgpr_spill_count: 0
    .wavefront_size: 32
    .workgroup_processor_mode: 1
  - .args:
      - .offset:         0
        .size:           4
        .value_kind:     by_value
      - .offset:         4
        .size:           4
        .value_kind:     by_value
      - .offset:         8
        .size:           8
        .value_kind:     by_value
      - .offset:         16
        .size:           8
        .value_kind:     by_value
      - .address_space:  global
        .offset:         24
        .size:           8
        .value_kind:     global_buffer
      - .offset:         32
        .size:           8
        .value_kind:     by_value
      - .offset:         40
        .size:           4
        .value_kind:     by_value
      - .offset:         48
        .size:           8
        .value_kind:     by_value
      - .address_space:  global
        .offset:         56
        .size:           8
        .value_kind:     global_buffer
      - .offset:         64
        .size:           8
        .value_kind:     by_value
      - .offset:         72
        .size:           4
        .value_kind:     by_value
      - .offset:         80
        .size:           8
        .value_kind:     by_value
      - .offset:         88
        .size:           8
        .value_kind:     by_value
      - .offset:         96
        .size:           8
        .value_kind:     by_value
      - .address_space:  global
        .offset:         104
        .size:           8
        .value_kind:     global_buffer
      - .offset:         112
        .size:           8
        .value_kind:     by_value
      - .offset:         120
        .size:           4
        .value_kind:     by_value
      - .offset:         128
        .size:           8
        .value_kind:     by_value
      - .offset:         136
        .size:           4
        .value_kind:     by_value
    .group_segment_fixed_size: 256
    .kernarg_segment_align: 8
    .kernarg_segment_size: 140
    .language:       OpenCL C
    .language_version:
      - 2
      - 0
    .max_flat_workgroup_size: 1024
    .name:           _ZL32rocblas_gemvt_warp_reduce_kernelILb1ELi1024EiPK19rocblas_complex_numIfES1_KPS1_EviiT3_lPKT2_lT1_lS9_lSA_lS6_lPT4_lSA_li
    .private_segment_fixed_size: 0
    .sgpr_count:     26
    .sgpr_spill_count: 0
    .symbol:         _ZL32rocblas_gemvt_warp_reduce_kernelILb1ELi1024EiPK19rocblas_complex_numIfES1_KPS1_EviiT3_lPKT2_lT1_lS9_lSA_lS6_lPT4_lSA_li.kd
    .uniform_work_group_size: 1
    .uses_dynamic_stack: false
    .vgpr_count:     14
    .vgpr_spill_count: 0
    .wavefront_size: 32
    .workgroup_processor_mode: 1
  - .args:
      - .offset:         0
        .size:           4
        .value_kind:     by_value
      - .offset:         4
        .size:           4
        .value_kind:     by_value
      - .offset:         8
        .size:           8
        .value_kind:     by_value
      - .offset:         16
        .size:           8
        .value_kind:     by_value
      - .address_space:  global
        .offset:         24
        .size:           8
        .value_kind:     global_buffer
      - .offset:         32
        .size:           8
        .value_kind:     by_value
      - .offset:         40
        .size:           8
        .value_kind:     by_value
      - .offset:         48
        .size:           8
        .value_kind:     by_value
      - .address_space:  global
        .offset:         56
        .size:           8
        .value_kind:     global_buffer
      - .offset:         64
        .size:           8
        .value_kind:     by_value
      - .offset:         72
        .size:           8
        .value_kind:     by_value
      - .offset:         80
        .size:           8
        .value_kind:     by_value
      - .offset:         88
        .size:           8
        .value_kind:     by_value
      - .offset:         96
        .size:           8
        .value_kind:     by_value
      - .address_space:  global
        .offset:         104
        .size:           8
        .value_kind:     global_buffer
      - .offset:         112
        .size:           8
        .value_kind:     by_value
      - .offset:         120
        .size:           8
        .value_kind:     by_value
      - .offset:         128
        .size:           8
        .value_kind:     by_value
      - .offset:         136
        .size:           4
        .value_kind:     by_value
    .group_segment_fixed_size: 256
    .kernarg_segment_align: 8
    .kernarg_segment_size: 140
    .language:       OpenCL C
    .language_version:
      - 2
      - 0
    .max_flat_workgroup_size: 1024
    .name:           _ZL32rocblas_gemvt_warp_reduce_kernelILb1ELi1024ElPK19rocblas_complex_numIfES1_KPS1_EviiT3_lPKT2_lT1_lS9_lSA_lS6_lPT4_lSA_li
    .private_segment_fixed_size: 0
    .sgpr_count:     30
    .sgpr_spill_count: 0
    .symbol:         _ZL32rocblas_gemvt_warp_reduce_kernelILb1ELi1024ElPK19rocblas_complex_numIfES1_KPS1_EviiT3_lPKT2_lT1_lS9_lSA_lS6_lPT4_lSA_li.kd
    .uniform_work_group_size: 1
    .uses_dynamic_stack: false
    .vgpr_count:     15
    .vgpr_spill_count: 0
    .wavefront_size: 32
    .workgroup_processor_mode: 1
  - .args:
      - .offset:         0
        .size:           4
        .value_kind:     by_value
      - .offset:         4
        .size:           4
        .value_kind:     by_value
      - .address_space:  global
        .offset:         8
        .size:           8
        .value_kind:     global_buffer
      - .offset:         16
        .size:           8
        .value_kind:     by_value
      - .address_space:  global
        .offset:         24
        .size:           8
        .value_kind:     global_buffer
      - .offset:         32
        .size:           8
        .value_kind:     by_value
      - .offset:         40
        .size:           4
        .value_kind:     by_value
      - .offset:         48
        .size:           8
        .value_kind:     by_value
      - .address_space:  global
        .offset:         56
        .size:           8
        .value_kind:     global_buffer
      - .offset:         64
        .size:           8
        .value_kind:     by_value
      - .offset:         72
        .size:           4
        .value_kind:     by_value
      - .offset:         80
        .size:           8
        .value_kind:     by_value
      - .address_space:  global
        .offset:         88
        .size:           8
        .value_kind:     global_buffer
      - .offset:         96
        .size:           8
        .value_kind:     by_value
      - .address_space:  global
        .offset:         104
        .size:           8
        .value_kind:     global_buffer
      - .offset:         112
        .size:           8
        .value_kind:     by_value
      - .offset:         120
        .size:           4
        .value_kind:     by_value
      - .offset:         128
        .size:           8
        .value_kind:     by_value
      - .offset:         136
        .size:           4
        .value_kind:     by_value
    .group_segment_fixed_size: 0
    .kernarg_segment_align: 8
    .kernarg_segment_size: 140
    .language:       OpenCL C
    .language_version:
      - 2
      - 0
    .max_flat_workgroup_size: 768
    .name:           _ZL34rocblas_gemvn_sm_mn_batched_kernelILi32ELi24EPK19rocblas_complex_numIdES3_KPS1_EviiT2_lPKT1_lilS9_lilS6_lPT3_lili
    .private_segment_fixed_size: 0
    .sgpr_count:     0
    .sgpr_spill_count: 0
    .symbol:         _ZL34rocblas_gemvn_sm_mn_batched_kernelILi32ELi24EPK19rocblas_complex_numIdES3_KPS1_EviiT2_lPKT1_lilS9_lilS6_lPT3_lili.kd
    .uniform_work_group_size: 1
    .uses_dynamic_stack: false
    .vgpr_count:     0
    .vgpr_spill_count: 0
    .wavefront_size: 32
    .workgroup_processor_mode: 1
  - .args:
      - .offset:         0
        .size:           4
        .value_kind:     by_value
      - .offset:         4
        .size:           4
        .value_kind:     by_value
      - .offset:         8
        .size:           16
        .value_kind:     by_value
      - .offset:         24
        .size:           8
        .value_kind:     by_value
      - .address_space:  global
        .offset:         32
        .size:           8
        .value_kind:     global_buffer
      - .offset:         40
        .size:           8
        .value_kind:     by_value
      - .offset:         48
        .size:           4
        .value_kind:     by_value
      - .offset:         56
        .size:           8
        .value_kind:     by_value
      - .address_space:  global
        .offset:         64
        .size:           8
        .value_kind:     global_buffer
      - .offset:         72
        .size:           8
        .value_kind:     by_value
      - .offset:         80
        .size:           4
        .value_kind:     by_value
      - .offset:         88
        .size:           8
        .value_kind:     by_value
      - .offset:         96
        .size:           16
        .value_kind:     by_value
      - .offset:         112
        .size:           8
        .value_kind:     by_value
      - .address_space:  global
        .offset:         120
        .size:           8
        .value_kind:     global_buffer
      - .offset:         128
        .size:           8
        .value_kind:     by_value
      - .offset:         136
        .size:           4
        .value_kind:     by_value
      - .offset:         144
        .size:           8
        .value_kind:     by_value
      - .offset:         152
        .size:           4
        .value_kind:     by_value
    .group_segment_fixed_size: 0
    .kernarg_segment_align: 8
    .kernarg_segment_size: 156
    .language:       OpenCL C
    .language_version:
      - 2
      - 0
    .max_flat_workgroup_size: 768
    .name:           _ZL34rocblas_gemvn_sm_mn_batched_kernelILi32ELi24EPK19rocblas_complex_numIdES1_KPS1_EviiT2_lPKT1_lilS9_lilS6_lPT3_lili
    .private_segment_fixed_size: 0
    .sgpr_count:     0
    .sgpr_spill_count: 0
    .symbol:         _ZL34rocblas_gemvn_sm_mn_batched_kernelILi32ELi24EPK19rocblas_complex_numIdES1_KPS1_EviiT2_lPKT1_lilS9_lilS6_lPT3_lili.kd
    .uniform_work_group_size: 1
    .uses_dynamic_stack: false
    .vgpr_count:     0
    .vgpr_spill_count: 0
    .wavefront_size: 32
    .workgroup_processor_mode: 1
  - .args:
      - .offset:         0
        .size:           4
        .value_kind:     by_value
      - .offset:         4
        .size:           4
        .value_kind:     by_value
      - .address_space:  global
        .offset:         8
        .size:           8
        .value_kind:     global_buffer
      - .offset:         16
        .size:           8
        .value_kind:     by_value
      - .address_space:  global
        .offset:         24
        .size:           8
        .value_kind:     global_buffer
      - .offset:         32
        .size:           8
        .value_kind:     by_value
      - .offset:         40
        .size:           4
        .value_kind:     by_value
      - .offset:         48
        .size:           8
        .value_kind:     by_value
      - .address_space:  global
        .offset:         56
        .size:           8
        .value_kind:     global_buffer
      - .offset:         64
        .size:           8
        .value_kind:     by_value
      - .offset:         72
        .size:           4
        .value_kind:     by_value
      - .offset:         80
        .size:           8
        .value_kind:     by_value
      - .address_space:  global
        .offset:         88
        .size:           8
        .value_kind:     global_buffer
      - .offset:         96
        .size:           8
        .value_kind:     by_value
      - .address_space:  global
        .offset:         104
        .size:           8
        .value_kind:     global_buffer
      - .offset:         112
        .size:           8
        .value_kind:     by_value
      - .offset:         120
        .size:           4
        .value_kind:     by_value
      - .offset:         128
        .size:           8
        .value_kind:     by_value
      - .offset:         136
        .size:           4
        .value_kind:     by_value
      - .offset:         144
        .size:           4
        .value_kind:     hidden_block_count_x
      - .offset:         148
        .size:           4
        .value_kind:     hidden_block_count_y
      - .offset:         152
        .size:           4
        .value_kind:     hidden_block_count_z
      - .offset:         156
        .size:           2
        .value_kind:     hidden_group_size_x
      - .offset:         158
        .size:           2
        .value_kind:     hidden_group_size_y
      - .offset:         160
        .size:           2
        .value_kind:     hidden_group_size_z
      - .offset:         162
        .size:           2
        .value_kind:     hidden_remainder_x
      - .offset:         164
        .size:           2
        .value_kind:     hidden_remainder_y
      - .offset:         166
        .size:           2
        .value_kind:     hidden_remainder_z
      - .offset:         184
        .size:           8
        .value_kind:     hidden_global_offset_x
      - .offset:         192
        .size:           8
        .value_kind:     hidden_global_offset_y
      - .offset:         200
        .size:           8
        .value_kind:     hidden_global_offset_z
      - .offset:         208
        .size:           2
        .value_kind:     hidden_grid_dims
    .group_segment_fixed_size: 4096
    .kernarg_segment_align: 8
    .kernarg_segment_size: 400
    .language:       OpenCL C
    .language_version:
      - 2
      - 0
    .max_flat_workgroup_size: 256
    .name:           _ZL20rocblas_gemvn_kernelILi64ELi4EiPK19rocblas_complex_numIdES3_KPS1_EviiT3_lPKT2_lT1_lS9_lSA_lS6_lPT4_lSA_li
    .private_segment_fixed_size: 0
    .sgpr_count:     34
    .sgpr_spill_count: 0
    .symbol:         _ZL20rocblas_gemvn_kernelILi64ELi4EiPK19rocblas_complex_numIdES3_KPS1_EviiT3_lPKT2_lT1_lS9_lSA_lS6_lPT4_lSA_li.kd
    .uniform_work_group_size: 1
    .uses_dynamic_stack: false
    .vgpr_count:     21
    .vgpr_spill_count: 0
    .wavefront_size: 32
    .workgroup_processor_mode: 1
  - .args:
      - .offset:         0
        .size:           4
        .value_kind:     by_value
      - .offset:         4
        .size:           4
        .value_kind:     by_value
      - .address_space:  global
        .offset:         8
        .size:           8
        .value_kind:     global_buffer
      - .offset:         16
        .size:           8
        .value_kind:     by_value
      - .address_space:  global
        .offset:         24
        .size:           8
        .value_kind:     global_buffer
      - .offset:         32
        .size:           8
        .value_kind:     by_value
      - .offset:         40
        .size:           8
        .value_kind:     by_value
      - .offset:         48
        .size:           8
        .value_kind:     by_value
      - .address_space:  global
        .offset:         56
        .size:           8
        .value_kind:     global_buffer
      - .offset:         64
        .size:           8
        .value_kind:     by_value
      - .offset:         72
        .size:           8
        .value_kind:     by_value
      - .offset:         80
        .size:           8
        .value_kind:     by_value
      - .address_space:  global
        .offset:         88
        .size:           8
        .value_kind:     global_buffer
      - .offset:         96
        .size:           8
        .value_kind:     by_value
      - .address_space:  global
        .offset:         104
        .size:           8
        .value_kind:     global_buffer
      - .offset:         112
        .size:           8
        .value_kind:     by_value
      - .offset:         120
        .size:           8
        .value_kind:     by_value
      - .offset:         128
        .size:           8
        .value_kind:     by_value
      - .offset:         136
        .size:           4
        .value_kind:     by_value
      - .offset:         144
        .size:           4
        .value_kind:     hidden_block_count_x
      - .offset:         148
        .size:           4
        .value_kind:     hidden_block_count_y
      - .offset:         152
        .size:           4
        .value_kind:     hidden_block_count_z
      - .offset:         156
        .size:           2
        .value_kind:     hidden_group_size_x
      - .offset:         158
        .size:           2
        .value_kind:     hidden_group_size_y
      - .offset:         160
        .size:           2
        .value_kind:     hidden_group_size_z
      - .offset:         162
        .size:           2
        .value_kind:     hidden_remainder_x
      - .offset:         164
        .size:           2
        .value_kind:     hidden_remainder_y
      - .offset:         166
        .size:           2
        .value_kind:     hidden_remainder_z
      - .offset:         184
        .size:           8
        .value_kind:     hidden_global_offset_x
      - .offset:         192
        .size:           8
        .value_kind:     hidden_global_offset_y
      - .offset:         200
        .size:           8
        .value_kind:     hidden_global_offset_z
      - .offset:         208
        .size:           2
        .value_kind:     hidden_grid_dims
    .group_segment_fixed_size: 4096
    .kernarg_segment_align: 8
    .kernarg_segment_size: 400
    .language:       OpenCL C
    .language_version:
      - 2
      - 0
    .max_flat_workgroup_size: 256
    .name:           _ZL20rocblas_gemvn_kernelILi64ELi4ElPK19rocblas_complex_numIdES3_KPS1_EviiT3_lPKT2_lT1_lS9_lSA_lS6_lPT4_lSA_li
    .private_segment_fixed_size: 0
    .sgpr_count:     36
    .sgpr_spill_count: 0
    .symbol:         _ZL20rocblas_gemvn_kernelILi64ELi4ElPK19rocblas_complex_numIdES3_KPS1_EviiT3_lPKT2_lT1_lS9_lSA_lS6_lPT4_lSA_li.kd
    .uniform_work_group_size: 1
    .uses_dynamic_stack: false
    .vgpr_count:     21
    .vgpr_spill_count: 0
    .wavefront_size: 32
    .workgroup_processor_mode: 1
  - .args:
      - .offset:         0
        .size:           4
        .value_kind:     by_value
      - .offset:         4
        .size:           4
        .value_kind:     by_value
      - .offset:         8
        .size:           16
        .value_kind:     by_value
      - .offset:         24
        .size:           8
        .value_kind:     by_value
      - .address_space:  global
        .offset:         32
        .size:           8
        .value_kind:     global_buffer
      - .offset:         40
        .size:           8
        .value_kind:     by_value
      - .offset:         48
        .size:           4
        .value_kind:     by_value
      - .offset:         56
        .size:           8
        .value_kind:     by_value
      - .address_space:  global
        .offset:         64
        .size:           8
        .value_kind:     global_buffer
      - .offset:         72
        .size:           8
        .value_kind:     by_value
      - .offset:         80
        .size:           4
        .value_kind:     by_value
      - .offset:         88
        .size:           8
        .value_kind:     by_value
      - .offset:         96
        .size:           16
        .value_kind:     by_value
      - .offset:         112
        .size:           8
        .value_kind:     by_value
      - .address_space:  global
        .offset:         120
        .size:           8
        .value_kind:     global_buffer
      - .offset:         128
        .size:           8
        .value_kind:     by_value
      - .offset:         136
        .size:           4
        .value_kind:     by_value
      - .offset:         144
        .size:           8
        .value_kind:     by_value
      - .offset:         152
        .size:           4
        .value_kind:     by_value
      - .offset:         160
        .size:           4
        .value_kind:     hidden_block_count_x
      - .offset:         164
        .size:           4
        .value_kind:     hidden_block_count_y
      - .offset:         168
        .size:           4
        .value_kind:     hidden_block_count_z
      - .offset:         172
        .size:           2
        .value_kind:     hidden_group_size_x
      - .offset:         174
        .size:           2
        .value_kind:     hidden_group_size_y
      - .offset:         176
        .size:           2
        .value_kind:     hidden_group_size_z
      - .offset:         178
        .size:           2
        .value_kind:     hidden_remainder_x
      - .offset:         180
        .size:           2
        .value_kind:     hidden_remainder_y
      - .offset:         182
        .size:           2
        .value_kind:     hidden_remainder_z
      - .offset:         200
        .size:           8
        .value_kind:     hidden_global_offset_x
      - .offset:         208
        .size:           8
        .value_kind:     hidden_global_offset_y
      - .offset:         216
        .size:           8
        .value_kind:     hidden_global_offset_z
      - .offset:         224
        .size:           2
        .value_kind:     hidden_grid_dims
    .group_segment_fixed_size: 4096
    .kernarg_segment_align: 8
    .kernarg_segment_size: 416
    .language:       OpenCL C
    .language_version:
      - 2
      - 0
    .max_flat_workgroup_size: 256
    .name:           _ZL20rocblas_gemvn_kernelILi64ELi4EiPK19rocblas_complex_numIdES1_KPS1_EviiT3_lPKT2_lT1_lS9_lSA_lS6_lPT4_lSA_li
    .private_segment_fixed_size: 0
    .sgpr_count:     30
    .sgpr_spill_count: 0
    .symbol:         _ZL20rocblas_gemvn_kernelILi64ELi4EiPK19rocblas_complex_numIdES1_KPS1_EviiT3_lPKT2_lT1_lS9_lSA_lS6_lPT4_lSA_li.kd
    .uniform_work_group_size: 1
    .uses_dynamic_stack: false
    .vgpr_count:     21
    .vgpr_spill_count: 0
    .wavefront_size: 32
    .workgroup_processor_mode: 1
  - .args:
      - .offset:         0
        .size:           4
        .value_kind:     by_value
      - .offset:         4
        .size:           4
        .value_kind:     by_value
      - .offset:         8
        .size:           16
        .value_kind:     by_value
      - .offset:         24
        .size:           8
        .value_kind:     by_value
      - .address_space:  global
        .offset:         32
        .size:           8
        .value_kind:     global_buffer
      - .offset:         40
        .size:           8
        .value_kind:     by_value
      - .offset:         48
        .size:           8
        .value_kind:     by_value
      - .offset:         56
        .size:           8
        .value_kind:     by_value
      - .address_space:  global
        .offset:         64
        .size:           8
        .value_kind:     global_buffer
      - .offset:         72
        .size:           8
        .value_kind:     by_value
      - .offset:         80
        .size:           8
        .value_kind:     by_value
      - .offset:         88
        .size:           8
        .value_kind:     by_value
      - .offset:         96
        .size:           16
        .value_kind:     by_value
      - .offset:         112
        .size:           8
        .value_kind:     by_value
      - .address_space:  global
        .offset:         120
        .size:           8
        .value_kind:     global_buffer
      - .offset:         128
        .size:           8
        .value_kind:     by_value
      - .offset:         136
        .size:           8
        .value_kind:     by_value
      - .offset:         144
        .size:           8
        .value_kind:     by_value
      - .offset:         152
        .size:           4
        .value_kind:     by_value
      - .offset:         160
        .size:           4
        .value_kind:     hidden_block_count_x
      - .offset:         164
        .size:           4
        .value_kind:     hidden_block_count_y
      - .offset:         168
        .size:           4
        .value_kind:     hidden_block_count_z
      - .offset:         172
        .size:           2
        .value_kind:     hidden_group_size_x
      - .offset:         174
        .size:           2
        .value_kind:     hidden_group_size_y
      - .offset:         176
        .size:           2
        .value_kind:     hidden_group_size_z
      - .offset:         178
        .size:           2
        .value_kind:     hidden_remainder_x
      - .offset:         180
        .size:           2
        .value_kind:     hidden_remainder_y
      - .offset:         182
        .size:           2
        .value_kind:     hidden_remainder_z
      - .offset:         200
        .size:           8
        .value_kind:     hidden_global_offset_x
      - .offset:         208
        .size:           8
        .value_kind:     hidden_global_offset_y
      - .offset:         216
        .size:           8
        .value_kind:     hidden_global_offset_z
      - .offset:         224
        .size:           2
        .value_kind:     hidden_grid_dims
    .group_segment_fixed_size: 4096
    .kernarg_segment_align: 8
    .kernarg_segment_size: 416
    .language:       OpenCL C
    .language_version:
      - 2
      - 0
    .max_flat_workgroup_size: 256
    .name:           _ZL20rocblas_gemvn_kernelILi64ELi4ElPK19rocblas_complex_numIdES1_KPS1_EviiT3_lPKT2_lT1_lS9_lSA_lS6_lPT4_lSA_li
    .private_segment_fixed_size: 0
    .sgpr_count:     42
    .sgpr_spill_count: 0
    .symbol:         _ZL20rocblas_gemvn_kernelILi64ELi4ElPK19rocblas_complex_numIdES1_KPS1_EviiT3_lPKT2_lT1_lS9_lSA_lS6_lPT4_lSA_li.kd
    .uniform_work_group_size: 1
    .uses_dynamic_stack: false
    .vgpr_count:     21
    .vgpr_spill_count: 0
    .wavefront_size: 32
    .workgroup_processor_mode: 1
  - .args:
      - .offset:         0
        .size:           4
        .value_kind:     by_value
      - .offset:         4
        .size:           4
        .value_kind:     by_value
      - .address_space:  global
        .offset:         8
        .size:           8
        .value_kind:     global_buffer
      - .offset:         16
        .size:           8
        .value_kind:     by_value
      - .address_space:  global
        .offset:         24
        .size:           8
        .value_kind:     global_buffer
      - .offset:         32
        .size:           8
        .value_kind:     by_value
      - .offset:         40
        .size:           4
        .value_kind:     by_value
      - .offset:         48
        .size:           8
        .value_kind:     by_value
      - .address_space:  global
        .offset:         56
        .size:           8
        .value_kind:     global_buffer
      - .offset:         64
        .size:           8
        .value_kind:     by_value
      - .offset:         72
        .size:           4
        .value_kind:     by_value
      - .offset:         80
        .size:           8
        .value_kind:     by_value
      - .address_space:  global
        .offset:         88
        .size:           8
        .value_kind:     global_buffer
      - .offset:         96
        .size:           8
        .value_kind:     by_value
      - .address_space:  global
        .offset:         104
        .size:           8
        .value_kind:     global_buffer
      - .offset:         112
        .size:           8
        .value_kind:     by_value
      - .offset:         120
        .size:           4
        .value_kind:     by_value
      - .offset:         128
        .size:           8
        .value_kind:     by_value
      - .offset:         136
        .size:           4
        .value_kind:     by_value
      - .offset:         144
        .size:           4
        .value_kind:     hidden_block_count_x
      - .offset:         148
        .size:           4
        .value_kind:     hidden_block_count_y
      - .offset:         152
        .size:           4
        .value_kind:     hidden_block_count_z
      - .offset:         156
        .size:           2
        .value_kind:     hidden_group_size_x
      - .offset:         158
        .size:           2
        .value_kind:     hidden_group_size_y
      - .offset:         160
        .size:           2
        .value_kind:     hidden_group_size_z
      - .offset:         162
        .size:           2
        .value_kind:     hidden_remainder_x
      - .offset:         164
        .size:           2
        .value_kind:     hidden_remainder_y
      - .offset:         166
        .size:           2
        .value_kind:     hidden_remainder_z
      - .offset:         184
        .size:           8
        .value_kind:     hidden_global_offset_x
      - .offset:         192
        .size:           8
        .value_kind:     hidden_global_offset_y
      - .offset:         200
        .size:           8
        .value_kind:     hidden_global_offset_z
      - .offset:         208
        .size:           2
        .value_kind:     hidden_grid_dims
    .group_segment_fixed_size: 8192
    .kernarg_segment_align: 8
    .kernarg_segment_size: 400
    .language:       OpenCL C
    .language_version:
      - 2
      - 0
    .max_flat_workgroup_size: 512
    .name:           _ZL20rocblas_gemvn_kernelILi32ELi16EiPK19rocblas_complex_numIdES3_KPS1_EviiT3_lPKT2_lT1_lS9_lSA_lS6_lPT4_lSA_li
    .private_segment_fixed_size: 0
    .sgpr_count:     34
    .sgpr_spill_count: 0
    .symbol:         _ZL20rocblas_gemvn_kernelILi32ELi16EiPK19rocblas_complex_numIdES3_KPS1_EviiT3_lPKT2_lT1_lS9_lSA_lS6_lPT4_lSA_li.kd
    .uniform_work_group_size: 1
    .uses_dynamic_stack: false
    .vgpr_count:     21
    .vgpr_spill_count: 0
    .wavefront_size: 32
    .workgroup_processor_mode: 1
  - .args:
      - .offset:         0
        .size:           4
        .value_kind:     by_value
      - .offset:         4
        .size:           4
        .value_kind:     by_value
      - .address_space:  global
        .offset:         8
        .size:           8
        .value_kind:     global_buffer
      - .offset:         16
        .size:           8
        .value_kind:     by_value
      - .address_space:  global
        .offset:         24
        .size:           8
        .value_kind:     global_buffer
      - .offset:         32
        .size:           8
        .value_kind:     by_value
      - .offset:         40
        .size:           8
        .value_kind:     by_value
      - .offset:         48
        .size:           8
        .value_kind:     by_value
      - .address_space:  global
        .offset:         56
        .size:           8
        .value_kind:     global_buffer
      - .offset:         64
        .size:           8
        .value_kind:     by_value
      - .offset:         72
        .size:           8
        .value_kind:     by_value
      - .offset:         80
        .size:           8
        .value_kind:     by_value
      - .address_space:  global
        .offset:         88
        .size:           8
        .value_kind:     global_buffer
      - .offset:         96
        .size:           8
        .value_kind:     by_value
      - .address_space:  global
        .offset:         104
        .size:           8
        .value_kind:     global_buffer
      - .offset:         112
        .size:           8
        .value_kind:     by_value
      - .offset:         120
        .size:           8
        .value_kind:     by_value
      - .offset:         128
        .size:           8
        .value_kind:     by_value
      - .offset:         136
        .size:           4
        .value_kind:     by_value
      - .offset:         144
        .size:           4
        .value_kind:     hidden_block_count_x
      - .offset:         148
        .size:           4
        .value_kind:     hidden_block_count_y
      - .offset:         152
        .size:           4
        .value_kind:     hidden_block_count_z
      - .offset:         156
        .size:           2
        .value_kind:     hidden_group_size_x
      - .offset:         158
        .size:           2
        .value_kind:     hidden_group_size_y
      - .offset:         160
        .size:           2
        .value_kind:     hidden_group_size_z
      - .offset:         162
        .size:           2
        .value_kind:     hidden_remainder_x
      - .offset:         164
        .size:           2
        .value_kind:     hidden_remainder_y
      - .offset:         166
        .size:           2
        .value_kind:     hidden_remainder_z
      - .offset:         184
        .size:           8
        .value_kind:     hidden_global_offset_x
      - .offset:         192
        .size:           8
        .value_kind:     hidden_global_offset_y
      - .offset:         200
        .size:           8
        .value_kind:     hidden_global_offset_z
      - .offset:         208
        .size:           2
        .value_kind:     hidden_grid_dims
    .group_segment_fixed_size: 8192
    .kernarg_segment_align: 8
    .kernarg_segment_size: 400
    .language:       OpenCL C
    .language_version:
      - 2
      - 0
    .max_flat_workgroup_size: 512
    .name:           _ZL20rocblas_gemvn_kernelILi32ELi16ElPK19rocblas_complex_numIdES3_KPS1_EviiT3_lPKT2_lT1_lS9_lSA_lS6_lPT4_lSA_li
    .private_segment_fixed_size: 0
    .sgpr_count:     36
    .sgpr_spill_count: 0
    .symbol:         _ZL20rocblas_gemvn_kernelILi32ELi16ElPK19rocblas_complex_numIdES3_KPS1_EviiT3_lPKT2_lT1_lS9_lSA_lS6_lPT4_lSA_li.kd
    .uniform_work_group_size: 1
    .uses_dynamic_stack: false
    .vgpr_count:     21
    .vgpr_spill_count: 0
    .wavefront_size: 32
    .workgroup_processor_mode: 1
  - .args:
      - .offset:         0
        .size:           4
        .value_kind:     by_value
      - .offset:         4
        .size:           4
        .value_kind:     by_value
      - .offset:         8
        .size:           16
        .value_kind:     by_value
      - .offset:         24
        .size:           8
        .value_kind:     by_value
      - .address_space:  global
        .offset:         32
        .size:           8
        .value_kind:     global_buffer
      - .offset:         40
        .size:           8
        .value_kind:     by_value
      - .offset:         48
        .size:           4
        .value_kind:     by_value
      - .offset:         56
        .size:           8
        .value_kind:     by_value
      - .address_space:  global
        .offset:         64
        .size:           8
        .value_kind:     global_buffer
      - .offset:         72
        .size:           8
        .value_kind:     by_value
      - .offset:         80
        .size:           4
        .value_kind:     by_value
      - .offset:         88
        .size:           8
        .value_kind:     by_value
      - .offset:         96
        .size:           16
        .value_kind:     by_value
      - .offset:         112
        .size:           8
        .value_kind:     by_value
      - .address_space:  global
        .offset:         120
        .size:           8
        .value_kind:     global_buffer
      - .offset:         128
        .size:           8
        .value_kind:     by_value
      - .offset:         136
        .size:           4
        .value_kind:     by_value
      - .offset:         144
        .size:           8
        .value_kind:     by_value
      - .offset:         152
        .size:           4
        .value_kind:     by_value
      - .offset:         160
        .size:           4
        .value_kind:     hidden_block_count_x
      - .offset:         164
        .size:           4
        .value_kind:     hidden_block_count_y
      - .offset:         168
        .size:           4
        .value_kind:     hidden_block_count_z
      - .offset:         172
        .size:           2
        .value_kind:     hidden_group_size_x
      - .offset:         174
        .size:           2
        .value_kind:     hidden_group_size_y
      - .offset:         176
        .size:           2
        .value_kind:     hidden_group_size_z
      - .offset:         178
        .size:           2
        .value_kind:     hidden_remainder_x
      - .offset:         180
        .size:           2
        .value_kind:     hidden_remainder_y
      - .offset:         182
        .size:           2
        .value_kind:     hidden_remainder_z
      - .offset:         200
        .size:           8
        .value_kind:     hidden_global_offset_x
      - .offset:         208
        .size:           8
        .value_kind:     hidden_global_offset_y
      - .offset:         216
        .size:           8
        .value_kind:     hidden_global_offset_z
      - .offset:         224
        .size:           2
        .value_kind:     hidden_grid_dims
    .group_segment_fixed_size: 8192
    .kernarg_segment_align: 8
    .kernarg_segment_size: 416
    .language:       OpenCL C
    .language_version:
      - 2
      - 0
    .max_flat_workgroup_size: 512
    .name:           _ZL20rocblas_gemvn_kernelILi32ELi16EiPK19rocblas_complex_numIdES1_KPS1_EviiT3_lPKT2_lT1_lS9_lSA_lS6_lPT4_lSA_li
    .private_segment_fixed_size: 0
    .sgpr_count:     30
    .sgpr_spill_count: 0
    .symbol:         _ZL20rocblas_gemvn_kernelILi32ELi16EiPK19rocblas_complex_numIdES1_KPS1_EviiT3_lPKT2_lT1_lS9_lSA_lS6_lPT4_lSA_li.kd
    .uniform_work_group_size: 1
    .uses_dynamic_stack: false
    .vgpr_count:     21
    .vgpr_spill_count: 0
    .wavefront_size: 32
    .workgroup_processor_mode: 1
  - .args:
      - .offset:         0
        .size:           4
        .value_kind:     by_value
      - .offset:         4
        .size:           4
        .value_kind:     by_value
      - .offset:         8
        .size:           16
        .value_kind:     by_value
      - .offset:         24
        .size:           8
        .value_kind:     by_value
      - .address_space:  global
        .offset:         32
        .size:           8
        .value_kind:     global_buffer
      - .offset:         40
        .size:           8
        .value_kind:     by_value
      - .offset:         48
        .size:           8
        .value_kind:     by_value
      - .offset:         56
        .size:           8
        .value_kind:     by_value
      - .address_space:  global
        .offset:         64
        .size:           8
        .value_kind:     global_buffer
      - .offset:         72
        .size:           8
        .value_kind:     by_value
      - .offset:         80
        .size:           8
        .value_kind:     by_value
      - .offset:         88
        .size:           8
        .value_kind:     by_value
      - .offset:         96
        .size:           16
        .value_kind:     by_value
      - .offset:         112
        .size:           8
        .value_kind:     by_value
      - .address_space:  global
        .offset:         120
        .size:           8
        .value_kind:     global_buffer
      - .offset:         128
        .size:           8
        .value_kind:     by_value
      - .offset:         136
        .size:           8
        .value_kind:     by_value
      - .offset:         144
        .size:           8
        .value_kind:     by_value
      - .offset:         152
        .size:           4
        .value_kind:     by_value
      - .offset:         160
        .size:           4
        .value_kind:     hidden_block_count_x
      - .offset:         164
        .size:           4
        .value_kind:     hidden_block_count_y
      - .offset:         168
        .size:           4
        .value_kind:     hidden_block_count_z
      - .offset:         172
        .size:           2
        .value_kind:     hidden_group_size_x
      - .offset:         174
        .size:           2
        .value_kind:     hidden_group_size_y
      - .offset:         176
        .size:           2
        .value_kind:     hidden_group_size_z
      - .offset:         178
        .size:           2
        .value_kind:     hidden_remainder_x
      - .offset:         180
        .size:           2
        .value_kind:     hidden_remainder_y
      - .offset:         182
        .size:           2
        .value_kind:     hidden_remainder_z
      - .offset:         200
        .size:           8
        .value_kind:     hidden_global_offset_x
      - .offset:         208
        .size:           8
        .value_kind:     hidden_global_offset_y
      - .offset:         216
        .size:           8
        .value_kind:     hidden_global_offset_z
      - .offset:         224
        .size:           2
        .value_kind:     hidden_grid_dims
    .group_segment_fixed_size: 8192
    .kernarg_segment_align: 8
    .kernarg_segment_size: 416
    .language:       OpenCL C
    .language_version:
      - 2
      - 0
    .max_flat_workgroup_size: 512
    .name:           _ZL20rocblas_gemvn_kernelILi32ELi16ElPK19rocblas_complex_numIdES1_KPS1_EviiT3_lPKT2_lT1_lS9_lSA_lS6_lPT4_lSA_li
    .private_segment_fixed_size: 0
    .sgpr_count:     42
    .sgpr_spill_count: 0
    .symbol:         _ZL20rocblas_gemvn_kernelILi32ELi16ElPK19rocblas_complex_numIdES1_KPS1_EviiT3_lPKT2_lT1_lS9_lSA_lS6_lPT4_lSA_li.kd
    .uniform_work_group_size: 1
    .uses_dynamic_stack: false
    .vgpr_count:     21
    .vgpr_spill_count: 0
    .wavefront_size: 32
    .workgroup_processor_mode: 1
  - .args:
      - .offset:         0
        .size:           4
        .value_kind:     by_value
      - .offset:         4
        .size:           4
        .value_kind:     by_value
      - .address_space:  global
        .offset:         8
        .size:           8
        .value_kind:     global_buffer
      - .offset:         16
        .size:           8
        .value_kind:     by_value
      - .address_space:  global
        .offset:         24
        .size:           8
        .value_kind:     global_buffer
      - .offset:         32
        .size:           8
        .value_kind:     by_value
      - .offset:         40
        .size:           4
        .value_kind:     by_value
      - .offset:         48
        .size:           8
        .value_kind:     by_value
      - .address_space:  global
        .offset:         56
        .size:           8
        .value_kind:     global_buffer
      - .offset:         64
        .size:           8
        .value_kind:     by_value
      - .offset:         72
        .size:           4
        .value_kind:     by_value
      - .offset:         80
        .size:           8
        .value_kind:     by_value
      - .address_space:  global
        .offset:         88
        .size:           8
        .value_kind:     global_buffer
      - .offset:         96
        .size:           8
        .value_kind:     by_value
      - .address_space:  global
        .offset:         104
        .size:           8
        .value_kind:     global_buffer
      - .offset:         112
        .size:           8
        .value_kind:     by_value
      - .offset:         120
        .size:           4
        .value_kind:     by_value
      - .offset:         128
        .size:           8
        .value_kind:     by_value
      - .offset:         136
        .size:           4
        .value_kind:     by_value
      - .offset:         144
        .size:           4
        .value_kind:     hidden_block_count_x
      - .offset:         148
        .size:           4
        .value_kind:     hidden_block_count_y
      - .offset:         152
        .size:           4
        .value_kind:     hidden_block_count_z
      - .offset:         156
        .size:           2
        .value_kind:     hidden_group_size_x
      - .offset:         158
        .size:           2
        .value_kind:     hidden_group_size_y
      - .offset:         160
        .size:           2
        .value_kind:     hidden_group_size_z
      - .offset:         162
        .size:           2
        .value_kind:     hidden_remainder_x
      - .offset:         164
        .size:           2
        .value_kind:     hidden_remainder_y
      - .offset:         166
        .size:           2
        .value_kind:     hidden_remainder_z
      - .offset:         184
        .size:           8
        .value_kind:     hidden_global_offset_x
      - .offset:         192
        .size:           8
        .value_kind:     hidden_global_offset_y
      - .offset:         200
        .size:           8
        .value_kind:     hidden_global_offset_z
      - .offset:         208
        .size:           2
        .value_kind:     hidden_grid_dims
    .group_segment_fixed_size: 16384
    .kernarg_segment_align: 8
    .kernarg_segment_size: 400
    .language:       OpenCL C
    .language_version:
      - 2
      - 0
    .max_flat_workgroup_size: 1024
    .name:           _ZL20rocblas_gemvn_kernelILi64ELi16EiPK19rocblas_complex_numIdES3_KPS1_EviiT3_lPKT2_lT1_lS9_lSA_lS6_lPT4_lSA_li
    .private_segment_fixed_size: 0
    .sgpr_count:     34
    .sgpr_spill_count: 0
    .symbol:         _ZL20rocblas_gemvn_kernelILi64ELi16EiPK19rocblas_complex_numIdES3_KPS1_EviiT3_lPKT2_lT1_lS9_lSA_lS6_lPT4_lSA_li.kd
    .uniform_work_group_size: 1
    .uses_dynamic_stack: false
    .vgpr_count:     21
    .vgpr_spill_count: 0
    .wavefront_size: 32
    .workgroup_processor_mode: 1
  - .args:
      - .offset:         0
        .size:           4
        .value_kind:     by_value
      - .offset:         4
        .size:           4
        .value_kind:     by_value
      - .address_space:  global
        .offset:         8
        .size:           8
        .value_kind:     global_buffer
      - .offset:         16
        .size:           8
        .value_kind:     by_value
      - .address_space:  global
        .offset:         24
        .size:           8
        .value_kind:     global_buffer
      - .offset:         32
        .size:           8
        .value_kind:     by_value
      - .offset:         40
        .size:           8
        .value_kind:     by_value
      - .offset:         48
        .size:           8
        .value_kind:     by_value
      - .address_space:  global
        .offset:         56
        .size:           8
        .value_kind:     global_buffer
      - .offset:         64
        .size:           8
        .value_kind:     by_value
      - .offset:         72
        .size:           8
        .value_kind:     by_value
      - .offset:         80
        .size:           8
        .value_kind:     by_value
      - .address_space:  global
        .offset:         88
        .size:           8
        .value_kind:     global_buffer
      - .offset:         96
        .size:           8
        .value_kind:     by_value
      - .address_space:  global
        .offset:         104
        .size:           8
        .value_kind:     global_buffer
      - .offset:         112
        .size:           8
        .value_kind:     by_value
      - .offset:         120
        .size:           8
        .value_kind:     by_value
      - .offset:         128
        .size:           8
        .value_kind:     by_value
      - .offset:         136
        .size:           4
        .value_kind:     by_value
      - .offset:         144
        .size:           4
        .value_kind:     hidden_block_count_x
      - .offset:         148
        .size:           4
        .value_kind:     hidden_block_count_y
      - .offset:         152
        .size:           4
        .value_kind:     hidden_block_count_z
      - .offset:         156
        .size:           2
        .value_kind:     hidden_group_size_x
      - .offset:         158
        .size:           2
        .value_kind:     hidden_group_size_y
      - .offset:         160
        .size:           2
        .value_kind:     hidden_group_size_z
      - .offset:         162
        .size:           2
        .value_kind:     hidden_remainder_x
      - .offset:         164
        .size:           2
        .value_kind:     hidden_remainder_y
      - .offset:         166
        .size:           2
        .value_kind:     hidden_remainder_z
      - .offset:         184
        .size:           8
        .value_kind:     hidden_global_offset_x
      - .offset:         192
        .size:           8
        .value_kind:     hidden_global_offset_y
      - .offset:         200
        .size:           8
        .value_kind:     hidden_global_offset_z
      - .offset:         208
        .size:           2
        .value_kind:     hidden_grid_dims
    .group_segment_fixed_size: 16384
    .kernarg_segment_align: 8
    .kernarg_segment_size: 400
    .language:       OpenCL C
    .language_version:
      - 2
      - 0
    .max_flat_workgroup_size: 1024
    .name:           _ZL20rocblas_gemvn_kernelILi64ELi16ElPK19rocblas_complex_numIdES3_KPS1_EviiT3_lPKT2_lT1_lS9_lSA_lS6_lPT4_lSA_li
    .private_segment_fixed_size: 0
    .sgpr_count:     36
    .sgpr_spill_count: 0
    .symbol:         _ZL20rocblas_gemvn_kernelILi64ELi16ElPK19rocblas_complex_numIdES3_KPS1_EviiT3_lPKT2_lT1_lS9_lSA_lS6_lPT4_lSA_li.kd
    .uniform_work_group_size: 1
    .uses_dynamic_stack: false
    .vgpr_count:     21
    .vgpr_spill_count: 0
    .wavefront_size: 32
    .workgroup_processor_mode: 1
  - .args:
      - .offset:         0
        .size:           4
        .value_kind:     by_value
      - .offset:         4
        .size:           4
        .value_kind:     by_value
      - .offset:         8
        .size:           16
        .value_kind:     by_value
      - .offset:         24
        .size:           8
        .value_kind:     by_value
      - .address_space:  global
        .offset:         32
        .size:           8
        .value_kind:     global_buffer
      - .offset:         40
        .size:           8
        .value_kind:     by_value
      - .offset:         48
        .size:           4
        .value_kind:     by_value
      - .offset:         56
        .size:           8
        .value_kind:     by_value
      - .address_space:  global
        .offset:         64
        .size:           8
        .value_kind:     global_buffer
      - .offset:         72
        .size:           8
        .value_kind:     by_value
      - .offset:         80
        .size:           4
        .value_kind:     by_value
      - .offset:         88
        .size:           8
        .value_kind:     by_value
      - .offset:         96
        .size:           16
        .value_kind:     by_value
      - .offset:         112
        .size:           8
        .value_kind:     by_value
      - .address_space:  global
        .offset:         120
        .size:           8
        .value_kind:     global_buffer
      - .offset:         128
        .size:           8
        .value_kind:     by_value
      - .offset:         136
        .size:           4
        .value_kind:     by_value
      - .offset:         144
        .size:           8
        .value_kind:     by_value
      - .offset:         152
        .size:           4
        .value_kind:     by_value
      - .offset:         160
        .size:           4
        .value_kind:     hidden_block_count_x
      - .offset:         164
        .size:           4
        .value_kind:     hidden_block_count_y
      - .offset:         168
        .size:           4
        .value_kind:     hidden_block_count_z
      - .offset:         172
        .size:           2
        .value_kind:     hidden_group_size_x
      - .offset:         174
        .size:           2
        .value_kind:     hidden_group_size_y
      - .offset:         176
        .size:           2
        .value_kind:     hidden_group_size_z
      - .offset:         178
        .size:           2
        .value_kind:     hidden_remainder_x
      - .offset:         180
        .size:           2
        .value_kind:     hidden_remainder_y
      - .offset:         182
        .size:           2
        .value_kind:     hidden_remainder_z
      - .offset:         200
        .size:           8
        .value_kind:     hidden_global_offset_x
      - .offset:         208
        .size:           8
        .value_kind:     hidden_global_offset_y
      - .offset:         216
        .size:           8
        .value_kind:     hidden_global_offset_z
      - .offset:         224
        .size:           2
        .value_kind:     hidden_grid_dims
    .group_segment_fixed_size: 16384
    .kernarg_segment_align: 8
    .kernarg_segment_size: 416
    .language:       OpenCL C
    .language_version:
      - 2
      - 0
    .max_flat_workgroup_size: 1024
    .name:           _ZL20rocblas_gemvn_kernelILi64ELi16EiPK19rocblas_complex_numIdES1_KPS1_EviiT3_lPKT2_lT1_lS9_lSA_lS6_lPT4_lSA_li
    .private_segment_fixed_size: 0
    .sgpr_count:     30
    .sgpr_spill_count: 0
    .symbol:         _ZL20rocblas_gemvn_kernelILi64ELi16EiPK19rocblas_complex_numIdES1_KPS1_EviiT3_lPKT2_lT1_lS9_lSA_lS6_lPT4_lSA_li.kd
    .uniform_work_group_size: 1
    .uses_dynamic_stack: false
    .vgpr_count:     21
    .vgpr_spill_count: 0
    .wavefront_size: 32
    .workgroup_processor_mode: 1
  - .args:
      - .offset:         0
        .size:           4
        .value_kind:     by_value
      - .offset:         4
        .size:           4
        .value_kind:     by_value
      - .offset:         8
        .size:           16
        .value_kind:     by_value
      - .offset:         24
        .size:           8
        .value_kind:     by_value
      - .address_space:  global
        .offset:         32
        .size:           8
        .value_kind:     global_buffer
      - .offset:         40
        .size:           8
        .value_kind:     by_value
      - .offset:         48
        .size:           8
        .value_kind:     by_value
      - .offset:         56
        .size:           8
        .value_kind:     by_value
      - .address_space:  global
        .offset:         64
        .size:           8
        .value_kind:     global_buffer
      - .offset:         72
        .size:           8
        .value_kind:     by_value
      - .offset:         80
        .size:           8
        .value_kind:     by_value
      - .offset:         88
        .size:           8
        .value_kind:     by_value
      - .offset:         96
        .size:           16
        .value_kind:     by_value
      - .offset:         112
        .size:           8
        .value_kind:     by_value
      - .address_space:  global
        .offset:         120
        .size:           8
        .value_kind:     global_buffer
      - .offset:         128
        .size:           8
        .value_kind:     by_value
      - .offset:         136
        .size:           8
        .value_kind:     by_value
      - .offset:         144
        .size:           8
        .value_kind:     by_value
      - .offset:         152
        .size:           4
        .value_kind:     by_value
      - .offset:         160
        .size:           4
        .value_kind:     hidden_block_count_x
      - .offset:         164
        .size:           4
        .value_kind:     hidden_block_count_y
      - .offset:         168
        .size:           4
        .value_kind:     hidden_block_count_z
      - .offset:         172
        .size:           2
        .value_kind:     hidden_group_size_x
      - .offset:         174
        .size:           2
        .value_kind:     hidden_group_size_y
      - .offset:         176
        .size:           2
        .value_kind:     hidden_group_size_z
      - .offset:         178
        .size:           2
        .value_kind:     hidden_remainder_x
      - .offset:         180
        .size:           2
        .value_kind:     hidden_remainder_y
      - .offset:         182
        .size:           2
        .value_kind:     hidden_remainder_z
      - .offset:         200
        .size:           8
        .value_kind:     hidden_global_offset_x
      - .offset:         208
        .size:           8
        .value_kind:     hidden_global_offset_y
      - .offset:         216
        .size:           8
        .value_kind:     hidden_global_offset_z
      - .offset:         224
        .size:           2
        .value_kind:     hidden_grid_dims
    .group_segment_fixed_size: 16384
    .kernarg_segment_align: 8
    .kernarg_segment_size: 416
    .language:       OpenCL C
    .language_version:
      - 2
      - 0
    .max_flat_workgroup_size: 1024
    .name:           _ZL20rocblas_gemvn_kernelILi64ELi16ElPK19rocblas_complex_numIdES1_KPS1_EviiT3_lPKT2_lT1_lS9_lSA_lS6_lPT4_lSA_li
    .private_segment_fixed_size: 0
    .sgpr_count:     42
    .sgpr_spill_count: 0
    .symbol:         _ZL20rocblas_gemvn_kernelILi64ELi16ElPK19rocblas_complex_numIdES1_KPS1_EviiT3_lPKT2_lT1_lS9_lSA_lS6_lPT4_lSA_li.kd
    .uniform_work_group_size: 1
    .uses_dynamic_stack: false
    .vgpr_count:     21
    .vgpr_spill_count: 0
    .wavefront_size: 32
    .workgroup_processor_mode: 1
  - .args:
      - .offset:         0
        .size:           4
        .value_kind:     by_value
      - .offset:         4
        .size:           4
        .value_kind:     by_value
      - .address_space:  global
        .offset:         8
        .size:           8
        .value_kind:     global_buffer
      - .offset:         16
        .size:           8
        .value_kind:     by_value
      - .address_space:  global
        .offset:         24
        .size:           8
        .value_kind:     global_buffer
      - .offset:         32
        .size:           8
        .value_kind:     by_value
      - .offset:         40
        .size:           4
        .value_kind:     by_value
      - .offset:         48
        .size:           8
        .value_kind:     by_value
      - .address_space:  global
        .offset:         56
        .size:           8
        .value_kind:     global_buffer
      - .offset:         64
        .size:           8
        .value_kind:     by_value
      - .offset:         72
        .size:           4
        .value_kind:     by_value
      - .offset:         80
        .size:           8
        .value_kind:     by_value
      - .address_space:  global
        .offset:         88
        .size:           8
        .value_kind:     global_buffer
      - .offset:         96
        .size:           8
        .value_kind:     by_value
      - .address_space:  global
        .offset:         104
        .size:           8
        .value_kind:     global_buffer
      - .offset:         112
        .size:           8
        .value_kind:     by_value
      - .offset:         120
        .size:           4
        .value_kind:     by_value
      - .offset:         128
        .size:           8
        .value_kind:     by_value
    .group_segment_fixed_size: 1024
    .kernarg_segment_align: 8
    .kernarg_segment_size: 136
    .language:       OpenCL C
    .language_version:
      - 2
      - 0
    .max_flat_workgroup_size: 256
    .name:           _ZL22rocblas_gemvtsm_kernelILb0ELi256EPK19rocblas_complex_numIdES3_KPS1_EviiT2_lPKT1_lilS9_lilS6_lPT3_lil
    .private_segment_fixed_size: 0
    .sgpr_count:     28
    .sgpr_spill_count: 0
    .symbol:         _ZL22rocblas_gemvtsm_kernelILb0ELi256EPK19rocblas_complex_numIdES3_KPS1_EviiT2_lPKT1_lilS9_lilS6_lPT3_lil.kd
    .uniform_work_group_size: 1
    .uses_dynamic_stack: false
    .vgpr_count:     60
    .vgpr_spill_count: 0
    .wavefront_size: 32
    .workgroup_processor_mode: 1
  - .args:
      - .offset:         0
        .size:           4
        .value_kind:     by_value
      - .offset:         4
        .size:           4
        .value_kind:     by_value
      - .offset:         8
        .size:           16
        .value_kind:     by_value
      - .offset:         24
        .size:           8
        .value_kind:     by_value
      - .address_space:  global
        .offset:         32
        .size:           8
        .value_kind:     global_buffer
      - .offset:         40
        .size:           8
        .value_kind:     by_value
      - .offset:         48
        .size:           4
        .value_kind:     by_value
      - .offset:         56
        .size:           8
        .value_kind:     by_value
      - .address_space:  global
        .offset:         64
        .size:           8
        .value_kind:     global_buffer
      - .offset:         72
        .size:           8
        .value_kind:     by_value
      - .offset:         80
        .size:           4
        .value_kind:     by_value
      - .offset:         88
        .size:           8
        .value_kind:     by_value
      - .offset:         96
        .size:           16
        .value_kind:     by_value
      - .offset:         112
        .size:           8
        .value_kind:     by_value
      - .address_space:  global
        .offset:         120
        .size:           8
        .value_kind:     global_buffer
      - .offset:         128
        .size:           8
        .value_kind:     by_value
      - .offset:         136
        .size:           4
        .value_kind:     by_value
      - .offset:         144
        .size:           8
        .value_kind:     by_value
    .group_segment_fixed_size: 1024
    .kernarg_segment_align: 8
    .kernarg_segment_size: 152
    .language:       OpenCL C
    .language_version:
      - 2
      - 0
    .max_flat_workgroup_size: 256
    .name:           _ZL22rocblas_gemvtsm_kernelILb0ELi256EPK19rocblas_complex_numIdES1_KPS1_EviiT2_lPKT1_lilS9_lilS6_lPT3_lil
    .private_segment_fixed_size: 0
    .sgpr_count:     28
    .sgpr_spill_count: 0
    .symbol:         _ZL22rocblas_gemvtsm_kernelILb0ELi256EPK19rocblas_complex_numIdES1_KPS1_EviiT2_lPKT1_lilS9_lilS6_lPT3_lil.kd
    .uniform_work_group_size: 1
    .uses_dynamic_stack: false
    .vgpr_count:     60
    .vgpr_spill_count: 0
    .wavefront_size: 32
    .workgroup_processor_mode: 1
  - .args:
      - .offset:         0
        .size:           4
        .value_kind:     by_value
      - .offset:         4
        .size:           4
        .value_kind:     by_value
      - .address_space:  global
        .offset:         8
        .size:           8
        .value_kind:     global_buffer
      - .offset:         16
        .size:           8
        .value_kind:     by_value
      - .address_space:  global
        .offset:         24
        .size:           8
        .value_kind:     global_buffer
      - .offset:         32
        .size:           8
        .value_kind:     by_value
      - .offset:         40
        .size:           4
        .value_kind:     by_value
      - .offset:         48
        .size:           8
        .value_kind:     by_value
      - .address_space:  global
        .offset:         56
        .size:           8
        .value_kind:     global_buffer
      - .offset:         64
        .size:           8
        .value_kind:     by_value
      - .offset:         72
        .size:           4
        .value_kind:     by_value
      - .offset:         80
        .size:           8
        .value_kind:     by_value
      - .address_space:  global
        .offset:         88
        .size:           8
        .value_kind:     global_buffer
      - .offset:         96
        .size:           4
        .value_kind:     by_value
      - .offset:         104
        .size:           4
        .value_kind:     hidden_block_count_x
      - .offset:         108
        .size:           4
        .value_kind:     hidden_block_count_y
      - .offset:         112
        .size:           4
        .value_kind:     hidden_block_count_z
      - .offset:         116
        .size:           2
        .value_kind:     hidden_group_size_x
      - .offset:         118
        .size:           2
        .value_kind:     hidden_group_size_y
      - .offset:         120
        .size:           2
        .value_kind:     hidden_group_size_z
      - .offset:         122
        .size:           2
        .value_kind:     hidden_remainder_x
      - .offset:         124
        .size:           2
        .value_kind:     hidden_remainder_y
      - .offset:         126
        .size:           2
        .value_kind:     hidden_remainder_z
      - .offset:         144
        .size:           8
        .value_kind:     hidden_global_offset_x
      - .offset:         152
        .size:           8
        .value_kind:     hidden_global_offset_y
      - .offset:         160
        .size:           8
        .value_kind:     hidden_global_offset_z
      - .offset:         168
        .size:           2
        .value_kind:     hidden_grid_dims
    .group_segment_fixed_size: 512
    .kernarg_segment_align: 8
    .kernarg_segment_size: 360
    .language:       OpenCL C
    .language_version:
      - 2
      - 0
    .max_flat_workgroup_size: 256
    .name:           _ZL23rocblas_gemvt_sn_kernelILb0ELi256ELi4EiPK19rocblas_complex_numIdES3_S1_EviiT4_lPKT3_lilS7_lilPT5_i
    .private_segment_fixed_size: 80
    .sgpr_count:     54
    .sgpr_spill_count: 0
    .symbol:         _ZL23rocblas_gemvt_sn_kernelILb0ELi256ELi4EiPK19rocblas_complex_numIdES3_S1_EviiT4_lPKT3_lilS7_lilPT5_i.kd
    .uniform_work_group_size: 1
    .uses_dynamic_stack: false
    .vgpr_count:     76
    .vgpr_spill_count: 0
    .wavefront_size: 32
    .workgroup_processor_mode: 1
  - .args:
      - .offset:         0
        .size:           4
        .value_kind:     by_value
      - .offset:         4
        .size:           4
        .value_kind:     by_value
      - .address_space:  global
        .offset:         8
        .size:           8
        .value_kind:     global_buffer
      - .offset:         16
        .size:           8
        .value_kind:     by_value
      - .address_space:  global
        .offset:         24
        .size:           8
        .value_kind:     global_buffer
      - .offset:         32
        .size:           8
        .value_kind:     by_value
      - .offset:         40
        .size:           4
        .value_kind:     by_value
      - .offset:         48
        .size:           8
        .value_kind:     by_value
      - .address_space:  global
        .offset:         56
        .size:           8
        .value_kind:     global_buffer
      - .offset:         64
        .size:           8
        .value_kind:     by_value
      - .offset:         72
        .size:           4
        .value_kind:     by_value
      - .offset:         80
        .size:           8
        .value_kind:     by_value
      - .address_space:  global
        .offset:         88
        .size:           8
        .value_kind:     global_buffer
      - .offset:         96
        .size:           4
        .value_kind:     by_value
      - .offset:         104
        .size:           4
        .value_kind:     hidden_block_count_x
      - .offset:         108
        .size:           4
        .value_kind:     hidden_block_count_y
      - .offset:         112
        .size:           4
        .value_kind:     hidden_block_count_z
      - .offset:         116
        .size:           2
        .value_kind:     hidden_group_size_x
      - .offset:         118
        .size:           2
        .value_kind:     hidden_group_size_y
      - .offset:         120
        .size:           2
        .value_kind:     hidden_group_size_z
      - .offset:         122
        .size:           2
        .value_kind:     hidden_remainder_x
      - .offset:         124
        .size:           2
        .value_kind:     hidden_remainder_y
      - .offset:         126
        .size:           2
        .value_kind:     hidden_remainder_z
      - .offset:         144
        .size:           8
        .value_kind:     hidden_global_offset_x
      - .offset:         152
        .size:           8
        .value_kind:     hidden_global_offset_y
      - .offset:         160
        .size:           8
        .value_kind:     hidden_global_offset_z
      - .offset:         168
        .size:           2
        .value_kind:     hidden_grid_dims
    .group_segment_fixed_size: 512
    .kernarg_segment_align: 8
    .kernarg_segment_size: 360
    .language:       OpenCL C
    .language_version:
      - 2
      - 0
    .max_flat_workgroup_size: 256
    .name:           _ZL23rocblas_gemvt_sn_kernelILb0ELi256ELi4ElPK19rocblas_complex_numIdES3_S1_EviiT4_lPKT3_lilS7_lilPT5_i
    .private_segment_fixed_size: 80
    .sgpr_count:     52
    .sgpr_spill_count: 0
    .symbol:         _ZL23rocblas_gemvt_sn_kernelILb0ELi256ELi4ElPK19rocblas_complex_numIdES3_S1_EviiT4_lPKT3_lilS7_lilPT5_i.kd
    .uniform_work_group_size: 1
    .uses_dynamic_stack: false
    .vgpr_count:     74
    .vgpr_spill_count: 0
    .wavefront_size: 32
    .workgroup_processor_mode: 1
  - .args:
      - .offset:         0
        .size:           4
        .value_kind:     by_value
      - .address_space:  global
        .offset:         8
        .size:           8
        .value_kind:     global_buffer
      - .offset:         16
        .size:           8
        .value_kind:     by_value
      - .address_space:  global
        .offset:         24
        .size:           8
        .value_kind:     global_buffer
      - .offset:         32
        .size:           8
        .value_kind:     by_value
      - .offset:         40
        .size:           4
        .value_kind:     by_value
      - .offset:         48
        .size:           8
        .value_kind:     by_value
      - .actual_access:  read_only
        .address_space:  global
        .offset:         56
        .size:           8
        .value_kind:     global_buffer
      - .offset:         64
        .size:           4
        .value_kind:     by_value
      - .offset:         72
        .size:           4
        .value_kind:     hidden_block_count_x
      - .offset:         76
        .size:           4
        .value_kind:     hidden_block_count_y
      - .offset:         80
        .size:           4
        .value_kind:     hidden_block_count_z
      - .offset:         84
        .size:           2
        .value_kind:     hidden_group_size_x
      - .offset:         86
        .size:           2
        .value_kind:     hidden_group_size_y
      - .offset:         88
        .size:           2
        .value_kind:     hidden_group_size_z
      - .offset:         90
        .size:           2
        .value_kind:     hidden_remainder_x
      - .offset:         92
        .size:           2
        .value_kind:     hidden_remainder_y
      - .offset:         94
        .size:           2
        .value_kind:     hidden_remainder_z
      - .offset:         112
        .size:           8
        .value_kind:     hidden_global_offset_x
      - .offset:         120
        .size:           8
        .value_kind:     hidden_global_offset_y
      - .offset:         128
        .size:           8
        .value_kind:     hidden_global_offset_z
      - .offset:         136
        .size:           2
        .value_kind:     hidden_grid_dims
    .group_segment_fixed_size: 512
    .kernarg_segment_align: 8
    .kernarg_segment_size: 328
    .language:       OpenCL C
    .language_version:
      - 2
      - 0
    .max_flat_workgroup_size: 256
    .name:           _ZL23rocblas_gemvt_sn_reduceILi256ELi8E19rocblas_complex_numIdEPKS1_KPS1_EviT2_lPT3_lilPT1_i
    .private_segment_fixed_size: 0
    .sgpr_count:     26
    .sgpr_spill_count: 0
    .symbol:         _ZL23rocblas_gemvt_sn_reduceILi256ELi8E19rocblas_complex_numIdEPKS1_KPS1_EviT2_lPT3_lilPT1_i.kd
    .uniform_work_group_size: 1
    .uses_dynamic_stack: false
    .vgpr_count:     40
    .vgpr_spill_count: 0
    .wavefront_size: 32
    .workgroup_processor_mode: 1
  - .args:
      - .offset:         0
        .size:           4
        .value_kind:     by_value
      - .offset:         4
        .size:           4
        .value_kind:     by_value
      - .offset:         8
        .size:           16
        .value_kind:     by_value
      - .offset:         24
        .size:           8
        .value_kind:     by_value
      - .address_space:  global
        .offset:         32
        .size:           8
        .value_kind:     global_buffer
      - .offset:         40
        .size:           8
        .value_kind:     by_value
      - .offset:         48
        .size:           4
        .value_kind:     by_value
      - .offset:         56
        .size:           8
        .value_kind:     by_value
      - .address_space:  global
        .offset:         64
        .size:           8
        .value_kind:     global_buffer
      - .offset:         72
        .size:           8
        .value_kind:     by_value
      - .offset:         80
        .size:           4
        .value_kind:     by_value
      - .offset:         88
        .size:           8
        .value_kind:     by_value
      - .address_space:  global
        .offset:         96
        .size:           8
        .value_kind:     global_buffer
      - .offset:         104
        .size:           4
        .value_kind:     by_value
      - .offset:         112
        .size:           4
        .value_kind:     hidden_block_count_x
      - .offset:         116
        .size:           4
        .value_kind:     hidden_block_count_y
      - .offset:         120
        .size:           4
        .value_kind:     hidden_block_count_z
      - .offset:         124
        .size:           2
        .value_kind:     hidden_group_size_x
      - .offset:         126
        .size:           2
        .value_kind:     hidden_group_size_y
      - .offset:         128
        .size:           2
        .value_kind:     hidden_group_size_z
      - .offset:         130
        .size:           2
        .value_kind:     hidden_remainder_x
      - .offset:         132
        .size:           2
        .value_kind:     hidden_remainder_y
      - .offset:         134
        .size:           2
        .value_kind:     hidden_remainder_z
      - .offset:         152
        .size:           8
        .value_kind:     hidden_global_offset_x
      - .offset:         160
        .size:           8
        .value_kind:     hidden_global_offset_y
      - .offset:         168
        .size:           8
        .value_kind:     hidden_global_offset_z
      - .offset:         176
        .size:           2
        .value_kind:     hidden_grid_dims
    .group_segment_fixed_size: 512
    .kernarg_segment_align: 8
    .kernarg_segment_size: 368
    .language:       OpenCL C
    .language_version:
      - 2
      - 0
    .max_flat_workgroup_size: 256
    .name:           _ZL23rocblas_gemvt_sn_kernelILb0ELi256ELi4EiPK19rocblas_complex_numIdES1_S1_EviiT4_lPKT3_lilS7_lilPT5_i
    .private_segment_fixed_size: 80
    .sgpr_count:     54
    .sgpr_spill_count: 0
    .symbol:         _ZL23rocblas_gemvt_sn_kernelILb0ELi256ELi4EiPK19rocblas_complex_numIdES1_S1_EviiT4_lPKT3_lilS7_lilPT5_i.kd
    .uniform_work_group_size: 1
    .uses_dynamic_stack: false
    .vgpr_count:     76
    .vgpr_spill_count: 0
    .wavefront_size: 32
    .workgroup_processor_mode: 1
  - .args:
      - .offset:         0
        .size:           4
        .value_kind:     by_value
      - .offset:         4
        .size:           4
        .value_kind:     by_value
      - .offset:         8
        .size:           16
        .value_kind:     by_value
      - .offset:         24
        .size:           8
        .value_kind:     by_value
      - .address_space:  global
        .offset:         32
        .size:           8
        .value_kind:     global_buffer
      - .offset:         40
        .size:           8
        .value_kind:     by_value
      - .offset:         48
        .size:           4
        .value_kind:     by_value
      - .offset:         56
        .size:           8
        .value_kind:     by_value
      - .address_space:  global
        .offset:         64
        .size:           8
        .value_kind:     global_buffer
      - .offset:         72
        .size:           8
        .value_kind:     by_value
      - .offset:         80
        .size:           4
        .value_kind:     by_value
      - .offset:         88
        .size:           8
        .value_kind:     by_value
      - .address_space:  global
        .offset:         96
        .size:           8
        .value_kind:     global_buffer
      - .offset:         104
        .size:           4
        .value_kind:     by_value
      - .offset:         112
        .size:           4
        .value_kind:     hidden_block_count_x
      - .offset:         116
        .size:           4
        .value_kind:     hidden_block_count_y
      - .offset:         120
        .size:           4
        .value_kind:     hidden_block_count_z
      - .offset:         124
        .size:           2
        .value_kind:     hidden_group_size_x
      - .offset:         126
        .size:           2
        .value_kind:     hidden_group_size_y
      - .offset:         128
        .size:           2
        .value_kind:     hidden_group_size_z
      - .offset:         130
        .size:           2
        .value_kind:     hidden_remainder_x
      - .offset:         132
        .size:           2
        .value_kind:     hidden_remainder_y
      - .offset:         134
        .size:           2
        .value_kind:     hidden_remainder_z
      - .offset:         152
        .size:           8
        .value_kind:     hidden_global_offset_x
      - .offset:         160
        .size:           8
        .value_kind:     hidden_global_offset_y
      - .offset:         168
        .size:           8
        .value_kind:     hidden_global_offset_z
      - .offset:         176
        .size:           2
        .value_kind:     hidden_grid_dims
    .group_segment_fixed_size: 512
    .kernarg_segment_align: 8
    .kernarg_segment_size: 368
    .language:       OpenCL C
    .language_version:
      - 2
      - 0
    .max_flat_workgroup_size: 256
    .name:           _ZL23rocblas_gemvt_sn_kernelILb0ELi256ELi4ElPK19rocblas_complex_numIdES1_S1_EviiT4_lPKT3_lilS7_lilPT5_i
    .private_segment_fixed_size: 80
    .sgpr_count:     52
    .sgpr_spill_count: 0
    .symbol:         _ZL23rocblas_gemvt_sn_kernelILb0ELi256ELi4ElPK19rocblas_complex_numIdES1_S1_EviiT4_lPKT3_lilS7_lilPT5_i.kd
    .uniform_work_group_size: 1
    .uses_dynamic_stack: false
    .vgpr_count:     74
    .vgpr_spill_count: 0
    .wavefront_size: 32
    .workgroup_processor_mode: 1
  - .args:
      - .offset:         0
        .size:           4
        .value_kind:     by_value
      - .offset:         8
        .size:           16
        .value_kind:     by_value
      - .offset:         24
        .size:           8
        .value_kind:     by_value
      - .address_space:  global
        .offset:         32
        .size:           8
        .value_kind:     global_buffer
      - .offset:         40
        .size:           8
        .value_kind:     by_value
      - .offset:         48
        .size:           4
        .value_kind:     by_value
      - .offset:         56
        .size:           8
        .value_kind:     by_value
      - .actual_access:  read_only
        .address_space:  global
        .offset:         64
        .size:           8
        .value_kind:     global_buffer
      - .offset:         72
        .size:           4
        .value_kind:     by_value
      - .offset:         80
        .size:           4
        .value_kind:     hidden_block_count_x
      - .offset:         84
        .size:           4
        .value_kind:     hidden_block_count_y
      - .offset:         88
        .size:           4
        .value_kind:     hidden_block_count_z
      - .offset:         92
        .size:           2
        .value_kind:     hidden_group_size_x
      - .offset:         94
        .size:           2
        .value_kind:     hidden_group_size_y
      - .offset:         96
        .size:           2
        .value_kind:     hidden_group_size_z
      - .offset:         98
        .size:           2
        .value_kind:     hidden_remainder_x
      - .offset:         100
        .size:           2
        .value_kind:     hidden_remainder_y
      - .offset:         102
        .size:           2
        .value_kind:     hidden_remainder_z
      - .offset:         120
        .size:           8
        .value_kind:     hidden_global_offset_x
      - .offset:         128
        .size:           8
        .value_kind:     hidden_global_offset_y
      - .offset:         136
        .size:           8
        .value_kind:     hidden_global_offset_z
      - .offset:         144
        .size:           2
        .value_kind:     hidden_grid_dims
    .group_segment_fixed_size: 512
    .kernarg_segment_align: 8
    .kernarg_segment_size: 336
    .language:       OpenCL C
    .language_version:
      - 2
      - 0
    .max_flat_workgroup_size: 256
    .name:           _ZL23rocblas_gemvt_sn_reduceILi256ELi8E19rocblas_complex_numIdES1_KPS1_EviT2_lPT3_lilPT1_i
    .private_segment_fixed_size: 0
    .sgpr_count:     21
    .sgpr_spill_count: 0
    .symbol:         _ZL23rocblas_gemvt_sn_reduceILi256ELi8E19rocblas_complex_numIdES1_KPS1_EviT2_lPT3_lilPT1_i.kd
    .uniform_work_group_size: 1
    .uses_dynamic_stack: false
    .vgpr_count:     40
    .vgpr_spill_count: 0
    .wavefront_size: 32
    .workgroup_processor_mode: 1
  - .args:
      - .offset:         0
        .size:           4
        .value_kind:     by_value
      - .offset:         4
        .size:           4
        .value_kind:     by_value
      - .address_space:  global
        .offset:         8
        .size:           8
        .value_kind:     global_buffer
      - .offset:         16
        .size:           8
        .value_kind:     by_value
      - .address_space:  global
        .offset:         24
        .size:           8
        .value_kind:     global_buffer
      - .offset:         32
        .size:           8
        .value_kind:     by_value
      - .offset:         40
        .size:           4
        .value_kind:     by_value
      - .offset:         48
        .size:           8
        .value_kind:     by_value
      - .address_space:  global
        .offset:         56
        .size:           8
        .value_kind:     global_buffer
      - .offset:         64
        .size:           8
        .value_kind:     by_value
      - .offset:         72
        .size:           4
        .value_kind:     by_value
      - .offset:         80
        .size:           8
        .value_kind:     by_value
      - .address_space:  global
        .offset:         88
        .size:           8
        .value_kind:     global_buffer
      - .offset:         96
        .size:           8
        .value_kind:     by_value
      - .address_space:  global
        .offset:         104
        .size:           8
        .value_kind:     global_buffer
      - .offset:         112
        .size:           8
        .value_kind:     by_value
      - .offset:         120
        .size:           4
        .value_kind:     by_value
      - .offset:         128
        .size:           8
        .value_kind:     by_value
      - .offset:         136
        .size:           4
        .value_kind:     by_value
    .group_segment_fixed_size: 512
    .kernarg_segment_align: 8
    .kernarg_segment_size: 140
    .language:       OpenCL C
    .language_version:
      - 2
      - 0
    .max_flat_workgroup_size: 256
    .name:           _ZL32rocblas_gemvt_warp_reduce_kernelILb0ELi256EiPK19rocblas_complex_numIdES3_KPS1_EviiT3_lPKT2_lT1_lS9_lSA_lS6_lPT4_lSA_li
    .private_segment_fixed_size: 0
    .sgpr_count:     34
    .sgpr_spill_count: 0
    .symbol:         _ZL32rocblas_gemvt_warp_reduce_kernelILb0ELi256EiPK19rocblas_complex_numIdES3_KPS1_EviiT3_lPKT2_lT1_lS9_lSA_lS6_lPT4_lSA_li.kd
    .uniform_work_group_size: 1
    .uses_dynamic_stack: false
    .vgpr_count:     22
    .vgpr_spill_count: 0
    .wavefront_size: 32
    .workgroup_processor_mode: 1
  - .args:
      - .offset:         0
        .size:           4
        .value_kind:     by_value
      - .offset:         4
        .size:           4
        .value_kind:     by_value
      - .address_space:  global
        .offset:         8
        .size:           8
        .value_kind:     global_buffer
      - .offset:         16
        .size:           8
        .value_kind:     by_value
      - .address_space:  global
        .offset:         24
        .size:           8
        .value_kind:     global_buffer
      - .offset:         32
        .size:           8
        .value_kind:     by_value
      - .offset:         40
        .size:           8
        .value_kind:     by_value
      - .offset:         48
        .size:           8
        .value_kind:     by_value
      - .address_space:  global
        .offset:         56
        .size:           8
        .value_kind:     global_buffer
      - .offset:         64
        .size:           8
        .value_kind:     by_value
      - .offset:         72
        .size:           8
        .value_kind:     by_value
      - .offset:         80
        .size:           8
        .value_kind:     by_value
      - .address_space:  global
        .offset:         88
        .size:           8
        .value_kind:     global_buffer
      - .offset:         96
        .size:           8
        .value_kind:     by_value
      - .address_space:  global
        .offset:         104
        .size:           8
        .value_kind:     global_buffer
      - .offset:         112
        .size:           8
        .value_kind:     by_value
      - .offset:         120
        .size:           8
        .value_kind:     by_value
      - .offset:         128
        .size:           8
        .value_kind:     by_value
      - .offset:         136
        .size:           4
        .value_kind:     by_value
    .group_segment_fixed_size: 512
    .kernarg_segment_align: 8
    .kernarg_segment_size: 140
    .language:       OpenCL C
    .language_version:
      - 2
      - 0
    .max_flat_workgroup_size: 256
    .name:           _ZL32rocblas_gemvt_warp_reduce_kernelILb0ELi256ElPK19rocblas_complex_numIdES3_KPS1_EviiT3_lPKT2_lT1_lS9_lSA_lS6_lPT4_lSA_li
    .private_segment_fixed_size: 0
    .sgpr_count:     36
    .sgpr_spill_count: 0
    .symbol:         _ZL32rocblas_gemvt_warp_reduce_kernelILb0ELi256ElPK19rocblas_complex_numIdES3_KPS1_EviiT3_lPKT2_lT1_lS9_lSA_lS6_lPT4_lSA_li.kd
    .uniform_work_group_size: 1
    .uses_dynamic_stack: false
    .vgpr_count:     22
    .vgpr_spill_count: 0
    .wavefront_size: 32
    .workgroup_processor_mode: 1
  - .args:
      - .offset:         0
        .size:           4
        .value_kind:     by_value
      - .offset:         4
        .size:           4
        .value_kind:     by_value
      - .offset:         8
        .size:           16
        .value_kind:     by_value
      - .offset:         24
        .size:           8
        .value_kind:     by_value
      - .address_space:  global
        .offset:         32
        .size:           8
        .value_kind:     global_buffer
      - .offset:         40
        .size:           8
        .value_kind:     by_value
      - .offset:         48
        .size:           4
        .value_kind:     by_value
      - .offset:         56
        .size:           8
        .value_kind:     by_value
      - .address_space:  global
        .offset:         64
        .size:           8
        .value_kind:     global_buffer
      - .offset:         72
        .size:           8
        .value_kind:     by_value
      - .offset:         80
        .size:           4
        .value_kind:     by_value
      - .offset:         88
        .size:           8
        .value_kind:     by_value
      - .offset:         96
        .size:           16
        .value_kind:     by_value
      - .offset:         112
        .size:           8
        .value_kind:     by_value
      - .address_space:  global
        .offset:         120
        .size:           8
        .value_kind:     global_buffer
      - .offset:         128
        .size:           8
        .value_kind:     by_value
      - .offset:         136
        .size:           4
        .value_kind:     by_value
      - .offset:         144
        .size:           8
        .value_kind:     by_value
      - .offset:         152
        .size:           4
        .value_kind:     by_value
    .group_segment_fixed_size: 512
    .kernarg_segment_align: 8
    .kernarg_segment_size: 156
    .language:       OpenCL C
    .language_version:
      - 2
      - 0
    .max_flat_workgroup_size: 256
    .name:           _ZL32rocblas_gemvt_warp_reduce_kernelILb0ELi256EiPK19rocblas_complex_numIdES1_KPS1_EviiT3_lPKT2_lT1_lS9_lSA_lS6_lPT4_lSA_li
    .private_segment_fixed_size: 0
    .sgpr_count:     30
    .sgpr_spill_count: 0
    .symbol:         _ZL32rocblas_gemvt_warp_reduce_kernelILb0ELi256EiPK19rocblas_complex_numIdES1_KPS1_EviiT3_lPKT2_lT1_lS9_lSA_lS6_lPT4_lSA_li.kd
    .uniform_work_group_size: 1
    .uses_dynamic_stack: false
    .vgpr_count:     22
    .vgpr_spill_count: 0
    .wavefront_size: 32
    .workgroup_processor_mode: 1
  - .args:
      - .offset:         0
        .size:           4
        .value_kind:     by_value
      - .offset:         4
        .size:           4
        .value_kind:     by_value
      - .offset:         8
        .size:           16
        .value_kind:     by_value
      - .offset:         24
        .size:           8
        .value_kind:     by_value
      - .address_space:  global
        .offset:         32
        .size:           8
        .value_kind:     global_buffer
      - .offset:         40
        .size:           8
        .value_kind:     by_value
      - .offset:         48
        .size:           8
        .value_kind:     by_value
      - .offset:         56
        .size:           8
        .value_kind:     by_value
      - .address_space:  global
        .offset:         64
        .size:           8
        .value_kind:     global_buffer
      - .offset:         72
        .size:           8
        .value_kind:     by_value
      - .offset:         80
        .size:           8
        .value_kind:     by_value
      - .offset:         88
        .size:           8
        .value_kind:     by_value
      - .offset:         96
        .size:           16
        .value_kind:     by_value
      - .offset:         112
        .size:           8
        .value_kind:     by_value
      - .address_space:  global
        .offset:         120
        .size:           8
        .value_kind:     global_buffer
      - .offset:         128
        .size:           8
        .value_kind:     by_value
      - .offset:         136
        .size:           8
        .value_kind:     by_value
      - .offset:         144
        .size:           8
        .value_kind:     by_value
      - .offset:         152
        .size:           4
        .value_kind:     by_value
    .group_segment_fixed_size: 512
    .kernarg_segment_align: 8
    .kernarg_segment_size: 156
    .language:       OpenCL C
    .language_version:
      - 2
      - 0
    .max_flat_workgroup_size: 256
    .name:           _ZL32rocblas_gemvt_warp_reduce_kernelILb0ELi256ElPK19rocblas_complex_numIdES1_KPS1_EviiT3_lPKT2_lT1_lS9_lSA_lS6_lPT4_lSA_li
    .private_segment_fixed_size: 0
    .sgpr_count:     34
    .sgpr_spill_count: 0
    .symbol:         _ZL32rocblas_gemvt_warp_reduce_kernelILb0ELi256ElPK19rocblas_complex_numIdES1_KPS1_EviiT3_lPKT2_lT1_lS9_lSA_lS6_lPT4_lSA_li.kd
    .uniform_work_group_size: 1
    .uses_dynamic_stack: false
    .vgpr_count:     22
    .vgpr_spill_count: 0
    .wavefront_size: 32
    .workgroup_processor_mode: 1
  - .args:
      - .offset:         0
        .size:           4
        .value_kind:     by_value
      - .offset:         4
        .size:           4
        .value_kind:     by_value
      - .address_space:  global
        .offset:         8
        .size:           8
        .value_kind:     global_buffer
      - .offset:         16
        .size:           8
        .value_kind:     by_value
      - .address_space:  global
        .offset:         24
        .size:           8
        .value_kind:     global_buffer
      - .offset:         32
        .size:           8
        .value_kind:     by_value
      - .offset:         40
        .size:           4
        .value_kind:     by_value
      - .offset:         48
        .size:           8
        .value_kind:     by_value
      - .address_space:  global
        .offset:         56
        .size:           8
        .value_kind:     global_buffer
      - .offset:         64
        .size:           8
        .value_kind:     by_value
      - .offset:         72
        .size:           4
        .value_kind:     by_value
      - .offset:         80
        .size:           8
        .value_kind:     by_value
      - .address_space:  global
        .offset:         88
        .size:           8
        .value_kind:     global_buffer
      - .offset:         96
        .size:           8
        .value_kind:     by_value
      - .address_space:  global
        .offset:         104
        .size:           8
        .value_kind:     global_buffer
      - .offset:         112
        .size:           8
        .value_kind:     by_value
      - .offset:         120
        .size:           4
        .value_kind:     by_value
      - .offset:         128
        .size:           8
        .value_kind:     by_value
      - .offset:         136
        .size:           4
        .value_kind:     by_value
    .group_segment_fixed_size: 4096
    .kernarg_segment_align: 8
    .kernarg_segment_size: 140
    .language:       OpenCL C
    .language_version:
      - 2
      - 0
    .max_flat_workgroup_size: 256
    .name:           _ZL20rocblas_gemvt_kernelILb0ELi256EPK19rocblas_complex_numIdES3_KPS1_EviiT2_lPKT1_lilS9_lilS6_lPT3_lili
    .private_segment_fixed_size: 0
    .sgpr_count:     34
    .sgpr_spill_count: 0
    .symbol:         _ZL20rocblas_gemvt_kernelILb0ELi256EPK19rocblas_complex_numIdES3_KPS1_EviiT2_lPKT1_lilS9_lilS6_lPT3_lili.kd
    .uniform_work_group_size: 1
    .uses_dynamic_stack: false
    .vgpr_count:     21
    .vgpr_spill_count: 0
    .wavefront_size: 32
    .workgroup_processor_mode: 1
  - .args:
      - .offset:         0
        .size:           4
        .value_kind:     by_value
      - .offset:         4
        .size:           4
        .value_kind:     by_value
      - .offset:         8
        .size:           16
        .value_kind:     by_value
      - .offset:         24
        .size:           8
        .value_kind:     by_value
      - .address_space:  global
        .offset:         32
        .size:           8
        .value_kind:     global_buffer
      - .offset:         40
        .size:           8
        .value_kind:     by_value
      - .offset:         48
        .size:           4
        .value_kind:     by_value
      - .offset:         56
        .size:           8
        .value_kind:     by_value
      - .address_space:  global
        .offset:         64
        .size:           8
        .value_kind:     global_buffer
      - .offset:         72
        .size:           8
        .value_kind:     by_value
      - .offset:         80
        .size:           4
        .value_kind:     by_value
      - .offset:         88
        .size:           8
        .value_kind:     by_value
      - .offset:         96
        .size:           16
        .value_kind:     by_value
      - .offset:         112
        .size:           8
        .value_kind:     by_value
      - .address_space:  global
        .offset:         120
        .size:           8
        .value_kind:     global_buffer
      - .offset:         128
        .size:           8
        .value_kind:     by_value
      - .offset:         136
        .size:           4
        .value_kind:     by_value
      - .offset:         144
        .size:           8
        .value_kind:     by_value
      - .offset:         152
        .size:           4
        .value_kind:     by_value
    .group_segment_fixed_size: 4096
    .kernarg_segment_align: 8
    .kernarg_segment_size: 156
    .language:       OpenCL C
    .language_version:
      - 2
      - 0
    .max_flat_workgroup_size: 256
    .name:           _ZL20rocblas_gemvt_kernelILb0ELi256EPK19rocblas_complex_numIdES1_KPS1_EviiT2_lPKT1_lilS9_lilS6_lPT3_lili
    .private_segment_fixed_size: 0
    .sgpr_count:     30
    .sgpr_spill_count: 0
    .symbol:         _ZL20rocblas_gemvt_kernelILb0ELi256EPK19rocblas_complex_numIdES1_KPS1_EviiT2_lPKT1_lilS9_lilS6_lPT3_lili.kd
    .uniform_work_group_size: 1
    .uses_dynamic_stack: false
    .vgpr_count:     21
    .vgpr_spill_count: 0
    .wavefront_size: 32
    .workgroup_processor_mode: 1
  - .args:
      - .offset:         0
        .size:           4
        .value_kind:     by_value
      - .offset:         4
        .size:           4
        .value_kind:     by_value
      - .address_space:  global
        .offset:         8
        .size:           8
        .value_kind:     global_buffer
      - .offset:         16
        .size:           8
        .value_kind:     by_value
      - .address_space:  global
        .offset:         24
        .size:           8
        .value_kind:     global_buffer
      - .offset:         32
        .size:           8
        .value_kind:     by_value
      - .offset:         40
        .size:           4
        .value_kind:     by_value
      - .offset:         48
        .size:           8
        .value_kind:     by_value
      - .address_space:  global
        .offset:         56
        .size:           8
        .value_kind:     global_buffer
      - .offset:         64
        .size:           8
        .value_kind:     by_value
      - .offset:         72
        .size:           4
        .value_kind:     by_value
      - .offset:         80
        .size:           8
        .value_kind:     by_value
      - .address_space:  global
        .offset:         88
        .size:           8
        .value_kind:     global_buffer
      - .offset:         96
        .size:           8
        .value_kind:     by_value
      - .address_space:  global
        .offset:         104
        .size:           8
        .value_kind:     global_buffer
      - .offset:         112
        .size:           8
        .value_kind:     by_value
      - .offset:         120
        .size:           4
        .value_kind:     by_value
      - .offset:         128
        .size:           8
        .value_kind:     by_value
      - .offset:         136
        .size:           4
        .value_kind:     by_value
    .group_segment_fixed_size: 512
    .kernarg_segment_align: 8
    .kernarg_segment_size: 140
    .language:       OpenCL C
    .language_version:
      - 2
      - 0
    .max_flat_workgroup_size: 1024
    .name:           _ZL32rocblas_gemvt_warp_reduce_kernelILb0ELi1024EiPK19rocblas_complex_numIdES3_KPS1_EviiT3_lPKT2_lT1_lS9_lSA_lS6_lPT4_lSA_li
    .private_segment_fixed_size: 0
    .sgpr_count:     34
    .sgpr_spill_count: 0
    .symbol:         _ZL32rocblas_gemvt_warp_reduce_kernelILb0ELi1024EiPK19rocblas_complex_numIdES3_KPS1_EviiT3_lPKT2_lT1_lS9_lSA_lS6_lPT4_lSA_li.kd
    .uniform_work_group_size: 1
    .uses_dynamic_stack: false
    .vgpr_count:     22
    .vgpr_spill_count: 0
    .wavefront_size: 32
    .workgroup_processor_mode: 1
  - .args:
      - .offset:         0
        .size:           4
        .value_kind:     by_value
      - .offset:         4
        .size:           4
        .value_kind:     by_value
      - .address_space:  global
        .offset:         8
        .size:           8
        .value_kind:     global_buffer
      - .offset:         16
        .size:           8
        .value_kind:     by_value
      - .address_space:  global
        .offset:         24
        .size:           8
        .value_kind:     global_buffer
      - .offset:         32
        .size:           8
        .value_kind:     by_value
      - .offset:         40
        .size:           8
        .value_kind:     by_value
      - .offset:         48
        .size:           8
        .value_kind:     by_value
      - .address_space:  global
        .offset:         56
        .size:           8
        .value_kind:     global_buffer
      - .offset:         64
        .size:           8
        .value_kind:     by_value
      - .offset:         72
        .size:           8
        .value_kind:     by_value
      - .offset:         80
        .size:           8
        .value_kind:     by_value
      - .address_space:  global
        .offset:         88
        .size:           8
        .value_kind:     global_buffer
      - .offset:         96
        .size:           8
        .value_kind:     by_value
      - .address_space:  global
        .offset:         104
        .size:           8
        .value_kind:     global_buffer
      - .offset:         112
        .size:           8
        .value_kind:     by_value
      - .offset:         120
        .size:           8
        .value_kind:     by_value
      - .offset:         128
        .size:           8
        .value_kind:     by_value
      - .offset:         136
        .size:           4
        .value_kind:     by_value
    .group_segment_fixed_size: 512
    .kernarg_segment_align: 8
    .kernarg_segment_size: 140
    .language:       OpenCL C
    .language_version:
      - 2
      - 0
    .max_flat_workgroup_size: 1024
    .name:           _ZL32rocblas_gemvt_warp_reduce_kernelILb0ELi1024ElPK19rocblas_complex_numIdES3_KPS1_EviiT3_lPKT2_lT1_lS9_lSA_lS6_lPT4_lSA_li
    .private_segment_fixed_size: 0
    .sgpr_count:     36
    .sgpr_spill_count: 0
    .symbol:         _ZL32rocblas_gemvt_warp_reduce_kernelILb0ELi1024ElPK19rocblas_complex_numIdES3_KPS1_EviiT3_lPKT2_lT1_lS9_lSA_lS6_lPT4_lSA_li.kd
    .uniform_work_group_size: 1
    .uses_dynamic_stack: false
    .vgpr_count:     22
    .vgpr_spill_count: 0
    .wavefront_size: 32
    .workgroup_processor_mode: 1
  - .args:
      - .offset:         0
        .size:           4
        .value_kind:     by_value
      - .offset:         4
        .size:           4
        .value_kind:     by_value
      - .offset:         8
        .size:           16
        .value_kind:     by_value
      - .offset:         24
        .size:           8
        .value_kind:     by_value
      - .address_space:  global
        .offset:         32
        .size:           8
        .value_kind:     global_buffer
      - .offset:         40
        .size:           8
        .value_kind:     by_value
      - .offset:         48
        .size:           4
        .value_kind:     by_value
      - .offset:         56
        .size:           8
        .value_kind:     by_value
      - .address_space:  global
        .offset:         64
        .size:           8
        .value_kind:     global_buffer
      - .offset:         72
        .size:           8
        .value_kind:     by_value
      - .offset:         80
        .size:           4
        .value_kind:     by_value
      - .offset:         88
        .size:           8
        .value_kind:     by_value
      - .offset:         96
        .size:           16
        .value_kind:     by_value
      - .offset:         112
        .size:           8
        .value_kind:     by_value
      - .address_space:  global
        .offset:         120
        .size:           8
        .value_kind:     global_buffer
      - .offset:         128
        .size:           8
        .value_kind:     by_value
      - .offset:         136
        .size:           4
        .value_kind:     by_value
      - .offset:         144
        .size:           8
        .value_kind:     by_value
      - .offset:         152
        .size:           4
        .value_kind:     by_value
    .group_segment_fixed_size: 512
    .kernarg_segment_align: 8
    .kernarg_segment_size: 156
    .language:       OpenCL C
    .language_version:
      - 2
      - 0
    .max_flat_workgroup_size: 1024
    .name:           _ZL32rocblas_gemvt_warp_reduce_kernelILb0ELi1024EiPK19rocblas_complex_numIdES1_KPS1_EviiT3_lPKT2_lT1_lS9_lSA_lS6_lPT4_lSA_li
    .private_segment_fixed_size: 0
    .sgpr_count:     30
    .sgpr_spill_count: 0
    .symbol:         _ZL32rocblas_gemvt_warp_reduce_kernelILb0ELi1024EiPK19rocblas_complex_numIdES1_KPS1_EviiT3_lPKT2_lT1_lS9_lSA_lS6_lPT4_lSA_li.kd
    .uniform_work_group_size: 1
    .uses_dynamic_stack: false
    .vgpr_count:     22
    .vgpr_spill_count: 0
    .wavefront_size: 32
    .workgroup_processor_mode: 1
  - .args:
      - .offset:         0
        .size:           4
        .value_kind:     by_value
      - .offset:         4
        .size:           4
        .value_kind:     by_value
      - .offset:         8
        .size:           16
        .value_kind:     by_value
      - .offset:         24
        .size:           8
        .value_kind:     by_value
      - .address_space:  global
        .offset:         32
        .size:           8
        .value_kind:     global_buffer
      - .offset:         40
        .size:           8
        .value_kind:     by_value
      - .offset:         48
        .size:           8
        .value_kind:     by_value
      - .offset:         56
        .size:           8
        .value_kind:     by_value
      - .address_space:  global
        .offset:         64
        .size:           8
        .value_kind:     global_buffer
      - .offset:         72
        .size:           8
        .value_kind:     by_value
      - .offset:         80
        .size:           8
        .value_kind:     by_value
      - .offset:         88
        .size:           8
        .value_kind:     by_value
      - .offset:         96
        .size:           16
        .value_kind:     by_value
      - .offset:         112
        .size:           8
        .value_kind:     by_value
      - .address_space:  global
        .offset:         120
        .size:           8
        .value_kind:     global_buffer
      - .offset:         128
        .size:           8
        .value_kind:     by_value
      - .offset:         136
        .size:           8
        .value_kind:     by_value
      - .offset:         144
        .size:           8
        .value_kind:     by_value
      - .offset:         152
        .size:           4
        .value_kind:     by_value
    .group_segment_fixed_size: 512
    .kernarg_segment_align: 8
    .kernarg_segment_size: 156
    .language:       OpenCL C
    .language_version:
      - 2
      - 0
    .max_flat_workgroup_size: 1024
    .name:           _ZL32rocblas_gemvt_warp_reduce_kernelILb0ELi1024ElPK19rocblas_complex_numIdES1_KPS1_EviiT3_lPKT2_lT1_lS9_lSA_lS6_lPT4_lSA_li
    .private_segment_fixed_size: 0
    .sgpr_count:     34
    .sgpr_spill_count: 0
    .symbol:         _ZL32rocblas_gemvt_warp_reduce_kernelILb0ELi1024ElPK19rocblas_complex_numIdES1_KPS1_EviiT3_lPKT2_lT1_lS9_lSA_lS6_lPT4_lSA_li.kd
    .uniform_work_group_size: 1
    .uses_dynamic_stack: false
    .vgpr_count:     22
    .vgpr_spill_count: 0
    .wavefront_size: 32
    .workgroup_processor_mode: 1
  - .args:
      - .offset:         0
        .size:           4
        .value_kind:     by_value
      - .offset:         4
        .size:           4
        .value_kind:     by_value
      - .address_space:  global
        .offset:         8
        .size:           8
        .value_kind:     global_buffer
      - .offset:         16
        .size:           8
        .value_kind:     by_value
      - .address_space:  global
        .offset:         24
        .size:           8
        .value_kind:     global_buffer
      - .offset:         32
        .size:           8
        .value_kind:     by_value
      - .offset:         40
        .size:           4
        .value_kind:     by_value
      - .offset:         48
        .size:           8
        .value_kind:     by_value
      - .address_space:  global
        .offset:         56
        .size:           8
        .value_kind:     global_buffer
      - .offset:         64
        .size:           8
        .value_kind:     by_value
      - .offset:         72
        .size:           4
        .value_kind:     by_value
      - .offset:         80
        .size:           8
        .value_kind:     by_value
      - .address_space:  global
        .offset:         88
        .size:           8
        .value_kind:     global_buffer
      - .offset:         96
        .size:           8
        .value_kind:     by_value
      - .address_space:  global
        .offset:         104
        .size:           8
        .value_kind:     global_buffer
      - .offset:         112
        .size:           8
        .value_kind:     by_value
      - .offset:         120
        .size:           4
        .value_kind:     by_value
      - .offset:         128
        .size:           8
        .value_kind:     by_value
    .group_segment_fixed_size: 1024
    .kernarg_segment_align: 8
    .kernarg_segment_size: 136
    .language:       OpenCL C
    .language_version:
      - 2
      - 0
    .max_flat_workgroup_size: 256
    .name:           _ZL22rocblas_gemvtsm_kernelILb1ELi256EPK19rocblas_complex_numIdES3_KPS1_EviiT2_lPKT1_lilS9_lilS6_lPT3_lil
    .private_segment_fixed_size: 0
    .sgpr_count:     28
    .sgpr_spill_count: 0
    .symbol:         _ZL22rocblas_gemvtsm_kernelILb1ELi256EPK19rocblas_complex_numIdES3_KPS1_EviiT2_lPKT1_lilS9_lilS6_lPT3_lil.kd
    .uniform_work_group_size: 1
    .uses_dynamic_stack: false
    .vgpr_count:     60
    .vgpr_spill_count: 0
    .wavefront_size: 32
    .workgroup_processor_mode: 1
  - .args:
      - .offset:         0
        .size:           4
        .value_kind:     by_value
      - .offset:         4
        .size:           4
        .value_kind:     by_value
      - .offset:         8
        .size:           16
        .value_kind:     by_value
      - .offset:         24
        .size:           8
        .value_kind:     by_value
      - .address_space:  global
        .offset:         32
        .size:           8
        .value_kind:     global_buffer
      - .offset:         40
        .size:           8
        .value_kind:     by_value
      - .offset:         48
        .size:           4
        .value_kind:     by_value
      - .offset:         56
        .size:           8
        .value_kind:     by_value
      - .address_space:  global
        .offset:         64
        .size:           8
        .value_kind:     global_buffer
      - .offset:         72
        .size:           8
        .value_kind:     by_value
      - .offset:         80
        .size:           4
        .value_kind:     by_value
      - .offset:         88
        .size:           8
        .value_kind:     by_value
      - .offset:         96
        .size:           16
        .value_kind:     by_value
      - .offset:         112
        .size:           8
        .value_kind:     by_value
      - .address_space:  global
        .offset:         120
        .size:           8
        .value_kind:     global_buffer
      - .offset:         128
        .size:           8
        .value_kind:     by_value
      - .offset:         136
        .size:           4
        .value_kind:     by_value
      - .offset:         144
        .size:           8
        .value_kind:     by_value
    .group_segment_fixed_size: 1024
    .kernarg_segment_align: 8
    .kernarg_segment_size: 152
    .language:       OpenCL C
    .language_version:
      - 2
      - 0
    .max_flat_workgroup_size: 256
    .name:           _ZL22rocblas_gemvtsm_kernelILb1ELi256EPK19rocblas_complex_numIdES1_KPS1_EviiT2_lPKT1_lilS9_lilS6_lPT3_lil
    .private_segment_fixed_size: 0
    .sgpr_count:     28
    .sgpr_spill_count: 0
    .symbol:         _ZL22rocblas_gemvtsm_kernelILb1ELi256EPK19rocblas_complex_numIdES1_KPS1_EviiT2_lPKT1_lilS9_lilS6_lPT3_lil.kd
    .uniform_work_group_size: 1
    .uses_dynamic_stack: false
    .vgpr_count:     60
    .vgpr_spill_count: 0
    .wavefront_size: 32
    .workgroup_processor_mode: 1
  - .args:
      - .offset:         0
        .size:           4
        .value_kind:     by_value
      - .offset:         4
        .size:           4
        .value_kind:     by_value
      - .address_space:  global
        .offset:         8
        .size:           8
        .value_kind:     global_buffer
      - .offset:         16
        .size:           8
        .value_kind:     by_value
      - .address_space:  global
        .offset:         24
        .size:           8
        .value_kind:     global_buffer
      - .offset:         32
        .size:           8
        .value_kind:     by_value
      - .offset:         40
        .size:           4
        .value_kind:     by_value
      - .offset:         48
        .size:           8
        .value_kind:     by_value
      - .address_space:  global
        .offset:         56
        .size:           8
        .value_kind:     global_buffer
      - .offset:         64
        .size:           8
        .value_kind:     by_value
      - .offset:         72
        .size:           4
        .value_kind:     by_value
      - .offset:         80
        .size:           8
        .value_kind:     by_value
      - .address_space:  global
        .offset:         88
        .size:           8
        .value_kind:     global_buffer
      - .offset:         96
        .size:           4
        .value_kind:     by_value
      - .offset:         104
        .size:           4
        .value_kind:     hidden_block_count_x
      - .offset:         108
        .size:           4
        .value_kind:     hidden_block_count_y
      - .offset:         112
        .size:           4
        .value_kind:     hidden_block_count_z
      - .offset:         116
        .size:           2
        .value_kind:     hidden_group_size_x
      - .offset:         118
        .size:           2
        .value_kind:     hidden_group_size_y
      - .offset:         120
        .size:           2
        .value_kind:     hidden_group_size_z
      - .offset:         122
        .size:           2
        .value_kind:     hidden_remainder_x
      - .offset:         124
        .size:           2
        .value_kind:     hidden_remainder_y
      - .offset:         126
        .size:           2
        .value_kind:     hidden_remainder_z
      - .offset:         144
        .size:           8
        .value_kind:     hidden_global_offset_x
      - .offset:         152
        .size:           8
        .value_kind:     hidden_global_offset_y
      - .offset:         160
        .size:           8
        .value_kind:     hidden_global_offset_z
      - .offset:         168
        .size:           2
        .value_kind:     hidden_grid_dims
    .group_segment_fixed_size: 512
    .kernarg_segment_align: 8
    .kernarg_segment_size: 360
    .language:       OpenCL C
    .language_version:
      - 2
      - 0
    .max_flat_workgroup_size: 256
    .name:           _ZL23rocblas_gemvt_sn_kernelILb1ELi256ELi4EiPK19rocblas_complex_numIdES3_S1_EviiT4_lPKT3_lilS7_lilPT5_i
    .private_segment_fixed_size: 80
    .sgpr_count:     54
    .sgpr_spill_count: 0
    .symbol:         _ZL23rocblas_gemvt_sn_kernelILb1ELi256ELi4EiPK19rocblas_complex_numIdES3_S1_EviiT4_lPKT3_lilS7_lilPT5_i.kd
    .uniform_work_group_size: 1
    .uses_dynamic_stack: false
    .vgpr_count:     76
    .vgpr_spill_count: 0
    .wavefront_size: 32
    .workgroup_processor_mode: 1
  - .args:
      - .offset:         0
        .size:           4
        .value_kind:     by_value
      - .offset:         4
        .size:           4
        .value_kind:     by_value
      - .address_space:  global
        .offset:         8
        .size:           8
        .value_kind:     global_buffer
      - .offset:         16
        .size:           8
        .value_kind:     by_value
      - .address_space:  global
        .offset:         24
        .size:           8
        .value_kind:     global_buffer
      - .offset:         32
        .size:           8
        .value_kind:     by_value
      - .offset:         40
        .size:           4
        .value_kind:     by_value
      - .offset:         48
        .size:           8
        .value_kind:     by_value
      - .address_space:  global
        .offset:         56
        .size:           8
        .value_kind:     global_buffer
      - .offset:         64
        .size:           8
        .value_kind:     by_value
      - .offset:         72
        .size:           4
        .value_kind:     by_value
      - .offset:         80
        .size:           8
        .value_kind:     by_value
      - .address_space:  global
        .offset:         88
        .size:           8
        .value_kind:     global_buffer
      - .offset:         96
        .size:           4
        .value_kind:     by_value
      - .offset:         104
        .size:           4
        .value_kind:     hidden_block_count_x
      - .offset:         108
        .size:           4
        .value_kind:     hidden_block_count_y
      - .offset:         112
        .size:           4
        .value_kind:     hidden_block_count_z
      - .offset:         116
        .size:           2
        .value_kind:     hidden_group_size_x
      - .offset:         118
        .size:           2
        .value_kind:     hidden_group_size_y
      - .offset:         120
        .size:           2
        .value_kind:     hidden_group_size_z
      - .offset:         122
        .size:           2
        .value_kind:     hidden_remainder_x
      - .offset:         124
        .size:           2
        .value_kind:     hidden_remainder_y
      - .offset:         126
        .size:           2
        .value_kind:     hidden_remainder_z
      - .offset:         144
        .size:           8
        .value_kind:     hidden_global_offset_x
      - .offset:         152
        .size:           8
        .value_kind:     hidden_global_offset_y
      - .offset:         160
        .size:           8
        .value_kind:     hidden_global_offset_z
      - .offset:         168
        .size:           2
        .value_kind:     hidden_grid_dims
    .group_segment_fixed_size: 512
    .kernarg_segment_align: 8
    .kernarg_segment_size: 360
    .language:       OpenCL C
    .language_version:
      - 2
      - 0
    .max_flat_workgroup_size: 256
    .name:           _ZL23rocblas_gemvt_sn_kernelILb1ELi256ELi4ElPK19rocblas_complex_numIdES3_S1_EviiT4_lPKT3_lilS7_lilPT5_i
    .private_segment_fixed_size: 80
    .sgpr_count:     52
    .sgpr_spill_count: 0
    .symbol:         _ZL23rocblas_gemvt_sn_kernelILb1ELi256ELi4ElPK19rocblas_complex_numIdES3_S1_EviiT4_lPKT3_lilS7_lilPT5_i.kd
    .uniform_work_group_size: 1
    .uses_dynamic_stack: false
    .vgpr_count:     74
    .vgpr_spill_count: 0
    .wavefront_size: 32
    .workgroup_processor_mode: 1
  - .args:
      - .offset:         0
        .size:           4
        .value_kind:     by_value
      - .offset:         4
        .size:           4
        .value_kind:     by_value
      - .offset:         8
        .size:           16
        .value_kind:     by_value
      - .offset:         24
        .size:           8
        .value_kind:     by_value
      - .address_space:  global
        .offset:         32
        .size:           8
        .value_kind:     global_buffer
      - .offset:         40
        .size:           8
        .value_kind:     by_value
      - .offset:         48
        .size:           4
        .value_kind:     by_value
      - .offset:         56
        .size:           8
        .value_kind:     by_value
      - .address_space:  global
        .offset:         64
        .size:           8
        .value_kind:     global_buffer
      - .offset:         72
        .size:           8
        .value_kind:     by_value
      - .offset:         80
        .size:           4
        .value_kind:     by_value
      - .offset:         88
        .size:           8
        .value_kind:     by_value
      - .address_space:  global
        .offset:         96
        .size:           8
        .value_kind:     global_buffer
      - .offset:         104
        .size:           4
        .value_kind:     by_value
      - .offset:         112
        .size:           4
        .value_kind:     hidden_block_count_x
      - .offset:         116
        .size:           4
        .value_kind:     hidden_block_count_y
      - .offset:         120
        .size:           4
        .value_kind:     hidden_block_count_z
      - .offset:         124
        .size:           2
        .value_kind:     hidden_group_size_x
      - .offset:         126
        .size:           2
        .value_kind:     hidden_group_size_y
      - .offset:         128
        .size:           2
        .value_kind:     hidden_group_size_z
      - .offset:         130
        .size:           2
        .value_kind:     hidden_remainder_x
      - .offset:         132
        .size:           2
        .value_kind:     hidden_remainder_y
      - .offset:         134
        .size:           2
        .value_kind:     hidden_remainder_z
      - .offset:         152
        .size:           8
        .value_kind:     hidden_global_offset_x
      - .offset:         160
        .size:           8
        .value_kind:     hidden_global_offset_y
      - .offset:         168
        .size:           8
        .value_kind:     hidden_global_offset_z
      - .offset:         176
        .size:           2
        .value_kind:     hidden_grid_dims
    .group_segment_fixed_size: 512
    .kernarg_segment_align: 8
    .kernarg_segment_size: 368
    .language:       OpenCL C
    .language_version:
      - 2
      - 0
    .max_flat_workgroup_size: 256
    .name:           _ZL23rocblas_gemvt_sn_kernelILb1ELi256ELi4EiPK19rocblas_complex_numIdES1_S1_EviiT4_lPKT3_lilS7_lilPT5_i
    .private_segment_fixed_size: 80
    .sgpr_count:     54
    .sgpr_spill_count: 0
    .symbol:         _ZL23rocblas_gemvt_sn_kernelILb1ELi256ELi4EiPK19rocblas_complex_numIdES1_S1_EviiT4_lPKT3_lilS7_lilPT5_i.kd
    .uniform_work_group_size: 1
    .uses_dynamic_stack: false
    .vgpr_count:     76
    .vgpr_spill_count: 0
    .wavefront_size: 32
    .workgroup_processor_mode: 1
  - .args:
      - .offset:         0
        .size:           4
        .value_kind:     by_value
      - .offset:         4
        .size:           4
        .value_kind:     by_value
      - .offset:         8
        .size:           16
        .value_kind:     by_value
      - .offset:         24
        .size:           8
        .value_kind:     by_value
      - .address_space:  global
        .offset:         32
        .size:           8
        .value_kind:     global_buffer
      - .offset:         40
        .size:           8
        .value_kind:     by_value
      - .offset:         48
        .size:           4
        .value_kind:     by_value
      - .offset:         56
        .size:           8
        .value_kind:     by_value
      - .address_space:  global
        .offset:         64
        .size:           8
        .value_kind:     global_buffer
      - .offset:         72
        .size:           8
        .value_kind:     by_value
      - .offset:         80
        .size:           4
        .value_kind:     by_value
      - .offset:         88
        .size:           8
        .value_kind:     by_value
      - .address_space:  global
        .offset:         96
        .size:           8
        .value_kind:     global_buffer
      - .offset:         104
        .size:           4
        .value_kind:     by_value
      - .offset:         112
        .size:           4
        .value_kind:     hidden_block_count_x
      - .offset:         116
        .size:           4
        .value_kind:     hidden_block_count_y
      - .offset:         120
        .size:           4
        .value_kind:     hidden_block_count_z
      - .offset:         124
        .size:           2
        .value_kind:     hidden_group_size_x
      - .offset:         126
        .size:           2
        .value_kind:     hidden_group_size_y
      - .offset:         128
        .size:           2
        .value_kind:     hidden_group_size_z
      - .offset:         130
        .size:           2
        .value_kind:     hidden_remainder_x
      - .offset:         132
        .size:           2
        .value_kind:     hidden_remainder_y
      - .offset:         134
        .size:           2
        .value_kind:     hidden_remainder_z
      - .offset:         152
        .size:           8
        .value_kind:     hidden_global_offset_x
      - .offset:         160
        .size:           8
        .value_kind:     hidden_global_offset_y
      - .offset:         168
        .size:           8
        .value_kind:     hidden_global_offset_z
      - .offset:         176
        .size:           2
        .value_kind:     hidden_grid_dims
    .group_segment_fixed_size: 512
    .kernarg_segment_align: 8
    .kernarg_segment_size: 368
    .language:       OpenCL C
    .language_version:
      - 2
      - 0
    .max_flat_workgroup_size: 256
    .name:           _ZL23rocblas_gemvt_sn_kernelILb1ELi256ELi4ElPK19rocblas_complex_numIdES1_S1_EviiT4_lPKT3_lilS7_lilPT5_i
    .private_segment_fixed_size: 80
    .sgpr_count:     52
    .sgpr_spill_count: 0
    .symbol:         _ZL23rocblas_gemvt_sn_kernelILb1ELi256ELi4ElPK19rocblas_complex_numIdES1_S1_EviiT4_lPKT3_lilS7_lilPT5_i.kd
    .uniform_work_group_size: 1
    .uses_dynamic_stack: false
    .vgpr_count:     74
    .vgpr_spill_count: 0
    .wavefront_size: 32
    .workgroup_processor_mode: 1
  - .args:
      - .offset:         0
        .size:           4
        .value_kind:     by_value
      - .offset:         4
        .size:           4
        .value_kind:     by_value
      - .address_space:  global
        .offset:         8
        .size:           8
        .value_kind:     global_buffer
      - .offset:         16
        .size:           8
        .value_kind:     by_value
      - .address_space:  global
        .offset:         24
        .size:           8
        .value_kind:     global_buffer
      - .offset:         32
        .size:           8
        .value_kind:     by_value
      - .offset:         40
        .size:           4
        .value_kind:     by_value
      - .offset:         48
        .size:           8
        .value_kind:     by_value
      - .address_space:  global
        .offset:         56
        .size:           8
        .value_kind:     global_buffer
      - .offset:         64
        .size:           8
        .value_kind:     by_value
      - .offset:         72
        .size:           4
        .value_kind:     by_value
      - .offset:         80
        .size:           8
        .value_kind:     by_value
      - .address_space:  global
        .offset:         88
        .size:           8
        .value_kind:     global_buffer
      - .offset:         96
        .size:           8
        .value_kind:     by_value
      - .address_space:  global
        .offset:         104
        .size:           8
        .value_kind:     global_buffer
      - .offset:         112
        .size:           8
        .value_kind:     by_value
      - .offset:         120
        .size:           4
        .value_kind:     by_value
      - .offset:         128
        .size:           8
        .value_kind:     by_value
      - .offset:         136
        .size:           4
        .value_kind:     by_value
    .group_segment_fixed_size: 4096
    .kernarg_segment_align: 8
    .kernarg_segment_size: 140
    .language:       OpenCL C
    .language_version:
      - 2
      - 0
    .max_flat_workgroup_size: 256
    .name:           _ZL20rocblas_gemvt_kernelILb1ELi256EPK19rocblas_complex_numIdES3_KPS1_EviiT2_lPKT1_lilS9_lilS6_lPT3_lili
    .private_segment_fixed_size: 0
    .sgpr_count:     34
    .sgpr_spill_count: 0
    .symbol:         _ZL20rocblas_gemvt_kernelILb1ELi256EPK19rocblas_complex_numIdES3_KPS1_EviiT2_lPKT1_lilS9_lilS6_lPT3_lili.kd
    .uniform_work_group_size: 1
    .uses_dynamic_stack: false
    .vgpr_count:     21
    .vgpr_spill_count: 0
    .wavefront_size: 32
    .workgroup_processor_mode: 1
  - .args:
      - .offset:         0
        .size:           4
        .value_kind:     by_value
      - .offset:         4
        .size:           4
        .value_kind:     by_value
      - .offset:         8
        .size:           16
        .value_kind:     by_value
      - .offset:         24
        .size:           8
        .value_kind:     by_value
      - .address_space:  global
        .offset:         32
        .size:           8
        .value_kind:     global_buffer
      - .offset:         40
        .size:           8
        .value_kind:     by_value
      - .offset:         48
        .size:           4
        .value_kind:     by_value
      - .offset:         56
        .size:           8
        .value_kind:     by_value
      - .address_space:  global
        .offset:         64
        .size:           8
        .value_kind:     global_buffer
      - .offset:         72
        .size:           8
        .value_kind:     by_value
      - .offset:         80
        .size:           4
        .value_kind:     by_value
      - .offset:         88
        .size:           8
        .value_kind:     by_value
      - .offset:         96
        .size:           16
        .value_kind:     by_value
      - .offset:         112
        .size:           8
        .value_kind:     by_value
      - .address_space:  global
        .offset:         120
        .size:           8
        .value_kind:     global_buffer
      - .offset:         128
        .size:           8
        .value_kind:     by_value
      - .offset:         136
        .size:           4
        .value_kind:     by_value
      - .offset:         144
        .size:           8
        .value_kind:     by_value
      - .offset:         152
        .size:           4
        .value_kind:     by_value
    .group_segment_fixed_size: 4096
    .kernarg_segment_align: 8
    .kernarg_segment_size: 156
    .language:       OpenCL C
    .language_version:
      - 2
      - 0
    .max_flat_workgroup_size: 256
    .name:           _ZL20rocblas_gemvt_kernelILb1ELi256EPK19rocblas_complex_numIdES1_KPS1_EviiT2_lPKT1_lilS9_lilS6_lPT3_lili
    .private_segment_fixed_size: 0
    .sgpr_count:     30
    .sgpr_spill_count: 0
    .symbol:         _ZL20rocblas_gemvt_kernelILb1ELi256EPK19rocblas_complex_numIdES1_KPS1_EviiT2_lPKT1_lilS9_lilS6_lPT3_lili.kd
    .uniform_work_group_size: 1
    .uses_dynamic_stack: false
    .vgpr_count:     21
    .vgpr_spill_count: 0
    .wavefront_size: 32
    .workgroup_processor_mode: 1
  - .args:
      - .offset:         0
        .size:           4
        .value_kind:     by_value
      - .offset:         4
        .size:           4
        .value_kind:     by_value
      - .address_space:  global
        .offset:         8
        .size:           8
        .value_kind:     global_buffer
      - .offset:         16
        .size:           8
        .value_kind:     by_value
      - .address_space:  global
        .offset:         24
        .size:           8
        .value_kind:     global_buffer
      - .offset:         32
        .size:           8
        .value_kind:     by_value
      - .offset:         40
        .size:           4
        .value_kind:     by_value
      - .offset:         48
        .size:           8
        .value_kind:     by_value
      - .address_space:  global
        .offset:         56
        .size:           8
        .value_kind:     global_buffer
      - .offset:         64
        .size:           8
        .value_kind:     by_value
      - .offset:         72
        .size:           4
        .value_kind:     by_value
      - .offset:         80
        .size:           8
        .value_kind:     by_value
      - .address_space:  global
        .offset:         88
        .size:           8
        .value_kind:     global_buffer
      - .offset:         96
        .size:           8
        .value_kind:     by_value
      - .address_space:  global
        .offset:         104
        .size:           8
        .value_kind:     global_buffer
      - .offset:         112
        .size:           8
        .value_kind:     by_value
      - .offset:         120
        .size:           4
        .value_kind:     by_value
      - .offset:         128
        .size:           8
        .value_kind:     by_value
      - .offset:         136
        .size:           4
        .value_kind:     by_value
    .group_segment_fixed_size: 512
    .kernarg_segment_align: 8
    .kernarg_segment_size: 140
    .language:       OpenCL C
    .language_version:
      - 2
      - 0
    .max_flat_workgroup_size: 1024
    .name:           _ZL32rocblas_gemvt_warp_reduce_kernelILb1ELi1024EiPK19rocblas_complex_numIdES3_KPS1_EviiT3_lPKT2_lT1_lS9_lSA_lS6_lPT4_lSA_li
    .private_segment_fixed_size: 0
    .sgpr_count:     34
    .sgpr_spill_count: 0
    .symbol:         _ZL32rocblas_gemvt_warp_reduce_kernelILb1ELi1024EiPK19rocblas_complex_numIdES3_KPS1_EviiT3_lPKT2_lT1_lS9_lSA_lS6_lPT4_lSA_li.kd
    .uniform_work_group_size: 1
    .uses_dynamic_stack: false
    .vgpr_count:     22
    .vgpr_spill_count: 0
    .wavefront_size: 32
    .workgroup_processor_mode: 1
  - .args:
      - .offset:         0
        .size:           4
        .value_kind:     by_value
      - .offset:         4
        .size:           4
        .value_kind:     by_value
      - .address_space:  global
        .offset:         8
        .size:           8
        .value_kind:     global_buffer
      - .offset:         16
        .size:           8
        .value_kind:     by_value
      - .address_space:  global
        .offset:         24
        .size:           8
        .value_kind:     global_buffer
      - .offset:         32
        .size:           8
        .value_kind:     by_value
      - .offset:         40
        .size:           8
        .value_kind:     by_value
      - .offset:         48
        .size:           8
        .value_kind:     by_value
      - .address_space:  global
        .offset:         56
        .size:           8
        .value_kind:     global_buffer
      - .offset:         64
        .size:           8
        .value_kind:     by_value
      - .offset:         72
        .size:           8
        .value_kind:     by_value
      - .offset:         80
        .size:           8
        .value_kind:     by_value
      - .address_space:  global
        .offset:         88
        .size:           8
        .value_kind:     global_buffer
      - .offset:         96
        .size:           8
        .value_kind:     by_value
      - .address_space:  global
        .offset:         104
        .size:           8
        .value_kind:     global_buffer
      - .offset:         112
        .size:           8
        .value_kind:     by_value
      - .offset:         120
        .size:           8
        .value_kind:     by_value
      - .offset:         128
        .size:           8
        .value_kind:     by_value
      - .offset:         136
        .size:           4
        .value_kind:     by_value
    .group_segment_fixed_size: 512
    .kernarg_segment_align: 8
    .kernarg_segment_size: 140
    .language:       OpenCL C
    .language_version:
      - 2
      - 0
    .max_flat_workgroup_size: 1024
    .name:           _ZL32rocblas_gemvt_warp_reduce_kernelILb1ELi1024ElPK19rocblas_complex_numIdES3_KPS1_EviiT3_lPKT2_lT1_lS9_lSA_lS6_lPT4_lSA_li
    .private_segment_fixed_size: 0
    .sgpr_count:     36
    .sgpr_spill_count: 0
    .symbol:         _ZL32rocblas_gemvt_warp_reduce_kernelILb1ELi1024ElPK19rocblas_complex_numIdES3_KPS1_EviiT3_lPKT2_lT1_lS9_lSA_lS6_lPT4_lSA_li.kd
    .uniform_work_group_size: 1
    .uses_dynamic_stack: false
    .vgpr_count:     22
    .vgpr_spill_count: 0
    .wavefront_size: 32
    .workgroup_processor_mode: 1
  - .args:
      - .offset:         0
        .size:           4
        .value_kind:     by_value
      - .offset:         4
        .size:           4
        .value_kind:     by_value
      - .offset:         8
        .size:           16
        .value_kind:     by_value
      - .offset:         24
        .size:           8
        .value_kind:     by_value
      - .address_space:  global
        .offset:         32
        .size:           8
        .value_kind:     global_buffer
      - .offset:         40
        .size:           8
        .value_kind:     by_value
      - .offset:         48
        .size:           4
        .value_kind:     by_value
      - .offset:         56
        .size:           8
        .value_kind:     by_value
      - .address_space:  global
        .offset:         64
        .size:           8
        .value_kind:     global_buffer
      - .offset:         72
        .size:           8
        .value_kind:     by_value
      - .offset:         80
        .size:           4
        .value_kind:     by_value
      - .offset:         88
        .size:           8
        .value_kind:     by_value
      - .offset:         96
        .size:           16
        .value_kind:     by_value
      - .offset:         112
        .size:           8
        .value_kind:     by_value
      - .address_space:  global
        .offset:         120
        .size:           8
        .value_kind:     global_buffer
      - .offset:         128
        .size:           8
        .value_kind:     by_value
      - .offset:         136
        .size:           4
        .value_kind:     by_value
      - .offset:         144
        .size:           8
        .value_kind:     by_value
      - .offset:         152
        .size:           4
        .value_kind:     by_value
    .group_segment_fixed_size: 512
    .kernarg_segment_align: 8
    .kernarg_segment_size: 156
    .language:       OpenCL C
    .language_version:
      - 2
      - 0
    .max_flat_workgroup_size: 1024
    .name:           _ZL32rocblas_gemvt_warp_reduce_kernelILb1ELi1024EiPK19rocblas_complex_numIdES1_KPS1_EviiT3_lPKT2_lT1_lS9_lSA_lS6_lPT4_lSA_li
    .private_segment_fixed_size: 0
    .sgpr_count:     30
    .sgpr_spill_count: 0
    .symbol:         _ZL32rocblas_gemvt_warp_reduce_kernelILb1ELi1024EiPK19rocblas_complex_numIdES1_KPS1_EviiT3_lPKT2_lT1_lS9_lSA_lS6_lPT4_lSA_li.kd
    .uniform_work_group_size: 1
    .uses_dynamic_stack: false
    .vgpr_count:     22
    .vgpr_spill_count: 0
    .wavefront_size: 32
    .workgroup_processor_mode: 1
  - .args:
      - .offset:         0
        .size:           4
        .value_kind:     by_value
      - .offset:         4
        .size:           4
        .value_kind:     by_value
      - .offset:         8
        .size:           16
        .value_kind:     by_value
      - .offset:         24
        .size:           8
        .value_kind:     by_value
      - .address_space:  global
        .offset:         32
        .size:           8
        .value_kind:     global_buffer
      - .offset:         40
        .size:           8
        .value_kind:     by_value
      - .offset:         48
        .size:           8
        .value_kind:     by_value
      - .offset:         56
        .size:           8
        .value_kind:     by_value
      - .address_space:  global
        .offset:         64
        .size:           8
        .value_kind:     global_buffer
      - .offset:         72
        .size:           8
        .value_kind:     by_value
      - .offset:         80
        .size:           8
        .value_kind:     by_value
      - .offset:         88
        .size:           8
        .value_kind:     by_value
      - .offset:         96
        .size:           16
        .value_kind:     by_value
      - .offset:         112
        .size:           8
        .value_kind:     by_value
      - .address_space:  global
        .offset:         120
        .size:           8
        .value_kind:     global_buffer
      - .offset:         128
        .size:           8
        .value_kind:     by_value
      - .offset:         136
        .size:           8
        .value_kind:     by_value
      - .offset:         144
        .size:           8
        .value_kind:     by_value
      - .offset:         152
        .size:           4
        .value_kind:     by_value
    .group_segment_fixed_size: 512
    .kernarg_segment_align: 8
    .kernarg_segment_size: 156
    .language:       OpenCL C
    .language_version:
      - 2
      - 0
    .max_flat_workgroup_size: 1024
    .name:           _ZL32rocblas_gemvt_warp_reduce_kernelILb1ELi1024ElPK19rocblas_complex_numIdES1_KPS1_EviiT3_lPKT2_lT1_lS9_lSA_lS6_lPT4_lSA_li
    .private_segment_fixed_size: 0
    .sgpr_count:     34
    .sgpr_spill_count: 0
    .symbol:         _ZL32rocblas_gemvt_warp_reduce_kernelILb1ELi1024ElPK19rocblas_complex_numIdES1_KPS1_EviiT3_lPKT2_lT1_lS9_lSA_lS6_lPT4_lSA_li.kd
    .uniform_work_group_size: 1
    .uses_dynamic_stack: false
    .vgpr_count:     22
    .vgpr_spill_count: 0
    .wavefront_size: 32
    .workgroup_processor_mode: 1
  - .args:
      - .offset:         0
        .size:           4
        .value_kind:     by_value
      - .offset:         4
        .size:           4
        .value_kind:     by_value
      - .address_space:  global
        .offset:         8
        .size:           8
        .value_kind:     global_buffer
      - .offset:         16
        .size:           8
        .value_kind:     by_value
      - .address_space:  global
        .offset:         24
        .size:           8
        .value_kind:     global_buffer
      - .offset:         32
        .size:           8
        .value_kind:     by_value
      - .offset:         40
        .size:           4
        .value_kind:     by_value
      - .offset:         48
        .size:           8
        .value_kind:     by_value
      - .address_space:  global
        .offset:         56
        .size:           8
        .value_kind:     global_buffer
      - .offset:         64
        .size:           8
        .value_kind:     by_value
      - .offset:         72
        .size:           4
        .value_kind:     by_value
      - .offset:         80
        .size:           8
        .value_kind:     by_value
      - .address_space:  global
        .offset:         88
        .size:           8
        .value_kind:     global_buffer
      - .offset:         96
        .size:           8
        .value_kind:     by_value
      - .address_space:  global
        .offset:         104
        .size:           8
        .value_kind:     global_buffer
      - .offset:         112
        .size:           8
        .value_kind:     by_value
      - .offset:         120
        .size:           4
        .value_kind:     by_value
      - .offset:         128
        .size:           8
        .value_kind:     by_value
      - .offset:         136
        .size:           4
        .value_kind:     by_value
    .group_segment_fixed_size: 0
    .kernarg_segment_align: 8
    .kernarg_segment_size: 140
    .language:       OpenCL C
    .language_version:
      - 2
      - 0
    .max_flat_workgroup_size: 768
    .name:           _ZL34rocblas_gemvn_sm_mn_batched_kernelILi32ELi24EDF16_PKfDF16_EviiT2_lPKT1_lilS5_lilS2_lPT3_lili
    .private_segment_fixed_size: 0
    .sgpr_count:     0
    .sgpr_spill_count: 0
    .symbol:         _ZL34rocblas_gemvn_sm_mn_batched_kernelILi32ELi24EDF16_PKfDF16_EviiT2_lPKT1_lilS5_lilS2_lPT3_lili.kd
    .uniform_work_group_size: 1
    .uses_dynamic_stack: false
    .vgpr_count:     0
    .vgpr_spill_count: 0
    .wavefront_size: 32
    .workgroup_processor_mode: 1
  - .args:
      - .offset:         0
        .size:           4
        .value_kind:     by_value
      - .offset:         4
        .size:           4
        .value_kind:     by_value
      - .offset:         8
        .size:           4
        .value_kind:     by_value
      - .offset:         16
        .size:           8
        .value_kind:     by_value
      - .address_space:  global
        .offset:         24
        .size:           8
        .value_kind:     global_buffer
      - .offset:         32
        .size:           8
        .value_kind:     by_value
      - .offset:         40
        .size:           4
        .value_kind:     by_value
      - .offset:         48
        .size:           8
        .value_kind:     by_value
      - .address_space:  global
        .offset:         56
        .size:           8
        .value_kind:     global_buffer
      - .offset:         64
        .size:           8
        .value_kind:     by_value
      - .offset:         72
        .size:           4
        .value_kind:     by_value
      - .offset:         80
        .size:           8
        .value_kind:     by_value
      - .offset:         88
        .size:           4
        .value_kind:     by_value
      - .offset:         96
        .size:           8
        .value_kind:     by_value
      - .address_space:  global
        .offset:         104
        .size:           8
        .value_kind:     global_buffer
      - .offset:         112
        .size:           8
        .value_kind:     by_value
      - .offset:         120
        .size:           4
        .value_kind:     by_value
      - .offset:         128
        .size:           8
        .value_kind:     by_value
      - .offset:         136
        .size:           4
        .value_kind:     by_value
    .group_segment_fixed_size: 0
    .kernarg_segment_align: 8
    .kernarg_segment_size: 140
    .language:       OpenCL C
    .language_version:
      - 2
      - 0
    .max_flat_workgroup_size: 768
    .name:           _ZL34rocblas_gemvn_sm_mn_batched_kernelILi32ELi24EDF16_fDF16_EviiT2_lPKT1_lilS3_lilS0_lPT3_lili
    .private_segment_fixed_size: 0
    .sgpr_count:     0
    .sgpr_spill_count: 0
    .symbol:         _ZL34rocblas_gemvn_sm_mn_batched_kernelILi32ELi24EDF16_fDF16_EviiT2_lPKT1_lilS3_lilS0_lPT3_lili.kd
    .uniform_work_group_size: 1
    .uses_dynamic_stack: false
    .vgpr_count:     0
    .vgpr_spill_count: 0
    .wavefront_size: 32
    .workgroup_processor_mode: 1
  - .args:
      - .offset:         0
        .size:           4
        .value_kind:     by_value
      - .offset:         4
        .size:           4
        .value_kind:     by_value
      - .address_space:  global
        .offset:         8
        .size:           8
        .value_kind:     global_buffer
      - .offset:         16
        .size:           8
        .value_kind:     by_value
      - .address_space:  global
        .offset:         24
        .size:           8
        .value_kind:     global_buffer
      - .offset:         32
        .size:           8
        .value_kind:     by_value
      - .offset:         40
        .size:           4
        .value_kind:     by_value
      - .offset:         48
        .size:           8
        .value_kind:     by_value
      - .address_space:  global
        .offset:         56
        .size:           8
        .value_kind:     global_buffer
      - .offset:         64
        .size:           8
        .value_kind:     by_value
      - .offset:         72
        .size:           4
        .value_kind:     by_value
      - .offset:         80
        .size:           8
        .value_kind:     by_value
      - .address_space:  global
        .offset:         88
        .size:           8
        .value_kind:     global_buffer
      - .offset:         96
        .size:           8
        .value_kind:     by_value
      - .address_space:  global
        .offset:         104
        .size:           8
        .value_kind:     global_buffer
      - .offset:         112
        .size:           8
        .value_kind:     by_value
      - .offset:         120
        .size:           4
        .value_kind:     by_value
      - .offset:         128
        .size:           8
        .value_kind:     by_value
      - .offset:         136
        .size:           4
        .value_kind:     by_value
      - .offset:         144
        .size:           4
        .value_kind:     hidden_block_count_x
      - .offset:         148
        .size:           4
        .value_kind:     hidden_block_count_y
      - .offset:         152
        .size:           4
        .value_kind:     hidden_block_count_z
      - .offset:         156
        .size:           2
        .value_kind:     hidden_group_size_x
      - .offset:         158
        .size:           2
        .value_kind:     hidden_group_size_y
      - .offset:         160
        .size:           2
        .value_kind:     hidden_group_size_z
      - .offset:         162
        .size:           2
        .value_kind:     hidden_remainder_x
      - .offset:         164
        .size:           2
        .value_kind:     hidden_remainder_y
      - .offset:         166
        .size:           2
        .value_kind:     hidden_remainder_z
      - .offset:         184
        .size:           8
        .value_kind:     hidden_global_offset_x
      - .offset:         192
        .size:           8
        .value_kind:     hidden_global_offset_y
      - .offset:         200
        .size:           8
        .value_kind:     hidden_global_offset_z
      - .offset:         208
        .size:           2
        .value_kind:     hidden_grid_dims
    .group_segment_fixed_size: 4096
    .kernarg_segment_align: 8
    .kernarg_segment_size: 400
    .language:       OpenCL C
    .language_version:
      - 2
      - 0
    .max_flat_workgroup_size: 256
    .name:           _ZL20rocblas_gemvn_kernelILi64ELi4EiDF16_PKfDF16_EviiT3_lPKT2_lT1_lS5_lS6_lS2_lPT4_lS6_li
    .private_segment_fixed_size: 0
    .sgpr_count:     30
    .sgpr_spill_count: 0
    .symbol:         _ZL20rocblas_gemvn_kernelILi64ELi4EiDF16_PKfDF16_EviiT3_lPKT2_lT1_lS5_lS6_lS2_lPT4_lS6_li.kd
    .uniform_work_group_size: 1
    .uses_dynamic_stack: false
    .vgpr_count:     46
    .vgpr_spill_count: 0
    .wavefront_size: 32
    .workgroup_processor_mode: 1
  - .args:
      - .offset:         0
        .size:           4
        .value_kind:     by_value
      - .offset:         4
        .size:           4
        .value_kind:     by_value
      - .address_space:  global
        .offset:         8
        .size:           8
        .value_kind:     global_buffer
      - .offset:         16
        .size:           8
        .value_kind:     by_value
      - .address_space:  global
        .offset:         24
        .size:           8
        .value_kind:     global_buffer
      - .offset:         32
        .size:           8
        .value_kind:     by_value
      - .offset:         40
        .size:           8
        .value_kind:     by_value
      - .offset:         48
        .size:           8
        .value_kind:     by_value
      - .address_space:  global
        .offset:         56
        .size:           8
        .value_kind:     global_buffer
      - .offset:         64
        .size:           8
        .value_kind:     by_value
      - .offset:         72
        .size:           8
        .value_kind:     by_value
      - .offset:         80
        .size:           8
        .value_kind:     by_value
      - .address_space:  global
        .offset:         88
        .size:           8
        .value_kind:     global_buffer
      - .offset:         96
        .size:           8
        .value_kind:     by_value
      - .address_space:  global
        .offset:         104
        .size:           8
        .value_kind:     global_buffer
      - .offset:         112
        .size:           8
        .value_kind:     by_value
      - .offset:         120
        .size:           8
        .value_kind:     by_value
      - .offset:         128
        .size:           8
        .value_kind:     by_value
      - .offset:         136
        .size:           4
        .value_kind:     by_value
      - .offset:         144
        .size:           4
        .value_kind:     hidden_block_count_x
      - .offset:         148
        .size:           4
        .value_kind:     hidden_block_count_y
      - .offset:         152
        .size:           4
        .value_kind:     hidden_block_count_z
      - .offset:         156
        .size:           2
        .value_kind:     hidden_group_size_x
      - .offset:         158
        .size:           2
        .value_kind:     hidden_group_size_y
      - .offset:         160
        .size:           2
        .value_kind:     hidden_group_size_z
      - .offset:         162
        .size:           2
        .value_kind:     hidden_remainder_x
      - .offset:         164
        .size:           2
        .value_kind:     hidden_remainder_y
      - .offset:         166
        .size:           2
        .value_kind:     hidden_remainder_z
      - .offset:         184
        .size:           8
        .value_kind:     hidden_global_offset_x
      - .offset:         192
        .size:           8
        .value_kind:     hidden_global_offset_y
      - .offset:         200
        .size:           8
        .value_kind:     hidden_global_offset_z
      - .offset:         208
        .size:           2
        .value_kind:     hidden_grid_dims
    .group_segment_fixed_size: 4096
    .kernarg_segment_align: 8
    .kernarg_segment_size: 400
    .language:       OpenCL C
    .language_version:
      - 2
      - 0
    .max_flat_workgroup_size: 256
    .name:           _ZL20rocblas_gemvn_kernelILi64ELi4ElDF16_PKfDF16_EviiT3_lPKT2_lT1_lS5_lS6_lS2_lPT4_lS6_li
    .private_segment_fixed_size: 0
    .sgpr_count:     54
    .sgpr_spill_count: 0
    .symbol:         _ZL20rocblas_gemvn_kernelILi64ELi4ElDF16_PKfDF16_EviiT3_lPKT2_lT1_lS5_lS6_lS2_lPT4_lS6_li.kd
    .uniform_work_group_size: 1
    .uses_dynamic_stack: false
    .vgpr_count:     56
    .vgpr_spill_count: 0
    .wavefront_size: 32
    .workgroup_processor_mode: 1
  - .args:
      - .offset:         0
        .size:           4
        .value_kind:     by_value
      - .offset:         4
        .size:           4
        .value_kind:     by_value
      - .offset:         8
        .size:           4
        .value_kind:     by_value
      - .offset:         16
        .size:           8
        .value_kind:     by_value
      - .address_space:  global
        .offset:         24
        .size:           8
        .value_kind:     global_buffer
      - .offset:         32
        .size:           8
        .value_kind:     by_value
      - .offset:         40
        .size:           4
        .value_kind:     by_value
      - .offset:         48
        .size:           8
        .value_kind:     by_value
      - .address_space:  global
        .offset:         56
        .size:           8
        .value_kind:     global_buffer
      - .offset:         64
        .size:           8
        .value_kind:     by_value
      - .offset:         72
        .size:           4
        .value_kind:     by_value
      - .offset:         80
        .size:           8
        .value_kind:     by_value
      - .offset:         88
        .size:           4
        .value_kind:     by_value
      - .offset:         96
        .size:           8
        .value_kind:     by_value
      - .address_space:  global
        .offset:         104
        .size:           8
        .value_kind:     global_buffer
      - .offset:         112
        .size:           8
        .value_kind:     by_value
      - .offset:         120
        .size:           4
        .value_kind:     by_value
      - .offset:         128
        .size:           8
        .value_kind:     by_value
      - .offset:         136
        .size:           4
        .value_kind:     by_value
      - .offset:         144
        .size:           4
        .value_kind:     hidden_block_count_x
      - .offset:         148
        .size:           4
        .value_kind:     hidden_block_count_y
      - .offset:         152
        .size:           4
        .value_kind:     hidden_block_count_z
      - .offset:         156
        .size:           2
        .value_kind:     hidden_group_size_x
      - .offset:         158
        .size:           2
        .value_kind:     hidden_group_size_y
      - .offset:         160
        .size:           2
        .value_kind:     hidden_group_size_z
      - .offset:         162
        .size:           2
        .value_kind:     hidden_remainder_x
      - .offset:         164
        .size:           2
        .value_kind:     hidden_remainder_y
      - .offset:         166
        .size:           2
        .value_kind:     hidden_remainder_z
      - .offset:         184
        .size:           8
        .value_kind:     hidden_global_offset_x
      - .offset:         192
        .size:           8
        .value_kind:     hidden_global_offset_y
      - .offset:         200
        .size:           8
        .value_kind:     hidden_global_offset_z
      - .offset:         208
        .size:           2
        .value_kind:     hidden_grid_dims
    .group_segment_fixed_size: 4096
    .kernarg_segment_align: 8
    .kernarg_segment_size: 400
    .language:       OpenCL C
    .language_version:
      - 2
      - 0
    .max_flat_workgroup_size: 256
    .name:           _ZL20rocblas_gemvn_kernelILi64ELi4EiDF16_fDF16_EviiT3_lPKT2_lT1_lS3_lS4_lS0_lPT4_lS4_li
    .private_segment_fixed_size: 0
    .sgpr_count:     30
    .sgpr_spill_count: 0
    .symbol:         _ZL20rocblas_gemvn_kernelILi64ELi4EiDF16_fDF16_EviiT3_lPKT2_lT1_lS3_lS4_lS0_lPT4_lS4_li.kd
    .uniform_work_group_size: 1
    .uses_dynamic_stack: false
    .vgpr_count:     46
    .vgpr_spill_count: 0
    .wavefront_size: 32
    .workgroup_processor_mode: 1
  - .args:
      - .offset:         0
        .size:           4
        .value_kind:     by_value
      - .offset:         4
        .size:           4
        .value_kind:     by_value
      - .offset:         8
        .size:           4
        .value_kind:     by_value
      - .offset:         16
        .size:           8
        .value_kind:     by_value
      - .address_space:  global
        .offset:         24
        .size:           8
        .value_kind:     global_buffer
      - .offset:         32
        .size:           8
        .value_kind:     by_value
      - .offset:         40
        .size:           8
        .value_kind:     by_value
      - .offset:         48
        .size:           8
        .value_kind:     by_value
      - .address_space:  global
        .offset:         56
        .size:           8
        .value_kind:     global_buffer
      - .offset:         64
        .size:           8
        .value_kind:     by_value
      - .offset:         72
        .size:           8
        .value_kind:     by_value
      - .offset:         80
        .size:           8
        .value_kind:     by_value
      - .offset:         88
        .size:           4
        .value_kind:     by_value
      - .offset:         96
        .size:           8
        .value_kind:     by_value
      - .address_space:  global
        .offset:         104
        .size:           8
        .value_kind:     global_buffer
      - .offset:         112
        .size:           8
        .value_kind:     by_value
      - .offset:         120
        .size:           8
        .value_kind:     by_value
      - .offset:         128
        .size:           8
        .value_kind:     by_value
      - .offset:         136
        .size:           4
        .value_kind:     by_value
      - .offset:         144
        .size:           4
        .value_kind:     hidden_block_count_x
      - .offset:         148
        .size:           4
        .value_kind:     hidden_block_count_y
      - .offset:         152
        .size:           4
        .value_kind:     hidden_block_count_z
      - .offset:         156
        .size:           2
        .value_kind:     hidden_group_size_x
      - .offset:         158
        .size:           2
        .value_kind:     hidden_group_size_y
      - .offset:         160
        .size:           2
        .value_kind:     hidden_group_size_z
      - .offset:         162
        .size:           2
        .value_kind:     hidden_remainder_x
      - .offset:         164
        .size:           2
        .value_kind:     hidden_remainder_y
      - .offset:         166
        .size:           2
        .value_kind:     hidden_remainder_z
      - .offset:         184
        .size:           8
        .value_kind:     hidden_global_offset_x
      - .offset:         192
        .size:           8
        .value_kind:     hidden_global_offset_y
      - .offset:         200
        .size:           8
        .value_kind:     hidden_global_offset_z
      - .offset:         208
        .size:           2
        .value_kind:     hidden_grid_dims
    .group_segment_fixed_size: 4096
    .kernarg_segment_align: 8
    .kernarg_segment_size: 400
    .language:       OpenCL C
    .language_version:
      - 2
      - 0
    .max_flat_workgroup_size: 256
    .name:           _ZL20rocblas_gemvn_kernelILi64ELi4ElDF16_fDF16_EviiT3_lPKT2_lT1_lS3_lS4_lS0_lPT4_lS4_li
    .private_segment_fixed_size: 0
    .sgpr_count:     45
    .sgpr_spill_count: 0
    .symbol:         _ZL20rocblas_gemvn_kernelILi64ELi4ElDF16_fDF16_EviiT3_lPKT2_lT1_lS3_lS4_lS0_lPT4_lS4_li.kd
    .uniform_work_group_size: 1
    .uses_dynamic_stack: false
    .vgpr_count:     56
    .vgpr_spill_count: 0
    .wavefront_size: 32
    .workgroup_processor_mode: 1
  - .args:
      - .offset:         0
        .size:           4
        .value_kind:     by_value
      - .offset:         4
        .size:           4
        .value_kind:     by_value
      - .address_space:  global
        .offset:         8
        .size:           8
        .value_kind:     global_buffer
      - .offset:         16
        .size:           8
        .value_kind:     by_value
      - .address_space:  global
        .offset:         24
        .size:           8
        .value_kind:     global_buffer
      - .offset:         32
        .size:           8
        .value_kind:     by_value
      - .offset:         40
        .size:           4
        .value_kind:     by_value
      - .offset:         48
        .size:           8
        .value_kind:     by_value
      - .address_space:  global
        .offset:         56
        .size:           8
        .value_kind:     global_buffer
      - .offset:         64
        .size:           8
        .value_kind:     by_value
      - .offset:         72
        .size:           4
        .value_kind:     by_value
      - .offset:         80
        .size:           8
        .value_kind:     by_value
      - .address_space:  global
        .offset:         88
        .size:           8
        .value_kind:     global_buffer
      - .offset:         96
        .size:           8
        .value_kind:     by_value
      - .address_space:  global
        .offset:         104
        .size:           8
        .value_kind:     global_buffer
      - .offset:         112
        .size:           8
        .value_kind:     by_value
      - .offset:         120
        .size:           4
        .value_kind:     by_value
      - .offset:         128
        .size:           8
        .value_kind:     by_value
      - .offset:         136
        .size:           4
        .value_kind:     by_value
      - .offset:         144
        .size:           4
        .value_kind:     hidden_block_count_x
      - .offset:         148
        .size:           4
        .value_kind:     hidden_block_count_y
      - .offset:         152
        .size:           4
        .value_kind:     hidden_block_count_z
      - .offset:         156
        .size:           2
        .value_kind:     hidden_group_size_x
      - .offset:         158
        .size:           2
        .value_kind:     hidden_group_size_y
      - .offset:         160
        .size:           2
        .value_kind:     hidden_group_size_z
      - .offset:         162
        .size:           2
        .value_kind:     hidden_remainder_x
      - .offset:         164
        .size:           2
        .value_kind:     hidden_remainder_y
      - .offset:         166
        .size:           2
        .value_kind:     hidden_remainder_z
      - .offset:         184
        .size:           8
        .value_kind:     hidden_global_offset_x
      - .offset:         192
        .size:           8
        .value_kind:     hidden_global_offset_y
      - .offset:         200
        .size:           8
        .value_kind:     hidden_global_offset_z
      - .offset:         208
        .size:           2
        .value_kind:     hidden_grid_dims
    .group_segment_fixed_size: 8192
    .kernarg_segment_align: 8
    .kernarg_segment_size: 400
    .language:       OpenCL C
    .language_version:
      - 2
      - 0
    .max_flat_workgroup_size: 512
    .name:           _ZL20rocblas_gemvn_kernelILi32ELi16EiDF16_PKfDF16_EviiT3_lPKT2_lT1_lS5_lS6_lS2_lPT4_lS6_li
    .private_segment_fixed_size: 0
    .sgpr_count:     30
    .sgpr_spill_count: 0
    .symbol:         _ZL20rocblas_gemvn_kernelILi32ELi16EiDF16_PKfDF16_EviiT3_lPKT2_lT1_lS5_lS6_lS2_lPT4_lS6_li.kd
    .uniform_work_group_size: 1
    .uses_dynamic_stack: false
    .vgpr_count:     46
    .vgpr_spill_count: 0
    .wavefront_size: 32
    .workgroup_processor_mode: 1
  - .args:
      - .offset:         0
        .size:           4
        .value_kind:     by_value
      - .offset:         4
        .size:           4
        .value_kind:     by_value
      - .address_space:  global
        .offset:         8
        .size:           8
        .value_kind:     global_buffer
      - .offset:         16
        .size:           8
        .value_kind:     by_value
      - .address_space:  global
        .offset:         24
        .size:           8
        .value_kind:     global_buffer
      - .offset:         32
        .size:           8
        .value_kind:     by_value
      - .offset:         40
        .size:           8
        .value_kind:     by_value
      - .offset:         48
        .size:           8
        .value_kind:     by_value
      - .address_space:  global
        .offset:         56
        .size:           8
        .value_kind:     global_buffer
      - .offset:         64
        .size:           8
        .value_kind:     by_value
      - .offset:         72
        .size:           8
        .value_kind:     by_value
      - .offset:         80
        .size:           8
        .value_kind:     by_value
      - .address_space:  global
        .offset:         88
        .size:           8
        .value_kind:     global_buffer
      - .offset:         96
        .size:           8
        .value_kind:     by_value
      - .address_space:  global
        .offset:         104
        .size:           8
        .value_kind:     global_buffer
      - .offset:         112
        .size:           8
        .value_kind:     by_value
      - .offset:         120
        .size:           8
        .value_kind:     by_value
      - .offset:         128
        .size:           8
        .value_kind:     by_value
      - .offset:         136
        .size:           4
        .value_kind:     by_value
      - .offset:         144
        .size:           4
        .value_kind:     hidden_block_count_x
      - .offset:         148
        .size:           4
        .value_kind:     hidden_block_count_y
      - .offset:         152
        .size:           4
        .value_kind:     hidden_block_count_z
      - .offset:         156
        .size:           2
        .value_kind:     hidden_group_size_x
      - .offset:         158
        .size:           2
        .value_kind:     hidden_group_size_y
      - .offset:         160
        .size:           2
        .value_kind:     hidden_group_size_z
      - .offset:         162
        .size:           2
        .value_kind:     hidden_remainder_x
      - .offset:         164
        .size:           2
        .value_kind:     hidden_remainder_y
      - .offset:         166
        .size:           2
        .value_kind:     hidden_remainder_z
      - .offset:         184
        .size:           8
        .value_kind:     hidden_global_offset_x
      - .offset:         192
        .size:           8
        .value_kind:     hidden_global_offset_y
      - .offset:         200
        .size:           8
        .value_kind:     hidden_global_offset_z
      - .offset:         208
        .size:           2
        .value_kind:     hidden_grid_dims
    .group_segment_fixed_size: 8192
    .kernarg_segment_align: 8
    .kernarg_segment_size: 400
    .language:       OpenCL C
    .language_version:
      - 2
      - 0
    .max_flat_workgroup_size: 512
    .name:           _ZL20rocblas_gemvn_kernelILi32ELi16ElDF16_PKfDF16_EviiT3_lPKT2_lT1_lS5_lS6_lS2_lPT4_lS6_li
    .private_segment_fixed_size: 0
    .sgpr_count:     54
    .sgpr_spill_count: 0
    .symbol:         _ZL20rocblas_gemvn_kernelILi32ELi16ElDF16_PKfDF16_EviiT3_lPKT2_lT1_lS5_lS6_lS2_lPT4_lS6_li.kd
    .uniform_work_group_size: 1
    .uses_dynamic_stack: false
    .vgpr_count:     56
    .vgpr_spill_count: 0
    .wavefront_size: 32
    .workgroup_processor_mode: 1
  - .args:
      - .offset:         0
        .size:           4
        .value_kind:     by_value
      - .offset:         4
        .size:           4
        .value_kind:     by_value
      - .offset:         8
        .size:           4
        .value_kind:     by_value
      - .offset:         16
        .size:           8
        .value_kind:     by_value
      - .address_space:  global
        .offset:         24
        .size:           8
        .value_kind:     global_buffer
      - .offset:         32
        .size:           8
        .value_kind:     by_value
      - .offset:         40
        .size:           4
        .value_kind:     by_value
      - .offset:         48
        .size:           8
        .value_kind:     by_value
      - .address_space:  global
        .offset:         56
        .size:           8
        .value_kind:     global_buffer
      - .offset:         64
        .size:           8
        .value_kind:     by_value
      - .offset:         72
        .size:           4
        .value_kind:     by_value
      - .offset:         80
        .size:           8
        .value_kind:     by_value
      - .offset:         88
        .size:           4
        .value_kind:     by_value
      - .offset:         96
        .size:           8
        .value_kind:     by_value
      - .address_space:  global
        .offset:         104
        .size:           8
        .value_kind:     global_buffer
      - .offset:         112
        .size:           8
        .value_kind:     by_value
      - .offset:         120
        .size:           4
        .value_kind:     by_value
      - .offset:         128
        .size:           8
        .value_kind:     by_value
      - .offset:         136
        .size:           4
        .value_kind:     by_value
      - .offset:         144
        .size:           4
        .value_kind:     hidden_block_count_x
      - .offset:         148
        .size:           4
        .value_kind:     hidden_block_count_y
      - .offset:         152
        .size:           4
        .value_kind:     hidden_block_count_z
      - .offset:         156
        .size:           2
        .value_kind:     hidden_group_size_x
      - .offset:         158
        .size:           2
        .value_kind:     hidden_group_size_y
      - .offset:         160
        .size:           2
        .value_kind:     hidden_group_size_z
      - .offset:         162
        .size:           2
        .value_kind:     hidden_remainder_x
      - .offset:         164
        .size:           2
        .value_kind:     hidden_remainder_y
      - .offset:         166
        .size:           2
        .value_kind:     hidden_remainder_z
      - .offset:         184
        .size:           8
        .value_kind:     hidden_global_offset_x
      - .offset:         192
        .size:           8
        .value_kind:     hidden_global_offset_y
      - .offset:         200
        .size:           8
        .value_kind:     hidden_global_offset_z
      - .offset:         208
        .size:           2
        .value_kind:     hidden_grid_dims
    .group_segment_fixed_size: 8192
    .kernarg_segment_align: 8
    .kernarg_segment_size: 400
    .language:       OpenCL C
    .language_version:
      - 2
      - 0
    .max_flat_workgroup_size: 512
    .name:           _ZL20rocblas_gemvn_kernelILi32ELi16EiDF16_fDF16_EviiT3_lPKT2_lT1_lS3_lS4_lS0_lPT4_lS4_li
    .private_segment_fixed_size: 0
    .sgpr_count:     30
    .sgpr_spill_count: 0
    .symbol:         _ZL20rocblas_gemvn_kernelILi32ELi16EiDF16_fDF16_EviiT3_lPKT2_lT1_lS3_lS4_lS0_lPT4_lS4_li.kd
    .uniform_work_group_size: 1
    .uses_dynamic_stack: false
    .vgpr_count:     46
    .vgpr_spill_count: 0
    .wavefront_size: 32
    .workgroup_processor_mode: 1
  - .args:
      - .offset:         0
        .size:           4
        .value_kind:     by_value
      - .offset:         4
        .size:           4
        .value_kind:     by_value
      - .offset:         8
        .size:           4
        .value_kind:     by_value
      - .offset:         16
        .size:           8
        .value_kind:     by_value
      - .address_space:  global
        .offset:         24
        .size:           8
        .value_kind:     global_buffer
      - .offset:         32
        .size:           8
        .value_kind:     by_value
      - .offset:         40
        .size:           8
        .value_kind:     by_value
      - .offset:         48
        .size:           8
        .value_kind:     by_value
      - .address_space:  global
        .offset:         56
        .size:           8
        .value_kind:     global_buffer
      - .offset:         64
        .size:           8
        .value_kind:     by_value
      - .offset:         72
        .size:           8
        .value_kind:     by_value
      - .offset:         80
        .size:           8
        .value_kind:     by_value
      - .offset:         88
        .size:           4
        .value_kind:     by_value
      - .offset:         96
        .size:           8
        .value_kind:     by_value
      - .address_space:  global
        .offset:         104
        .size:           8
        .value_kind:     global_buffer
      - .offset:         112
        .size:           8
        .value_kind:     by_value
      - .offset:         120
        .size:           8
        .value_kind:     by_value
      - .offset:         128
        .size:           8
        .value_kind:     by_value
      - .offset:         136
        .size:           4
        .value_kind:     by_value
      - .offset:         144
        .size:           4
        .value_kind:     hidden_block_count_x
      - .offset:         148
        .size:           4
        .value_kind:     hidden_block_count_y
      - .offset:         152
        .size:           4
        .value_kind:     hidden_block_count_z
      - .offset:         156
        .size:           2
        .value_kind:     hidden_group_size_x
      - .offset:         158
        .size:           2
        .value_kind:     hidden_group_size_y
      - .offset:         160
        .size:           2
        .value_kind:     hidden_group_size_z
      - .offset:         162
        .size:           2
        .value_kind:     hidden_remainder_x
      - .offset:         164
        .size:           2
        .value_kind:     hidden_remainder_y
      - .offset:         166
        .size:           2
        .value_kind:     hidden_remainder_z
      - .offset:         184
        .size:           8
        .value_kind:     hidden_global_offset_x
      - .offset:         192
        .size:           8
        .value_kind:     hidden_global_offset_y
      - .offset:         200
        .size:           8
        .value_kind:     hidden_global_offset_z
      - .offset:         208
        .size:           2
        .value_kind:     hidden_grid_dims
    .group_segment_fixed_size: 8192
    .kernarg_segment_align: 8
    .kernarg_segment_size: 400
    .language:       OpenCL C
    .language_version:
      - 2
      - 0
    .max_flat_workgroup_size: 512
    .name:           _ZL20rocblas_gemvn_kernelILi32ELi16ElDF16_fDF16_EviiT3_lPKT2_lT1_lS3_lS4_lS0_lPT4_lS4_li
    .private_segment_fixed_size: 0
    .sgpr_count:     45
    .sgpr_spill_count: 0
    .symbol:         _ZL20rocblas_gemvn_kernelILi32ELi16ElDF16_fDF16_EviiT3_lPKT2_lT1_lS3_lS4_lS0_lPT4_lS4_li.kd
    .uniform_work_group_size: 1
    .uses_dynamic_stack: false
    .vgpr_count:     56
    .vgpr_spill_count: 0
    .wavefront_size: 32
    .workgroup_processor_mode: 1
  - .args:
      - .offset:         0
        .size:           4
        .value_kind:     by_value
      - .offset:         4
        .size:           4
        .value_kind:     by_value
      - .address_space:  global
        .offset:         8
        .size:           8
        .value_kind:     global_buffer
      - .offset:         16
        .size:           8
        .value_kind:     by_value
      - .address_space:  global
        .offset:         24
        .size:           8
        .value_kind:     global_buffer
      - .offset:         32
        .size:           8
        .value_kind:     by_value
      - .offset:         40
        .size:           4
        .value_kind:     by_value
      - .offset:         48
        .size:           8
        .value_kind:     by_value
      - .address_space:  global
        .offset:         56
        .size:           8
        .value_kind:     global_buffer
      - .offset:         64
        .size:           8
        .value_kind:     by_value
      - .offset:         72
        .size:           4
        .value_kind:     by_value
      - .offset:         80
        .size:           8
        .value_kind:     by_value
      - .address_space:  global
        .offset:         88
        .size:           8
        .value_kind:     global_buffer
      - .offset:         96
        .size:           8
        .value_kind:     by_value
      - .address_space:  global
        .offset:         104
        .size:           8
        .value_kind:     global_buffer
      - .offset:         112
        .size:           8
        .value_kind:     by_value
      - .offset:         120
        .size:           4
        .value_kind:     by_value
      - .offset:         128
        .size:           8
        .value_kind:     by_value
      - .offset:         136
        .size:           4
        .value_kind:     by_value
      - .offset:         144
        .size:           4
        .value_kind:     hidden_block_count_x
      - .offset:         148
        .size:           4
        .value_kind:     hidden_block_count_y
      - .offset:         152
        .size:           4
        .value_kind:     hidden_block_count_z
      - .offset:         156
        .size:           2
        .value_kind:     hidden_group_size_x
      - .offset:         158
        .size:           2
        .value_kind:     hidden_group_size_y
      - .offset:         160
        .size:           2
        .value_kind:     hidden_group_size_z
      - .offset:         162
        .size:           2
        .value_kind:     hidden_remainder_x
      - .offset:         164
        .size:           2
        .value_kind:     hidden_remainder_y
      - .offset:         166
        .size:           2
        .value_kind:     hidden_remainder_z
      - .offset:         184
        .size:           8
        .value_kind:     hidden_global_offset_x
      - .offset:         192
        .size:           8
        .value_kind:     hidden_global_offset_y
      - .offset:         200
        .size:           8
        .value_kind:     hidden_global_offset_z
      - .offset:         208
        .size:           2
        .value_kind:     hidden_grid_dims
    .group_segment_fixed_size: 16384
    .kernarg_segment_align: 8
    .kernarg_segment_size: 400
    .language:       OpenCL C
    .language_version:
      - 2
      - 0
    .max_flat_workgroup_size: 1024
    .name:           _ZL20rocblas_gemvn_kernelILi64ELi16EiDF16_PKfDF16_EviiT3_lPKT2_lT1_lS5_lS6_lS2_lPT4_lS6_li
    .private_segment_fixed_size: 0
    .sgpr_count:     30
    .sgpr_spill_count: 0
    .symbol:         _ZL20rocblas_gemvn_kernelILi64ELi16EiDF16_PKfDF16_EviiT3_lPKT2_lT1_lS5_lS6_lS2_lPT4_lS6_li.kd
    .uniform_work_group_size: 1
    .uses_dynamic_stack: false
    .vgpr_count:     46
    .vgpr_spill_count: 0
    .wavefront_size: 32
    .workgroup_processor_mode: 1
  - .args:
      - .offset:         0
        .size:           4
        .value_kind:     by_value
      - .offset:         4
        .size:           4
        .value_kind:     by_value
      - .address_space:  global
        .offset:         8
        .size:           8
        .value_kind:     global_buffer
      - .offset:         16
        .size:           8
        .value_kind:     by_value
      - .address_space:  global
        .offset:         24
        .size:           8
        .value_kind:     global_buffer
      - .offset:         32
        .size:           8
        .value_kind:     by_value
      - .offset:         40
        .size:           8
        .value_kind:     by_value
      - .offset:         48
        .size:           8
        .value_kind:     by_value
      - .address_space:  global
        .offset:         56
        .size:           8
        .value_kind:     global_buffer
      - .offset:         64
        .size:           8
        .value_kind:     by_value
      - .offset:         72
        .size:           8
        .value_kind:     by_value
      - .offset:         80
        .size:           8
        .value_kind:     by_value
      - .address_space:  global
        .offset:         88
        .size:           8
        .value_kind:     global_buffer
      - .offset:         96
        .size:           8
        .value_kind:     by_value
      - .address_space:  global
        .offset:         104
        .size:           8
        .value_kind:     global_buffer
      - .offset:         112
        .size:           8
        .value_kind:     by_value
      - .offset:         120
        .size:           8
        .value_kind:     by_value
      - .offset:         128
        .size:           8
        .value_kind:     by_value
      - .offset:         136
        .size:           4
        .value_kind:     by_value
      - .offset:         144
        .size:           4
        .value_kind:     hidden_block_count_x
      - .offset:         148
        .size:           4
        .value_kind:     hidden_block_count_y
      - .offset:         152
        .size:           4
        .value_kind:     hidden_block_count_z
      - .offset:         156
        .size:           2
        .value_kind:     hidden_group_size_x
      - .offset:         158
        .size:           2
        .value_kind:     hidden_group_size_y
      - .offset:         160
        .size:           2
        .value_kind:     hidden_group_size_z
      - .offset:         162
        .size:           2
        .value_kind:     hidden_remainder_x
      - .offset:         164
        .size:           2
        .value_kind:     hidden_remainder_y
      - .offset:         166
        .size:           2
        .value_kind:     hidden_remainder_z
      - .offset:         184
        .size:           8
        .value_kind:     hidden_global_offset_x
      - .offset:         192
        .size:           8
        .value_kind:     hidden_global_offset_y
      - .offset:         200
        .size:           8
        .value_kind:     hidden_global_offset_z
      - .offset:         208
        .size:           2
        .value_kind:     hidden_grid_dims
    .group_segment_fixed_size: 16384
    .kernarg_segment_align: 8
    .kernarg_segment_size: 400
    .language:       OpenCL C
    .language_version:
      - 2
      - 0
    .max_flat_workgroup_size: 1024
    .name:           _ZL20rocblas_gemvn_kernelILi64ELi16ElDF16_PKfDF16_EviiT3_lPKT2_lT1_lS5_lS6_lS2_lPT4_lS6_li
    .private_segment_fixed_size: 0
    .sgpr_count:     54
    .sgpr_spill_count: 0
    .symbol:         _ZL20rocblas_gemvn_kernelILi64ELi16ElDF16_PKfDF16_EviiT3_lPKT2_lT1_lS5_lS6_lS2_lPT4_lS6_li.kd
    .uniform_work_group_size: 1
    .uses_dynamic_stack: false
    .vgpr_count:     56
    .vgpr_spill_count: 0
    .wavefront_size: 32
    .workgroup_processor_mode: 1
  - .args:
      - .offset:         0
        .size:           4
        .value_kind:     by_value
      - .offset:         4
        .size:           4
        .value_kind:     by_value
      - .offset:         8
        .size:           4
        .value_kind:     by_value
      - .offset:         16
        .size:           8
        .value_kind:     by_value
      - .address_space:  global
        .offset:         24
        .size:           8
        .value_kind:     global_buffer
      - .offset:         32
        .size:           8
        .value_kind:     by_value
      - .offset:         40
        .size:           4
        .value_kind:     by_value
      - .offset:         48
        .size:           8
        .value_kind:     by_value
      - .address_space:  global
        .offset:         56
        .size:           8
        .value_kind:     global_buffer
      - .offset:         64
        .size:           8
        .value_kind:     by_value
      - .offset:         72
        .size:           4
        .value_kind:     by_value
      - .offset:         80
        .size:           8
        .value_kind:     by_value
      - .offset:         88
        .size:           4
        .value_kind:     by_value
      - .offset:         96
        .size:           8
        .value_kind:     by_value
      - .address_space:  global
        .offset:         104
        .size:           8
        .value_kind:     global_buffer
      - .offset:         112
        .size:           8
        .value_kind:     by_value
      - .offset:         120
        .size:           4
        .value_kind:     by_value
      - .offset:         128
        .size:           8
        .value_kind:     by_value
      - .offset:         136
        .size:           4
        .value_kind:     by_value
      - .offset:         144
        .size:           4
        .value_kind:     hidden_block_count_x
      - .offset:         148
        .size:           4
        .value_kind:     hidden_block_count_y
      - .offset:         152
        .size:           4
        .value_kind:     hidden_block_count_z
      - .offset:         156
        .size:           2
        .value_kind:     hidden_group_size_x
      - .offset:         158
        .size:           2
        .value_kind:     hidden_group_size_y
      - .offset:         160
        .size:           2
        .value_kind:     hidden_group_size_z
      - .offset:         162
        .size:           2
        .value_kind:     hidden_remainder_x
      - .offset:         164
        .size:           2
        .value_kind:     hidden_remainder_y
      - .offset:         166
        .size:           2
        .value_kind:     hidden_remainder_z
      - .offset:         184
        .size:           8
        .value_kind:     hidden_global_offset_x
      - .offset:         192
        .size:           8
        .value_kind:     hidden_global_offset_y
      - .offset:         200
        .size:           8
        .value_kind:     hidden_global_offset_z
      - .offset:         208
        .size:           2
        .value_kind:     hidden_grid_dims
    .group_segment_fixed_size: 16384
    .kernarg_segment_align: 8
    .kernarg_segment_size: 400
    .language:       OpenCL C
    .language_version:
      - 2
      - 0
    .max_flat_workgroup_size: 1024
    .name:           _ZL20rocblas_gemvn_kernelILi64ELi16EiDF16_fDF16_EviiT3_lPKT2_lT1_lS3_lS4_lS0_lPT4_lS4_li
    .private_segment_fixed_size: 0
    .sgpr_count:     30
    .sgpr_spill_count: 0
    .symbol:         _ZL20rocblas_gemvn_kernelILi64ELi16EiDF16_fDF16_EviiT3_lPKT2_lT1_lS3_lS4_lS0_lPT4_lS4_li.kd
    .uniform_work_group_size: 1
    .uses_dynamic_stack: false
    .vgpr_count:     46
    .vgpr_spill_count: 0
    .wavefront_size: 32
    .workgroup_processor_mode: 1
  - .args:
      - .offset:         0
        .size:           4
        .value_kind:     by_value
      - .offset:         4
        .size:           4
        .value_kind:     by_value
      - .offset:         8
        .size:           4
        .value_kind:     by_value
      - .offset:         16
        .size:           8
        .value_kind:     by_value
      - .address_space:  global
        .offset:         24
        .size:           8
        .value_kind:     global_buffer
      - .offset:         32
        .size:           8
        .value_kind:     by_value
      - .offset:         40
        .size:           8
        .value_kind:     by_value
      - .offset:         48
        .size:           8
        .value_kind:     by_value
      - .address_space:  global
        .offset:         56
        .size:           8
        .value_kind:     global_buffer
      - .offset:         64
        .size:           8
        .value_kind:     by_value
      - .offset:         72
        .size:           8
        .value_kind:     by_value
      - .offset:         80
        .size:           8
        .value_kind:     by_value
      - .offset:         88
        .size:           4
        .value_kind:     by_value
      - .offset:         96
        .size:           8
        .value_kind:     by_value
      - .address_space:  global
        .offset:         104
        .size:           8
        .value_kind:     global_buffer
      - .offset:         112
        .size:           8
        .value_kind:     by_value
      - .offset:         120
        .size:           8
        .value_kind:     by_value
      - .offset:         128
        .size:           8
        .value_kind:     by_value
      - .offset:         136
        .size:           4
        .value_kind:     by_value
      - .offset:         144
        .size:           4
        .value_kind:     hidden_block_count_x
      - .offset:         148
        .size:           4
        .value_kind:     hidden_block_count_y
      - .offset:         152
        .size:           4
        .value_kind:     hidden_block_count_z
      - .offset:         156
        .size:           2
        .value_kind:     hidden_group_size_x
      - .offset:         158
        .size:           2
        .value_kind:     hidden_group_size_y
      - .offset:         160
        .size:           2
        .value_kind:     hidden_group_size_z
      - .offset:         162
        .size:           2
        .value_kind:     hidden_remainder_x
      - .offset:         164
        .size:           2
        .value_kind:     hidden_remainder_y
      - .offset:         166
        .size:           2
        .value_kind:     hidden_remainder_z
      - .offset:         184
        .size:           8
        .value_kind:     hidden_global_offset_x
      - .offset:         192
        .size:           8
        .value_kind:     hidden_global_offset_y
      - .offset:         200
        .size:           8
        .value_kind:     hidden_global_offset_z
      - .offset:         208
        .size:           2
        .value_kind:     hidden_grid_dims
    .group_segment_fixed_size: 16384
    .kernarg_segment_align: 8
    .kernarg_segment_size: 400
    .language:       OpenCL C
    .language_version:
      - 2
      - 0
    .max_flat_workgroup_size: 1024
    .name:           _ZL20rocblas_gemvn_kernelILi64ELi16ElDF16_fDF16_EviiT3_lPKT2_lT1_lS3_lS4_lS0_lPT4_lS4_li
    .private_segment_fixed_size: 0
    .sgpr_count:     45
    .sgpr_spill_count: 0
    .symbol:         _ZL20rocblas_gemvn_kernelILi64ELi16ElDF16_fDF16_EviiT3_lPKT2_lT1_lS3_lS4_lS0_lPT4_lS4_li.kd
    .uniform_work_group_size: 1
    .uses_dynamic_stack: false
    .vgpr_count:     56
    .vgpr_spill_count: 0
    .wavefront_size: 32
    .workgroup_processor_mode: 1
  - .args:
      - .offset:         0
        .size:           4
        .value_kind:     by_value
      - .offset:         4
        .size:           4
        .value_kind:     by_value
      - .address_space:  global
        .offset:         8
        .size:           8
        .value_kind:     global_buffer
      - .offset:         16
        .size:           8
        .value_kind:     by_value
      - .address_space:  global
        .offset:         24
        .size:           8
        .value_kind:     global_buffer
      - .offset:         32
        .size:           8
        .value_kind:     by_value
      - .offset:         40
        .size:           4
        .value_kind:     by_value
      - .offset:         48
        .size:           8
        .value_kind:     by_value
      - .address_space:  global
        .offset:         56
        .size:           8
        .value_kind:     global_buffer
      - .offset:         64
        .size:           8
        .value_kind:     by_value
      - .offset:         72
        .size:           4
        .value_kind:     by_value
      - .offset:         80
        .size:           8
        .value_kind:     by_value
      - .address_space:  global
        .offset:         88
        .size:           8
        .value_kind:     global_buffer
      - .offset:         96
        .size:           8
        .value_kind:     by_value
      - .address_space:  global
        .offset:         104
        .size:           8
        .value_kind:     global_buffer
      - .offset:         112
        .size:           8
        .value_kind:     by_value
      - .offset:         120
        .size:           4
        .value_kind:     by_value
      - .offset:         128
        .size:           8
        .value_kind:     by_value
    .group_segment_fixed_size: 256
    .kernarg_segment_align: 8
    .kernarg_segment_size: 136
    .language:       OpenCL C
    .language_version:
      - 2
      - 0
    .max_flat_workgroup_size: 256
    .name:           _ZL22rocblas_gemvtsm_kernelILb0ELi256EDF16_PKfDF16_EviiT2_lPKT1_lilS5_lilS2_lPT3_lil
    .private_segment_fixed_size: 0
    .sgpr_count:     31
    .sgpr_spill_count: 0
    .symbol:         _ZL22rocblas_gemvtsm_kernelILb0ELi256EDF16_PKfDF16_EviiT2_lPKT1_lilS5_lilS2_lPT3_lil.kd
    .uniform_work_group_size: 1
    .uses_dynamic_stack: false
    .vgpr_count:     22
    .vgpr_spill_count: 0
    .wavefront_size: 32
    .workgroup_processor_mode: 1
  - .args:
      - .offset:         0
        .size:           4
        .value_kind:     by_value
      - .offset:         4
        .size:           4
        .value_kind:     by_value
      - .offset:         8
        .size:           4
        .value_kind:     by_value
      - .offset:         16
        .size:           8
        .value_kind:     by_value
      - .address_space:  global
        .offset:         24
        .size:           8
        .value_kind:     global_buffer
      - .offset:         32
        .size:           8
        .value_kind:     by_value
      - .offset:         40
        .size:           4
        .value_kind:     by_value
      - .offset:         48
        .size:           8
        .value_kind:     by_value
      - .address_space:  global
        .offset:         56
        .size:           8
        .value_kind:     global_buffer
      - .offset:         64
        .size:           8
        .value_kind:     by_value
      - .offset:         72
        .size:           4
        .value_kind:     by_value
      - .offset:         80
        .size:           8
        .value_kind:     by_value
      - .offset:         88
        .size:           4
        .value_kind:     by_value
      - .offset:         96
        .size:           8
        .value_kind:     by_value
      - .address_space:  global
        .offset:         104
        .size:           8
        .value_kind:     global_buffer
      - .offset:         112
        .size:           8
        .value_kind:     by_value
      - .offset:         120
        .size:           4
        .value_kind:     by_value
      - .offset:         128
        .size:           8
        .value_kind:     by_value
    .group_segment_fixed_size: 256
    .kernarg_segment_align: 8
    .kernarg_segment_size: 136
    .language:       OpenCL C
    .language_version:
      - 2
      - 0
    .max_flat_workgroup_size: 256
    .name:           _ZL22rocblas_gemvtsm_kernelILb0ELi256EDF16_fDF16_EviiT2_lPKT1_lilS3_lilS0_lPT3_lil
    .private_segment_fixed_size: 0
    .sgpr_count:     28
    .sgpr_spill_count: 0
    .symbol:         _ZL22rocblas_gemvtsm_kernelILb0ELi256EDF16_fDF16_EviiT2_lPKT1_lilS3_lilS0_lPT3_lil.kd
    .uniform_work_group_size: 1
    .uses_dynamic_stack: false
    .vgpr_count:     22
    .vgpr_spill_count: 0
    .wavefront_size: 32
    .workgroup_processor_mode: 1
  - .args:
      - .offset:         0
        .size:           4
        .value_kind:     by_value
      - .offset:         4
        .size:           4
        .value_kind:     by_value
      - .address_space:  global
        .offset:         8
        .size:           8
        .value_kind:     global_buffer
      - .offset:         16
        .size:           8
        .value_kind:     by_value
      - .address_space:  global
        .offset:         24
        .size:           8
        .value_kind:     global_buffer
      - .offset:         32
        .size:           8
        .value_kind:     by_value
      - .offset:         40
        .size:           4
        .value_kind:     by_value
      - .offset:         48
        .size:           8
        .value_kind:     by_value
      - .address_space:  global
        .offset:         56
        .size:           8
        .value_kind:     global_buffer
      - .offset:         64
        .size:           8
        .value_kind:     by_value
      - .offset:         72
        .size:           4
        .value_kind:     by_value
      - .offset:         80
        .size:           8
        .value_kind:     by_value
      - .address_space:  global
        .offset:         88
        .size:           8
        .value_kind:     global_buffer
      - .offset:         96
        .size:           4
        .value_kind:     by_value
      - .offset:         104
        .size:           4
        .value_kind:     hidden_block_count_x
      - .offset:         108
        .size:           4
        .value_kind:     hidden_block_count_y
      - .offset:         112
        .size:           4
        .value_kind:     hidden_block_count_z
      - .offset:         116
        .size:           2
        .value_kind:     hidden_group_size_x
      - .offset:         118
        .size:           2
        .value_kind:     hidden_group_size_y
      - .offset:         120
        .size:           2
        .value_kind:     hidden_group_size_z
      - .offset:         122
        .size:           2
        .value_kind:     hidden_remainder_x
      - .offset:         124
        .size:           2
        .value_kind:     hidden_remainder_y
      - .offset:         126
        .size:           2
        .value_kind:     hidden_remainder_z
      - .offset:         144
        .size:           8
        .value_kind:     hidden_global_offset_x
      - .offset:         152
        .size:           8
        .value_kind:     hidden_global_offset_y
      - .offset:         160
        .size:           8
        .value_kind:     hidden_global_offset_z
      - .offset:         168
        .size:           2
        .value_kind:     hidden_grid_dims
    .group_segment_fixed_size: 128
    .kernarg_segment_align: 8
    .kernarg_segment_size: 360
    .language:       OpenCL C
    .language_version:
      - 2
      - 0
    .max_flat_workgroup_size: 256
    .name:           _ZL23rocblas_gemvt_sn_kernelILb0ELi256ELi4EiDF16_PKffEviiT4_lPKT3_lilS5_lilPT5_i
    .private_segment_fixed_size: 0
    .sgpr_count:     52
    .sgpr_spill_count: 0
    .symbol:         _ZL23rocblas_gemvt_sn_kernelILb0ELi256ELi4EiDF16_PKffEviiT4_lPKT3_lilS5_lilPT5_i.kd
    .uniform_work_group_size: 1
    .uses_dynamic_stack: false
    .vgpr_count:     48
    .vgpr_spill_count: 0
    .wavefront_size: 32
    .workgroup_processor_mode: 1
  - .args:
      - .offset:         0
        .size:           4
        .value_kind:     by_value
      - .offset:         4
        .size:           4
        .value_kind:     by_value
      - .address_space:  global
        .offset:         8
        .size:           8
        .value_kind:     global_buffer
      - .offset:         16
        .size:           8
        .value_kind:     by_value
      - .address_space:  global
        .offset:         24
        .size:           8
        .value_kind:     global_buffer
      - .offset:         32
        .size:           8
        .value_kind:     by_value
      - .offset:         40
        .size:           4
        .value_kind:     by_value
      - .offset:         48
        .size:           8
        .value_kind:     by_value
      - .address_space:  global
        .offset:         56
        .size:           8
        .value_kind:     global_buffer
      - .offset:         64
        .size:           8
        .value_kind:     by_value
      - .offset:         72
        .size:           4
        .value_kind:     by_value
      - .offset:         80
        .size:           8
        .value_kind:     by_value
      - .address_space:  global
        .offset:         88
        .size:           8
        .value_kind:     global_buffer
      - .offset:         96
        .size:           4
        .value_kind:     by_value
      - .offset:         104
        .size:           4
        .value_kind:     hidden_block_count_x
      - .offset:         108
        .size:           4
        .value_kind:     hidden_block_count_y
      - .offset:         112
        .size:           4
        .value_kind:     hidden_block_count_z
      - .offset:         116
        .size:           2
        .value_kind:     hidden_group_size_x
      - .offset:         118
        .size:           2
        .value_kind:     hidden_group_size_y
      - .offset:         120
        .size:           2
        .value_kind:     hidden_group_size_z
      - .offset:         122
        .size:           2
        .value_kind:     hidden_remainder_x
      - .offset:         124
        .size:           2
        .value_kind:     hidden_remainder_y
      - .offset:         126
        .size:           2
        .value_kind:     hidden_remainder_z
      - .offset:         144
        .size:           8
        .value_kind:     hidden_global_offset_x
      - .offset:         152
        .size:           8
        .value_kind:     hidden_global_offset_y
      - .offset:         160
        .size:           8
        .value_kind:     hidden_global_offset_z
      - .offset:         168
        .size:           2
        .value_kind:     hidden_grid_dims
    .group_segment_fixed_size: 128
    .kernarg_segment_align: 8
    .kernarg_segment_size: 360
    .language:       OpenCL C
    .language_version:
      - 2
      - 0
    .max_flat_workgroup_size: 256
    .name:           _ZL23rocblas_gemvt_sn_kernelILb0ELi256ELi4ElDF16_PKffEviiT4_lPKT3_lilS5_lilPT5_i
    .private_segment_fixed_size: 0
    .sgpr_count:     58
    .sgpr_spill_count: 0
    .symbol:         _ZL23rocblas_gemvt_sn_kernelILb0ELi256ELi4ElDF16_PKffEviiT4_lPKT3_lilS5_lilPT5_i.kd
    .uniform_work_group_size: 1
    .uses_dynamic_stack: false
    .vgpr_count:     51
    .vgpr_spill_count: 0
    .wavefront_size: 32
    .workgroup_processor_mode: 1
  - .args:
      - .offset:         0
        .size:           4
        .value_kind:     by_value
      - .address_space:  global
        .offset:         8
        .size:           8
        .value_kind:     global_buffer
      - .offset:         16
        .size:           8
        .value_kind:     by_value
      - .address_space:  global
        .offset:         24
        .size:           8
        .value_kind:     global_buffer
      - .offset:         32
        .size:           8
        .value_kind:     by_value
      - .offset:         40
        .size:           4
        .value_kind:     by_value
      - .offset:         48
        .size:           8
        .value_kind:     by_value
      - .actual_access:  read_only
        .address_space:  global
        .offset:         56
        .size:           8
        .value_kind:     global_buffer
      - .offset:         64
        .size:           4
        .value_kind:     by_value
      - .offset:         72
        .size:           4
        .value_kind:     hidden_block_count_x
      - .offset:         76
        .size:           4
        .value_kind:     hidden_block_count_y
      - .offset:         80
        .size:           4
        .value_kind:     hidden_block_count_z
      - .offset:         84
        .size:           2
        .value_kind:     hidden_group_size_x
      - .offset:         86
        .size:           2
        .value_kind:     hidden_group_size_y
      - .offset:         88
        .size:           2
        .value_kind:     hidden_group_size_z
      - .offset:         90
        .size:           2
        .value_kind:     hidden_remainder_x
      - .offset:         92
        .size:           2
        .value_kind:     hidden_remainder_y
      - .offset:         94
        .size:           2
        .value_kind:     hidden_remainder_z
      - .offset:         112
        .size:           8
        .value_kind:     hidden_global_offset_x
      - .offset:         120
        .size:           8
        .value_kind:     hidden_global_offset_y
      - .offset:         128
        .size:           8
        .value_kind:     hidden_global_offset_z
      - .offset:         136
        .size:           2
        .value_kind:     hidden_grid_dims
    .group_segment_fixed_size: 128
    .kernarg_segment_align: 8
    .kernarg_segment_size: 328
    .language:       OpenCL C
    .language_version:
      - 2
      - 0
    .max_flat_workgroup_size: 256
    .name:           _ZL23rocblas_gemvt_sn_reduceILi256ELi8EfPKfDF16_EviT2_lPT3_lilPT1_i
    .private_segment_fixed_size: 0
    .sgpr_count:     24
    .sgpr_spill_count: 0
    .symbol:         _ZL23rocblas_gemvt_sn_reduceILi256ELi8EfPKfDF16_EviT2_lPT3_lilPT1_i.kd
    .uniform_work_group_size: 1
    .uses_dynamic_stack: false
    .vgpr_count:     13
    .vgpr_spill_count: 0
    .wavefront_size: 32
    .workgroup_processor_mode: 1
  - .args:
      - .offset:         0
        .size:           4
        .value_kind:     by_value
      - .offset:         4
        .size:           4
        .value_kind:     by_value
      - .offset:         8
        .size:           4
        .value_kind:     by_value
      - .offset:         16
        .size:           8
        .value_kind:     by_value
      - .address_space:  global
        .offset:         24
        .size:           8
        .value_kind:     global_buffer
      - .offset:         32
        .size:           8
        .value_kind:     by_value
      - .offset:         40
        .size:           4
        .value_kind:     by_value
      - .offset:         48
        .size:           8
        .value_kind:     by_value
      - .address_space:  global
        .offset:         56
        .size:           8
        .value_kind:     global_buffer
      - .offset:         64
        .size:           8
        .value_kind:     by_value
      - .offset:         72
        .size:           4
        .value_kind:     by_value
      - .offset:         80
        .size:           8
        .value_kind:     by_value
      - .address_space:  global
        .offset:         88
        .size:           8
        .value_kind:     global_buffer
      - .offset:         96
        .size:           4
        .value_kind:     by_value
      - .offset:         104
        .size:           4
        .value_kind:     hidden_block_count_x
      - .offset:         108
        .size:           4
        .value_kind:     hidden_block_count_y
      - .offset:         112
        .size:           4
        .value_kind:     hidden_block_count_z
      - .offset:         116
        .size:           2
        .value_kind:     hidden_group_size_x
      - .offset:         118
        .size:           2
        .value_kind:     hidden_group_size_y
      - .offset:         120
        .size:           2
        .value_kind:     hidden_group_size_z
      - .offset:         122
        .size:           2
        .value_kind:     hidden_remainder_x
      - .offset:         124
        .size:           2
        .value_kind:     hidden_remainder_y
      - .offset:         126
        .size:           2
        .value_kind:     hidden_remainder_z
      - .offset:         144
        .size:           8
        .value_kind:     hidden_global_offset_x
      - .offset:         152
        .size:           8
        .value_kind:     hidden_global_offset_y
      - .offset:         160
        .size:           8
        .value_kind:     hidden_global_offset_z
      - .offset:         168
        .size:           2
        .value_kind:     hidden_grid_dims
    .group_segment_fixed_size: 128
    .kernarg_segment_align: 8
    .kernarg_segment_size: 360
    .language:       OpenCL C
    .language_version:
      - 2
      - 0
    .max_flat_workgroup_size: 256
    .name:           _ZL23rocblas_gemvt_sn_kernelILb0ELi256ELi4EiDF16_ffEviiT4_lPKT3_lilS3_lilPT5_i
    .private_segment_fixed_size: 0
    .sgpr_count:     52
    .sgpr_spill_count: 0
    .symbol:         _ZL23rocblas_gemvt_sn_kernelILb0ELi256ELi4EiDF16_ffEviiT4_lPKT3_lilS3_lilPT5_i.kd
    .uniform_work_group_size: 1
    .uses_dynamic_stack: false
    .vgpr_count:     48
    .vgpr_spill_count: 0
    .wavefront_size: 32
    .workgroup_processor_mode: 1
  - .args:
      - .offset:         0
        .size:           4
        .value_kind:     by_value
      - .offset:         4
        .size:           4
        .value_kind:     by_value
      - .offset:         8
        .size:           4
        .value_kind:     by_value
      - .offset:         16
        .size:           8
        .value_kind:     by_value
      - .address_space:  global
        .offset:         24
        .size:           8
        .value_kind:     global_buffer
      - .offset:         32
        .size:           8
        .value_kind:     by_value
      - .offset:         40
        .size:           4
        .value_kind:     by_value
      - .offset:         48
        .size:           8
        .value_kind:     by_value
      - .address_space:  global
        .offset:         56
        .size:           8
        .value_kind:     global_buffer
      - .offset:         64
        .size:           8
        .value_kind:     by_value
      - .offset:         72
        .size:           4
        .value_kind:     by_value
      - .offset:         80
        .size:           8
        .value_kind:     by_value
      - .address_space:  global
        .offset:         88
        .size:           8
        .value_kind:     global_buffer
      - .offset:         96
        .size:           4
        .value_kind:     by_value
      - .offset:         104
        .size:           4
        .value_kind:     hidden_block_count_x
      - .offset:         108
        .size:           4
        .value_kind:     hidden_block_count_y
      - .offset:         112
        .size:           4
        .value_kind:     hidden_block_count_z
      - .offset:         116
        .size:           2
        .value_kind:     hidden_group_size_x
      - .offset:         118
        .size:           2
        .value_kind:     hidden_group_size_y
      - .offset:         120
        .size:           2
        .value_kind:     hidden_group_size_z
      - .offset:         122
        .size:           2
        .value_kind:     hidden_remainder_x
      - .offset:         124
        .size:           2
        .value_kind:     hidden_remainder_y
      - .offset:         126
        .size:           2
        .value_kind:     hidden_remainder_z
      - .offset:         144
        .size:           8
        .value_kind:     hidden_global_offset_x
      - .offset:         152
        .size:           8
        .value_kind:     hidden_global_offset_y
      - .offset:         160
        .size:           8
        .value_kind:     hidden_global_offset_z
      - .offset:         168
        .size:           2
        .value_kind:     hidden_grid_dims
    .group_segment_fixed_size: 128
    .kernarg_segment_align: 8
    .kernarg_segment_size: 360
    .language:       OpenCL C
    .language_version:
      - 2
      - 0
    .max_flat_workgroup_size: 256
    .name:           _ZL23rocblas_gemvt_sn_kernelILb0ELi256ELi4ElDF16_ffEviiT4_lPKT3_lilS3_lilPT5_i
    .private_segment_fixed_size: 0
    .sgpr_count:     58
    .sgpr_spill_count: 0
    .symbol:         _ZL23rocblas_gemvt_sn_kernelILb0ELi256ELi4ElDF16_ffEviiT4_lPKT3_lilS3_lilPT5_i.kd
    .uniform_work_group_size: 1
    .uses_dynamic_stack: false
    .vgpr_count:     51
    .vgpr_spill_count: 0
    .wavefront_size: 32
    .workgroup_processor_mode: 1
  - .args:
      - .offset:         0
        .size:           4
        .value_kind:     by_value
      - .offset:         4
        .size:           4
        .value_kind:     by_value
      - .offset:         8
        .size:           8
        .value_kind:     by_value
      - .address_space:  global
        .offset:         16
        .size:           8
        .value_kind:     global_buffer
      - .offset:         24
        .size:           8
        .value_kind:     by_value
      - .offset:         32
        .size:           4
        .value_kind:     by_value
      - .offset:         40
        .size:           8
        .value_kind:     by_value
      - .actual_access:  read_only
        .address_space:  global
        .offset:         48
        .size:           8
        .value_kind:     global_buffer
      - .offset:         56
        .size:           4
        .value_kind:     by_value
      - .offset:         64
        .size:           4
        .value_kind:     hidden_block_count_x
      - .offset:         68
        .size:           4
        .value_kind:     hidden_block_count_y
      - .offset:         72
        .size:           4
        .value_kind:     hidden_block_count_z
      - .offset:         76
        .size:           2
        .value_kind:     hidden_group_size_x
      - .offset:         78
        .size:           2
        .value_kind:     hidden_group_size_y
      - .offset:         80
        .size:           2
        .value_kind:     hidden_group_size_z
      - .offset:         82
        .size:           2
        .value_kind:     hidden_remainder_x
      - .offset:         84
        .size:           2
        .value_kind:     hidden_remainder_y
      - .offset:         86
        .size:           2
        .value_kind:     hidden_remainder_z
      - .offset:         104
        .size:           8
        .value_kind:     hidden_global_offset_x
      - .offset:         112
        .size:           8
        .value_kind:     hidden_global_offset_y
      - .offset:         120
        .size:           8
        .value_kind:     hidden_global_offset_z
      - .offset:         128
        .size:           2
        .value_kind:     hidden_grid_dims
    .group_segment_fixed_size: 128
    .kernarg_segment_align: 8
    .kernarg_segment_size: 320
    .language:       OpenCL C
    .language_version:
      - 2
      - 0
    .max_flat_workgroup_size: 256
    .name:           _ZL23rocblas_gemvt_sn_reduceILi256ELi8EffDF16_EviT2_lPT3_lilPT1_i
    .private_segment_fixed_size: 0
    .sgpr_count:     18
    .sgpr_spill_count: 0
    .symbol:         _ZL23rocblas_gemvt_sn_reduceILi256ELi8EffDF16_EviT2_lPT3_lilPT1_i.kd
    .uniform_work_group_size: 1
    .uses_dynamic_stack: false
    .vgpr_count:     13
    .vgpr_spill_count: 0
    .wavefront_size: 32
    .workgroup_processor_mode: 1
  - .args:
      - .offset:         0
        .size:           4
        .value_kind:     by_value
      - .offset:         4
        .size:           4
        .value_kind:     by_value
      - .address_space:  global
        .offset:         8
        .size:           8
        .value_kind:     global_buffer
      - .offset:         16
        .size:           8
        .value_kind:     by_value
      - .address_space:  global
        .offset:         24
        .size:           8
        .value_kind:     global_buffer
      - .offset:         32
        .size:           8
        .value_kind:     by_value
      - .offset:         40
        .size:           4
        .value_kind:     by_value
      - .offset:         48
        .size:           8
        .value_kind:     by_value
      - .address_space:  global
        .offset:         56
        .size:           8
        .value_kind:     global_buffer
      - .offset:         64
        .size:           8
        .value_kind:     by_value
      - .offset:         72
        .size:           4
        .value_kind:     by_value
      - .offset:         80
        .size:           8
        .value_kind:     by_value
      - .address_space:  global
        .offset:         88
        .size:           8
        .value_kind:     global_buffer
      - .offset:         96
        .size:           8
        .value_kind:     by_value
      - .address_space:  global
        .offset:         104
        .size:           8
        .value_kind:     global_buffer
      - .offset:         112
        .size:           8
        .value_kind:     by_value
      - .offset:         120
        .size:           4
        .value_kind:     by_value
      - .offset:         128
        .size:           8
        .value_kind:     by_value
      - .offset:         136
        .size:           4
        .value_kind:     by_value
    .group_segment_fixed_size: 128
    .kernarg_segment_align: 8
    .kernarg_segment_size: 140
    .language:       OpenCL C
    .language_version:
      - 2
      - 0
    .max_flat_workgroup_size: 256
    .name:           _ZL32rocblas_gemvt_warp_reduce_kernelILb0ELi256EiDF16_PKfDF16_EviiT3_lPKT2_lT1_lS5_lS6_lS2_lPT4_lS6_li
    .private_segment_fixed_size: 0
    .sgpr_count:     28
    .sgpr_spill_count: 0
    .symbol:         _ZL32rocblas_gemvt_warp_reduce_kernelILb0ELi256EiDF16_PKfDF16_EviiT3_lPKT2_lT1_lS5_lS6_lS2_lPT4_lS6_li.kd
    .uniform_work_group_size: 1
    .uses_dynamic_stack: false
    .vgpr_count:     11
    .vgpr_spill_count: 0
    .wavefront_size: 32
    .workgroup_processor_mode: 1
  - .args:
      - .offset:         0
        .size:           4
        .value_kind:     by_value
      - .offset:         4
        .size:           4
        .value_kind:     by_value
      - .address_space:  global
        .offset:         8
        .size:           8
        .value_kind:     global_buffer
      - .offset:         16
        .size:           8
        .value_kind:     by_value
      - .address_space:  global
        .offset:         24
        .size:           8
        .value_kind:     global_buffer
      - .offset:         32
        .size:           8
        .value_kind:     by_value
      - .offset:         40
        .size:           8
        .value_kind:     by_value
      - .offset:         48
        .size:           8
        .value_kind:     by_value
      - .address_space:  global
        .offset:         56
        .size:           8
        .value_kind:     global_buffer
      - .offset:         64
        .size:           8
        .value_kind:     by_value
      - .offset:         72
        .size:           8
        .value_kind:     by_value
      - .offset:         80
        .size:           8
        .value_kind:     by_value
      - .address_space:  global
        .offset:         88
        .size:           8
        .value_kind:     global_buffer
      - .offset:         96
        .size:           8
        .value_kind:     by_value
      - .address_space:  global
        .offset:         104
        .size:           8
        .value_kind:     global_buffer
      - .offset:         112
        .size:           8
        .value_kind:     by_value
      - .offset:         120
        .size:           8
        .value_kind:     by_value
      - .offset:         128
        .size:           8
        .value_kind:     by_value
      - .offset:         136
        .size:           4
        .value_kind:     by_value
    .group_segment_fixed_size: 128
    .kernarg_segment_align: 8
    .kernarg_segment_size: 140
    .language:       OpenCL C
    .language_version:
      - 2
      - 0
    .max_flat_workgroup_size: 256
    .name:           _ZL32rocblas_gemvt_warp_reduce_kernelILb0ELi256ElDF16_PKfDF16_EviiT3_lPKT2_lT1_lS5_lS6_lS2_lPT4_lS6_li
    .private_segment_fixed_size: 0
    .sgpr_count:     54
    .sgpr_spill_count: 0
    .symbol:         _ZL32rocblas_gemvt_warp_reduce_kernelILb0ELi256ElDF16_PKfDF16_EviiT3_lPKT2_lT1_lS5_lS6_lS2_lPT4_lS6_li.kd
    .uniform_work_group_size: 1
    .uses_dynamic_stack: false
    .vgpr_count:     11
    .vgpr_spill_count: 0
    .wavefront_size: 32
    .workgroup_processor_mode: 1
  - .args:
      - .offset:         0
        .size:           4
        .value_kind:     by_value
      - .offset:         4
        .size:           4
        .value_kind:     by_value
      - .offset:         8
        .size:           4
        .value_kind:     by_value
      - .offset:         16
        .size:           8
        .value_kind:     by_value
      - .address_space:  global
        .offset:         24
        .size:           8
        .value_kind:     global_buffer
      - .offset:         32
        .size:           8
        .value_kind:     by_value
      - .offset:         40
        .size:           4
        .value_kind:     by_value
      - .offset:         48
        .size:           8
        .value_kind:     by_value
      - .address_space:  global
        .offset:         56
        .size:           8
        .value_kind:     global_buffer
      - .offset:         64
        .size:           8
        .value_kind:     by_value
      - .offset:         72
        .size:           4
        .value_kind:     by_value
      - .offset:         80
        .size:           8
        .value_kind:     by_value
      - .offset:         88
        .size:           4
        .value_kind:     by_value
      - .offset:         96
        .size:           8
        .value_kind:     by_value
      - .address_space:  global
        .offset:         104
        .size:           8
        .value_kind:     global_buffer
      - .offset:         112
        .size:           8
        .value_kind:     by_value
      - .offset:         120
        .size:           4
        .value_kind:     by_value
      - .offset:         128
        .size:           8
        .value_kind:     by_value
      - .offset:         136
        .size:           4
        .value_kind:     by_value
    .group_segment_fixed_size: 128
    .kernarg_segment_align: 8
    .kernarg_segment_size: 140
    .language:       OpenCL C
    .language_version:
      - 2
      - 0
    .max_flat_workgroup_size: 256
    .name:           _ZL32rocblas_gemvt_warp_reduce_kernelILb0ELi256EiDF16_fDF16_EviiT3_lPKT2_lT1_lS3_lS4_lS0_lPT4_lS4_li
    .private_segment_fixed_size: 0
    .sgpr_count:     27
    .sgpr_spill_count: 0
    .symbol:         _ZL32rocblas_gemvt_warp_reduce_kernelILb0ELi256EiDF16_fDF16_EviiT3_lPKT2_lT1_lS3_lS4_lS0_lPT4_lS4_li.kd
    .uniform_work_group_size: 1
    .uses_dynamic_stack: false
    .vgpr_count:     11
    .vgpr_spill_count: 0
    .wavefront_size: 32
    .workgroup_processor_mode: 1
  - .args:
      - .offset:         0
        .size:           4
        .value_kind:     by_value
      - .offset:         4
        .size:           4
        .value_kind:     by_value
      - .offset:         8
        .size:           4
        .value_kind:     by_value
      - .offset:         16
        .size:           8
        .value_kind:     by_value
      - .address_space:  global
        .offset:         24
        .size:           8
        .value_kind:     global_buffer
      - .offset:         32
        .size:           8
        .value_kind:     by_value
      - .offset:         40
        .size:           8
        .value_kind:     by_value
      - .offset:         48
        .size:           8
        .value_kind:     by_value
      - .address_space:  global
        .offset:         56
        .size:           8
        .value_kind:     global_buffer
      - .offset:         64
        .size:           8
        .value_kind:     by_value
      - .offset:         72
        .size:           8
        .value_kind:     by_value
      - .offset:         80
        .size:           8
        .value_kind:     by_value
      - .offset:         88
        .size:           4
        .value_kind:     by_value
      - .offset:         96
        .size:           8
        .value_kind:     by_value
      - .address_space:  global
        .offset:         104
        .size:           8
        .value_kind:     global_buffer
      - .offset:         112
        .size:           8
        .value_kind:     by_value
      - .offset:         120
        .size:           8
        .value_kind:     by_value
      - .offset:         128
        .size:           8
        .value_kind:     by_value
      - .offset:         136
        .size:           4
        .value_kind:     by_value
    .group_segment_fixed_size: 128
    .kernarg_segment_align: 8
    .kernarg_segment_size: 140
    .language:       OpenCL C
    .language_version:
      - 2
      - 0
    .max_flat_workgroup_size: 256
    .name:           _ZL32rocblas_gemvt_warp_reduce_kernelILb0ELi256ElDF16_fDF16_EviiT3_lPKT2_lT1_lS3_lS4_lS0_lPT4_lS4_li
    .private_segment_fixed_size: 0
    .sgpr_count:     38
    .sgpr_spill_count: 0
    .symbol:         _ZL32rocblas_gemvt_warp_reduce_kernelILb0ELi256ElDF16_fDF16_EviiT3_lPKT2_lT1_lS3_lS4_lS0_lPT4_lS4_li.kd
    .uniform_work_group_size: 1
    .uses_dynamic_stack: false
    .vgpr_count:     11
    .vgpr_spill_count: 0
    .wavefront_size: 32
    .workgroup_processor_mode: 1
  - .args:
      - .offset:         0
        .size:           4
        .value_kind:     by_value
      - .offset:         4
        .size:           4
        .value_kind:     by_value
      - .address_space:  global
        .offset:         8
        .size:           8
        .value_kind:     global_buffer
      - .offset:         16
        .size:           8
        .value_kind:     by_value
      - .address_space:  global
        .offset:         24
        .size:           8
        .value_kind:     global_buffer
      - .offset:         32
        .size:           8
        .value_kind:     by_value
      - .offset:         40
        .size:           4
        .value_kind:     by_value
      - .offset:         48
        .size:           8
        .value_kind:     by_value
      - .address_space:  global
        .offset:         56
        .size:           8
        .value_kind:     global_buffer
      - .offset:         64
        .size:           8
        .value_kind:     by_value
      - .offset:         72
        .size:           4
        .value_kind:     by_value
      - .offset:         80
        .size:           8
        .value_kind:     by_value
      - .address_space:  global
        .offset:         88
        .size:           8
        .value_kind:     global_buffer
      - .offset:         96
        .size:           8
        .value_kind:     by_value
      - .address_space:  global
        .offset:         104
        .size:           8
        .value_kind:     global_buffer
      - .offset:         112
        .size:           8
        .value_kind:     by_value
      - .offset:         120
        .size:           4
        .value_kind:     by_value
      - .offset:         128
        .size:           8
        .value_kind:     by_value
      - .offset:         136
        .size:           4
        .value_kind:     by_value
    .group_segment_fixed_size: 1024
    .kernarg_segment_align: 8
    .kernarg_segment_size: 140
    .language:       OpenCL C
    .language_version:
      - 2
      - 0
    .max_flat_workgroup_size: 256
    .name:           _ZL20rocblas_gemvt_kernelILb0ELi256EDF16_PKfDF16_EviiT2_lPKT1_lilS5_lilS2_lPT3_lili
    .private_segment_fixed_size: 0
    .sgpr_count:     28
    .sgpr_spill_count: 0
    .symbol:         _ZL20rocblas_gemvt_kernelILb0ELi256EDF16_PKfDF16_EviiT2_lPKT1_lilS5_lilS2_lPT3_lili.kd
    .uniform_work_group_size: 1
    .uses_dynamic_stack: false
    .vgpr_count:     10
    .vgpr_spill_count: 0
    .wavefront_size: 32
    .workgroup_processor_mode: 1
  - .args:
      - .offset:         0
        .size:           4
        .value_kind:     by_value
      - .offset:         4
        .size:           4
        .value_kind:     by_value
      - .offset:         8
        .size:           4
        .value_kind:     by_value
      - .offset:         16
        .size:           8
        .value_kind:     by_value
      - .address_space:  global
        .offset:         24
        .size:           8
        .value_kind:     global_buffer
      - .offset:         32
        .size:           8
        .value_kind:     by_value
      - .offset:         40
        .size:           4
        .value_kind:     by_value
      - .offset:         48
        .size:           8
        .value_kind:     by_value
      - .address_space:  global
        .offset:         56
        .size:           8
        .value_kind:     global_buffer
      - .offset:         64
        .size:           8
        .value_kind:     by_value
      - .offset:         72
        .size:           4
        .value_kind:     by_value
      - .offset:         80
        .size:           8
        .value_kind:     by_value
      - .offset:         88
        .size:           4
        .value_kind:     by_value
      - .offset:         96
        .size:           8
        .value_kind:     by_value
      - .address_space:  global
        .offset:         104
        .size:           8
        .value_kind:     global_buffer
      - .offset:         112
        .size:           8
        .value_kind:     by_value
      - .offset:         120
        .size:           4
        .value_kind:     by_value
      - .offset:         128
        .size:           8
        .value_kind:     by_value
      - .offset:         136
        .size:           4
        .value_kind:     by_value
    .group_segment_fixed_size: 1024
    .kernarg_segment_align: 8
    .kernarg_segment_size: 140
    .language:       OpenCL C
    .language_version:
      - 2
      - 0
    .max_flat_workgroup_size: 256
    .name:           _ZL20rocblas_gemvt_kernelILb0ELi256EDF16_fDF16_EviiT2_lPKT1_lilS3_lilS0_lPT3_lili
    .private_segment_fixed_size: 0
    .sgpr_count:     30
    .sgpr_spill_count: 0
    .symbol:         _ZL20rocblas_gemvt_kernelILb0ELi256EDF16_fDF16_EviiT2_lPKT1_lilS3_lilS0_lPT3_lili.kd
    .uniform_work_group_size: 1
    .uses_dynamic_stack: false
    .vgpr_count:     10
    .vgpr_spill_count: 0
    .wavefront_size: 32
    .workgroup_processor_mode: 1
  - .args:
      - .offset:         0
        .size:           4
        .value_kind:     by_value
      - .offset:         4
        .size:           4
        .value_kind:     by_value
      - .address_space:  global
        .offset:         8
        .size:           8
        .value_kind:     global_buffer
      - .offset:         16
        .size:           8
        .value_kind:     by_value
      - .address_space:  global
        .offset:         24
        .size:           8
        .value_kind:     global_buffer
      - .offset:         32
        .size:           8
        .value_kind:     by_value
      - .offset:         40
        .size:           4
        .value_kind:     by_value
      - .offset:         48
        .size:           8
        .value_kind:     by_value
      - .address_space:  global
        .offset:         56
        .size:           8
        .value_kind:     global_buffer
      - .offset:         64
        .size:           8
        .value_kind:     by_value
      - .offset:         72
        .size:           4
        .value_kind:     by_value
      - .offset:         80
        .size:           8
        .value_kind:     by_value
      - .address_space:  global
        .offset:         88
        .size:           8
        .value_kind:     global_buffer
      - .offset:         96
        .size:           8
        .value_kind:     by_value
      - .address_space:  global
        .offset:         104
        .size:           8
        .value_kind:     global_buffer
      - .offset:         112
        .size:           8
        .value_kind:     by_value
      - .offset:         120
        .size:           4
        .value_kind:     by_value
      - .offset:         128
        .size:           8
        .value_kind:     by_value
      - .offset:         136
        .size:           4
        .value_kind:     by_value
    .group_segment_fixed_size: 128
    .kernarg_segment_align: 8
    .kernarg_segment_size: 140
    .language:       OpenCL C
    .language_version:
      - 2
      - 0
    .max_flat_workgroup_size: 1024
    .name:           _ZL32rocblas_gemvt_warp_reduce_kernelILb0ELi1024EiDF16_PKfDF16_EviiT3_lPKT2_lT1_lS5_lS6_lS2_lPT4_lS6_li
    .private_segment_fixed_size: 0
    .sgpr_count:     28
    .sgpr_spill_count: 0
    .symbol:         _ZL32rocblas_gemvt_warp_reduce_kernelILb0ELi1024EiDF16_PKfDF16_EviiT3_lPKT2_lT1_lS5_lS6_lS2_lPT4_lS6_li.kd
    .uniform_work_group_size: 1
    .uses_dynamic_stack: false
    .vgpr_count:     11
    .vgpr_spill_count: 0
    .wavefront_size: 32
    .workgroup_processor_mode: 1
  - .args:
      - .offset:         0
        .size:           4
        .value_kind:     by_value
      - .offset:         4
        .size:           4
        .value_kind:     by_value
      - .address_space:  global
        .offset:         8
        .size:           8
        .value_kind:     global_buffer
      - .offset:         16
        .size:           8
        .value_kind:     by_value
      - .address_space:  global
        .offset:         24
        .size:           8
        .value_kind:     global_buffer
      - .offset:         32
        .size:           8
        .value_kind:     by_value
      - .offset:         40
        .size:           8
        .value_kind:     by_value
      - .offset:         48
        .size:           8
        .value_kind:     by_value
      - .address_space:  global
        .offset:         56
        .size:           8
        .value_kind:     global_buffer
      - .offset:         64
        .size:           8
        .value_kind:     by_value
      - .offset:         72
        .size:           8
        .value_kind:     by_value
      - .offset:         80
        .size:           8
        .value_kind:     by_value
      - .address_space:  global
        .offset:         88
        .size:           8
        .value_kind:     global_buffer
      - .offset:         96
        .size:           8
        .value_kind:     by_value
      - .address_space:  global
        .offset:         104
        .size:           8
        .value_kind:     global_buffer
      - .offset:         112
        .size:           8
        .value_kind:     by_value
      - .offset:         120
        .size:           8
        .value_kind:     by_value
      - .offset:         128
        .size:           8
        .value_kind:     by_value
      - .offset:         136
        .size:           4
        .value_kind:     by_value
    .group_segment_fixed_size: 128
    .kernarg_segment_align: 8
    .kernarg_segment_size: 140
    .language:       OpenCL C
    .language_version:
      - 2
      - 0
    .max_flat_workgroup_size: 1024
    .name:           _ZL32rocblas_gemvt_warp_reduce_kernelILb0ELi1024ElDF16_PKfDF16_EviiT3_lPKT2_lT1_lS5_lS6_lS2_lPT4_lS6_li
    .private_segment_fixed_size: 0
    .sgpr_count:     54
    .sgpr_spill_count: 0
    .symbol:         _ZL32rocblas_gemvt_warp_reduce_kernelILb0ELi1024ElDF16_PKfDF16_EviiT3_lPKT2_lT1_lS5_lS6_lS2_lPT4_lS6_li.kd
    .uniform_work_group_size: 1
    .uses_dynamic_stack: false
    .vgpr_count:     11
    .vgpr_spill_count: 0
    .wavefront_size: 32
    .workgroup_processor_mode: 1
  - .args:
      - .offset:         0
        .size:           4
        .value_kind:     by_value
      - .offset:         4
        .size:           4
        .value_kind:     by_value
      - .offset:         8
        .size:           4
        .value_kind:     by_value
      - .offset:         16
        .size:           8
        .value_kind:     by_value
      - .address_space:  global
        .offset:         24
        .size:           8
        .value_kind:     global_buffer
      - .offset:         32
        .size:           8
        .value_kind:     by_value
      - .offset:         40
        .size:           4
        .value_kind:     by_value
      - .offset:         48
        .size:           8
        .value_kind:     by_value
      - .address_space:  global
        .offset:         56
        .size:           8
        .value_kind:     global_buffer
      - .offset:         64
        .size:           8
        .value_kind:     by_value
      - .offset:         72
        .size:           4
        .value_kind:     by_value
      - .offset:         80
        .size:           8
        .value_kind:     by_value
      - .offset:         88
        .size:           4
        .value_kind:     by_value
      - .offset:         96
        .size:           8
        .value_kind:     by_value
      - .address_space:  global
        .offset:         104
        .size:           8
        .value_kind:     global_buffer
      - .offset:         112
        .size:           8
        .value_kind:     by_value
      - .offset:         120
        .size:           4
        .value_kind:     by_value
      - .offset:         128
        .size:           8
        .value_kind:     by_value
      - .offset:         136
        .size:           4
        .value_kind:     by_value
    .group_segment_fixed_size: 128
    .kernarg_segment_align: 8
    .kernarg_segment_size: 140
    .language:       OpenCL C
    .language_version:
      - 2
      - 0
    .max_flat_workgroup_size: 1024
    .name:           _ZL32rocblas_gemvt_warp_reduce_kernelILb0ELi1024EiDF16_fDF16_EviiT3_lPKT2_lT1_lS3_lS4_lS0_lPT4_lS4_li
    .private_segment_fixed_size: 0
    .sgpr_count:     27
    .sgpr_spill_count: 0
    .symbol:         _ZL32rocblas_gemvt_warp_reduce_kernelILb0ELi1024EiDF16_fDF16_EviiT3_lPKT2_lT1_lS3_lS4_lS0_lPT4_lS4_li.kd
    .uniform_work_group_size: 1
    .uses_dynamic_stack: false
    .vgpr_count:     11
    .vgpr_spill_count: 0
    .wavefront_size: 32
    .workgroup_processor_mode: 1
  - .args:
      - .offset:         0
        .size:           4
        .value_kind:     by_value
      - .offset:         4
        .size:           4
        .value_kind:     by_value
      - .offset:         8
        .size:           4
        .value_kind:     by_value
      - .offset:         16
        .size:           8
        .value_kind:     by_value
      - .address_space:  global
        .offset:         24
        .size:           8
        .value_kind:     global_buffer
      - .offset:         32
        .size:           8
        .value_kind:     by_value
      - .offset:         40
        .size:           8
        .value_kind:     by_value
      - .offset:         48
        .size:           8
        .value_kind:     by_value
      - .address_space:  global
        .offset:         56
        .size:           8
        .value_kind:     global_buffer
      - .offset:         64
        .size:           8
        .value_kind:     by_value
      - .offset:         72
        .size:           8
        .value_kind:     by_value
      - .offset:         80
        .size:           8
        .value_kind:     by_value
      - .offset:         88
        .size:           4
        .value_kind:     by_value
      - .offset:         96
        .size:           8
        .value_kind:     by_value
      - .address_space:  global
        .offset:         104
        .size:           8
        .value_kind:     global_buffer
      - .offset:         112
        .size:           8
        .value_kind:     by_value
      - .offset:         120
        .size:           8
        .value_kind:     by_value
      - .offset:         128
        .size:           8
        .value_kind:     by_value
      - .offset:         136
        .size:           4
        .value_kind:     by_value
    .group_segment_fixed_size: 128
    .kernarg_segment_align: 8
    .kernarg_segment_size: 140
    .language:       OpenCL C
    .language_version:
      - 2
      - 0
    .max_flat_workgroup_size: 1024
    .name:           _ZL32rocblas_gemvt_warp_reduce_kernelILb0ELi1024ElDF16_fDF16_EviiT3_lPKT2_lT1_lS3_lS4_lS0_lPT4_lS4_li
    .private_segment_fixed_size: 0
    .sgpr_count:     38
    .sgpr_spill_count: 0
    .symbol:         _ZL32rocblas_gemvt_warp_reduce_kernelILb0ELi1024ElDF16_fDF16_EviiT3_lPKT2_lT1_lS3_lS4_lS0_lPT4_lS4_li.kd
    .uniform_work_group_size: 1
    .uses_dynamic_stack: false
    .vgpr_count:     11
    .vgpr_spill_count: 0
    .wavefront_size: 32
    .workgroup_processor_mode: 1
  - .args:
      - .offset:         0
        .size:           4
        .value_kind:     by_value
      - .offset:         4
        .size:           4
        .value_kind:     by_value
      - .address_space:  global
        .offset:         8
        .size:           8
        .value_kind:     global_buffer
      - .offset:         16
        .size:           8
        .value_kind:     by_value
      - .address_space:  global
        .offset:         24
        .size:           8
        .value_kind:     global_buffer
      - .offset:         32
        .size:           8
        .value_kind:     by_value
      - .offset:         40
        .size:           4
        .value_kind:     by_value
      - .offset:         48
        .size:           8
        .value_kind:     by_value
      - .address_space:  global
        .offset:         56
        .size:           8
        .value_kind:     global_buffer
      - .offset:         64
        .size:           8
        .value_kind:     by_value
      - .offset:         72
        .size:           4
        .value_kind:     by_value
      - .offset:         80
        .size:           8
        .value_kind:     by_value
      - .address_space:  global
        .offset:         88
        .size:           8
        .value_kind:     global_buffer
      - .offset:         96
        .size:           8
        .value_kind:     by_value
      - .address_space:  global
        .offset:         104
        .size:           8
        .value_kind:     global_buffer
      - .offset:         112
        .size:           8
        .value_kind:     by_value
      - .offset:         120
        .size:           4
        .value_kind:     by_value
      - .offset:         128
        .size:           8
        .value_kind:     by_value
    .group_segment_fixed_size: 256
    .kernarg_segment_align: 8
    .kernarg_segment_size: 136
    .language:       OpenCL C
    .language_version:
      - 2
      - 0
    .max_flat_workgroup_size: 256
    .name:           _ZL22rocblas_gemvtsm_kernelILb1ELi256EDF16_PKfDF16_EviiT2_lPKT1_lilS5_lilS2_lPT3_lil
    .private_segment_fixed_size: 0
    .sgpr_count:     31
    .sgpr_spill_count: 0
    .symbol:         _ZL22rocblas_gemvtsm_kernelILb1ELi256EDF16_PKfDF16_EviiT2_lPKT1_lilS5_lilS2_lPT3_lil.kd
    .uniform_work_group_size: 1
    .uses_dynamic_stack: false
    .vgpr_count:     22
    .vgpr_spill_count: 0
    .wavefront_size: 32
    .workgroup_processor_mode: 1
  - .args:
      - .offset:         0
        .size:           4
        .value_kind:     by_value
      - .offset:         4
        .size:           4
        .value_kind:     by_value
      - .offset:         8
        .size:           4
        .value_kind:     by_value
      - .offset:         16
        .size:           8
        .value_kind:     by_value
      - .address_space:  global
        .offset:         24
        .size:           8
        .value_kind:     global_buffer
      - .offset:         32
        .size:           8
        .value_kind:     by_value
      - .offset:         40
        .size:           4
        .value_kind:     by_value
      - .offset:         48
        .size:           8
        .value_kind:     by_value
      - .address_space:  global
        .offset:         56
        .size:           8
        .value_kind:     global_buffer
      - .offset:         64
        .size:           8
        .value_kind:     by_value
      - .offset:         72
        .size:           4
        .value_kind:     by_value
      - .offset:         80
        .size:           8
        .value_kind:     by_value
      - .offset:         88
        .size:           4
        .value_kind:     by_value
      - .offset:         96
        .size:           8
        .value_kind:     by_value
      - .address_space:  global
        .offset:         104
        .size:           8
        .value_kind:     global_buffer
      - .offset:         112
        .size:           8
        .value_kind:     by_value
      - .offset:         120
        .size:           4
        .value_kind:     by_value
      - .offset:         128
        .size:           8
        .value_kind:     by_value
    .group_segment_fixed_size: 256
    .kernarg_segment_align: 8
    .kernarg_segment_size: 136
    .language:       OpenCL C
    .language_version:
      - 2
      - 0
    .max_flat_workgroup_size: 256
    .name:           _ZL22rocblas_gemvtsm_kernelILb1ELi256EDF16_fDF16_EviiT2_lPKT1_lilS3_lilS0_lPT3_lil
    .private_segment_fixed_size: 0
    .sgpr_count:     28
    .sgpr_spill_count: 0
    .symbol:         _ZL22rocblas_gemvtsm_kernelILb1ELi256EDF16_fDF16_EviiT2_lPKT1_lilS3_lilS0_lPT3_lil.kd
    .uniform_work_group_size: 1
    .uses_dynamic_stack: false
    .vgpr_count:     22
    .vgpr_spill_count: 0
    .wavefront_size: 32
    .workgroup_processor_mode: 1
  - .args:
      - .offset:         0
        .size:           4
        .value_kind:     by_value
      - .offset:         4
        .size:           4
        .value_kind:     by_value
      - .address_space:  global
        .offset:         8
        .size:           8
        .value_kind:     global_buffer
      - .offset:         16
        .size:           8
        .value_kind:     by_value
      - .address_space:  global
        .offset:         24
        .size:           8
        .value_kind:     global_buffer
      - .offset:         32
        .size:           8
        .value_kind:     by_value
      - .offset:         40
        .size:           4
        .value_kind:     by_value
      - .offset:         48
        .size:           8
        .value_kind:     by_value
      - .address_space:  global
        .offset:         56
        .size:           8
        .value_kind:     global_buffer
      - .offset:         64
        .size:           8
        .value_kind:     by_value
      - .offset:         72
        .size:           4
        .value_kind:     by_value
      - .offset:         80
        .size:           8
        .value_kind:     by_value
      - .address_space:  global
        .offset:         88
        .size:           8
        .value_kind:     global_buffer
      - .offset:         96
        .size:           4
        .value_kind:     by_value
      - .offset:         104
        .size:           4
        .value_kind:     hidden_block_count_x
      - .offset:         108
        .size:           4
        .value_kind:     hidden_block_count_y
      - .offset:         112
        .size:           4
        .value_kind:     hidden_block_count_z
      - .offset:         116
        .size:           2
        .value_kind:     hidden_group_size_x
      - .offset:         118
        .size:           2
        .value_kind:     hidden_group_size_y
      - .offset:         120
        .size:           2
        .value_kind:     hidden_group_size_z
      - .offset:         122
        .size:           2
        .value_kind:     hidden_remainder_x
      - .offset:         124
        .size:           2
        .value_kind:     hidden_remainder_y
      - .offset:         126
        .size:           2
        .value_kind:     hidden_remainder_z
      - .offset:         144
        .size:           8
        .value_kind:     hidden_global_offset_x
      - .offset:         152
        .size:           8
        .value_kind:     hidden_global_offset_y
      - .offset:         160
        .size:           8
        .value_kind:     hidden_global_offset_z
      - .offset:         168
        .size:           2
        .value_kind:     hidden_grid_dims
    .group_segment_fixed_size: 128
    .kernarg_segment_align: 8
    .kernarg_segment_size: 360
    .language:       OpenCL C
    .language_version:
      - 2
      - 0
    .max_flat_workgroup_size: 256
    .name:           _ZL23rocblas_gemvt_sn_kernelILb1ELi256ELi4EiDF16_PKffEviiT4_lPKT3_lilS5_lilPT5_i
    .private_segment_fixed_size: 0
    .sgpr_count:     52
    .sgpr_spill_count: 0
    .symbol:         _ZL23rocblas_gemvt_sn_kernelILb1ELi256ELi4EiDF16_PKffEviiT4_lPKT3_lilS5_lilPT5_i.kd
    .uniform_work_group_size: 1
    .uses_dynamic_stack: false
    .vgpr_count:     48
    .vgpr_spill_count: 0
    .wavefront_size: 32
    .workgroup_processor_mode: 1
  - .args:
      - .offset:         0
        .size:           4
        .value_kind:     by_value
      - .offset:         4
        .size:           4
        .value_kind:     by_value
      - .address_space:  global
        .offset:         8
        .size:           8
        .value_kind:     global_buffer
      - .offset:         16
        .size:           8
        .value_kind:     by_value
      - .address_space:  global
        .offset:         24
        .size:           8
        .value_kind:     global_buffer
      - .offset:         32
        .size:           8
        .value_kind:     by_value
      - .offset:         40
        .size:           4
        .value_kind:     by_value
      - .offset:         48
        .size:           8
        .value_kind:     by_value
      - .address_space:  global
        .offset:         56
        .size:           8
        .value_kind:     global_buffer
      - .offset:         64
        .size:           8
        .value_kind:     by_value
      - .offset:         72
        .size:           4
        .value_kind:     by_value
      - .offset:         80
        .size:           8
        .value_kind:     by_value
      - .address_space:  global
        .offset:         88
        .size:           8
        .value_kind:     global_buffer
      - .offset:         96
        .size:           4
        .value_kind:     by_value
      - .offset:         104
        .size:           4
        .value_kind:     hidden_block_count_x
      - .offset:         108
        .size:           4
        .value_kind:     hidden_block_count_y
      - .offset:         112
        .size:           4
        .value_kind:     hidden_block_count_z
      - .offset:         116
        .size:           2
        .value_kind:     hidden_group_size_x
      - .offset:         118
        .size:           2
        .value_kind:     hidden_group_size_y
      - .offset:         120
        .size:           2
        .value_kind:     hidden_group_size_z
      - .offset:         122
        .size:           2
        .value_kind:     hidden_remainder_x
      - .offset:         124
        .size:           2
        .value_kind:     hidden_remainder_y
      - .offset:         126
        .size:           2
        .value_kind:     hidden_remainder_z
      - .offset:         144
        .size:           8
        .value_kind:     hidden_global_offset_x
      - .offset:         152
        .size:           8
        .value_kind:     hidden_global_offset_y
      - .offset:         160
        .size:           8
        .value_kind:     hidden_global_offset_z
      - .offset:         168
        .size:           2
        .value_kind:     hidden_grid_dims
    .group_segment_fixed_size: 128
    .kernarg_segment_align: 8
    .kernarg_segment_size: 360
    .language:       OpenCL C
    .language_version:
      - 2
      - 0
    .max_flat_workgroup_size: 256
    .name:           _ZL23rocblas_gemvt_sn_kernelILb1ELi256ELi4ElDF16_PKffEviiT4_lPKT3_lilS5_lilPT5_i
    .private_segment_fixed_size: 0
    .sgpr_count:     58
    .sgpr_spill_count: 0
    .symbol:         _ZL23rocblas_gemvt_sn_kernelILb1ELi256ELi4ElDF16_PKffEviiT4_lPKT3_lilS5_lilPT5_i.kd
    .uniform_work_group_size: 1
    .uses_dynamic_stack: false
    .vgpr_count:     51
    .vgpr_spill_count: 0
    .wavefront_size: 32
    .workgroup_processor_mode: 1
  - .args:
      - .offset:         0
        .size:           4
        .value_kind:     by_value
      - .offset:         4
        .size:           4
        .value_kind:     by_value
      - .offset:         8
        .size:           4
        .value_kind:     by_value
      - .offset:         16
        .size:           8
        .value_kind:     by_value
      - .address_space:  global
        .offset:         24
        .size:           8
        .value_kind:     global_buffer
      - .offset:         32
        .size:           8
        .value_kind:     by_value
      - .offset:         40
        .size:           4
        .value_kind:     by_value
      - .offset:         48
        .size:           8
        .value_kind:     by_value
      - .address_space:  global
        .offset:         56
        .size:           8
        .value_kind:     global_buffer
      - .offset:         64
        .size:           8
        .value_kind:     by_value
      - .offset:         72
        .size:           4
        .value_kind:     by_value
      - .offset:         80
        .size:           8
        .value_kind:     by_value
      - .address_space:  global
        .offset:         88
        .size:           8
        .value_kind:     global_buffer
      - .offset:         96
        .size:           4
        .value_kind:     by_value
      - .offset:         104
        .size:           4
        .value_kind:     hidden_block_count_x
      - .offset:         108
        .size:           4
        .value_kind:     hidden_block_count_y
      - .offset:         112
        .size:           4
        .value_kind:     hidden_block_count_z
      - .offset:         116
        .size:           2
        .value_kind:     hidden_group_size_x
      - .offset:         118
        .size:           2
        .value_kind:     hidden_group_size_y
      - .offset:         120
        .size:           2
        .value_kind:     hidden_group_size_z
      - .offset:         122
        .size:           2
        .value_kind:     hidden_remainder_x
      - .offset:         124
        .size:           2
        .value_kind:     hidden_remainder_y
      - .offset:         126
        .size:           2
        .value_kind:     hidden_remainder_z
      - .offset:         144
        .size:           8
        .value_kind:     hidden_global_offset_x
      - .offset:         152
        .size:           8
        .value_kind:     hidden_global_offset_y
      - .offset:         160
        .size:           8
        .value_kind:     hidden_global_offset_z
      - .offset:         168
        .size:           2
        .value_kind:     hidden_grid_dims
    .group_segment_fixed_size: 128
    .kernarg_segment_align: 8
    .kernarg_segment_size: 360
    .language:       OpenCL C
    .language_version:
      - 2
      - 0
    .max_flat_workgroup_size: 256
    .name:           _ZL23rocblas_gemvt_sn_kernelILb1ELi256ELi4EiDF16_ffEviiT4_lPKT3_lilS3_lilPT5_i
    .private_segment_fixed_size: 0
    .sgpr_count:     52
    .sgpr_spill_count: 0
    .symbol:         _ZL23rocblas_gemvt_sn_kernelILb1ELi256ELi4EiDF16_ffEviiT4_lPKT3_lilS3_lilPT5_i.kd
    .uniform_work_group_size: 1
    .uses_dynamic_stack: false
    .vgpr_count:     48
    .vgpr_spill_count: 0
    .wavefront_size: 32
    .workgroup_processor_mode: 1
  - .args:
      - .offset:         0
        .size:           4
        .value_kind:     by_value
      - .offset:         4
        .size:           4
        .value_kind:     by_value
      - .offset:         8
        .size:           4
        .value_kind:     by_value
      - .offset:         16
        .size:           8
        .value_kind:     by_value
      - .address_space:  global
        .offset:         24
        .size:           8
        .value_kind:     global_buffer
      - .offset:         32
        .size:           8
        .value_kind:     by_value
      - .offset:         40
        .size:           4
        .value_kind:     by_value
      - .offset:         48
        .size:           8
        .value_kind:     by_value
      - .address_space:  global
        .offset:         56
        .size:           8
        .value_kind:     global_buffer
      - .offset:         64
        .size:           8
        .value_kind:     by_value
      - .offset:         72
        .size:           4
        .value_kind:     by_value
      - .offset:         80
        .size:           8
        .value_kind:     by_value
      - .address_space:  global
        .offset:         88
        .size:           8
        .value_kind:     global_buffer
      - .offset:         96
        .size:           4
        .value_kind:     by_value
      - .offset:         104
        .size:           4
        .value_kind:     hidden_block_count_x
      - .offset:         108
        .size:           4
        .value_kind:     hidden_block_count_y
      - .offset:         112
        .size:           4
        .value_kind:     hidden_block_count_z
      - .offset:         116
        .size:           2
        .value_kind:     hidden_group_size_x
      - .offset:         118
        .size:           2
        .value_kind:     hidden_group_size_y
      - .offset:         120
        .size:           2
        .value_kind:     hidden_group_size_z
      - .offset:         122
        .size:           2
        .value_kind:     hidden_remainder_x
      - .offset:         124
        .size:           2
        .value_kind:     hidden_remainder_y
      - .offset:         126
        .size:           2
        .value_kind:     hidden_remainder_z
      - .offset:         144
        .size:           8
        .value_kind:     hidden_global_offset_x
      - .offset:         152
        .size:           8
        .value_kind:     hidden_global_offset_y
      - .offset:         160
        .size:           8
        .value_kind:     hidden_global_offset_z
      - .offset:         168
        .size:           2
        .value_kind:     hidden_grid_dims
    .group_segment_fixed_size: 128
    .kernarg_segment_align: 8
    .kernarg_segment_size: 360
    .language:       OpenCL C
    .language_version:
      - 2
      - 0
    .max_flat_workgroup_size: 256
    .name:           _ZL23rocblas_gemvt_sn_kernelILb1ELi256ELi4ElDF16_ffEviiT4_lPKT3_lilS3_lilPT5_i
    .private_segment_fixed_size: 0
    .sgpr_count:     58
    .sgpr_spill_count: 0
    .symbol:         _ZL23rocblas_gemvt_sn_kernelILb1ELi256ELi4ElDF16_ffEviiT4_lPKT3_lilS3_lilPT5_i.kd
    .uniform_work_group_size: 1
    .uses_dynamic_stack: false
    .vgpr_count:     51
    .vgpr_spill_count: 0
    .wavefront_size: 32
    .workgroup_processor_mode: 1
  - .args:
      - .offset:         0
        .size:           4
        .value_kind:     by_value
      - .offset:         4
        .size:           4
        .value_kind:     by_value
      - .address_space:  global
        .offset:         8
        .size:           8
        .value_kind:     global_buffer
      - .offset:         16
        .size:           8
        .value_kind:     by_value
      - .address_space:  global
        .offset:         24
        .size:           8
        .value_kind:     global_buffer
      - .offset:         32
        .size:           8
        .value_kind:     by_value
      - .offset:         40
        .size:           4
        .value_kind:     by_value
      - .offset:         48
        .size:           8
        .value_kind:     by_value
      - .address_space:  global
        .offset:         56
        .size:           8
        .value_kind:     global_buffer
      - .offset:         64
        .size:           8
        .value_kind:     by_value
      - .offset:         72
        .size:           4
        .value_kind:     by_value
      - .offset:         80
        .size:           8
        .value_kind:     by_value
      - .address_space:  global
        .offset:         88
        .size:           8
        .value_kind:     global_buffer
      - .offset:         96
        .size:           8
        .value_kind:     by_value
      - .address_space:  global
        .offset:         104
        .size:           8
        .value_kind:     global_buffer
      - .offset:         112
        .size:           8
        .value_kind:     by_value
      - .offset:         120
        .size:           4
        .value_kind:     by_value
      - .offset:         128
        .size:           8
        .value_kind:     by_value
      - .offset:         136
        .size:           4
        .value_kind:     by_value
    .group_segment_fixed_size: 1024
    .kernarg_segment_align: 8
    .kernarg_segment_size: 140
    .language:       OpenCL C
    .language_version:
      - 2
      - 0
    .max_flat_workgroup_size: 256
    .name:           _ZL20rocblas_gemvt_kernelILb1ELi256EDF16_PKfDF16_EviiT2_lPKT1_lilS5_lilS2_lPT3_lili
    .private_segment_fixed_size: 0
    .sgpr_count:     28
    .sgpr_spill_count: 0
    .symbol:         _ZL20rocblas_gemvt_kernelILb1ELi256EDF16_PKfDF16_EviiT2_lPKT1_lilS5_lilS2_lPT3_lili.kd
    .uniform_work_group_size: 1
    .uses_dynamic_stack: false
    .vgpr_count:     10
    .vgpr_spill_count: 0
    .wavefront_size: 32
    .workgroup_processor_mode: 1
  - .args:
      - .offset:         0
        .size:           4
        .value_kind:     by_value
      - .offset:         4
        .size:           4
        .value_kind:     by_value
      - .offset:         8
        .size:           4
        .value_kind:     by_value
      - .offset:         16
        .size:           8
        .value_kind:     by_value
      - .address_space:  global
        .offset:         24
        .size:           8
        .value_kind:     global_buffer
      - .offset:         32
        .size:           8
        .value_kind:     by_value
      - .offset:         40
        .size:           4
        .value_kind:     by_value
      - .offset:         48
        .size:           8
        .value_kind:     by_value
      - .address_space:  global
        .offset:         56
        .size:           8
        .value_kind:     global_buffer
      - .offset:         64
        .size:           8
        .value_kind:     by_value
      - .offset:         72
        .size:           4
        .value_kind:     by_value
      - .offset:         80
        .size:           8
        .value_kind:     by_value
      - .offset:         88
        .size:           4
        .value_kind:     by_value
      - .offset:         96
        .size:           8
        .value_kind:     by_value
      - .address_space:  global
        .offset:         104
        .size:           8
        .value_kind:     global_buffer
      - .offset:         112
        .size:           8
        .value_kind:     by_value
      - .offset:         120
        .size:           4
        .value_kind:     by_value
      - .offset:         128
        .size:           8
        .value_kind:     by_value
      - .offset:         136
        .size:           4
        .value_kind:     by_value
    .group_segment_fixed_size: 1024
    .kernarg_segment_align: 8
    .kernarg_segment_size: 140
    .language:       OpenCL C
    .language_version:
      - 2
      - 0
    .max_flat_workgroup_size: 256
    .name:           _ZL20rocblas_gemvt_kernelILb1ELi256EDF16_fDF16_EviiT2_lPKT1_lilS3_lilS0_lPT3_lili
    .private_segment_fixed_size: 0
    .sgpr_count:     30
    .sgpr_spill_count: 0
    .symbol:         _ZL20rocblas_gemvt_kernelILb1ELi256EDF16_fDF16_EviiT2_lPKT1_lilS3_lilS0_lPT3_lili.kd
    .uniform_work_group_size: 1
    .uses_dynamic_stack: false
    .vgpr_count:     10
    .vgpr_spill_count: 0
    .wavefront_size: 32
    .workgroup_processor_mode: 1
  - .args:
      - .offset:         0
        .size:           4
        .value_kind:     by_value
      - .offset:         4
        .size:           4
        .value_kind:     by_value
      - .address_space:  global
        .offset:         8
        .size:           8
        .value_kind:     global_buffer
      - .offset:         16
        .size:           8
        .value_kind:     by_value
      - .address_space:  global
        .offset:         24
        .size:           8
        .value_kind:     global_buffer
      - .offset:         32
        .size:           8
        .value_kind:     by_value
      - .offset:         40
        .size:           4
        .value_kind:     by_value
      - .offset:         48
        .size:           8
        .value_kind:     by_value
      - .address_space:  global
        .offset:         56
        .size:           8
        .value_kind:     global_buffer
      - .offset:         64
        .size:           8
        .value_kind:     by_value
      - .offset:         72
        .size:           4
        .value_kind:     by_value
      - .offset:         80
        .size:           8
        .value_kind:     by_value
      - .address_space:  global
        .offset:         88
        .size:           8
        .value_kind:     global_buffer
      - .offset:         96
        .size:           8
        .value_kind:     by_value
      - .address_space:  global
        .offset:         104
        .size:           8
        .value_kind:     global_buffer
      - .offset:         112
        .size:           8
        .value_kind:     by_value
      - .offset:         120
        .size:           4
        .value_kind:     by_value
      - .offset:         128
        .size:           8
        .value_kind:     by_value
      - .offset:         136
        .size:           4
        .value_kind:     by_value
    .group_segment_fixed_size: 128
    .kernarg_segment_align: 8
    .kernarg_segment_size: 140
    .language:       OpenCL C
    .language_version:
      - 2
      - 0
    .max_flat_workgroup_size: 1024
    .name:           _ZL32rocblas_gemvt_warp_reduce_kernelILb1ELi1024EiDF16_PKfDF16_EviiT3_lPKT2_lT1_lS5_lS6_lS2_lPT4_lS6_li
    .private_segment_fixed_size: 0
    .sgpr_count:     28
    .sgpr_spill_count: 0
    .symbol:         _ZL32rocblas_gemvt_warp_reduce_kernelILb1ELi1024EiDF16_PKfDF16_EviiT3_lPKT2_lT1_lS5_lS6_lS2_lPT4_lS6_li.kd
    .uniform_work_group_size: 1
    .uses_dynamic_stack: false
    .vgpr_count:     11
    .vgpr_spill_count: 0
    .wavefront_size: 32
    .workgroup_processor_mode: 1
  - .args:
      - .offset:         0
        .size:           4
        .value_kind:     by_value
      - .offset:         4
        .size:           4
        .value_kind:     by_value
      - .address_space:  global
        .offset:         8
        .size:           8
        .value_kind:     global_buffer
      - .offset:         16
        .size:           8
        .value_kind:     by_value
      - .address_space:  global
        .offset:         24
        .size:           8
        .value_kind:     global_buffer
      - .offset:         32
        .size:           8
        .value_kind:     by_value
      - .offset:         40
        .size:           8
        .value_kind:     by_value
      - .offset:         48
        .size:           8
        .value_kind:     by_value
      - .address_space:  global
        .offset:         56
        .size:           8
        .value_kind:     global_buffer
      - .offset:         64
        .size:           8
        .value_kind:     by_value
      - .offset:         72
        .size:           8
        .value_kind:     by_value
      - .offset:         80
        .size:           8
        .value_kind:     by_value
      - .address_space:  global
        .offset:         88
        .size:           8
        .value_kind:     global_buffer
      - .offset:         96
        .size:           8
        .value_kind:     by_value
      - .address_space:  global
        .offset:         104
        .size:           8
        .value_kind:     global_buffer
      - .offset:         112
        .size:           8
        .value_kind:     by_value
      - .offset:         120
        .size:           8
        .value_kind:     by_value
      - .offset:         128
        .size:           8
        .value_kind:     by_value
      - .offset:         136
        .size:           4
        .value_kind:     by_value
    .group_segment_fixed_size: 128
    .kernarg_segment_align: 8
    .kernarg_segment_size: 140
    .language:       OpenCL C
    .language_version:
      - 2
      - 0
    .max_flat_workgroup_size: 1024
    .name:           _ZL32rocblas_gemvt_warp_reduce_kernelILb1ELi1024ElDF16_PKfDF16_EviiT3_lPKT2_lT1_lS5_lS6_lS2_lPT4_lS6_li
    .private_segment_fixed_size: 0
    .sgpr_count:     54
    .sgpr_spill_count: 0
    .symbol:         _ZL32rocblas_gemvt_warp_reduce_kernelILb1ELi1024ElDF16_PKfDF16_EviiT3_lPKT2_lT1_lS5_lS6_lS2_lPT4_lS6_li.kd
    .uniform_work_group_size: 1
    .uses_dynamic_stack: false
    .vgpr_count:     11
    .vgpr_spill_count: 0
    .wavefront_size: 32
    .workgroup_processor_mode: 1
  - .args:
      - .offset:         0
        .size:           4
        .value_kind:     by_value
      - .offset:         4
        .size:           4
        .value_kind:     by_value
      - .offset:         8
        .size:           4
        .value_kind:     by_value
      - .offset:         16
        .size:           8
        .value_kind:     by_value
      - .address_space:  global
        .offset:         24
        .size:           8
        .value_kind:     global_buffer
      - .offset:         32
        .size:           8
        .value_kind:     by_value
      - .offset:         40
        .size:           4
        .value_kind:     by_value
      - .offset:         48
        .size:           8
        .value_kind:     by_value
      - .address_space:  global
        .offset:         56
        .size:           8
        .value_kind:     global_buffer
      - .offset:         64
        .size:           8
        .value_kind:     by_value
      - .offset:         72
        .size:           4
        .value_kind:     by_value
      - .offset:         80
        .size:           8
        .value_kind:     by_value
      - .offset:         88
        .size:           4
        .value_kind:     by_value
      - .offset:         96
        .size:           8
        .value_kind:     by_value
      - .address_space:  global
        .offset:         104
        .size:           8
        .value_kind:     global_buffer
      - .offset:         112
        .size:           8
        .value_kind:     by_value
      - .offset:         120
        .size:           4
        .value_kind:     by_value
      - .offset:         128
        .size:           8
        .value_kind:     by_value
      - .offset:         136
        .size:           4
        .value_kind:     by_value
    .group_segment_fixed_size: 128
    .kernarg_segment_align: 8
    .kernarg_segment_size: 140
    .language:       OpenCL C
    .language_version:
      - 2
      - 0
    .max_flat_workgroup_size: 1024
    .name:           _ZL32rocblas_gemvt_warp_reduce_kernelILb1ELi1024EiDF16_fDF16_EviiT3_lPKT2_lT1_lS3_lS4_lS0_lPT4_lS4_li
    .private_segment_fixed_size: 0
    .sgpr_count:     27
    .sgpr_spill_count: 0
    .symbol:         _ZL32rocblas_gemvt_warp_reduce_kernelILb1ELi1024EiDF16_fDF16_EviiT3_lPKT2_lT1_lS3_lS4_lS0_lPT4_lS4_li.kd
    .uniform_work_group_size: 1
    .uses_dynamic_stack: false
    .vgpr_count:     11
    .vgpr_spill_count: 0
    .wavefront_size: 32
    .workgroup_processor_mode: 1
  - .args:
      - .offset:         0
        .size:           4
        .value_kind:     by_value
      - .offset:         4
        .size:           4
        .value_kind:     by_value
      - .offset:         8
        .size:           4
        .value_kind:     by_value
      - .offset:         16
        .size:           8
        .value_kind:     by_value
      - .address_space:  global
        .offset:         24
        .size:           8
        .value_kind:     global_buffer
      - .offset:         32
        .size:           8
        .value_kind:     by_value
      - .offset:         40
        .size:           8
        .value_kind:     by_value
      - .offset:         48
        .size:           8
        .value_kind:     by_value
      - .address_space:  global
        .offset:         56
        .size:           8
        .value_kind:     global_buffer
      - .offset:         64
        .size:           8
        .value_kind:     by_value
      - .offset:         72
        .size:           8
        .value_kind:     by_value
      - .offset:         80
        .size:           8
        .value_kind:     by_value
      - .offset:         88
        .size:           4
        .value_kind:     by_value
      - .offset:         96
        .size:           8
        .value_kind:     by_value
      - .address_space:  global
        .offset:         104
        .size:           8
        .value_kind:     global_buffer
      - .offset:         112
        .size:           8
        .value_kind:     by_value
      - .offset:         120
        .size:           8
        .value_kind:     by_value
      - .offset:         128
        .size:           8
        .value_kind:     by_value
      - .offset:         136
        .size:           4
        .value_kind:     by_value
    .group_segment_fixed_size: 128
    .kernarg_segment_align: 8
    .kernarg_segment_size: 140
    .language:       OpenCL C
    .language_version:
      - 2
      - 0
    .max_flat_workgroup_size: 1024
    .name:           _ZL32rocblas_gemvt_warp_reduce_kernelILb1ELi1024ElDF16_fDF16_EviiT3_lPKT2_lT1_lS3_lS4_lS0_lPT4_lS4_li
    .private_segment_fixed_size: 0
    .sgpr_count:     38
    .sgpr_spill_count: 0
    .symbol:         _ZL32rocblas_gemvt_warp_reduce_kernelILb1ELi1024ElDF16_fDF16_EviiT3_lPKT2_lT1_lS3_lS4_lS0_lPT4_lS4_li.kd
    .uniform_work_group_size: 1
    .uses_dynamic_stack: false
    .vgpr_count:     11
    .vgpr_spill_count: 0
    .wavefront_size: 32
    .workgroup_processor_mode: 1
  - .args:
      - .offset:         0
        .size:           4
        .value_kind:     by_value
      - .offset:         4
        .size:           4
        .value_kind:     by_value
      - .address_space:  global
        .offset:         8
        .size:           8
        .value_kind:     global_buffer
      - .offset:         16
        .size:           8
        .value_kind:     by_value
      - .address_space:  global
        .offset:         24
        .size:           8
        .value_kind:     global_buffer
      - .offset:         32
        .size:           8
        .value_kind:     by_value
      - .offset:         40
        .size:           4
        .value_kind:     by_value
      - .offset:         48
        .size:           8
        .value_kind:     by_value
      - .address_space:  global
        .offset:         56
        .size:           8
        .value_kind:     global_buffer
      - .offset:         64
        .size:           8
        .value_kind:     by_value
      - .offset:         72
        .size:           4
        .value_kind:     by_value
      - .offset:         80
        .size:           8
        .value_kind:     by_value
      - .address_space:  global
        .offset:         88
        .size:           8
        .value_kind:     global_buffer
      - .offset:         96
        .size:           8
        .value_kind:     by_value
      - .address_space:  global
        .offset:         104
        .size:           8
        .value_kind:     global_buffer
      - .offset:         112
        .size:           8
        .value_kind:     by_value
      - .offset:         120
        .size:           4
        .value_kind:     by_value
      - .offset:         128
        .size:           8
        .value_kind:     by_value
      - .offset:         136
        .size:           4
        .value_kind:     by_value
    .group_segment_fixed_size: 0
    .kernarg_segment_align: 8
    .kernarg_segment_size: 140
    .language:       OpenCL C
    .language_version:
      - 2
      - 0
    .max_flat_workgroup_size: 768
    .name:           _ZL34rocblas_gemvn_sm_mn_batched_kernelILi32ELi24EPKDF16_PKfKPDF16_EviiT2_lPKT1_lilS9_lilS6_lPT3_lili
    .private_segment_fixed_size: 0
    .sgpr_count:     0
    .sgpr_spill_count: 0
    .symbol:         _ZL34rocblas_gemvn_sm_mn_batched_kernelILi32ELi24EPKDF16_PKfKPDF16_EviiT2_lPKT1_lilS9_lilS6_lPT3_lili.kd
    .uniform_work_group_size: 1
    .uses_dynamic_stack: false
    .vgpr_count:     0
    .vgpr_spill_count: 0
    .wavefront_size: 32
    .workgroup_processor_mode: 1
  - .args:
      - .offset:         0
        .size:           4
        .value_kind:     by_value
      - .offset:         4
        .size:           4
        .value_kind:     by_value
      - .offset:         8
        .size:           4
        .value_kind:     by_value
      - .offset:         16
        .size:           8
        .value_kind:     by_value
      - .address_space:  global
        .offset:         24
        .size:           8
        .value_kind:     global_buffer
      - .offset:         32
        .size:           8
        .value_kind:     by_value
      - .offset:         40
        .size:           4
        .value_kind:     by_value
      - .offset:         48
        .size:           8
        .value_kind:     by_value
      - .address_space:  global
        .offset:         56
        .size:           8
        .value_kind:     global_buffer
      - .offset:         64
        .size:           8
        .value_kind:     by_value
      - .offset:         72
        .size:           4
        .value_kind:     by_value
      - .offset:         80
        .size:           8
        .value_kind:     by_value
      - .offset:         88
        .size:           4
        .value_kind:     by_value
      - .offset:         96
        .size:           8
        .value_kind:     by_value
      - .address_space:  global
        .offset:         104
        .size:           8
        .value_kind:     global_buffer
      - .offset:         112
        .size:           8
        .value_kind:     by_value
      - .offset:         120
        .size:           4
        .value_kind:     by_value
      - .offset:         128
        .size:           8
        .value_kind:     by_value
      - .offset:         136
        .size:           4
        .value_kind:     by_value
    .group_segment_fixed_size: 0
    .kernarg_segment_align: 8
    .kernarg_segment_size: 140
    .language:       OpenCL C
    .language_version:
      - 2
      - 0
    .max_flat_workgroup_size: 768
    .name:           _ZL34rocblas_gemvn_sm_mn_batched_kernelILi32ELi24EPKDF16_fKPDF16_EviiT2_lPKT1_lilS7_lilS4_lPT3_lili
    .private_segment_fixed_size: 0
    .sgpr_count:     0
    .sgpr_spill_count: 0
    .symbol:         _ZL34rocblas_gemvn_sm_mn_batched_kernelILi32ELi24EPKDF16_fKPDF16_EviiT2_lPKT1_lilS7_lilS4_lPT3_lili.kd
    .uniform_work_group_size: 1
    .uses_dynamic_stack: false
    .vgpr_count:     0
    .vgpr_spill_count: 0
    .wavefront_size: 32
    .workgroup_processor_mode: 1
  - .args:
      - .offset:         0
        .size:           4
        .value_kind:     by_value
      - .offset:         4
        .size:           4
        .value_kind:     by_value
      - .address_space:  global
        .offset:         8
        .size:           8
        .value_kind:     global_buffer
      - .offset:         16
        .size:           8
        .value_kind:     by_value
      - .address_space:  global
        .offset:         24
        .size:           8
        .value_kind:     global_buffer
      - .offset:         32
        .size:           8
        .value_kind:     by_value
      - .offset:         40
        .size:           4
        .value_kind:     by_value
      - .offset:         48
        .size:           8
        .value_kind:     by_value
      - .address_space:  global
        .offset:         56
        .size:           8
        .value_kind:     global_buffer
      - .offset:         64
        .size:           8
        .value_kind:     by_value
      - .offset:         72
        .size:           4
        .value_kind:     by_value
      - .offset:         80
        .size:           8
        .value_kind:     by_value
      - .address_space:  global
        .offset:         88
        .size:           8
        .value_kind:     global_buffer
      - .offset:         96
        .size:           8
        .value_kind:     by_value
      - .address_space:  global
        .offset:         104
        .size:           8
        .value_kind:     global_buffer
      - .offset:         112
        .size:           8
        .value_kind:     by_value
      - .offset:         120
        .size:           4
        .value_kind:     by_value
      - .offset:         128
        .size:           8
        .value_kind:     by_value
      - .offset:         136
        .size:           4
        .value_kind:     by_value
      - .offset:         144
        .size:           4
        .value_kind:     hidden_block_count_x
      - .offset:         148
        .size:           4
        .value_kind:     hidden_block_count_y
      - .offset:         152
        .size:           4
        .value_kind:     hidden_block_count_z
      - .offset:         156
        .size:           2
        .value_kind:     hidden_group_size_x
      - .offset:         158
        .size:           2
        .value_kind:     hidden_group_size_y
      - .offset:         160
        .size:           2
        .value_kind:     hidden_group_size_z
      - .offset:         162
        .size:           2
        .value_kind:     hidden_remainder_x
      - .offset:         164
        .size:           2
        .value_kind:     hidden_remainder_y
      - .offset:         166
        .size:           2
        .value_kind:     hidden_remainder_z
      - .offset:         184
        .size:           8
        .value_kind:     hidden_global_offset_x
      - .offset:         192
        .size:           8
        .value_kind:     hidden_global_offset_y
      - .offset:         200
        .size:           8
        .value_kind:     hidden_global_offset_z
      - .offset:         208
        .size:           2
        .value_kind:     hidden_grid_dims
    .group_segment_fixed_size: 4096
    .kernarg_segment_align: 8
    .kernarg_segment_size: 400
    .language:       OpenCL C
    .language_version:
      - 2
      - 0
    .max_flat_workgroup_size: 256
    .name:           _ZL20rocblas_gemvn_kernelILi64ELi4EiPKDF16_PKfKPDF16_EviiT3_lPKT2_lT1_lS9_lSA_lS6_lPT4_lSA_li
    .private_segment_fixed_size: 0
    .sgpr_count:     30
    .sgpr_spill_count: 0
    .symbol:         _ZL20rocblas_gemvn_kernelILi64ELi4EiPKDF16_PKfKPDF16_EviiT3_lPKT2_lT1_lS9_lSA_lS6_lPT4_lSA_li.kd
    .uniform_work_group_size: 1
    .uses_dynamic_stack: false
    .vgpr_count:     46
    .vgpr_spill_count: 0
    .wavefront_size: 32
    .workgroup_processor_mode: 1
  - .args:
      - .offset:         0
        .size:           4
        .value_kind:     by_value
      - .offset:         4
        .size:           4
        .value_kind:     by_value
      - .address_space:  global
        .offset:         8
        .size:           8
        .value_kind:     global_buffer
      - .offset:         16
        .size:           8
        .value_kind:     by_value
      - .address_space:  global
        .offset:         24
        .size:           8
        .value_kind:     global_buffer
      - .offset:         32
        .size:           8
        .value_kind:     by_value
      - .offset:         40
        .size:           8
        .value_kind:     by_value
      - .offset:         48
        .size:           8
        .value_kind:     by_value
      - .address_space:  global
        .offset:         56
        .size:           8
        .value_kind:     global_buffer
      - .offset:         64
        .size:           8
        .value_kind:     by_value
      - .offset:         72
        .size:           8
        .value_kind:     by_value
      - .offset:         80
        .size:           8
        .value_kind:     by_value
      - .address_space:  global
        .offset:         88
        .size:           8
        .value_kind:     global_buffer
      - .offset:         96
        .size:           8
        .value_kind:     by_value
      - .address_space:  global
        .offset:         104
        .size:           8
        .value_kind:     global_buffer
      - .offset:         112
        .size:           8
        .value_kind:     by_value
      - .offset:         120
        .size:           8
        .value_kind:     by_value
      - .offset:         128
        .size:           8
        .value_kind:     by_value
      - .offset:         136
        .size:           4
        .value_kind:     by_value
      - .offset:         144
        .size:           4
        .value_kind:     hidden_block_count_x
      - .offset:         148
        .size:           4
        .value_kind:     hidden_block_count_y
      - .offset:         152
        .size:           4
        .value_kind:     hidden_block_count_z
      - .offset:         156
        .size:           2
        .value_kind:     hidden_group_size_x
      - .offset:         158
        .size:           2
        .value_kind:     hidden_group_size_y
      - .offset:         160
        .size:           2
        .value_kind:     hidden_group_size_z
      - .offset:         162
        .size:           2
        .value_kind:     hidden_remainder_x
      - .offset:         164
        .size:           2
        .value_kind:     hidden_remainder_y
      - .offset:         166
        .size:           2
        .value_kind:     hidden_remainder_z
      - .offset:         184
        .size:           8
        .value_kind:     hidden_global_offset_x
      - .offset:         192
        .size:           8
        .value_kind:     hidden_global_offset_y
      - .offset:         200
        .size:           8
        .value_kind:     hidden_global_offset_z
      - .offset:         208
        .size:           2
        .value_kind:     hidden_grid_dims
    .group_segment_fixed_size: 4096
    .kernarg_segment_align: 8
    .kernarg_segment_size: 400
    .language:       OpenCL C
    .language_version:
      - 2
      - 0
    .max_flat_workgroup_size: 256
    .name:           _ZL20rocblas_gemvn_kernelILi64ELi4ElPKDF16_PKfKPDF16_EviiT3_lPKT2_lT1_lS9_lSA_lS6_lPT4_lSA_li
    .private_segment_fixed_size: 0
    .sgpr_count:     37
    .sgpr_spill_count: 0
    .symbol:         _ZL20rocblas_gemvn_kernelILi64ELi4ElPKDF16_PKfKPDF16_EviiT3_lPKT2_lT1_lS9_lSA_lS6_lPT4_lSA_li.kd
    .uniform_work_group_size: 1
    .uses_dynamic_stack: false
    .vgpr_count:     56
    .vgpr_spill_count: 0
    .wavefront_size: 32
    .workgroup_processor_mode: 1
  - .args:
      - .offset:         0
        .size:           4
        .value_kind:     by_value
      - .offset:         4
        .size:           4
        .value_kind:     by_value
      - .offset:         8
        .size:           4
        .value_kind:     by_value
      - .offset:         16
        .size:           8
        .value_kind:     by_value
      - .address_space:  global
        .offset:         24
        .size:           8
        .value_kind:     global_buffer
      - .offset:         32
        .size:           8
        .value_kind:     by_value
      - .offset:         40
        .size:           4
        .value_kind:     by_value
      - .offset:         48
        .size:           8
        .value_kind:     by_value
      - .address_space:  global
        .offset:         56
        .size:           8
        .value_kind:     global_buffer
      - .offset:         64
        .size:           8
        .value_kind:     by_value
      - .offset:         72
        .size:           4
        .value_kind:     by_value
      - .offset:         80
        .size:           8
        .value_kind:     by_value
      - .offset:         88
        .size:           4
        .value_kind:     by_value
      - .offset:         96
        .size:           8
        .value_kind:     by_value
      - .address_space:  global
        .offset:         104
        .size:           8
        .value_kind:     global_buffer
      - .offset:         112
        .size:           8
        .value_kind:     by_value
      - .offset:         120
        .size:           4
        .value_kind:     by_value
      - .offset:         128
        .size:           8
        .value_kind:     by_value
      - .offset:         136
        .size:           4
        .value_kind:     by_value
      - .offset:         144
        .size:           4
        .value_kind:     hidden_block_count_x
      - .offset:         148
        .size:           4
        .value_kind:     hidden_block_count_y
      - .offset:         152
        .size:           4
        .value_kind:     hidden_block_count_z
      - .offset:         156
        .size:           2
        .value_kind:     hidden_group_size_x
      - .offset:         158
        .size:           2
        .value_kind:     hidden_group_size_y
      - .offset:         160
        .size:           2
        .value_kind:     hidden_group_size_z
      - .offset:         162
        .size:           2
        .value_kind:     hidden_remainder_x
      - .offset:         164
        .size:           2
        .value_kind:     hidden_remainder_y
      - .offset:         166
        .size:           2
        .value_kind:     hidden_remainder_z
      - .offset:         184
        .size:           8
        .value_kind:     hidden_global_offset_x
      - .offset:         192
        .size:           8
        .value_kind:     hidden_global_offset_y
      - .offset:         200
        .size:           8
        .value_kind:     hidden_global_offset_z
      - .offset:         208
        .size:           2
        .value_kind:     hidden_grid_dims
    .group_segment_fixed_size: 4096
    .kernarg_segment_align: 8
    .kernarg_segment_size: 400
    .language:       OpenCL C
    .language_version:
      - 2
      - 0
    .max_flat_workgroup_size: 256
    .name:           _ZL20rocblas_gemvn_kernelILi64ELi4EiPKDF16_fKPDF16_EviiT3_lPKT2_lT1_lS7_lS8_lS4_lPT4_lS8_li
    .private_segment_fixed_size: 0
    .sgpr_count:     30
    .sgpr_spill_count: 0
    .symbol:         _ZL20rocblas_gemvn_kernelILi64ELi4EiPKDF16_fKPDF16_EviiT3_lPKT2_lT1_lS7_lS8_lS4_lPT4_lS8_li.kd
    .uniform_work_group_size: 1
    .uses_dynamic_stack: false
    .vgpr_count:     46
    .vgpr_spill_count: 0
    .wavefront_size: 32
    .workgroup_processor_mode: 1
  - .args:
      - .offset:         0
        .size:           4
        .value_kind:     by_value
      - .offset:         4
        .size:           4
        .value_kind:     by_value
      - .offset:         8
        .size:           4
        .value_kind:     by_value
      - .offset:         16
        .size:           8
        .value_kind:     by_value
      - .address_space:  global
        .offset:         24
        .size:           8
        .value_kind:     global_buffer
      - .offset:         32
        .size:           8
        .value_kind:     by_value
      - .offset:         40
        .size:           8
        .value_kind:     by_value
      - .offset:         48
        .size:           8
        .value_kind:     by_value
      - .address_space:  global
        .offset:         56
        .size:           8
        .value_kind:     global_buffer
      - .offset:         64
        .size:           8
        .value_kind:     by_value
      - .offset:         72
        .size:           8
        .value_kind:     by_value
      - .offset:         80
        .size:           8
        .value_kind:     by_value
      - .offset:         88
        .size:           4
        .value_kind:     by_value
      - .offset:         96
        .size:           8
        .value_kind:     by_value
      - .address_space:  global
        .offset:         104
        .size:           8
        .value_kind:     global_buffer
      - .offset:         112
        .size:           8
        .value_kind:     by_value
      - .offset:         120
        .size:           8
        .value_kind:     by_value
      - .offset:         128
        .size:           8
        .value_kind:     by_value
      - .offset:         136
        .size:           4
        .value_kind:     by_value
      - .offset:         144
        .size:           4
        .value_kind:     hidden_block_count_x
      - .offset:         148
        .size:           4
        .value_kind:     hidden_block_count_y
      - .offset:         152
        .size:           4
        .value_kind:     hidden_block_count_z
      - .offset:         156
        .size:           2
        .value_kind:     hidden_group_size_x
      - .offset:         158
        .size:           2
        .value_kind:     hidden_group_size_y
      - .offset:         160
        .size:           2
        .value_kind:     hidden_group_size_z
      - .offset:         162
        .size:           2
        .value_kind:     hidden_remainder_x
      - .offset:         164
        .size:           2
        .value_kind:     hidden_remainder_y
      - .offset:         166
        .size:           2
        .value_kind:     hidden_remainder_z
      - .offset:         184
        .size:           8
        .value_kind:     hidden_global_offset_x
      - .offset:         192
        .size:           8
        .value_kind:     hidden_global_offset_y
      - .offset:         200
        .size:           8
        .value_kind:     hidden_global_offset_z
      - .offset:         208
        .size:           2
        .value_kind:     hidden_grid_dims
    .group_segment_fixed_size: 4096
    .kernarg_segment_align: 8
    .kernarg_segment_size: 400
    .language:       OpenCL C
    .language_version:
      - 2
      - 0
    .max_flat_workgroup_size: 256
    .name:           _ZL20rocblas_gemvn_kernelILi64ELi4ElPKDF16_fKPDF16_EviiT3_lPKT2_lT1_lS7_lS8_lS4_lPT4_lS8_li
    .private_segment_fixed_size: 0
    .sgpr_count:     37
    .sgpr_spill_count: 0
    .symbol:         _ZL20rocblas_gemvn_kernelILi64ELi4ElPKDF16_fKPDF16_EviiT3_lPKT2_lT1_lS7_lS8_lS4_lPT4_lS8_li.kd
    .uniform_work_group_size: 1
    .uses_dynamic_stack: false
    .vgpr_count:     56
    .vgpr_spill_count: 0
    .wavefront_size: 32
    .workgroup_processor_mode: 1
  - .args:
      - .offset:         0
        .size:           4
        .value_kind:     by_value
      - .offset:         4
        .size:           4
        .value_kind:     by_value
      - .address_space:  global
        .offset:         8
        .size:           8
        .value_kind:     global_buffer
      - .offset:         16
        .size:           8
        .value_kind:     by_value
      - .address_space:  global
        .offset:         24
        .size:           8
        .value_kind:     global_buffer
      - .offset:         32
        .size:           8
        .value_kind:     by_value
      - .offset:         40
        .size:           4
        .value_kind:     by_value
      - .offset:         48
        .size:           8
        .value_kind:     by_value
      - .address_space:  global
        .offset:         56
        .size:           8
        .value_kind:     global_buffer
      - .offset:         64
        .size:           8
        .value_kind:     by_value
      - .offset:         72
        .size:           4
        .value_kind:     by_value
      - .offset:         80
        .size:           8
        .value_kind:     by_value
      - .address_space:  global
        .offset:         88
        .size:           8
        .value_kind:     global_buffer
      - .offset:         96
        .size:           8
        .value_kind:     by_value
      - .address_space:  global
        .offset:         104
        .size:           8
        .value_kind:     global_buffer
      - .offset:         112
        .size:           8
        .value_kind:     by_value
      - .offset:         120
        .size:           4
        .value_kind:     by_value
      - .offset:         128
        .size:           8
        .value_kind:     by_value
      - .offset:         136
        .size:           4
        .value_kind:     by_value
      - .offset:         144
        .size:           4
        .value_kind:     hidden_block_count_x
      - .offset:         148
        .size:           4
        .value_kind:     hidden_block_count_y
      - .offset:         152
        .size:           4
        .value_kind:     hidden_block_count_z
      - .offset:         156
        .size:           2
        .value_kind:     hidden_group_size_x
      - .offset:         158
        .size:           2
        .value_kind:     hidden_group_size_y
      - .offset:         160
        .size:           2
        .value_kind:     hidden_group_size_z
      - .offset:         162
        .size:           2
        .value_kind:     hidden_remainder_x
      - .offset:         164
        .size:           2
        .value_kind:     hidden_remainder_y
      - .offset:         166
        .size:           2
        .value_kind:     hidden_remainder_z
      - .offset:         184
        .size:           8
        .value_kind:     hidden_global_offset_x
      - .offset:         192
        .size:           8
        .value_kind:     hidden_global_offset_y
      - .offset:         200
        .size:           8
        .value_kind:     hidden_global_offset_z
      - .offset:         208
        .size:           2
        .value_kind:     hidden_grid_dims
    .group_segment_fixed_size: 8192
    .kernarg_segment_align: 8
    .kernarg_segment_size: 400
    .language:       OpenCL C
    .language_version:
      - 2
      - 0
    .max_flat_workgroup_size: 512
    .name:           _ZL20rocblas_gemvn_kernelILi32ELi16EiPKDF16_PKfKPDF16_EviiT3_lPKT2_lT1_lS9_lSA_lS6_lPT4_lSA_li
    .private_segment_fixed_size: 0
    .sgpr_count:     30
    .sgpr_spill_count: 0
    .symbol:         _ZL20rocblas_gemvn_kernelILi32ELi16EiPKDF16_PKfKPDF16_EviiT3_lPKT2_lT1_lS9_lSA_lS6_lPT4_lSA_li.kd
    .uniform_work_group_size: 1
    .uses_dynamic_stack: false
    .vgpr_count:     46
    .vgpr_spill_count: 0
    .wavefront_size: 32
    .workgroup_processor_mode: 1
  - .args:
      - .offset:         0
        .size:           4
        .value_kind:     by_value
      - .offset:         4
        .size:           4
        .value_kind:     by_value
      - .address_space:  global
        .offset:         8
        .size:           8
        .value_kind:     global_buffer
      - .offset:         16
        .size:           8
        .value_kind:     by_value
      - .address_space:  global
        .offset:         24
        .size:           8
        .value_kind:     global_buffer
      - .offset:         32
        .size:           8
        .value_kind:     by_value
      - .offset:         40
        .size:           8
        .value_kind:     by_value
      - .offset:         48
        .size:           8
        .value_kind:     by_value
      - .address_space:  global
        .offset:         56
        .size:           8
        .value_kind:     global_buffer
      - .offset:         64
        .size:           8
        .value_kind:     by_value
      - .offset:         72
        .size:           8
        .value_kind:     by_value
      - .offset:         80
        .size:           8
        .value_kind:     by_value
      - .address_space:  global
        .offset:         88
        .size:           8
        .value_kind:     global_buffer
      - .offset:         96
        .size:           8
        .value_kind:     by_value
      - .address_space:  global
        .offset:         104
        .size:           8
        .value_kind:     global_buffer
      - .offset:         112
        .size:           8
        .value_kind:     by_value
      - .offset:         120
        .size:           8
        .value_kind:     by_value
      - .offset:         128
        .size:           8
        .value_kind:     by_value
      - .offset:         136
        .size:           4
        .value_kind:     by_value
      - .offset:         144
        .size:           4
        .value_kind:     hidden_block_count_x
      - .offset:         148
        .size:           4
        .value_kind:     hidden_block_count_y
      - .offset:         152
        .size:           4
        .value_kind:     hidden_block_count_z
      - .offset:         156
        .size:           2
        .value_kind:     hidden_group_size_x
      - .offset:         158
        .size:           2
        .value_kind:     hidden_group_size_y
      - .offset:         160
        .size:           2
        .value_kind:     hidden_group_size_z
      - .offset:         162
        .size:           2
        .value_kind:     hidden_remainder_x
      - .offset:         164
        .size:           2
        .value_kind:     hidden_remainder_y
      - .offset:         166
        .size:           2
        .value_kind:     hidden_remainder_z
      - .offset:         184
        .size:           8
        .value_kind:     hidden_global_offset_x
      - .offset:         192
        .size:           8
        .value_kind:     hidden_global_offset_y
      - .offset:         200
        .size:           8
        .value_kind:     hidden_global_offset_z
      - .offset:         208
        .size:           2
        .value_kind:     hidden_grid_dims
    .group_segment_fixed_size: 8192
    .kernarg_segment_align: 8
    .kernarg_segment_size: 400
    .language:       OpenCL C
    .language_version:
      - 2
      - 0
    .max_flat_workgroup_size: 512
    .name:           _ZL20rocblas_gemvn_kernelILi32ELi16ElPKDF16_PKfKPDF16_EviiT3_lPKT2_lT1_lS9_lSA_lS6_lPT4_lSA_li
    .private_segment_fixed_size: 0
    .sgpr_count:     37
    .sgpr_spill_count: 0
    .symbol:         _ZL20rocblas_gemvn_kernelILi32ELi16ElPKDF16_PKfKPDF16_EviiT3_lPKT2_lT1_lS9_lSA_lS6_lPT4_lSA_li.kd
    .uniform_work_group_size: 1
    .uses_dynamic_stack: false
    .vgpr_count:     56
    .vgpr_spill_count: 0
    .wavefront_size: 32
    .workgroup_processor_mode: 1
  - .args:
      - .offset:         0
        .size:           4
        .value_kind:     by_value
      - .offset:         4
        .size:           4
        .value_kind:     by_value
      - .offset:         8
        .size:           4
        .value_kind:     by_value
      - .offset:         16
        .size:           8
        .value_kind:     by_value
      - .address_space:  global
        .offset:         24
        .size:           8
        .value_kind:     global_buffer
      - .offset:         32
        .size:           8
        .value_kind:     by_value
      - .offset:         40
        .size:           4
        .value_kind:     by_value
      - .offset:         48
        .size:           8
        .value_kind:     by_value
      - .address_space:  global
        .offset:         56
        .size:           8
        .value_kind:     global_buffer
      - .offset:         64
        .size:           8
        .value_kind:     by_value
      - .offset:         72
        .size:           4
        .value_kind:     by_value
      - .offset:         80
        .size:           8
        .value_kind:     by_value
      - .offset:         88
        .size:           4
        .value_kind:     by_value
      - .offset:         96
        .size:           8
        .value_kind:     by_value
      - .address_space:  global
        .offset:         104
        .size:           8
        .value_kind:     global_buffer
      - .offset:         112
        .size:           8
        .value_kind:     by_value
      - .offset:         120
        .size:           4
        .value_kind:     by_value
      - .offset:         128
        .size:           8
        .value_kind:     by_value
      - .offset:         136
        .size:           4
        .value_kind:     by_value
      - .offset:         144
        .size:           4
        .value_kind:     hidden_block_count_x
      - .offset:         148
        .size:           4
        .value_kind:     hidden_block_count_y
      - .offset:         152
        .size:           4
        .value_kind:     hidden_block_count_z
      - .offset:         156
        .size:           2
        .value_kind:     hidden_group_size_x
      - .offset:         158
        .size:           2
        .value_kind:     hidden_group_size_y
      - .offset:         160
        .size:           2
        .value_kind:     hidden_group_size_z
      - .offset:         162
        .size:           2
        .value_kind:     hidden_remainder_x
      - .offset:         164
        .size:           2
        .value_kind:     hidden_remainder_y
      - .offset:         166
        .size:           2
        .value_kind:     hidden_remainder_z
      - .offset:         184
        .size:           8
        .value_kind:     hidden_global_offset_x
      - .offset:         192
        .size:           8
        .value_kind:     hidden_global_offset_y
      - .offset:         200
        .size:           8
        .value_kind:     hidden_global_offset_z
      - .offset:         208
        .size:           2
        .value_kind:     hidden_grid_dims
    .group_segment_fixed_size: 8192
    .kernarg_segment_align: 8
    .kernarg_segment_size: 400
    .language:       OpenCL C
    .language_version:
      - 2
      - 0
    .max_flat_workgroup_size: 512
    .name:           _ZL20rocblas_gemvn_kernelILi32ELi16EiPKDF16_fKPDF16_EviiT3_lPKT2_lT1_lS7_lS8_lS4_lPT4_lS8_li
    .private_segment_fixed_size: 0
    .sgpr_count:     30
    .sgpr_spill_count: 0
    .symbol:         _ZL20rocblas_gemvn_kernelILi32ELi16EiPKDF16_fKPDF16_EviiT3_lPKT2_lT1_lS7_lS8_lS4_lPT4_lS8_li.kd
    .uniform_work_group_size: 1
    .uses_dynamic_stack: false
    .vgpr_count:     46
    .vgpr_spill_count: 0
    .wavefront_size: 32
    .workgroup_processor_mode: 1
  - .args:
      - .offset:         0
        .size:           4
        .value_kind:     by_value
      - .offset:         4
        .size:           4
        .value_kind:     by_value
      - .offset:         8
        .size:           4
        .value_kind:     by_value
      - .offset:         16
        .size:           8
        .value_kind:     by_value
      - .address_space:  global
        .offset:         24
        .size:           8
        .value_kind:     global_buffer
      - .offset:         32
        .size:           8
        .value_kind:     by_value
      - .offset:         40
        .size:           8
        .value_kind:     by_value
      - .offset:         48
        .size:           8
        .value_kind:     by_value
      - .address_space:  global
        .offset:         56
        .size:           8
        .value_kind:     global_buffer
      - .offset:         64
        .size:           8
        .value_kind:     by_value
      - .offset:         72
        .size:           8
        .value_kind:     by_value
      - .offset:         80
        .size:           8
        .value_kind:     by_value
      - .offset:         88
        .size:           4
        .value_kind:     by_value
      - .offset:         96
        .size:           8
        .value_kind:     by_value
      - .address_space:  global
        .offset:         104
        .size:           8
        .value_kind:     global_buffer
      - .offset:         112
        .size:           8
        .value_kind:     by_value
      - .offset:         120
        .size:           8
        .value_kind:     by_value
      - .offset:         128
        .size:           8
        .value_kind:     by_value
      - .offset:         136
        .size:           4
        .value_kind:     by_value
      - .offset:         144
        .size:           4
        .value_kind:     hidden_block_count_x
      - .offset:         148
        .size:           4
        .value_kind:     hidden_block_count_y
      - .offset:         152
        .size:           4
        .value_kind:     hidden_block_count_z
      - .offset:         156
        .size:           2
        .value_kind:     hidden_group_size_x
      - .offset:         158
        .size:           2
        .value_kind:     hidden_group_size_y
      - .offset:         160
        .size:           2
        .value_kind:     hidden_group_size_z
      - .offset:         162
        .size:           2
        .value_kind:     hidden_remainder_x
      - .offset:         164
        .size:           2
        .value_kind:     hidden_remainder_y
      - .offset:         166
        .size:           2
        .value_kind:     hidden_remainder_z
      - .offset:         184
        .size:           8
        .value_kind:     hidden_global_offset_x
      - .offset:         192
        .size:           8
        .value_kind:     hidden_global_offset_y
      - .offset:         200
        .size:           8
        .value_kind:     hidden_global_offset_z
      - .offset:         208
        .size:           2
        .value_kind:     hidden_grid_dims
    .group_segment_fixed_size: 8192
    .kernarg_segment_align: 8
    .kernarg_segment_size: 400
    .language:       OpenCL C
    .language_version:
      - 2
      - 0
    .max_flat_workgroup_size: 512
    .name:           _ZL20rocblas_gemvn_kernelILi32ELi16ElPKDF16_fKPDF16_EviiT3_lPKT2_lT1_lS7_lS8_lS4_lPT4_lS8_li
    .private_segment_fixed_size: 0
    .sgpr_count:     37
    .sgpr_spill_count: 0
    .symbol:         _ZL20rocblas_gemvn_kernelILi32ELi16ElPKDF16_fKPDF16_EviiT3_lPKT2_lT1_lS7_lS8_lS4_lPT4_lS8_li.kd
    .uniform_work_group_size: 1
    .uses_dynamic_stack: false
    .vgpr_count:     56
    .vgpr_spill_count: 0
    .wavefront_size: 32
    .workgroup_processor_mode: 1
  - .args:
      - .offset:         0
        .size:           4
        .value_kind:     by_value
      - .offset:         4
        .size:           4
        .value_kind:     by_value
      - .address_space:  global
        .offset:         8
        .size:           8
        .value_kind:     global_buffer
      - .offset:         16
        .size:           8
        .value_kind:     by_value
      - .address_space:  global
        .offset:         24
        .size:           8
        .value_kind:     global_buffer
      - .offset:         32
        .size:           8
        .value_kind:     by_value
      - .offset:         40
        .size:           4
        .value_kind:     by_value
      - .offset:         48
        .size:           8
        .value_kind:     by_value
      - .address_space:  global
        .offset:         56
        .size:           8
        .value_kind:     global_buffer
      - .offset:         64
        .size:           8
        .value_kind:     by_value
      - .offset:         72
        .size:           4
        .value_kind:     by_value
      - .offset:         80
        .size:           8
        .value_kind:     by_value
      - .address_space:  global
        .offset:         88
        .size:           8
        .value_kind:     global_buffer
      - .offset:         96
        .size:           8
        .value_kind:     by_value
      - .address_space:  global
        .offset:         104
        .size:           8
        .value_kind:     global_buffer
      - .offset:         112
        .size:           8
        .value_kind:     by_value
      - .offset:         120
        .size:           4
        .value_kind:     by_value
      - .offset:         128
        .size:           8
        .value_kind:     by_value
      - .offset:         136
        .size:           4
        .value_kind:     by_value
      - .offset:         144
        .size:           4
        .value_kind:     hidden_block_count_x
      - .offset:         148
        .size:           4
        .value_kind:     hidden_block_count_y
      - .offset:         152
        .size:           4
        .value_kind:     hidden_block_count_z
      - .offset:         156
        .size:           2
        .value_kind:     hidden_group_size_x
      - .offset:         158
        .size:           2
        .value_kind:     hidden_group_size_y
      - .offset:         160
        .size:           2
        .value_kind:     hidden_group_size_z
      - .offset:         162
        .size:           2
        .value_kind:     hidden_remainder_x
      - .offset:         164
        .size:           2
        .value_kind:     hidden_remainder_y
      - .offset:         166
        .size:           2
        .value_kind:     hidden_remainder_z
      - .offset:         184
        .size:           8
        .value_kind:     hidden_global_offset_x
      - .offset:         192
        .size:           8
        .value_kind:     hidden_global_offset_y
      - .offset:         200
        .size:           8
        .value_kind:     hidden_global_offset_z
      - .offset:         208
        .size:           2
        .value_kind:     hidden_grid_dims
    .group_segment_fixed_size: 16384
    .kernarg_segment_align: 8
    .kernarg_segment_size: 400
    .language:       OpenCL C
    .language_version:
      - 2
      - 0
    .max_flat_workgroup_size: 1024
    .name:           _ZL20rocblas_gemvn_kernelILi64ELi16EiPKDF16_PKfKPDF16_EviiT3_lPKT2_lT1_lS9_lSA_lS6_lPT4_lSA_li
    .private_segment_fixed_size: 0
    .sgpr_count:     30
    .sgpr_spill_count: 0
    .symbol:         _ZL20rocblas_gemvn_kernelILi64ELi16EiPKDF16_PKfKPDF16_EviiT3_lPKT2_lT1_lS9_lSA_lS6_lPT4_lSA_li.kd
    .uniform_work_group_size: 1
    .uses_dynamic_stack: false
    .vgpr_count:     46
    .vgpr_spill_count: 0
    .wavefront_size: 32
    .workgroup_processor_mode: 1
  - .args:
      - .offset:         0
        .size:           4
        .value_kind:     by_value
      - .offset:         4
        .size:           4
        .value_kind:     by_value
      - .address_space:  global
        .offset:         8
        .size:           8
        .value_kind:     global_buffer
      - .offset:         16
        .size:           8
        .value_kind:     by_value
      - .address_space:  global
        .offset:         24
        .size:           8
        .value_kind:     global_buffer
      - .offset:         32
        .size:           8
        .value_kind:     by_value
      - .offset:         40
        .size:           8
        .value_kind:     by_value
      - .offset:         48
        .size:           8
        .value_kind:     by_value
      - .address_space:  global
        .offset:         56
        .size:           8
        .value_kind:     global_buffer
      - .offset:         64
        .size:           8
        .value_kind:     by_value
      - .offset:         72
        .size:           8
        .value_kind:     by_value
      - .offset:         80
        .size:           8
        .value_kind:     by_value
      - .address_space:  global
        .offset:         88
        .size:           8
        .value_kind:     global_buffer
      - .offset:         96
        .size:           8
        .value_kind:     by_value
      - .address_space:  global
        .offset:         104
        .size:           8
        .value_kind:     global_buffer
      - .offset:         112
        .size:           8
        .value_kind:     by_value
      - .offset:         120
        .size:           8
        .value_kind:     by_value
      - .offset:         128
        .size:           8
        .value_kind:     by_value
      - .offset:         136
        .size:           4
        .value_kind:     by_value
      - .offset:         144
        .size:           4
        .value_kind:     hidden_block_count_x
      - .offset:         148
        .size:           4
        .value_kind:     hidden_block_count_y
      - .offset:         152
        .size:           4
        .value_kind:     hidden_block_count_z
      - .offset:         156
        .size:           2
        .value_kind:     hidden_group_size_x
      - .offset:         158
        .size:           2
        .value_kind:     hidden_group_size_y
      - .offset:         160
        .size:           2
        .value_kind:     hidden_group_size_z
      - .offset:         162
        .size:           2
        .value_kind:     hidden_remainder_x
      - .offset:         164
        .size:           2
        .value_kind:     hidden_remainder_y
      - .offset:         166
        .size:           2
        .value_kind:     hidden_remainder_z
      - .offset:         184
        .size:           8
        .value_kind:     hidden_global_offset_x
      - .offset:         192
        .size:           8
        .value_kind:     hidden_global_offset_y
      - .offset:         200
        .size:           8
        .value_kind:     hidden_global_offset_z
      - .offset:         208
        .size:           2
        .value_kind:     hidden_grid_dims
    .group_segment_fixed_size: 16384
    .kernarg_segment_align: 8
    .kernarg_segment_size: 400
    .language:       OpenCL C
    .language_version:
      - 2
      - 0
    .max_flat_workgroup_size: 1024
    .name:           _ZL20rocblas_gemvn_kernelILi64ELi16ElPKDF16_PKfKPDF16_EviiT3_lPKT2_lT1_lS9_lSA_lS6_lPT4_lSA_li
    .private_segment_fixed_size: 0
    .sgpr_count:     37
    .sgpr_spill_count: 0
    .symbol:         _ZL20rocblas_gemvn_kernelILi64ELi16ElPKDF16_PKfKPDF16_EviiT3_lPKT2_lT1_lS9_lSA_lS6_lPT4_lSA_li.kd
    .uniform_work_group_size: 1
    .uses_dynamic_stack: false
    .vgpr_count:     56
    .vgpr_spill_count: 0
    .wavefront_size: 32
    .workgroup_processor_mode: 1
  - .args:
      - .offset:         0
        .size:           4
        .value_kind:     by_value
      - .offset:         4
        .size:           4
        .value_kind:     by_value
      - .offset:         8
        .size:           4
        .value_kind:     by_value
      - .offset:         16
        .size:           8
        .value_kind:     by_value
      - .address_space:  global
        .offset:         24
        .size:           8
        .value_kind:     global_buffer
      - .offset:         32
        .size:           8
        .value_kind:     by_value
      - .offset:         40
        .size:           4
        .value_kind:     by_value
      - .offset:         48
        .size:           8
        .value_kind:     by_value
      - .address_space:  global
        .offset:         56
        .size:           8
        .value_kind:     global_buffer
      - .offset:         64
        .size:           8
        .value_kind:     by_value
      - .offset:         72
        .size:           4
        .value_kind:     by_value
      - .offset:         80
        .size:           8
        .value_kind:     by_value
      - .offset:         88
        .size:           4
        .value_kind:     by_value
      - .offset:         96
        .size:           8
        .value_kind:     by_value
      - .address_space:  global
        .offset:         104
        .size:           8
        .value_kind:     global_buffer
      - .offset:         112
        .size:           8
        .value_kind:     by_value
      - .offset:         120
        .size:           4
        .value_kind:     by_value
      - .offset:         128
        .size:           8
        .value_kind:     by_value
      - .offset:         136
        .size:           4
        .value_kind:     by_value
      - .offset:         144
        .size:           4
        .value_kind:     hidden_block_count_x
      - .offset:         148
        .size:           4
        .value_kind:     hidden_block_count_y
      - .offset:         152
        .size:           4
        .value_kind:     hidden_block_count_z
      - .offset:         156
        .size:           2
        .value_kind:     hidden_group_size_x
      - .offset:         158
        .size:           2
        .value_kind:     hidden_group_size_y
      - .offset:         160
        .size:           2
        .value_kind:     hidden_group_size_z
      - .offset:         162
        .size:           2
        .value_kind:     hidden_remainder_x
      - .offset:         164
        .size:           2
        .value_kind:     hidden_remainder_y
      - .offset:         166
        .size:           2
        .value_kind:     hidden_remainder_z
      - .offset:         184
        .size:           8
        .value_kind:     hidden_global_offset_x
      - .offset:         192
        .size:           8
        .value_kind:     hidden_global_offset_y
      - .offset:         200
        .size:           8
        .value_kind:     hidden_global_offset_z
      - .offset:         208
        .size:           2
        .value_kind:     hidden_grid_dims
    .group_segment_fixed_size: 16384
    .kernarg_segment_align: 8
    .kernarg_segment_size: 400
    .language:       OpenCL C
    .language_version:
      - 2
      - 0
    .max_flat_workgroup_size: 1024
    .name:           _ZL20rocblas_gemvn_kernelILi64ELi16EiPKDF16_fKPDF16_EviiT3_lPKT2_lT1_lS7_lS8_lS4_lPT4_lS8_li
    .private_segment_fixed_size: 0
    .sgpr_count:     30
    .sgpr_spill_count: 0
    .symbol:         _ZL20rocblas_gemvn_kernelILi64ELi16EiPKDF16_fKPDF16_EviiT3_lPKT2_lT1_lS7_lS8_lS4_lPT4_lS8_li.kd
    .uniform_work_group_size: 1
    .uses_dynamic_stack: false
    .vgpr_count:     46
    .vgpr_spill_count: 0
    .wavefront_size: 32
    .workgroup_processor_mode: 1
  - .args:
      - .offset:         0
        .size:           4
        .value_kind:     by_value
      - .offset:         4
        .size:           4
        .value_kind:     by_value
      - .offset:         8
        .size:           4
        .value_kind:     by_value
      - .offset:         16
        .size:           8
        .value_kind:     by_value
      - .address_space:  global
        .offset:         24
        .size:           8
        .value_kind:     global_buffer
      - .offset:         32
        .size:           8
        .value_kind:     by_value
      - .offset:         40
        .size:           8
        .value_kind:     by_value
      - .offset:         48
        .size:           8
        .value_kind:     by_value
      - .address_space:  global
        .offset:         56
        .size:           8
        .value_kind:     global_buffer
      - .offset:         64
        .size:           8
        .value_kind:     by_value
      - .offset:         72
        .size:           8
        .value_kind:     by_value
      - .offset:         80
        .size:           8
        .value_kind:     by_value
      - .offset:         88
        .size:           4
        .value_kind:     by_value
      - .offset:         96
        .size:           8
        .value_kind:     by_value
      - .address_space:  global
        .offset:         104
        .size:           8
        .value_kind:     global_buffer
      - .offset:         112
        .size:           8
        .value_kind:     by_value
      - .offset:         120
        .size:           8
        .value_kind:     by_value
      - .offset:         128
        .size:           8
        .value_kind:     by_value
      - .offset:         136
        .size:           4
        .value_kind:     by_value
      - .offset:         144
        .size:           4
        .value_kind:     hidden_block_count_x
      - .offset:         148
        .size:           4
        .value_kind:     hidden_block_count_y
      - .offset:         152
        .size:           4
        .value_kind:     hidden_block_count_z
      - .offset:         156
        .size:           2
        .value_kind:     hidden_group_size_x
      - .offset:         158
        .size:           2
        .value_kind:     hidden_group_size_y
      - .offset:         160
        .size:           2
        .value_kind:     hidden_group_size_z
      - .offset:         162
        .size:           2
        .value_kind:     hidden_remainder_x
      - .offset:         164
        .size:           2
        .value_kind:     hidden_remainder_y
      - .offset:         166
        .size:           2
        .value_kind:     hidden_remainder_z
      - .offset:         184
        .size:           8
        .value_kind:     hidden_global_offset_x
      - .offset:         192
        .size:           8
        .value_kind:     hidden_global_offset_y
      - .offset:         200
        .size:           8
        .value_kind:     hidden_global_offset_z
      - .offset:         208
        .size:           2
        .value_kind:     hidden_grid_dims
    .group_segment_fixed_size: 16384
    .kernarg_segment_align: 8
    .kernarg_segment_size: 400
    .language:       OpenCL C
    .language_version:
      - 2
      - 0
    .max_flat_workgroup_size: 1024
    .name:           _ZL20rocblas_gemvn_kernelILi64ELi16ElPKDF16_fKPDF16_EviiT3_lPKT2_lT1_lS7_lS8_lS4_lPT4_lS8_li
    .private_segment_fixed_size: 0
    .sgpr_count:     37
    .sgpr_spill_count: 0
    .symbol:         _ZL20rocblas_gemvn_kernelILi64ELi16ElPKDF16_fKPDF16_EviiT3_lPKT2_lT1_lS7_lS8_lS4_lPT4_lS8_li.kd
    .uniform_work_group_size: 1
    .uses_dynamic_stack: false
    .vgpr_count:     56
    .vgpr_spill_count: 0
    .wavefront_size: 32
    .workgroup_processor_mode: 1
  - .args:
      - .offset:         0
        .size:           4
        .value_kind:     by_value
      - .offset:         4
        .size:           4
        .value_kind:     by_value
      - .address_space:  global
        .offset:         8
        .size:           8
        .value_kind:     global_buffer
      - .offset:         16
        .size:           8
        .value_kind:     by_value
      - .address_space:  global
        .offset:         24
        .size:           8
        .value_kind:     global_buffer
      - .offset:         32
        .size:           8
        .value_kind:     by_value
      - .offset:         40
        .size:           4
        .value_kind:     by_value
      - .offset:         48
        .size:           8
        .value_kind:     by_value
      - .address_space:  global
        .offset:         56
        .size:           8
        .value_kind:     global_buffer
      - .offset:         64
        .size:           8
        .value_kind:     by_value
      - .offset:         72
        .size:           4
        .value_kind:     by_value
      - .offset:         80
        .size:           8
        .value_kind:     by_value
      - .address_space:  global
        .offset:         88
        .size:           8
        .value_kind:     global_buffer
      - .offset:         96
        .size:           8
        .value_kind:     by_value
      - .address_space:  global
        .offset:         104
        .size:           8
        .value_kind:     global_buffer
      - .offset:         112
        .size:           8
        .value_kind:     by_value
      - .offset:         120
        .size:           4
        .value_kind:     by_value
      - .offset:         128
        .size:           8
        .value_kind:     by_value
    .group_segment_fixed_size: 256
    .kernarg_segment_align: 8
    .kernarg_segment_size: 136
    .language:       OpenCL C
    .language_version:
      - 2
      - 0
    .max_flat_workgroup_size: 256
    .name:           _ZL22rocblas_gemvtsm_kernelILb0ELi256EPKDF16_PKfKPDF16_EviiT2_lPKT1_lilS9_lilS6_lPT3_lil
    .private_segment_fixed_size: 0
    .sgpr_count:     26
    .sgpr_spill_count: 0
    .symbol:         _ZL22rocblas_gemvtsm_kernelILb0ELi256EPKDF16_PKfKPDF16_EviiT2_lPKT1_lilS9_lilS6_lPT3_lil.kd
    .uniform_work_group_size: 1
    .uses_dynamic_stack: false
    .vgpr_count:     20
    .vgpr_spill_count: 0
    .wavefront_size: 32
    .workgroup_processor_mode: 1
  - .args:
      - .offset:         0
        .size:           4
        .value_kind:     by_value
      - .offset:         4
        .size:           4
        .value_kind:     by_value
      - .offset:         8
        .size:           4
        .value_kind:     by_value
      - .offset:         16
        .size:           8
        .value_kind:     by_value
      - .address_space:  global
        .offset:         24
        .size:           8
        .value_kind:     global_buffer
      - .offset:         32
        .size:           8
        .value_kind:     by_value
      - .offset:         40
        .size:           4
        .value_kind:     by_value
      - .offset:         48
        .size:           8
        .value_kind:     by_value
      - .address_space:  global
        .offset:         56
        .size:           8
        .value_kind:     global_buffer
      - .offset:         64
        .size:           8
        .value_kind:     by_value
      - .offset:         72
        .size:           4
        .value_kind:     by_value
      - .offset:         80
        .size:           8
        .value_kind:     by_value
      - .offset:         88
        .size:           4
        .value_kind:     by_value
      - .offset:         96
        .size:           8
        .value_kind:     by_value
      - .address_space:  global
        .offset:         104
        .size:           8
        .value_kind:     global_buffer
      - .offset:         112
        .size:           8
        .value_kind:     by_value
      - .offset:         120
        .size:           4
        .value_kind:     by_value
      - .offset:         128
        .size:           8
        .value_kind:     by_value
    .group_segment_fixed_size: 256
    .kernarg_segment_align: 8
    .kernarg_segment_size: 136
    .language:       OpenCL C
    .language_version:
      - 2
      - 0
    .max_flat_workgroup_size: 256
    .name:           _ZL22rocblas_gemvtsm_kernelILb0ELi256EPKDF16_fKPDF16_EviiT2_lPKT1_lilS7_lilS4_lPT3_lil
    .private_segment_fixed_size: 0
    .sgpr_count:     26
    .sgpr_spill_count: 0
    .symbol:         _ZL22rocblas_gemvtsm_kernelILb0ELi256EPKDF16_fKPDF16_EviiT2_lPKT1_lilS7_lilS4_lPT3_lil.kd
    .uniform_work_group_size: 1
    .uses_dynamic_stack: false
    .vgpr_count:     20
    .vgpr_spill_count: 0
    .wavefront_size: 32
    .workgroup_processor_mode: 1
  - .args:
      - .offset:         0
        .size:           4
        .value_kind:     by_value
      - .offset:         4
        .size:           4
        .value_kind:     by_value
      - .address_space:  global
        .offset:         8
        .size:           8
        .value_kind:     global_buffer
      - .offset:         16
        .size:           8
        .value_kind:     by_value
      - .address_space:  global
        .offset:         24
        .size:           8
        .value_kind:     global_buffer
      - .offset:         32
        .size:           8
        .value_kind:     by_value
      - .offset:         40
        .size:           4
        .value_kind:     by_value
      - .offset:         48
        .size:           8
        .value_kind:     by_value
      - .address_space:  global
        .offset:         56
        .size:           8
        .value_kind:     global_buffer
      - .offset:         64
        .size:           8
        .value_kind:     by_value
      - .offset:         72
        .size:           4
        .value_kind:     by_value
      - .offset:         80
        .size:           8
        .value_kind:     by_value
      - .address_space:  global
        .offset:         88
        .size:           8
        .value_kind:     global_buffer
      - .offset:         96
        .size:           4
        .value_kind:     by_value
      - .offset:         104
        .size:           4
        .value_kind:     hidden_block_count_x
      - .offset:         108
        .size:           4
        .value_kind:     hidden_block_count_y
      - .offset:         112
        .size:           4
        .value_kind:     hidden_block_count_z
      - .offset:         116
        .size:           2
        .value_kind:     hidden_group_size_x
      - .offset:         118
        .size:           2
        .value_kind:     hidden_group_size_y
      - .offset:         120
        .size:           2
        .value_kind:     hidden_group_size_z
      - .offset:         122
        .size:           2
        .value_kind:     hidden_remainder_x
      - .offset:         124
        .size:           2
        .value_kind:     hidden_remainder_y
      - .offset:         126
        .size:           2
        .value_kind:     hidden_remainder_z
      - .offset:         144
        .size:           8
        .value_kind:     hidden_global_offset_x
      - .offset:         152
        .size:           8
        .value_kind:     hidden_global_offset_y
      - .offset:         160
        .size:           8
        .value_kind:     hidden_global_offset_z
      - .offset:         168
        .size:           2
        .value_kind:     hidden_grid_dims
    .group_segment_fixed_size: 128
    .kernarg_segment_align: 8
    .kernarg_segment_size: 360
    .language:       OpenCL C
    .language_version:
      - 2
      - 0
    .max_flat_workgroup_size: 256
    .name:           _ZL23rocblas_gemvt_sn_kernelILb0ELi256ELi4EiPKDF16_PKffEviiT4_lPKT3_lilS7_lilPT5_i
    .private_segment_fixed_size: 0
    .sgpr_count:     46
    .sgpr_spill_count: 0
    .symbol:         _ZL23rocblas_gemvt_sn_kernelILb0ELi256ELi4EiPKDF16_PKffEviiT4_lPKT3_lilS7_lilPT5_i.kd
    .uniform_work_group_size: 1
    .uses_dynamic_stack: false
    .vgpr_count:     44
    .vgpr_spill_count: 0
    .wavefront_size: 32
    .workgroup_processor_mode: 1
  - .args:
      - .offset:         0
        .size:           4
        .value_kind:     by_value
      - .offset:         4
        .size:           4
        .value_kind:     by_value
      - .address_space:  global
        .offset:         8
        .size:           8
        .value_kind:     global_buffer
      - .offset:         16
        .size:           8
        .value_kind:     by_value
      - .address_space:  global
        .offset:         24
        .size:           8
        .value_kind:     global_buffer
      - .offset:         32
        .size:           8
        .value_kind:     by_value
      - .offset:         40
        .size:           4
        .value_kind:     by_value
      - .offset:         48
        .size:           8
        .value_kind:     by_value
      - .address_space:  global
        .offset:         56
        .size:           8
        .value_kind:     global_buffer
      - .offset:         64
        .size:           8
        .value_kind:     by_value
      - .offset:         72
        .size:           4
        .value_kind:     by_value
      - .offset:         80
        .size:           8
        .value_kind:     by_value
      - .address_space:  global
        .offset:         88
        .size:           8
        .value_kind:     global_buffer
      - .offset:         96
        .size:           4
        .value_kind:     by_value
      - .offset:         104
        .size:           4
        .value_kind:     hidden_block_count_x
      - .offset:         108
        .size:           4
        .value_kind:     hidden_block_count_y
      - .offset:         112
        .size:           4
        .value_kind:     hidden_block_count_z
      - .offset:         116
        .size:           2
        .value_kind:     hidden_group_size_x
      - .offset:         118
        .size:           2
        .value_kind:     hidden_group_size_y
      - .offset:         120
        .size:           2
        .value_kind:     hidden_group_size_z
      - .offset:         122
        .size:           2
        .value_kind:     hidden_remainder_x
      - .offset:         124
        .size:           2
        .value_kind:     hidden_remainder_y
      - .offset:         126
        .size:           2
        .value_kind:     hidden_remainder_z
      - .offset:         144
        .size:           8
        .value_kind:     hidden_global_offset_x
      - .offset:         152
        .size:           8
        .value_kind:     hidden_global_offset_y
      - .offset:         160
        .size:           8
        .value_kind:     hidden_global_offset_z
      - .offset:         168
        .size:           2
        .value_kind:     hidden_grid_dims
    .group_segment_fixed_size: 128
    .kernarg_segment_align: 8
    .kernarg_segment_size: 360
    .language:       OpenCL C
    .language_version:
      - 2
      - 0
    .max_flat_workgroup_size: 256
    .name:           _ZL23rocblas_gemvt_sn_kernelILb0ELi256ELi4ElPKDF16_PKffEviiT4_lPKT3_lilS7_lilPT5_i
    .private_segment_fixed_size: 0
    .sgpr_count:     48
    .sgpr_spill_count: 0
    .symbol:         _ZL23rocblas_gemvt_sn_kernelILb0ELi256ELi4ElPKDF16_PKffEviiT4_lPKT3_lilS7_lilPT5_i.kd
    .uniform_work_group_size: 1
    .uses_dynamic_stack: false
    .vgpr_count:     49
    .vgpr_spill_count: 0
    .wavefront_size: 32
    .workgroup_processor_mode: 1
  - .args:
      - .offset:         0
        .size:           4
        .value_kind:     by_value
      - .address_space:  global
        .offset:         8
        .size:           8
        .value_kind:     global_buffer
      - .offset:         16
        .size:           8
        .value_kind:     by_value
      - .address_space:  global
        .offset:         24
        .size:           8
        .value_kind:     global_buffer
      - .offset:         32
        .size:           8
        .value_kind:     by_value
      - .offset:         40
        .size:           4
        .value_kind:     by_value
      - .offset:         48
        .size:           8
        .value_kind:     by_value
      - .actual_access:  read_only
        .address_space:  global
        .offset:         56
        .size:           8
        .value_kind:     global_buffer
      - .offset:         64
        .size:           4
        .value_kind:     by_value
      - .offset:         72
        .size:           4
        .value_kind:     hidden_block_count_x
      - .offset:         76
        .size:           4
        .value_kind:     hidden_block_count_y
      - .offset:         80
        .size:           4
        .value_kind:     hidden_block_count_z
      - .offset:         84
        .size:           2
        .value_kind:     hidden_group_size_x
      - .offset:         86
        .size:           2
        .value_kind:     hidden_group_size_y
      - .offset:         88
        .size:           2
        .value_kind:     hidden_group_size_z
      - .offset:         90
        .size:           2
        .value_kind:     hidden_remainder_x
      - .offset:         92
        .size:           2
        .value_kind:     hidden_remainder_y
      - .offset:         94
        .size:           2
        .value_kind:     hidden_remainder_z
      - .offset:         112
        .size:           8
        .value_kind:     hidden_global_offset_x
      - .offset:         120
        .size:           8
        .value_kind:     hidden_global_offset_y
      - .offset:         128
        .size:           8
        .value_kind:     hidden_global_offset_z
      - .offset:         136
        .size:           2
        .value_kind:     hidden_grid_dims
    .group_segment_fixed_size: 128
    .kernarg_segment_align: 8
    .kernarg_segment_size: 328
    .language:       OpenCL C
    .language_version:
      - 2
      - 0
    .max_flat_workgroup_size: 256
    .name:           _ZL23rocblas_gemvt_sn_reduceILi256ELi8EfPKfKPDF16_EviT2_lPT3_lilPT1_i
    .private_segment_fixed_size: 0
    .sgpr_count:     25
    .sgpr_spill_count: 0
    .symbol:         _ZL23rocblas_gemvt_sn_reduceILi256ELi8EfPKfKPDF16_EviT2_lPT3_lilPT1_i.kd
    .uniform_work_group_size: 1
    .uses_dynamic_stack: false
    .vgpr_count:     13
    .vgpr_spill_count: 0
    .wavefront_size: 32
    .workgroup_processor_mode: 1
  - .args:
      - .offset:         0
        .size:           4
        .value_kind:     by_value
      - .offset:         4
        .size:           4
        .value_kind:     by_value
      - .offset:         8
        .size:           4
        .value_kind:     by_value
      - .offset:         16
        .size:           8
        .value_kind:     by_value
      - .address_space:  global
        .offset:         24
        .size:           8
        .value_kind:     global_buffer
      - .offset:         32
        .size:           8
        .value_kind:     by_value
      - .offset:         40
        .size:           4
        .value_kind:     by_value
      - .offset:         48
        .size:           8
        .value_kind:     by_value
      - .address_space:  global
        .offset:         56
        .size:           8
        .value_kind:     global_buffer
      - .offset:         64
        .size:           8
        .value_kind:     by_value
      - .offset:         72
        .size:           4
        .value_kind:     by_value
      - .offset:         80
        .size:           8
        .value_kind:     by_value
      - .address_space:  global
        .offset:         88
        .size:           8
        .value_kind:     global_buffer
      - .offset:         96
        .size:           4
        .value_kind:     by_value
      - .offset:         104
        .size:           4
        .value_kind:     hidden_block_count_x
      - .offset:         108
        .size:           4
        .value_kind:     hidden_block_count_y
      - .offset:         112
        .size:           4
        .value_kind:     hidden_block_count_z
      - .offset:         116
        .size:           2
        .value_kind:     hidden_group_size_x
      - .offset:         118
        .size:           2
        .value_kind:     hidden_group_size_y
      - .offset:         120
        .size:           2
        .value_kind:     hidden_group_size_z
      - .offset:         122
        .size:           2
        .value_kind:     hidden_remainder_x
      - .offset:         124
        .size:           2
        .value_kind:     hidden_remainder_y
      - .offset:         126
        .size:           2
        .value_kind:     hidden_remainder_z
      - .offset:         144
        .size:           8
        .value_kind:     hidden_global_offset_x
      - .offset:         152
        .size:           8
        .value_kind:     hidden_global_offset_y
      - .offset:         160
        .size:           8
        .value_kind:     hidden_global_offset_z
      - .offset:         168
        .size:           2
        .value_kind:     hidden_grid_dims
    .group_segment_fixed_size: 128
    .kernarg_segment_align: 8
    .kernarg_segment_size: 360
    .language:       OpenCL C
    .language_version:
      - 2
      - 0
    .max_flat_workgroup_size: 256
    .name:           _ZL23rocblas_gemvt_sn_kernelILb0ELi256ELi4EiPKDF16_ffEviiT4_lPKT3_lilS5_lilPT5_i
    .private_segment_fixed_size: 0
    .sgpr_count:     46
    .sgpr_spill_count: 0
    .symbol:         _ZL23rocblas_gemvt_sn_kernelILb0ELi256ELi4EiPKDF16_ffEviiT4_lPKT3_lilS5_lilPT5_i.kd
    .uniform_work_group_size: 1
    .uses_dynamic_stack: false
    .vgpr_count:     44
    .vgpr_spill_count: 0
    .wavefront_size: 32
    .workgroup_processor_mode: 1
  - .args:
      - .offset:         0
        .size:           4
        .value_kind:     by_value
      - .offset:         4
        .size:           4
        .value_kind:     by_value
      - .offset:         8
        .size:           4
        .value_kind:     by_value
      - .offset:         16
        .size:           8
        .value_kind:     by_value
      - .address_space:  global
        .offset:         24
        .size:           8
        .value_kind:     global_buffer
      - .offset:         32
        .size:           8
        .value_kind:     by_value
      - .offset:         40
        .size:           4
        .value_kind:     by_value
      - .offset:         48
        .size:           8
        .value_kind:     by_value
      - .address_space:  global
        .offset:         56
        .size:           8
        .value_kind:     global_buffer
      - .offset:         64
        .size:           8
        .value_kind:     by_value
      - .offset:         72
        .size:           4
        .value_kind:     by_value
      - .offset:         80
        .size:           8
        .value_kind:     by_value
      - .address_space:  global
        .offset:         88
        .size:           8
        .value_kind:     global_buffer
      - .offset:         96
        .size:           4
        .value_kind:     by_value
      - .offset:         104
        .size:           4
        .value_kind:     hidden_block_count_x
      - .offset:         108
        .size:           4
        .value_kind:     hidden_block_count_y
      - .offset:         112
        .size:           4
        .value_kind:     hidden_block_count_z
      - .offset:         116
        .size:           2
        .value_kind:     hidden_group_size_x
      - .offset:         118
        .size:           2
        .value_kind:     hidden_group_size_y
      - .offset:         120
        .size:           2
        .value_kind:     hidden_group_size_z
      - .offset:         122
        .size:           2
        .value_kind:     hidden_remainder_x
      - .offset:         124
        .size:           2
        .value_kind:     hidden_remainder_y
      - .offset:         126
        .size:           2
        .value_kind:     hidden_remainder_z
      - .offset:         144
        .size:           8
        .value_kind:     hidden_global_offset_x
      - .offset:         152
        .size:           8
        .value_kind:     hidden_global_offset_y
      - .offset:         160
        .size:           8
        .value_kind:     hidden_global_offset_z
      - .offset:         168
        .size:           2
        .value_kind:     hidden_grid_dims
    .group_segment_fixed_size: 128
    .kernarg_segment_align: 8
    .kernarg_segment_size: 360
    .language:       OpenCL C
    .language_version:
      - 2
      - 0
    .max_flat_workgroup_size: 256
    .name:           _ZL23rocblas_gemvt_sn_kernelILb0ELi256ELi4ElPKDF16_ffEviiT4_lPKT3_lilS5_lilPT5_i
    .private_segment_fixed_size: 0
    .sgpr_count:     48
    .sgpr_spill_count: 0
    .symbol:         _ZL23rocblas_gemvt_sn_kernelILb0ELi256ELi4ElPKDF16_ffEviiT4_lPKT3_lilS5_lilPT5_i.kd
    .uniform_work_group_size: 1
    .uses_dynamic_stack: false
    .vgpr_count:     49
    .vgpr_spill_count: 0
    .wavefront_size: 32
    .workgroup_processor_mode: 1
  - .args:
      - .offset:         0
        .size:           4
        .value_kind:     by_value
      - .offset:         4
        .size:           4
        .value_kind:     by_value
      - .offset:         8
        .size:           8
        .value_kind:     by_value
      - .address_space:  global
        .offset:         16
        .size:           8
        .value_kind:     global_buffer
      - .offset:         24
        .size:           8
        .value_kind:     by_value
      - .offset:         32
        .size:           4
        .value_kind:     by_value
      - .offset:         40
        .size:           8
        .value_kind:     by_value
      - .actual_access:  read_only
        .address_space:  global
        .offset:         48
        .size:           8
        .value_kind:     global_buffer
      - .offset:         56
        .size:           4
        .value_kind:     by_value
      - .offset:         64
        .size:           4
        .value_kind:     hidden_block_count_x
      - .offset:         68
        .size:           4
        .value_kind:     hidden_block_count_y
      - .offset:         72
        .size:           4
        .value_kind:     hidden_block_count_z
      - .offset:         76
        .size:           2
        .value_kind:     hidden_group_size_x
      - .offset:         78
        .size:           2
        .value_kind:     hidden_group_size_y
      - .offset:         80
        .size:           2
        .value_kind:     hidden_group_size_z
      - .offset:         82
        .size:           2
        .value_kind:     hidden_remainder_x
      - .offset:         84
        .size:           2
        .value_kind:     hidden_remainder_y
      - .offset:         86
        .size:           2
        .value_kind:     hidden_remainder_z
      - .offset:         104
        .size:           8
        .value_kind:     hidden_global_offset_x
      - .offset:         112
        .size:           8
        .value_kind:     hidden_global_offset_y
      - .offset:         120
        .size:           8
        .value_kind:     hidden_global_offset_z
      - .offset:         128
        .size:           2
        .value_kind:     hidden_grid_dims
    .group_segment_fixed_size: 128
    .kernarg_segment_align: 8
    .kernarg_segment_size: 320
    .language:       OpenCL C
    .language_version:
      - 2
      - 0
    .max_flat_workgroup_size: 256
    .name:           _ZL23rocblas_gemvt_sn_reduceILi256ELi8EffKPDF16_EviT2_lPT3_lilPT1_i
    .private_segment_fixed_size: 0
    .sgpr_count:     22
    .sgpr_spill_count: 0
    .symbol:         _ZL23rocblas_gemvt_sn_reduceILi256ELi8EffKPDF16_EviT2_lPT3_lilPT1_i.kd
    .uniform_work_group_size: 1
    .uses_dynamic_stack: false
    .vgpr_count:     13
    .vgpr_spill_count: 0
    .wavefront_size: 32
    .workgroup_processor_mode: 1
  - .args:
      - .offset:         0
        .size:           4
        .value_kind:     by_value
      - .offset:         4
        .size:           4
        .value_kind:     by_value
      - .address_space:  global
        .offset:         8
        .size:           8
        .value_kind:     global_buffer
      - .offset:         16
        .size:           8
        .value_kind:     by_value
      - .address_space:  global
        .offset:         24
        .size:           8
        .value_kind:     global_buffer
      - .offset:         32
        .size:           8
        .value_kind:     by_value
      - .offset:         40
        .size:           4
        .value_kind:     by_value
      - .offset:         48
        .size:           8
        .value_kind:     by_value
      - .address_space:  global
        .offset:         56
        .size:           8
        .value_kind:     global_buffer
      - .offset:         64
        .size:           8
        .value_kind:     by_value
      - .offset:         72
        .size:           4
        .value_kind:     by_value
      - .offset:         80
        .size:           8
        .value_kind:     by_value
      - .address_space:  global
        .offset:         88
        .size:           8
        .value_kind:     global_buffer
      - .offset:         96
        .size:           8
        .value_kind:     by_value
      - .address_space:  global
        .offset:         104
        .size:           8
        .value_kind:     global_buffer
      - .offset:         112
        .size:           8
        .value_kind:     by_value
      - .offset:         120
        .size:           4
        .value_kind:     by_value
      - .offset:         128
        .size:           8
        .value_kind:     by_value
      - .offset:         136
        .size:           4
        .value_kind:     by_value
    .group_segment_fixed_size: 128
    .kernarg_segment_align: 8
    .kernarg_segment_size: 140
    .language:       OpenCL C
    .language_version:
      - 2
      - 0
    .max_flat_workgroup_size: 256
    .name:           _ZL32rocblas_gemvt_warp_reduce_kernelILb0ELi256EiPKDF16_PKfKPDF16_EviiT3_lPKT2_lT1_lS9_lSA_lS6_lPT4_lSA_li
    .private_segment_fixed_size: 0
    .sgpr_count:     26
    .sgpr_spill_count: 0
    .symbol:         _ZL32rocblas_gemvt_warp_reduce_kernelILb0ELi256EiPKDF16_PKfKPDF16_EviiT3_lPKT2_lT1_lS9_lSA_lS6_lPT4_lSA_li.kd
    .uniform_work_group_size: 1
    .uses_dynamic_stack: false
    .vgpr_count:     11
    .vgpr_spill_count: 0
    .wavefront_size: 32
    .workgroup_processor_mode: 1
  - .args:
      - .offset:         0
        .size:           4
        .value_kind:     by_value
      - .offset:         4
        .size:           4
        .value_kind:     by_value
      - .address_space:  global
        .offset:         8
        .size:           8
        .value_kind:     global_buffer
      - .offset:         16
        .size:           8
        .value_kind:     by_value
      - .address_space:  global
        .offset:         24
        .size:           8
        .value_kind:     global_buffer
      - .offset:         32
        .size:           8
        .value_kind:     by_value
      - .offset:         40
        .size:           8
        .value_kind:     by_value
      - .offset:         48
        .size:           8
        .value_kind:     by_value
      - .address_space:  global
        .offset:         56
        .size:           8
        .value_kind:     global_buffer
      - .offset:         64
        .size:           8
        .value_kind:     by_value
      - .offset:         72
        .size:           8
        .value_kind:     by_value
      - .offset:         80
        .size:           8
        .value_kind:     by_value
      - .address_space:  global
        .offset:         88
        .size:           8
        .value_kind:     global_buffer
      - .offset:         96
        .size:           8
        .value_kind:     by_value
      - .address_space:  global
        .offset:         104
        .size:           8
        .value_kind:     global_buffer
      - .offset:         112
        .size:           8
        .value_kind:     by_value
      - .offset:         120
        .size:           8
        .value_kind:     by_value
      - .offset:         128
        .size:           8
        .value_kind:     by_value
      - .offset:         136
        .size:           4
        .value_kind:     by_value
    .group_segment_fixed_size: 128
    .kernarg_segment_align: 8
    .kernarg_segment_size: 140
    .language:       OpenCL C
    .language_version:
      - 2
      - 0
    .max_flat_workgroup_size: 256
    .name:           _ZL32rocblas_gemvt_warp_reduce_kernelILb0ELi256ElPKDF16_PKfKPDF16_EviiT3_lPKT2_lT1_lS9_lSA_lS6_lPT4_lSA_li
    .private_segment_fixed_size: 0
    .sgpr_count:     33
    .sgpr_spill_count: 0
    .symbol:         _ZL32rocblas_gemvt_warp_reduce_kernelILb0ELi256ElPKDF16_PKfKPDF16_EviiT3_lPKT2_lT1_lS9_lSA_lS6_lPT4_lSA_li.kd
    .uniform_work_group_size: 1
    .uses_dynamic_stack: false
    .vgpr_count:     11
    .vgpr_spill_count: 0
    .wavefront_size: 32
    .workgroup_processor_mode: 1
  - .args:
      - .offset:         0
        .size:           4
        .value_kind:     by_value
      - .offset:         4
        .size:           4
        .value_kind:     by_value
      - .offset:         8
        .size:           4
        .value_kind:     by_value
      - .offset:         16
        .size:           8
        .value_kind:     by_value
      - .address_space:  global
        .offset:         24
        .size:           8
        .value_kind:     global_buffer
      - .offset:         32
        .size:           8
        .value_kind:     by_value
      - .offset:         40
        .size:           4
        .value_kind:     by_value
      - .offset:         48
        .size:           8
        .value_kind:     by_value
      - .address_space:  global
        .offset:         56
        .size:           8
        .value_kind:     global_buffer
      - .offset:         64
        .size:           8
        .value_kind:     by_value
      - .offset:         72
        .size:           4
        .value_kind:     by_value
      - .offset:         80
        .size:           8
        .value_kind:     by_value
      - .offset:         88
        .size:           4
        .value_kind:     by_value
      - .offset:         96
        .size:           8
        .value_kind:     by_value
      - .address_space:  global
        .offset:         104
        .size:           8
        .value_kind:     global_buffer
      - .offset:         112
        .size:           8
        .value_kind:     by_value
      - .offset:         120
        .size:           4
        .value_kind:     by_value
      - .offset:         128
        .size:           8
        .value_kind:     by_value
      - .offset:         136
        .size:           4
        .value_kind:     by_value
    .group_segment_fixed_size: 128
    .kernarg_segment_align: 8
    .kernarg_segment_size: 140
    .language:       OpenCL C
    .language_version:
      - 2
      - 0
    .max_flat_workgroup_size: 256
    .name:           _ZL32rocblas_gemvt_warp_reduce_kernelILb0ELi256EiPKDF16_fKPDF16_EviiT3_lPKT2_lT1_lS7_lS8_lS4_lPT4_lS8_li
    .private_segment_fixed_size: 0
    .sgpr_count:     22
    .sgpr_spill_count: 0
    .symbol:         _ZL32rocblas_gemvt_warp_reduce_kernelILb0ELi256EiPKDF16_fKPDF16_EviiT3_lPKT2_lT1_lS7_lS8_lS4_lPT4_lS8_li.kd
    .uniform_work_group_size: 1
    .uses_dynamic_stack: false
    .vgpr_count:     11
    .vgpr_spill_count: 0
    .wavefront_size: 32
    .workgroup_processor_mode: 1
  - .args:
      - .offset:         0
        .size:           4
        .value_kind:     by_value
      - .offset:         4
        .size:           4
        .value_kind:     by_value
      - .offset:         8
        .size:           4
        .value_kind:     by_value
      - .offset:         16
        .size:           8
        .value_kind:     by_value
      - .address_space:  global
        .offset:         24
        .size:           8
        .value_kind:     global_buffer
      - .offset:         32
        .size:           8
        .value_kind:     by_value
      - .offset:         40
        .size:           8
        .value_kind:     by_value
      - .offset:         48
        .size:           8
        .value_kind:     by_value
      - .address_space:  global
        .offset:         56
        .size:           8
        .value_kind:     global_buffer
      - .offset:         64
        .size:           8
        .value_kind:     by_value
      - .offset:         72
        .size:           8
        .value_kind:     by_value
      - .offset:         80
        .size:           8
        .value_kind:     by_value
      - .offset:         88
        .size:           4
        .value_kind:     by_value
      - .offset:         96
        .size:           8
        .value_kind:     by_value
      - .address_space:  global
        .offset:         104
        .size:           8
        .value_kind:     global_buffer
      - .offset:         112
        .size:           8
        .value_kind:     by_value
      - .offset:         120
        .size:           8
        .value_kind:     by_value
      - .offset:         128
        .size:           8
        .value_kind:     by_value
      - .offset:         136
        .size:           4
        .value_kind:     by_value
    .group_segment_fixed_size: 128
    .kernarg_segment_align: 8
    .kernarg_segment_size: 140
    .language:       OpenCL C
    .language_version:
      - 2
      - 0
    .max_flat_workgroup_size: 256
    .name:           _ZL32rocblas_gemvt_warp_reduce_kernelILb0ELi256ElPKDF16_fKPDF16_EviiT3_lPKT2_lT1_lS7_lS8_lS4_lPT4_lS8_li
    .private_segment_fixed_size: 0
    .sgpr_count:     30
    .sgpr_spill_count: 0
    .symbol:         _ZL32rocblas_gemvt_warp_reduce_kernelILb0ELi256ElPKDF16_fKPDF16_EviiT3_lPKT2_lT1_lS7_lS8_lS4_lPT4_lS8_li.kd
    .uniform_work_group_size: 1
    .uses_dynamic_stack: false
    .vgpr_count:     11
    .vgpr_spill_count: 0
    .wavefront_size: 32
    .workgroup_processor_mode: 1
  - .args:
      - .offset:         0
        .size:           4
        .value_kind:     by_value
      - .offset:         4
        .size:           4
        .value_kind:     by_value
      - .address_space:  global
        .offset:         8
        .size:           8
        .value_kind:     global_buffer
      - .offset:         16
        .size:           8
        .value_kind:     by_value
      - .address_space:  global
        .offset:         24
        .size:           8
        .value_kind:     global_buffer
      - .offset:         32
        .size:           8
        .value_kind:     by_value
      - .offset:         40
        .size:           4
        .value_kind:     by_value
      - .offset:         48
        .size:           8
        .value_kind:     by_value
      - .address_space:  global
        .offset:         56
        .size:           8
        .value_kind:     global_buffer
      - .offset:         64
        .size:           8
        .value_kind:     by_value
      - .offset:         72
        .size:           4
        .value_kind:     by_value
      - .offset:         80
        .size:           8
        .value_kind:     by_value
      - .address_space:  global
        .offset:         88
        .size:           8
        .value_kind:     global_buffer
      - .offset:         96
        .size:           8
        .value_kind:     by_value
      - .address_space:  global
        .offset:         104
        .size:           8
        .value_kind:     global_buffer
      - .offset:         112
        .size:           8
        .value_kind:     by_value
      - .offset:         120
        .size:           4
        .value_kind:     by_value
      - .offset:         128
        .size:           8
        .value_kind:     by_value
      - .offset:         136
        .size:           4
        .value_kind:     by_value
    .group_segment_fixed_size: 1024
    .kernarg_segment_align: 8
    .kernarg_segment_size: 140
    .language:       OpenCL C
    .language_version:
      - 2
      - 0
    .max_flat_workgroup_size: 256
    .name:           _ZL20rocblas_gemvt_kernelILb0ELi256EPKDF16_PKfKPDF16_EviiT2_lPKT1_lilS9_lilS6_lPT3_lili
    .private_segment_fixed_size: 0
    .sgpr_count:     26
    .sgpr_spill_count: 0
    .symbol:         _ZL20rocblas_gemvt_kernelILb0ELi256EPKDF16_PKfKPDF16_EviiT2_lPKT1_lilS9_lilS6_lPT3_lili.kd
    .uniform_work_group_size: 1
    .uses_dynamic_stack: false
    .vgpr_count:     10
    .vgpr_spill_count: 0
    .wavefront_size: 32
    .workgroup_processor_mode: 1
  - .args:
      - .offset:         0
        .size:           4
        .value_kind:     by_value
      - .offset:         4
        .size:           4
        .value_kind:     by_value
      - .offset:         8
        .size:           4
        .value_kind:     by_value
      - .offset:         16
        .size:           8
        .value_kind:     by_value
      - .address_space:  global
        .offset:         24
        .size:           8
        .value_kind:     global_buffer
      - .offset:         32
        .size:           8
        .value_kind:     by_value
      - .offset:         40
        .size:           4
        .value_kind:     by_value
      - .offset:         48
        .size:           8
        .value_kind:     by_value
      - .address_space:  global
        .offset:         56
        .size:           8
        .value_kind:     global_buffer
      - .offset:         64
        .size:           8
        .value_kind:     by_value
      - .offset:         72
        .size:           4
        .value_kind:     by_value
      - .offset:         80
        .size:           8
        .value_kind:     by_value
      - .offset:         88
        .size:           4
        .value_kind:     by_value
      - .offset:         96
        .size:           8
        .value_kind:     by_value
      - .address_space:  global
        .offset:         104
        .size:           8
        .value_kind:     global_buffer
      - .offset:         112
        .size:           8
        .value_kind:     by_value
      - .offset:         120
        .size:           4
        .value_kind:     by_value
      - .offset:         128
        .size:           8
        .value_kind:     by_value
      - .offset:         136
        .size:           4
        .value_kind:     by_value
    .group_segment_fixed_size: 1024
    .kernarg_segment_align: 8
    .kernarg_segment_size: 140
    .language:       OpenCL C
    .language_version:
      - 2
      - 0
    .max_flat_workgroup_size: 256
    .name:           _ZL20rocblas_gemvt_kernelILb0ELi256EPKDF16_fKPDF16_EviiT2_lPKT1_lilS7_lilS4_lPT3_lili
    .private_segment_fixed_size: 0
    .sgpr_count:     26
    .sgpr_spill_count: 0
    .symbol:         _ZL20rocblas_gemvt_kernelILb0ELi256EPKDF16_fKPDF16_EviiT2_lPKT1_lilS7_lilS4_lPT3_lili.kd
    .uniform_work_group_size: 1
    .uses_dynamic_stack: false
    .vgpr_count:     10
    .vgpr_spill_count: 0
    .wavefront_size: 32
    .workgroup_processor_mode: 1
  - .args:
      - .offset:         0
        .size:           4
        .value_kind:     by_value
      - .offset:         4
        .size:           4
        .value_kind:     by_value
      - .address_space:  global
        .offset:         8
        .size:           8
        .value_kind:     global_buffer
      - .offset:         16
        .size:           8
        .value_kind:     by_value
      - .address_space:  global
        .offset:         24
        .size:           8
        .value_kind:     global_buffer
      - .offset:         32
        .size:           8
        .value_kind:     by_value
      - .offset:         40
        .size:           4
        .value_kind:     by_value
      - .offset:         48
        .size:           8
        .value_kind:     by_value
      - .address_space:  global
        .offset:         56
        .size:           8
        .value_kind:     global_buffer
      - .offset:         64
        .size:           8
        .value_kind:     by_value
      - .offset:         72
        .size:           4
        .value_kind:     by_value
      - .offset:         80
        .size:           8
        .value_kind:     by_value
      - .address_space:  global
        .offset:         88
        .size:           8
        .value_kind:     global_buffer
      - .offset:         96
        .size:           8
        .value_kind:     by_value
      - .address_space:  global
        .offset:         104
        .size:           8
        .value_kind:     global_buffer
      - .offset:         112
        .size:           8
        .value_kind:     by_value
      - .offset:         120
        .size:           4
        .value_kind:     by_value
      - .offset:         128
        .size:           8
        .value_kind:     by_value
      - .offset:         136
        .size:           4
        .value_kind:     by_value
    .group_segment_fixed_size: 128
    .kernarg_segment_align: 8
    .kernarg_segment_size: 140
    .language:       OpenCL C
    .language_version:
      - 2
      - 0
    .max_flat_workgroup_size: 1024
    .name:           _ZL32rocblas_gemvt_warp_reduce_kernelILb0ELi1024EiPKDF16_PKfKPDF16_EviiT3_lPKT2_lT1_lS9_lSA_lS6_lPT4_lSA_li
    .private_segment_fixed_size: 0
    .sgpr_count:     26
    .sgpr_spill_count: 0
    .symbol:         _ZL32rocblas_gemvt_warp_reduce_kernelILb0ELi1024EiPKDF16_PKfKPDF16_EviiT3_lPKT2_lT1_lS9_lSA_lS6_lPT4_lSA_li.kd
    .uniform_work_group_size: 1
    .uses_dynamic_stack: false
    .vgpr_count:     11
    .vgpr_spill_count: 0
    .wavefront_size: 32
    .workgroup_processor_mode: 1
  - .args:
      - .offset:         0
        .size:           4
        .value_kind:     by_value
      - .offset:         4
        .size:           4
        .value_kind:     by_value
      - .address_space:  global
        .offset:         8
        .size:           8
        .value_kind:     global_buffer
      - .offset:         16
        .size:           8
        .value_kind:     by_value
      - .address_space:  global
        .offset:         24
        .size:           8
        .value_kind:     global_buffer
      - .offset:         32
        .size:           8
        .value_kind:     by_value
      - .offset:         40
        .size:           8
        .value_kind:     by_value
      - .offset:         48
        .size:           8
        .value_kind:     by_value
      - .address_space:  global
        .offset:         56
        .size:           8
        .value_kind:     global_buffer
      - .offset:         64
        .size:           8
        .value_kind:     by_value
      - .offset:         72
        .size:           8
        .value_kind:     by_value
      - .offset:         80
        .size:           8
        .value_kind:     by_value
      - .address_space:  global
        .offset:         88
        .size:           8
        .value_kind:     global_buffer
      - .offset:         96
        .size:           8
        .value_kind:     by_value
      - .address_space:  global
        .offset:         104
        .size:           8
        .value_kind:     global_buffer
      - .offset:         112
        .size:           8
        .value_kind:     by_value
      - .offset:         120
        .size:           8
        .value_kind:     by_value
      - .offset:         128
        .size:           8
        .value_kind:     by_value
      - .offset:         136
        .size:           4
        .value_kind:     by_value
    .group_segment_fixed_size: 128
    .kernarg_segment_align: 8
    .kernarg_segment_size: 140
    .language:       OpenCL C
    .language_version:
      - 2
      - 0
    .max_flat_workgroup_size: 1024
    .name:           _ZL32rocblas_gemvt_warp_reduce_kernelILb0ELi1024ElPKDF16_PKfKPDF16_EviiT3_lPKT2_lT1_lS9_lSA_lS6_lPT4_lSA_li
    .private_segment_fixed_size: 0
    .sgpr_count:     33
    .sgpr_spill_count: 0
    .symbol:         _ZL32rocblas_gemvt_warp_reduce_kernelILb0ELi1024ElPKDF16_PKfKPDF16_EviiT3_lPKT2_lT1_lS9_lSA_lS6_lPT4_lSA_li.kd
    .uniform_work_group_size: 1
    .uses_dynamic_stack: false
    .vgpr_count:     11
    .vgpr_spill_count: 0
    .wavefront_size: 32
    .workgroup_processor_mode: 1
  - .args:
      - .offset:         0
        .size:           4
        .value_kind:     by_value
      - .offset:         4
        .size:           4
        .value_kind:     by_value
      - .offset:         8
        .size:           4
        .value_kind:     by_value
      - .offset:         16
        .size:           8
        .value_kind:     by_value
      - .address_space:  global
        .offset:         24
        .size:           8
        .value_kind:     global_buffer
      - .offset:         32
        .size:           8
        .value_kind:     by_value
      - .offset:         40
        .size:           4
        .value_kind:     by_value
      - .offset:         48
        .size:           8
        .value_kind:     by_value
      - .address_space:  global
        .offset:         56
        .size:           8
        .value_kind:     global_buffer
      - .offset:         64
        .size:           8
        .value_kind:     by_value
      - .offset:         72
        .size:           4
        .value_kind:     by_value
      - .offset:         80
        .size:           8
        .value_kind:     by_value
      - .offset:         88
        .size:           4
        .value_kind:     by_value
      - .offset:         96
        .size:           8
        .value_kind:     by_value
      - .address_space:  global
        .offset:         104
        .size:           8
        .value_kind:     global_buffer
      - .offset:         112
        .size:           8
        .value_kind:     by_value
      - .offset:         120
        .size:           4
        .value_kind:     by_value
      - .offset:         128
        .size:           8
        .value_kind:     by_value
      - .offset:         136
        .size:           4
        .value_kind:     by_value
    .group_segment_fixed_size: 128
    .kernarg_segment_align: 8
    .kernarg_segment_size: 140
    .language:       OpenCL C
    .language_version:
      - 2
      - 0
    .max_flat_workgroup_size: 1024
    .name:           _ZL32rocblas_gemvt_warp_reduce_kernelILb0ELi1024EiPKDF16_fKPDF16_EviiT3_lPKT2_lT1_lS7_lS8_lS4_lPT4_lS8_li
    .private_segment_fixed_size: 0
    .sgpr_count:     22
    .sgpr_spill_count: 0
    .symbol:         _ZL32rocblas_gemvt_warp_reduce_kernelILb0ELi1024EiPKDF16_fKPDF16_EviiT3_lPKT2_lT1_lS7_lS8_lS4_lPT4_lS8_li.kd
    .uniform_work_group_size: 1
    .uses_dynamic_stack: false
    .vgpr_count:     11
    .vgpr_spill_count: 0
    .wavefront_size: 32
    .workgroup_processor_mode: 1
  - .args:
      - .offset:         0
        .size:           4
        .value_kind:     by_value
      - .offset:         4
        .size:           4
        .value_kind:     by_value
      - .offset:         8
        .size:           4
        .value_kind:     by_value
      - .offset:         16
        .size:           8
        .value_kind:     by_value
      - .address_space:  global
        .offset:         24
        .size:           8
        .value_kind:     global_buffer
      - .offset:         32
        .size:           8
        .value_kind:     by_value
      - .offset:         40
        .size:           8
        .value_kind:     by_value
      - .offset:         48
        .size:           8
        .value_kind:     by_value
      - .address_space:  global
        .offset:         56
        .size:           8
        .value_kind:     global_buffer
      - .offset:         64
        .size:           8
        .value_kind:     by_value
      - .offset:         72
        .size:           8
        .value_kind:     by_value
      - .offset:         80
        .size:           8
        .value_kind:     by_value
      - .offset:         88
        .size:           4
        .value_kind:     by_value
      - .offset:         96
        .size:           8
        .value_kind:     by_value
      - .address_space:  global
        .offset:         104
        .size:           8
        .value_kind:     global_buffer
      - .offset:         112
        .size:           8
        .value_kind:     by_value
      - .offset:         120
        .size:           8
        .value_kind:     by_value
      - .offset:         128
        .size:           8
        .value_kind:     by_value
      - .offset:         136
        .size:           4
        .value_kind:     by_value
    .group_segment_fixed_size: 128
    .kernarg_segment_align: 8
    .kernarg_segment_size: 140
    .language:       OpenCL C
    .language_version:
      - 2
      - 0
    .max_flat_workgroup_size: 1024
    .name:           _ZL32rocblas_gemvt_warp_reduce_kernelILb0ELi1024ElPKDF16_fKPDF16_EviiT3_lPKT2_lT1_lS7_lS8_lS4_lPT4_lS8_li
    .private_segment_fixed_size: 0
    .sgpr_count:     30
    .sgpr_spill_count: 0
    .symbol:         _ZL32rocblas_gemvt_warp_reduce_kernelILb0ELi1024ElPKDF16_fKPDF16_EviiT3_lPKT2_lT1_lS7_lS8_lS4_lPT4_lS8_li.kd
    .uniform_work_group_size: 1
    .uses_dynamic_stack: false
    .vgpr_count:     11
    .vgpr_spill_count: 0
    .wavefront_size: 32
    .workgroup_processor_mode: 1
  - .args:
      - .offset:         0
        .size:           4
        .value_kind:     by_value
      - .offset:         4
        .size:           4
        .value_kind:     by_value
      - .address_space:  global
        .offset:         8
        .size:           8
        .value_kind:     global_buffer
      - .offset:         16
        .size:           8
        .value_kind:     by_value
      - .address_space:  global
        .offset:         24
        .size:           8
        .value_kind:     global_buffer
      - .offset:         32
        .size:           8
        .value_kind:     by_value
      - .offset:         40
        .size:           4
        .value_kind:     by_value
      - .offset:         48
        .size:           8
        .value_kind:     by_value
      - .address_space:  global
        .offset:         56
        .size:           8
        .value_kind:     global_buffer
      - .offset:         64
        .size:           8
        .value_kind:     by_value
      - .offset:         72
        .size:           4
        .value_kind:     by_value
      - .offset:         80
        .size:           8
        .value_kind:     by_value
      - .address_space:  global
        .offset:         88
        .size:           8
        .value_kind:     global_buffer
      - .offset:         96
        .size:           8
        .value_kind:     by_value
      - .address_space:  global
        .offset:         104
        .size:           8
        .value_kind:     global_buffer
      - .offset:         112
        .size:           8
        .value_kind:     by_value
      - .offset:         120
        .size:           4
        .value_kind:     by_value
      - .offset:         128
        .size:           8
        .value_kind:     by_value
    .group_segment_fixed_size: 256
    .kernarg_segment_align: 8
    .kernarg_segment_size: 136
    .language:       OpenCL C
    .language_version:
      - 2
      - 0
    .max_flat_workgroup_size: 256
    .name:           _ZL22rocblas_gemvtsm_kernelILb1ELi256EPKDF16_PKfKPDF16_EviiT2_lPKT1_lilS9_lilS6_lPT3_lil
    .private_segment_fixed_size: 0
    .sgpr_count:     26
    .sgpr_spill_count: 0
    .symbol:         _ZL22rocblas_gemvtsm_kernelILb1ELi256EPKDF16_PKfKPDF16_EviiT2_lPKT1_lilS9_lilS6_lPT3_lil.kd
    .uniform_work_group_size: 1
    .uses_dynamic_stack: false
    .vgpr_count:     20
    .vgpr_spill_count: 0
    .wavefront_size: 32
    .workgroup_processor_mode: 1
  - .args:
      - .offset:         0
        .size:           4
        .value_kind:     by_value
      - .offset:         4
        .size:           4
        .value_kind:     by_value
      - .offset:         8
        .size:           4
        .value_kind:     by_value
      - .offset:         16
        .size:           8
        .value_kind:     by_value
      - .address_space:  global
        .offset:         24
        .size:           8
        .value_kind:     global_buffer
      - .offset:         32
        .size:           8
        .value_kind:     by_value
      - .offset:         40
        .size:           4
        .value_kind:     by_value
      - .offset:         48
        .size:           8
        .value_kind:     by_value
      - .address_space:  global
        .offset:         56
        .size:           8
        .value_kind:     global_buffer
      - .offset:         64
        .size:           8
        .value_kind:     by_value
      - .offset:         72
        .size:           4
        .value_kind:     by_value
      - .offset:         80
        .size:           8
        .value_kind:     by_value
      - .offset:         88
        .size:           4
        .value_kind:     by_value
      - .offset:         96
        .size:           8
        .value_kind:     by_value
      - .address_space:  global
        .offset:         104
        .size:           8
        .value_kind:     global_buffer
      - .offset:         112
        .size:           8
        .value_kind:     by_value
      - .offset:         120
        .size:           4
        .value_kind:     by_value
      - .offset:         128
        .size:           8
        .value_kind:     by_value
    .group_segment_fixed_size: 256
    .kernarg_segment_align: 8
    .kernarg_segment_size: 136
    .language:       OpenCL C
    .language_version:
      - 2
      - 0
    .max_flat_workgroup_size: 256
    .name:           _ZL22rocblas_gemvtsm_kernelILb1ELi256EPKDF16_fKPDF16_EviiT2_lPKT1_lilS7_lilS4_lPT3_lil
    .private_segment_fixed_size: 0
    .sgpr_count:     26
    .sgpr_spill_count: 0
    .symbol:         _ZL22rocblas_gemvtsm_kernelILb1ELi256EPKDF16_fKPDF16_EviiT2_lPKT1_lilS7_lilS4_lPT3_lil.kd
    .uniform_work_group_size: 1
    .uses_dynamic_stack: false
    .vgpr_count:     20
    .vgpr_spill_count: 0
    .wavefront_size: 32
    .workgroup_processor_mode: 1
  - .args:
      - .offset:         0
        .size:           4
        .value_kind:     by_value
      - .offset:         4
        .size:           4
        .value_kind:     by_value
      - .address_space:  global
        .offset:         8
        .size:           8
        .value_kind:     global_buffer
      - .offset:         16
        .size:           8
        .value_kind:     by_value
      - .address_space:  global
        .offset:         24
        .size:           8
        .value_kind:     global_buffer
      - .offset:         32
        .size:           8
        .value_kind:     by_value
      - .offset:         40
        .size:           4
        .value_kind:     by_value
      - .offset:         48
        .size:           8
        .value_kind:     by_value
      - .address_space:  global
        .offset:         56
        .size:           8
        .value_kind:     global_buffer
      - .offset:         64
        .size:           8
        .value_kind:     by_value
      - .offset:         72
        .size:           4
        .value_kind:     by_value
      - .offset:         80
        .size:           8
        .value_kind:     by_value
      - .address_space:  global
        .offset:         88
        .size:           8
        .value_kind:     global_buffer
      - .offset:         96
        .size:           4
        .value_kind:     by_value
      - .offset:         104
        .size:           4
        .value_kind:     hidden_block_count_x
      - .offset:         108
        .size:           4
        .value_kind:     hidden_block_count_y
      - .offset:         112
        .size:           4
        .value_kind:     hidden_block_count_z
      - .offset:         116
        .size:           2
        .value_kind:     hidden_group_size_x
      - .offset:         118
        .size:           2
        .value_kind:     hidden_group_size_y
      - .offset:         120
        .size:           2
        .value_kind:     hidden_group_size_z
      - .offset:         122
        .size:           2
        .value_kind:     hidden_remainder_x
      - .offset:         124
        .size:           2
        .value_kind:     hidden_remainder_y
      - .offset:         126
        .size:           2
        .value_kind:     hidden_remainder_z
      - .offset:         144
        .size:           8
        .value_kind:     hidden_global_offset_x
      - .offset:         152
        .size:           8
        .value_kind:     hidden_global_offset_y
      - .offset:         160
        .size:           8
        .value_kind:     hidden_global_offset_z
      - .offset:         168
        .size:           2
        .value_kind:     hidden_grid_dims
    .group_segment_fixed_size: 128
    .kernarg_segment_align: 8
    .kernarg_segment_size: 360
    .language:       OpenCL C
    .language_version:
      - 2
      - 0
    .max_flat_workgroup_size: 256
    .name:           _ZL23rocblas_gemvt_sn_kernelILb1ELi256ELi4EiPKDF16_PKffEviiT4_lPKT3_lilS7_lilPT5_i
    .private_segment_fixed_size: 0
    .sgpr_count:     46
    .sgpr_spill_count: 0
    .symbol:         _ZL23rocblas_gemvt_sn_kernelILb1ELi256ELi4EiPKDF16_PKffEviiT4_lPKT3_lilS7_lilPT5_i.kd
    .uniform_work_group_size: 1
    .uses_dynamic_stack: false
    .vgpr_count:     44
    .vgpr_spill_count: 0
    .wavefront_size: 32
    .workgroup_processor_mode: 1
  - .args:
      - .offset:         0
        .size:           4
        .value_kind:     by_value
      - .offset:         4
        .size:           4
        .value_kind:     by_value
      - .address_space:  global
        .offset:         8
        .size:           8
        .value_kind:     global_buffer
      - .offset:         16
        .size:           8
        .value_kind:     by_value
      - .address_space:  global
        .offset:         24
        .size:           8
        .value_kind:     global_buffer
      - .offset:         32
        .size:           8
        .value_kind:     by_value
      - .offset:         40
        .size:           4
        .value_kind:     by_value
      - .offset:         48
        .size:           8
        .value_kind:     by_value
      - .address_space:  global
        .offset:         56
        .size:           8
        .value_kind:     global_buffer
      - .offset:         64
        .size:           8
        .value_kind:     by_value
      - .offset:         72
        .size:           4
        .value_kind:     by_value
      - .offset:         80
        .size:           8
        .value_kind:     by_value
      - .address_space:  global
        .offset:         88
        .size:           8
        .value_kind:     global_buffer
      - .offset:         96
        .size:           4
        .value_kind:     by_value
      - .offset:         104
        .size:           4
        .value_kind:     hidden_block_count_x
      - .offset:         108
        .size:           4
        .value_kind:     hidden_block_count_y
      - .offset:         112
        .size:           4
        .value_kind:     hidden_block_count_z
      - .offset:         116
        .size:           2
        .value_kind:     hidden_group_size_x
      - .offset:         118
        .size:           2
        .value_kind:     hidden_group_size_y
      - .offset:         120
        .size:           2
        .value_kind:     hidden_group_size_z
      - .offset:         122
        .size:           2
        .value_kind:     hidden_remainder_x
      - .offset:         124
        .size:           2
        .value_kind:     hidden_remainder_y
      - .offset:         126
        .size:           2
        .value_kind:     hidden_remainder_z
      - .offset:         144
        .size:           8
        .value_kind:     hidden_global_offset_x
      - .offset:         152
        .size:           8
        .value_kind:     hidden_global_offset_y
      - .offset:         160
        .size:           8
        .value_kind:     hidden_global_offset_z
      - .offset:         168
        .size:           2
        .value_kind:     hidden_grid_dims
    .group_segment_fixed_size: 128
    .kernarg_segment_align: 8
    .kernarg_segment_size: 360
    .language:       OpenCL C
    .language_version:
      - 2
      - 0
    .max_flat_workgroup_size: 256
    .name:           _ZL23rocblas_gemvt_sn_kernelILb1ELi256ELi4ElPKDF16_PKffEviiT4_lPKT3_lilS7_lilPT5_i
    .private_segment_fixed_size: 0
    .sgpr_count:     48
    .sgpr_spill_count: 0
    .symbol:         _ZL23rocblas_gemvt_sn_kernelILb1ELi256ELi4ElPKDF16_PKffEviiT4_lPKT3_lilS7_lilPT5_i.kd
    .uniform_work_group_size: 1
    .uses_dynamic_stack: false
    .vgpr_count:     49
    .vgpr_spill_count: 0
    .wavefront_size: 32
    .workgroup_processor_mode: 1
  - .args:
      - .offset:         0
        .size:           4
        .value_kind:     by_value
      - .offset:         4
        .size:           4
        .value_kind:     by_value
      - .offset:         8
        .size:           4
        .value_kind:     by_value
      - .offset:         16
        .size:           8
        .value_kind:     by_value
      - .address_space:  global
        .offset:         24
        .size:           8
        .value_kind:     global_buffer
      - .offset:         32
        .size:           8
        .value_kind:     by_value
      - .offset:         40
        .size:           4
        .value_kind:     by_value
      - .offset:         48
        .size:           8
        .value_kind:     by_value
      - .address_space:  global
        .offset:         56
        .size:           8
        .value_kind:     global_buffer
      - .offset:         64
        .size:           8
        .value_kind:     by_value
      - .offset:         72
        .size:           4
        .value_kind:     by_value
      - .offset:         80
        .size:           8
        .value_kind:     by_value
      - .address_space:  global
        .offset:         88
        .size:           8
        .value_kind:     global_buffer
      - .offset:         96
        .size:           4
        .value_kind:     by_value
      - .offset:         104
        .size:           4
        .value_kind:     hidden_block_count_x
      - .offset:         108
        .size:           4
        .value_kind:     hidden_block_count_y
      - .offset:         112
        .size:           4
        .value_kind:     hidden_block_count_z
      - .offset:         116
        .size:           2
        .value_kind:     hidden_group_size_x
      - .offset:         118
        .size:           2
        .value_kind:     hidden_group_size_y
      - .offset:         120
        .size:           2
        .value_kind:     hidden_group_size_z
      - .offset:         122
        .size:           2
        .value_kind:     hidden_remainder_x
      - .offset:         124
        .size:           2
        .value_kind:     hidden_remainder_y
      - .offset:         126
        .size:           2
        .value_kind:     hidden_remainder_z
      - .offset:         144
        .size:           8
        .value_kind:     hidden_global_offset_x
      - .offset:         152
        .size:           8
        .value_kind:     hidden_global_offset_y
      - .offset:         160
        .size:           8
        .value_kind:     hidden_global_offset_z
      - .offset:         168
        .size:           2
        .value_kind:     hidden_grid_dims
    .group_segment_fixed_size: 128
    .kernarg_segment_align: 8
    .kernarg_segment_size: 360
    .language:       OpenCL C
    .language_version:
      - 2
      - 0
    .max_flat_workgroup_size: 256
    .name:           _ZL23rocblas_gemvt_sn_kernelILb1ELi256ELi4EiPKDF16_ffEviiT4_lPKT3_lilS5_lilPT5_i
    .private_segment_fixed_size: 0
    .sgpr_count:     46
    .sgpr_spill_count: 0
    .symbol:         _ZL23rocblas_gemvt_sn_kernelILb1ELi256ELi4EiPKDF16_ffEviiT4_lPKT3_lilS5_lilPT5_i.kd
    .uniform_work_group_size: 1
    .uses_dynamic_stack: false
    .vgpr_count:     44
    .vgpr_spill_count: 0
    .wavefront_size: 32
    .workgroup_processor_mode: 1
  - .args:
      - .offset:         0
        .size:           4
        .value_kind:     by_value
      - .offset:         4
        .size:           4
        .value_kind:     by_value
      - .offset:         8
        .size:           4
        .value_kind:     by_value
      - .offset:         16
        .size:           8
        .value_kind:     by_value
      - .address_space:  global
        .offset:         24
        .size:           8
        .value_kind:     global_buffer
      - .offset:         32
        .size:           8
        .value_kind:     by_value
      - .offset:         40
        .size:           4
        .value_kind:     by_value
      - .offset:         48
        .size:           8
        .value_kind:     by_value
      - .address_space:  global
        .offset:         56
        .size:           8
        .value_kind:     global_buffer
      - .offset:         64
        .size:           8
        .value_kind:     by_value
      - .offset:         72
        .size:           4
        .value_kind:     by_value
      - .offset:         80
        .size:           8
        .value_kind:     by_value
      - .address_space:  global
        .offset:         88
        .size:           8
        .value_kind:     global_buffer
      - .offset:         96
        .size:           4
        .value_kind:     by_value
      - .offset:         104
        .size:           4
        .value_kind:     hidden_block_count_x
      - .offset:         108
        .size:           4
        .value_kind:     hidden_block_count_y
      - .offset:         112
        .size:           4
        .value_kind:     hidden_block_count_z
      - .offset:         116
        .size:           2
        .value_kind:     hidden_group_size_x
      - .offset:         118
        .size:           2
        .value_kind:     hidden_group_size_y
      - .offset:         120
        .size:           2
        .value_kind:     hidden_group_size_z
      - .offset:         122
        .size:           2
        .value_kind:     hidden_remainder_x
      - .offset:         124
        .size:           2
        .value_kind:     hidden_remainder_y
      - .offset:         126
        .size:           2
        .value_kind:     hidden_remainder_z
      - .offset:         144
        .size:           8
        .value_kind:     hidden_global_offset_x
      - .offset:         152
        .size:           8
        .value_kind:     hidden_global_offset_y
      - .offset:         160
        .size:           8
        .value_kind:     hidden_global_offset_z
      - .offset:         168
        .size:           2
        .value_kind:     hidden_grid_dims
    .group_segment_fixed_size: 128
    .kernarg_segment_align: 8
    .kernarg_segment_size: 360
    .language:       OpenCL C
    .language_version:
      - 2
      - 0
    .max_flat_workgroup_size: 256
    .name:           _ZL23rocblas_gemvt_sn_kernelILb1ELi256ELi4ElPKDF16_ffEviiT4_lPKT3_lilS5_lilPT5_i
    .private_segment_fixed_size: 0
    .sgpr_count:     48
    .sgpr_spill_count: 0
    .symbol:         _ZL23rocblas_gemvt_sn_kernelILb1ELi256ELi4ElPKDF16_ffEviiT4_lPKT3_lilS5_lilPT5_i.kd
    .uniform_work_group_size: 1
    .uses_dynamic_stack: false
    .vgpr_count:     49
    .vgpr_spill_count: 0
    .wavefront_size: 32
    .workgroup_processor_mode: 1
  - .args:
      - .offset:         0
        .size:           4
        .value_kind:     by_value
      - .offset:         4
        .size:           4
        .value_kind:     by_value
      - .address_space:  global
        .offset:         8
        .size:           8
        .value_kind:     global_buffer
      - .offset:         16
        .size:           8
        .value_kind:     by_value
      - .address_space:  global
        .offset:         24
        .size:           8
        .value_kind:     global_buffer
      - .offset:         32
        .size:           8
        .value_kind:     by_value
      - .offset:         40
        .size:           4
        .value_kind:     by_value
      - .offset:         48
        .size:           8
        .value_kind:     by_value
      - .address_space:  global
        .offset:         56
        .size:           8
        .value_kind:     global_buffer
      - .offset:         64
        .size:           8
        .value_kind:     by_value
      - .offset:         72
        .size:           4
        .value_kind:     by_value
      - .offset:         80
        .size:           8
        .value_kind:     by_value
      - .address_space:  global
        .offset:         88
        .size:           8
        .value_kind:     global_buffer
      - .offset:         96
        .size:           8
        .value_kind:     by_value
      - .address_space:  global
        .offset:         104
        .size:           8
        .value_kind:     global_buffer
      - .offset:         112
        .size:           8
        .value_kind:     by_value
      - .offset:         120
        .size:           4
        .value_kind:     by_value
      - .offset:         128
        .size:           8
        .value_kind:     by_value
      - .offset:         136
        .size:           4
        .value_kind:     by_value
    .group_segment_fixed_size: 1024
    .kernarg_segment_align: 8
    .kernarg_segment_size: 140
    .language:       OpenCL C
    .language_version:
      - 2
      - 0
    .max_flat_workgroup_size: 256
    .name:           _ZL20rocblas_gemvt_kernelILb1ELi256EPKDF16_PKfKPDF16_EviiT2_lPKT1_lilS9_lilS6_lPT3_lili
    .private_segment_fixed_size: 0
    .sgpr_count:     26
    .sgpr_spill_count: 0
    .symbol:         _ZL20rocblas_gemvt_kernelILb1ELi256EPKDF16_PKfKPDF16_EviiT2_lPKT1_lilS9_lilS6_lPT3_lili.kd
    .uniform_work_group_size: 1
    .uses_dynamic_stack: false
    .vgpr_count:     10
    .vgpr_spill_count: 0
    .wavefront_size: 32
    .workgroup_processor_mode: 1
  - .args:
      - .offset:         0
        .size:           4
        .value_kind:     by_value
      - .offset:         4
        .size:           4
        .value_kind:     by_value
      - .offset:         8
        .size:           4
        .value_kind:     by_value
      - .offset:         16
        .size:           8
        .value_kind:     by_value
      - .address_space:  global
        .offset:         24
        .size:           8
        .value_kind:     global_buffer
      - .offset:         32
        .size:           8
        .value_kind:     by_value
      - .offset:         40
        .size:           4
        .value_kind:     by_value
      - .offset:         48
        .size:           8
        .value_kind:     by_value
      - .address_space:  global
        .offset:         56
        .size:           8
        .value_kind:     global_buffer
      - .offset:         64
        .size:           8
        .value_kind:     by_value
      - .offset:         72
        .size:           4
        .value_kind:     by_value
      - .offset:         80
        .size:           8
        .value_kind:     by_value
      - .offset:         88
        .size:           4
        .value_kind:     by_value
      - .offset:         96
        .size:           8
        .value_kind:     by_value
      - .address_space:  global
        .offset:         104
        .size:           8
        .value_kind:     global_buffer
      - .offset:         112
        .size:           8
        .value_kind:     by_value
      - .offset:         120
        .size:           4
        .value_kind:     by_value
      - .offset:         128
        .size:           8
        .value_kind:     by_value
      - .offset:         136
        .size:           4
        .value_kind:     by_value
    .group_segment_fixed_size: 1024
    .kernarg_segment_align: 8
    .kernarg_segment_size: 140
    .language:       OpenCL C
    .language_version:
      - 2
      - 0
    .max_flat_workgroup_size: 256
    .name:           _ZL20rocblas_gemvt_kernelILb1ELi256EPKDF16_fKPDF16_EviiT2_lPKT1_lilS7_lilS4_lPT3_lili
    .private_segment_fixed_size: 0
    .sgpr_count:     26
    .sgpr_spill_count: 0
    .symbol:         _ZL20rocblas_gemvt_kernelILb1ELi256EPKDF16_fKPDF16_EviiT2_lPKT1_lilS7_lilS4_lPT3_lili.kd
    .uniform_work_group_size: 1
    .uses_dynamic_stack: false
    .vgpr_count:     10
    .vgpr_spill_count: 0
    .wavefront_size: 32
    .workgroup_processor_mode: 1
  - .args:
      - .offset:         0
        .size:           4
        .value_kind:     by_value
      - .offset:         4
        .size:           4
        .value_kind:     by_value
      - .address_space:  global
        .offset:         8
        .size:           8
        .value_kind:     global_buffer
      - .offset:         16
        .size:           8
        .value_kind:     by_value
      - .address_space:  global
        .offset:         24
        .size:           8
        .value_kind:     global_buffer
      - .offset:         32
        .size:           8
        .value_kind:     by_value
      - .offset:         40
        .size:           4
        .value_kind:     by_value
      - .offset:         48
        .size:           8
        .value_kind:     by_value
      - .address_space:  global
        .offset:         56
        .size:           8
        .value_kind:     global_buffer
      - .offset:         64
        .size:           8
        .value_kind:     by_value
      - .offset:         72
        .size:           4
        .value_kind:     by_value
      - .offset:         80
        .size:           8
        .value_kind:     by_value
      - .address_space:  global
        .offset:         88
        .size:           8
        .value_kind:     global_buffer
      - .offset:         96
        .size:           8
        .value_kind:     by_value
      - .address_space:  global
        .offset:         104
        .size:           8
        .value_kind:     global_buffer
      - .offset:         112
        .size:           8
        .value_kind:     by_value
      - .offset:         120
        .size:           4
        .value_kind:     by_value
      - .offset:         128
        .size:           8
        .value_kind:     by_value
      - .offset:         136
        .size:           4
        .value_kind:     by_value
    .group_segment_fixed_size: 128
    .kernarg_segment_align: 8
    .kernarg_segment_size: 140
    .language:       OpenCL C
    .language_version:
      - 2
      - 0
    .max_flat_workgroup_size: 1024
    .name:           _ZL32rocblas_gemvt_warp_reduce_kernelILb1ELi1024EiPKDF16_PKfKPDF16_EviiT3_lPKT2_lT1_lS9_lSA_lS6_lPT4_lSA_li
    .private_segment_fixed_size: 0
    .sgpr_count:     26
    .sgpr_spill_count: 0
    .symbol:         _ZL32rocblas_gemvt_warp_reduce_kernelILb1ELi1024EiPKDF16_PKfKPDF16_EviiT3_lPKT2_lT1_lS9_lSA_lS6_lPT4_lSA_li.kd
    .uniform_work_group_size: 1
    .uses_dynamic_stack: false
    .vgpr_count:     11
    .vgpr_spill_count: 0
    .wavefront_size: 32
    .workgroup_processor_mode: 1
  - .args:
      - .offset:         0
        .size:           4
        .value_kind:     by_value
      - .offset:         4
        .size:           4
        .value_kind:     by_value
      - .address_space:  global
        .offset:         8
        .size:           8
        .value_kind:     global_buffer
      - .offset:         16
        .size:           8
        .value_kind:     by_value
      - .address_space:  global
        .offset:         24
        .size:           8
        .value_kind:     global_buffer
      - .offset:         32
        .size:           8
        .value_kind:     by_value
      - .offset:         40
        .size:           8
        .value_kind:     by_value
      - .offset:         48
        .size:           8
        .value_kind:     by_value
      - .address_space:  global
        .offset:         56
        .size:           8
        .value_kind:     global_buffer
      - .offset:         64
        .size:           8
        .value_kind:     by_value
      - .offset:         72
        .size:           8
        .value_kind:     by_value
      - .offset:         80
        .size:           8
        .value_kind:     by_value
      - .address_space:  global
        .offset:         88
        .size:           8
        .value_kind:     global_buffer
      - .offset:         96
        .size:           8
        .value_kind:     by_value
      - .address_space:  global
        .offset:         104
        .size:           8
        .value_kind:     global_buffer
      - .offset:         112
        .size:           8
        .value_kind:     by_value
      - .offset:         120
        .size:           8
        .value_kind:     by_value
      - .offset:         128
        .size:           8
        .value_kind:     by_value
      - .offset:         136
        .size:           4
        .value_kind:     by_value
    .group_segment_fixed_size: 128
    .kernarg_segment_align: 8
    .kernarg_segment_size: 140
    .language:       OpenCL C
    .language_version:
      - 2
      - 0
    .max_flat_workgroup_size: 1024
    .name:           _ZL32rocblas_gemvt_warp_reduce_kernelILb1ELi1024ElPKDF16_PKfKPDF16_EviiT3_lPKT2_lT1_lS9_lSA_lS6_lPT4_lSA_li
    .private_segment_fixed_size: 0
    .sgpr_count:     33
    .sgpr_spill_count: 0
    .symbol:         _ZL32rocblas_gemvt_warp_reduce_kernelILb1ELi1024ElPKDF16_PKfKPDF16_EviiT3_lPKT2_lT1_lS9_lSA_lS6_lPT4_lSA_li.kd
    .uniform_work_group_size: 1
    .uses_dynamic_stack: false
    .vgpr_count:     11
    .vgpr_spill_count: 0
    .wavefront_size: 32
    .workgroup_processor_mode: 1
  - .args:
      - .offset:         0
        .size:           4
        .value_kind:     by_value
      - .offset:         4
        .size:           4
        .value_kind:     by_value
      - .offset:         8
        .size:           4
        .value_kind:     by_value
      - .offset:         16
        .size:           8
        .value_kind:     by_value
      - .address_space:  global
        .offset:         24
        .size:           8
        .value_kind:     global_buffer
      - .offset:         32
        .size:           8
        .value_kind:     by_value
      - .offset:         40
        .size:           4
        .value_kind:     by_value
      - .offset:         48
        .size:           8
        .value_kind:     by_value
      - .address_space:  global
        .offset:         56
        .size:           8
        .value_kind:     global_buffer
      - .offset:         64
        .size:           8
        .value_kind:     by_value
      - .offset:         72
        .size:           4
        .value_kind:     by_value
      - .offset:         80
        .size:           8
        .value_kind:     by_value
      - .offset:         88
        .size:           4
        .value_kind:     by_value
      - .offset:         96
        .size:           8
        .value_kind:     by_value
      - .address_space:  global
        .offset:         104
        .size:           8
        .value_kind:     global_buffer
      - .offset:         112
        .size:           8
        .value_kind:     by_value
      - .offset:         120
        .size:           4
        .value_kind:     by_value
      - .offset:         128
        .size:           8
        .value_kind:     by_value
      - .offset:         136
        .size:           4
        .value_kind:     by_value
    .group_segment_fixed_size: 128
    .kernarg_segment_align: 8
    .kernarg_segment_size: 140
    .language:       OpenCL C
    .language_version:
      - 2
      - 0
    .max_flat_workgroup_size: 1024
    .name:           _ZL32rocblas_gemvt_warp_reduce_kernelILb1ELi1024EiPKDF16_fKPDF16_EviiT3_lPKT2_lT1_lS7_lS8_lS4_lPT4_lS8_li
    .private_segment_fixed_size: 0
    .sgpr_count:     22
    .sgpr_spill_count: 0
    .symbol:         _ZL32rocblas_gemvt_warp_reduce_kernelILb1ELi1024EiPKDF16_fKPDF16_EviiT3_lPKT2_lT1_lS7_lS8_lS4_lPT4_lS8_li.kd
    .uniform_work_group_size: 1
    .uses_dynamic_stack: false
    .vgpr_count:     11
    .vgpr_spill_count: 0
    .wavefront_size: 32
    .workgroup_processor_mode: 1
  - .args:
      - .offset:         0
        .size:           4
        .value_kind:     by_value
      - .offset:         4
        .size:           4
        .value_kind:     by_value
      - .offset:         8
        .size:           4
        .value_kind:     by_value
      - .offset:         16
        .size:           8
        .value_kind:     by_value
      - .address_space:  global
        .offset:         24
        .size:           8
        .value_kind:     global_buffer
      - .offset:         32
        .size:           8
        .value_kind:     by_value
      - .offset:         40
        .size:           8
        .value_kind:     by_value
      - .offset:         48
        .size:           8
        .value_kind:     by_value
      - .address_space:  global
        .offset:         56
        .size:           8
        .value_kind:     global_buffer
      - .offset:         64
        .size:           8
        .value_kind:     by_value
      - .offset:         72
        .size:           8
        .value_kind:     by_value
      - .offset:         80
        .size:           8
        .value_kind:     by_value
      - .offset:         88
        .size:           4
        .value_kind:     by_value
      - .offset:         96
        .size:           8
        .value_kind:     by_value
      - .address_space:  global
        .offset:         104
        .size:           8
        .value_kind:     global_buffer
      - .offset:         112
        .size:           8
        .value_kind:     by_value
      - .offset:         120
        .size:           8
        .value_kind:     by_value
      - .offset:         128
        .size:           8
        .value_kind:     by_value
      - .offset:         136
        .size:           4
        .value_kind:     by_value
    .group_segment_fixed_size: 128
    .kernarg_segment_align: 8
    .kernarg_segment_size: 140
    .language:       OpenCL C
    .language_version:
      - 2
      - 0
    .max_flat_workgroup_size: 1024
    .name:           _ZL32rocblas_gemvt_warp_reduce_kernelILb1ELi1024ElPKDF16_fKPDF16_EviiT3_lPKT2_lT1_lS7_lS8_lS4_lPT4_lS8_li
    .private_segment_fixed_size: 0
    .sgpr_count:     30
    .sgpr_spill_count: 0
    .symbol:         _ZL32rocblas_gemvt_warp_reduce_kernelILb1ELi1024ElPKDF16_fKPDF16_EviiT3_lPKT2_lT1_lS7_lS8_lS4_lPT4_lS8_li.kd
    .uniform_work_group_size: 1
    .uses_dynamic_stack: false
    .vgpr_count:     11
    .vgpr_spill_count: 0
    .wavefront_size: 32
    .workgroup_processor_mode: 1
  - .args:
      - .offset:         0
        .size:           4
        .value_kind:     by_value
      - .offset:         4
        .size:           4
        .value_kind:     by_value
      - .address_space:  global
        .offset:         8
        .size:           8
        .value_kind:     global_buffer
      - .offset:         16
        .size:           8
        .value_kind:     by_value
      - .address_space:  global
        .offset:         24
        .size:           8
        .value_kind:     global_buffer
      - .offset:         32
        .size:           8
        .value_kind:     by_value
      - .offset:         40
        .size:           4
        .value_kind:     by_value
      - .offset:         48
        .size:           8
        .value_kind:     by_value
      - .address_space:  global
        .offset:         56
        .size:           8
        .value_kind:     global_buffer
      - .offset:         64
        .size:           8
        .value_kind:     by_value
      - .offset:         72
        .size:           4
        .value_kind:     by_value
      - .offset:         80
        .size:           8
        .value_kind:     by_value
      - .address_space:  global
        .offset:         88
        .size:           8
        .value_kind:     global_buffer
      - .offset:         96
        .size:           8
        .value_kind:     by_value
      - .address_space:  global
        .offset:         104
        .size:           8
        .value_kind:     global_buffer
      - .offset:         112
        .size:           8
        .value_kind:     by_value
      - .offset:         120
        .size:           4
        .value_kind:     by_value
      - .offset:         128
        .size:           8
        .value_kind:     by_value
      - .offset:         136
        .size:           4
        .value_kind:     by_value
    .group_segment_fixed_size: 0
    .kernarg_segment_align: 8
    .kernarg_segment_size: 140
    .language:       OpenCL C
    .language_version:
      - 2
      - 0
    .max_flat_workgroup_size: 768
    .name:           _ZL34rocblas_gemvn_sm_mn_batched_kernelILi32ELi24EDF16_PKffEviiT2_lPKT1_lilS5_lilS2_lPT3_lili
    .private_segment_fixed_size: 0
    .sgpr_count:     0
    .sgpr_spill_count: 0
    .symbol:         _ZL34rocblas_gemvn_sm_mn_batched_kernelILi32ELi24EDF16_PKffEviiT2_lPKT1_lilS5_lilS2_lPT3_lili.kd
    .uniform_work_group_size: 1
    .uses_dynamic_stack: false
    .vgpr_count:     0
    .vgpr_spill_count: 0
    .wavefront_size: 32
    .workgroup_processor_mode: 1
  - .args:
      - .offset:         0
        .size:           4
        .value_kind:     by_value
      - .offset:         4
        .size:           4
        .value_kind:     by_value
      - .offset:         8
        .size:           4
        .value_kind:     by_value
      - .offset:         16
        .size:           8
        .value_kind:     by_value
      - .address_space:  global
        .offset:         24
        .size:           8
        .value_kind:     global_buffer
      - .offset:         32
        .size:           8
        .value_kind:     by_value
      - .offset:         40
        .size:           4
        .value_kind:     by_value
      - .offset:         48
        .size:           8
        .value_kind:     by_value
      - .address_space:  global
        .offset:         56
        .size:           8
        .value_kind:     global_buffer
      - .offset:         64
        .size:           8
        .value_kind:     by_value
      - .offset:         72
        .size:           4
        .value_kind:     by_value
      - .offset:         80
        .size:           8
        .value_kind:     by_value
      - .offset:         88
        .size:           4
        .value_kind:     by_value
      - .offset:         96
        .size:           8
        .value_kind:     by_value
      - .address_space:  global
        .offset:         104
        .size:           8
        .value_kind:     global_buffer
      - .offset:         112
        .size:           8
        .value_kind:     by_value
      - .offset:         120
        .size:           4
        .value_kind:     by_value
      - .offset:         128
        .size:           8
        .value_kind:     by_value
      - .offset:         136
        .size:           4
        .value_kind:     by_value
    .group_segment_fixed_size: 0
    .kernarg_segment_align: 8
    .kernarg_segment_size: 140
    .language:       OpenCL C
    .language_version:
      - 2
      - 0
    .max_flat_workgroup_size: 768
    .name:           _ZL34rocblas_gemvn_sm_mn_batched_kernelILi32ELi24EDF16_ffEviiT2_lPKT1_lilS3_lilS0_lPT3_lili
    .private_segment_fixed_size: 0
    .sgpr_count:     0
    .sgpr_spill_count: 0
    .symbol:         _ZL34rocblas_gemvn_sm_mn_batched_kernelILi32ELi24EDF16_ffEviiT2_lPKT1_lilS3_lilS0_lPT3_lili.kd
    .uniform_work_group_size: 1
    .uses_dynamic_stack: false
    .vgpr_count:     0
    .vgpr_spill_count: 0
    .wavefront_size: 32
    .workgroup_processor_mode: 1
  - .args:
      - .offset:         0
        .size:           4
        .value_kind:     by_value
      - .offset:         4
        .size:           4
        .value_kind:     by_value
      - .address_space:  global
        .offset:         8
        .size:           8
        .value_kind:     global_buffer
      - .offset:         16
        .size:           8
        .value_kind:     by_value
      - .address_space:  global
        .offset:         24
        .size:           8
        .value_kind:     global_buffer
      - .offset:         32
        .size:           8
        .value_kind:     by_value
      - .offset:         40
        .size:           4
        .value_kind:     by_value
      - .offset:         48
        .size:           8
        .value_kind:     by_value
      - .address_space:  global
        .offset:         56
        .size:           8
        .value_kind:     global_buffer
      - .offset:         64
        .size:           8
        .value_kind:     by_value
      - .offset:         72
        .size:           4
        .value_kind:     by_value
      - .offset:         80
        .size:           8
        .value_kind:     by_value
      - .address_space:  global
        .offset:         88
        .size:           8
        .value_kind:     global_buffer
      - .offset:         96
        .size:           8
        .value_kind:     by_value
      - .address_space:  global
        .offset:         104
        .size:           8
        .value_kind:     global_buffer
      - .offset:         112
        .size:           8
        .value_kind:     by_value
      - .offset:         120
        .size:           4
        .value_kind:     by_value
      - .offset:         128
        .size:           8
        .value_kind:     by_value
      - .offset:         136
        .size:           4
        .value_kind:     by_value
      - .offset:         144
        .size:           4
        .value_kind:     hidden_block_count_x
      - .offset:         148
        .size:           4
        .value_kind:     hidden_block_count_y
      - .offset:         152
        .size:           4
        .value_kind:     hidden_block_count_z
      - .offset:         156
        .size:           2
        .value_kind:     hidden_group_size_x
      - .offset:         158
        .size:           2
        .value_kind:     hidden_group_size_y
      - .offset:         160
        .size:           2
        .value_kind:     hidden_group_size_z
      - .offset:         162
        .size:           2
        .value_kind:     hidden_remainder_x
      - .offset:         164
        .size:           2
        .value_kind:     hidden_remainder_y
      - .offset:         166
        .size:           2
        .value_kind:     hidden_remainder_z
      - .offset:         184
        .size:           8
        .value_kind:     hidden_global_offset_x
      - .offset:         192
        .size:           8
        .value_kind:     hidden_global_offset_y
      - .offset:         200
        .size:           8
        .value_kind:     hidden_global_offset_z
      - .offset:         208
        .size:           2
        .value_kind:     hidden_grid_dims
    .group_segment_fixed_size: 4096
    .kernarg_segment_align: 8
    .kernarg_segment_size: 400
    .language:       OpenCL C
    .language_version:
      - 2
      - 0
    .max_flat_workgroup_size: 256
    .name:           _ZL20rocblas_gemvn_kernelILi64ELi4EiDF16_PKffEviiT3_lPKT2_lT1_lS5_lS6_lS2_lPT4_lS6_li
    .private_segment_fixed_size: 0
    .sgpr_count:     30
    .sgpr_spill_count: 0
    .symbol:         _ZL20rocblas_gemvn_kernelILi64ELi4EiDF16_PKffEviiT3_lPKT2_lT1_lS5_lS6_lS2_lPT4_lS6_li.kd
    .uniform_work_group_size: 1
    .uses_dynamic_stack: false
    .vgpr_count:     46
    .vgpr_spill_count: 0
    .wavefront_size: 32
    .workgroup_processor_mode: 1
  - .args:
      - .offset:         0
        .size:           4
        .value_kind:     by_value
      - .offset:         4
        .size:           4
        .value_kind:     by_value
      - .address_space:  global
        .offset:         8
        .size:           8
        .value_kind:     global_buffer
      - .offset:         16
        .size:           8
        .value_kind:     by_value
      - .address_space:  global
        .offset:         24
        .size:           8
        .value_kind:     global_buffer
      - .offset:         32
        .size:           8
        .value_kind:     by_value
      - .offset:         40
        .size:           8
        .value_kind:     by_value
      - .offset:         48
        .size:           8
        .value_kind:     by_value
      - .address_space:  global
        .offset:         56
        .size:           8
        .value_kind:     global_buffer
      - .offset:         64
        .size:           8
        .value_kind:     by_value
      - .offset:         72
        .size:           8
        .value_kind:     by_value
      - .offset:         80
        .size:           8
        .value_kind:     by_value
      - .address_space:  global
        .offset:         88
        .size:           8
        .value_kind:     global_buffer
      - .offset:         96
        .size:           8
        .value_kind:     by_value
      - .address_space:  global
        .offset:         104
        .size:           8
        .value_kind:     global_buffer
      - .offset:         112
        .size:           8
        .value_kind:     by_value
      - .offset:         120
        .size:           8
        .value_kind:     by_value
      - .offset:         128
        .size:           8
        .value_kind:     by_value
      - .offset:         136
        .size:           4
        .value_kind:     by_value
      - .offset:         144
        .size:           4
        .value_kind:     hidden_block_count_x
      - .offset:         148
        .size:           4
        .value_kind:     hidden_block_count_y
      - .offset:         152
        .size:           4
        .value_kind:     hidden_block_count_z
      - .offset:         156
        .size:           2
        .value_kind:     hidden_group_size_x
      - .offset:         158
        .size:           2
        .value_kind:     hidden_group_size_y
      - .offset:         160
        .size:           2
        .value_kind:     hidden_group_size_z
      - .offset:         162
        .size:           2
        .value_kind:     hidden_remainder_x
      - .offset:         164
        .size:           2
        .value_kind:     hidden_remainder_y
      - .offset:         166
        .size:           2
        .value_kind:     hidden_remainder_z
      - .offset:         184
        .size:           8
        .value_kind:     hidden_global_offset_x
      - .offset:         192
        .size:           8
        .value_kind:     hidden_global_offset_y
      - .offset:         200
        .size:           8
        .value_kind:     hidden_global_offset_z
      - .offset:         208
        .size:           2
        .value_kind:     hidden_grid_dims
    .group_segment_fixed_size: 4096
    .kernarg_segment_align: 8
    .kernarg_segment_size: 400
    .language:       OpenCL C
    .language_version:
      - 2
      - 0
    .max_flat_workgroup_size: 256
    .name:           _ZL20rocblas_gemvn_kernelILi64ELi4ElDF16_PKffEviiT3_lPKT2_lT1_lS5_lS6_lS2_lPT4_lS6_li
    .private_segment_fixed_size: 0
    .sgpr_count:     54
    .sgpr_spill_count: 0
    .symbol:         _ZL20rocblas_gemvn_kernelILi64ELi4ElDF16_PKffEviiT3_lPKT2_lT1_lS5_lS6_lS2_lPT4_lS6_li.kd
    .uniform_work_group_size: 1
    .uses_dynamic_stack: false
    .vgpr_count:     56
    .vgpr_spill_count: 0
    .wavefront_size: 32
    .workgroup_processor_mode: 1
  - .args:
      - .offset:         0
        .size:           4
        .value_kind:     by_value
      - .offset:         4
        .size:           4
        .value_kind:     by_value
      - .offset:         8
        .size:           4
        .value_kind:     by_value
      - .offset:         16
        .size:           8
        .value_kind:     by_value
      - .address_space:  global
        .offset:         24
        .size:           8
        .value_kind:     global_buffer
      - .offset:         32
        .size:           8
        .value_kind:     by_value
      - .offset:         40
        .size:           4
        .value_kind:     by_value
      - .offset:         48
        .size:           8
        .value_kind:     by_value
      - .address_space:  global
        .offset:         56
        .size:           8
        .value_kind:     global_buffer
      - .offset:         64
        .size:           8
        .value_kind:     by_value
      - .offset:         72
        .size:           4
        .value_kind:     by_value
      - .offset:         80
        .size:           8
        .value_kind:     by_value
      - .offset:         88
        .size:           4
        .value_kind:     by_value
      - .offset:         96
        .size:           8
        .value_kind:     by_value
      - .address_space:  global
        .offset:         104
        .size:           8
        .value_kind:     global_buffer
      - .offset:         112
        .size:           8
        .value_kind:     by_value
      - .offset:         120
        .size:           4
        .value_kind:     by_value
      - .offset:         128
        .size:           8
        .value_kind:     by_value
      - .offset:         136
        .size:           4
        .value_kind:     by_value
      - .offset:         144
        .size:           4
        .value_kind:     hidden_block_count_x
      - .offset:         148
        .size:           4
        .value_kind:     hidden_block_count_y
      - .offset:         152
        .size:           4
        .value_kind:     hidden_block_count_z
      - .offset:         156
        .size:           2
        .value_kind:     hidden_group_size_x
      - .offset:         158
        .size:           2
        .value_kind:     hidden_group_size_y
      - .offset:         160
        .size:           2
        .value_kind:     hidden_group_size_z
      - .offset:         162
        .size:           2
        .value_kind:     hidden_remainder_x
      - .offset:         164
        .size:           2
        .value_kind:     hidden_remainder_y
      - .offset:         166
        .size:           2
        .value_kind:     hidden_remainder_z
      - .offset:         184
        .size:           8
        .value_kind:     hidden_global_offset_x
      - .offset:         192
        .size:           8
        .value_kind:     hidden_global_offset_y
      - .offset:         200
        .size:           8
        .value_kind:     hidden_global_offset_z
      - .offset:         208
        .size:           2
        .value_kind:     hidden_grid_dims
    .group_segment_fixed_size: 4096
    .kernarg_segment_align: 8
    .kernarg_segment_size: 400
    .language:       OpenCL C
    .language_version:
      - 2
      - 0
    .max_flat_workgroup_size: 256
    .name:           _ZL20rocblas_gemvn_kernelILi64ELi4EiDF16_ffEviiT3_lPKT2_lT1_lS3_lS4_lS0_lPT4_lS4_li
    .private_segment_fixed_size: 0
    .sgpr_count:     30
    .sgpr_spill_count: 0
    .symbol:         _ZL20rocblas_gemvn_kernelILi64ELi4EiDF16_ffEviiT3_lPKT2_lT1_lS3_lS4_lS0_lPT4_lS4_li.kd
    .uniform_work_group_size: 1
    .uses_dynamic_stack: false
    .vgpr_count:     46
    .vgpr_spill_count: 0
    .wavefront_size: 32
    .workgroup_processor_mode: 1
  - .args:
      - .offset:         0
        .size:           4
        .value_kind:     by_value
      - .offset:         4
        .size:           4
        .value_kind:     by_value
      - .offset:         8
        .size:           4
        .value_kind:     by_value
      - .offset:         16
        .size:           8
        .value_kind:     by_value
      - .address_space:  global
        .offset:         24
        .size:           8
        .value_kind:     global_buffer
      - .offset:         32
        .size:           8
        .value_kind:     by_value
      - .offset:         40
        .size:           8
        .value_kind:     by_value
      - .offset:         48
        .size:           8
        .value_kind:     by_value
      - .address_space:  global
        .offset:         56
        .size:           8
        .value_kind:     global_buffer
      - .offset:         64
        .size:           8
        .value_kind:     by_value
      - .offset:         72
        .size:           8
        .value_kind:     by_value
      - .offset:         80
        .size:           8
        .value_kind:     by_value
      - .offset:         88
        .size:           4
        .value_kind:     by_value
      - .offset:         96
        .size:           8
        .value_kind:     by_value
      - .address_space:  global
        .offset:         104
        .size:           8
        .value_kind:     global_buffer
      - .offset:         112
        .size:           8
        .value_kind:     by_value
      - .offset:         120
        .size:           8
        .value_kind:     by_value
      - .offset:         128
        .size:           8
        .value_kind:     by_value
      - .offset:         136
        .size:           4
        .value_kind:     by_value
      - .offset:         144
        .size:           4
        .value_kind:     hidden_block_count_x
      - .offset:         148
        .size:           4
        .value_kind:     hidden_block_count_y
      - .offset:         152
        .size:           4
        .value_kind:     hidden_block_count_z
      - .offset:         156
        .size:           2
        .value_kind:     hidden_group_size_x
      - .offset:         158
        .size:           2
        .value_kind:     hidden_group_size_y
      - .offset:         160
        .size:           2
        .value_kind:     hidden_group_size_z
      - .offset:         162
        .size:           2
        .value_kind:     hidden_remainder_x
      - .offset:         164
        .size:           2
        .value_kind:     hidden_remainder_y
      - .offset:         166
        .size:           2
        .value_kind:     hidden_remainder_z
      - .offset:         184
        .size:           8
        .value_kind:     hidden_global_offset_x
      - .offset:         192
        .size:           8
        .value_kind:     hidden_global_offset_y
      - .offset:         200
        .size:           8
        .value_kind:     hidden_global_offset_z
      - .offset:         208
        .size:           2
        .value_kind:     hidden_grid_dims
    .group_segment_fixed_size: 4096
    .kernarg_segment_align: 8
    .kernarg_segment_size: 400
    .language:       OpenCL C
    .language_version:
      - 2
      - 0
    .max_flat_workgroup_size: 256
    .name:           _ZL20rocblas_gemvn_kernelILi64ELi4ElDF16_ffEviiT3_lPKT2_lT1_lS3_lS4_lS0_lPT4_lS4_li
    .private_segment_fixed_size: 0
    .sgpr_count:     45
    .sgpr_spill_count: 0
    .symbol:         _ZL20rocblas_gemvn_kernelILi64ELi4ElDF16_ffEviiT3_lPKT2_lT1_lS3_lS4_lS0_lPT4_lS4_li.kd
    .uniform_work_group_size: 1
    .uses_dynamic_stack: false
    .vgpr_count:     56
    .vgpr_spill_count: 0
    .wavefront_size: 32
    .workgroup_processor_mode: 1
  - .args:
      - .offset:         0
        .size:           4
        .value_kind:     by_value
      - .offset:         4
        .size:           4
        .value_kind:     by_value
      - .address_space:  global
        .offset:         8
        .size:           8
        .value_kind:     global_buffer
      - .offset:         16
        .size:           8
        .value_kind:     by_value
      - .address_space:  global
        .offset:         24
        .size:           8
        .value_kind:     global_buffer
      - .offset:         32
        .size:           8
        .value_kind:     by_value
      - .offset:         40
        .size:           4
        .value_kind:     by_value
      - .offset:         48
        .size:           8
        .value_kind:     by_value
      - .address_space:  global
        .offset:         56
        .size:           8
        .value_kind:     global_buffer
      - .offset:         64
        .size:           8
        .value_kind:     by_value
      - .offset:         72
        .size:           4
        .value_kind:     by_value
      - .offset:         80
        .size:           8
        .value_kind:     by_value
      - .address_space:  global
        .offset:         88
        .size:           8
        .value_kind:     global_buffer
      - .offset:         96
        .size:           8
        .value_kind:     by_value
      - .address_space:  global
        .offset:         104
        .size:           8
        .value_kind:     global_buffer
      - .offset:         112
        .size:           8
        .value_kind:     by_value
      - .offset:         120
        .size:           4
        .value_kind:     by_value
      - .offset:         128
        .size:           8
        .value_kind:     by_value
      - .offset:         136
        .size:           4
        .value_kind:     by_value
      - .offset:         144
        .size:           4
        .value_kind:     hidden_block_count_x
      - .offset:         148
        .size:           4
        .value_kind:     hidden_block_count_y
      - .offset:         152
        .size:           4
        .value_kind:     hidden_block_count_z
      - .offset:         156
        .size:           2
        .value_kind:     hidden_group_size_x
      - .offset:         158
        .size:           2
        .value_kind:     hidden_group_size_y
      - .offset:         160
        .size:           2
        .value_kind:     hidden_group_size_z
      - .offset:         162
        .size:           2
        .value_kind:     hidden_remainder_x
      - .offset:         164
        .size:           2
        .value_kind:     hidden_remainder_y
      - .offset:         166
        .size:           2
        .value_kind:     hidden_remainder_z
      - .offset:         184
        .size:           8
        .value_kind:     hidden_global_offset_x
      - .offset:         192
        .size:           8
        .value_kind:     hidden_global_offset_y
      - .offset:         200
        .size:           8
        .value_kind:     hidden_global_offset_z
      - .offset:         208
        .size:           2
        .value_kind:     hidden_grid_dims
    .group_segment_fixed_size: 8192
    .kernarg_segment_align: 8
    .kernarg_segment_size: 400
    .language:       OpenCL C
    .language_version:
      - 2
      - 0
    .max_flat_workgroup_size: 512
    .name:           _ZL20rocblas_gemvn_kernelILi32ELi16EiDF16_PKffEviiT3_lPKT2_lT1_lS5_lS6_lS2_lPT4_lS6_li
    .private_segment_fixed_size: 0
    .sgpr_count:     30
    .sgpr_spill_count: 0
    .symbol:         _ZL20rocblas_gemvn_kernelILi32ELi16EiDF16_PKffEviiT3_lPKT2_lT1_lS5_lS6_lS2_lPT4_lS6_li.kd
    .uniform_work_group_size: 1
    .uses_dynamic_stack: false
    .vgpr_count:     46
    .vgpr_spill_count: 0
    .wavefront_size: 32
    .workgroup_processor_mode: 1
  - .args:
      - .offset:         0
        .size:           4
        .value_kind:     by_value
      - .offset:         4
        .size:           4
        .value_kind:     by_value
      - .address_space:  global
        .offset:         8
        .size:           8
        .value_kind:     global_buffer
      - .offset:         16
        .size:           8
        .value_kind:     by_value
      - .address_space:  global
        .offset:         24
        .size:           8
        .value_kind:     global_buffer
      - .offset:         32
        .size:           8
        .value_kind:     by_value
      - .offset:         40
        .size:           8
        .value_kind:     by_value
      - .offset:         48
        .size:           8
        .value_kind:     by_value
      - .address_space:  global
        .offset:         56
        .size:           8
        .value_kind:     global_buffer
      - .offset:         64
        .size:           8
        .value_kind:     by_value
      - .offset:         72
        .size:           8
        .value_kind:     by_value
      - .offset:         80
        .size:           8
        .value_kind:     by_value
      - .address_space:  global
        .offset:         88
        .size:           8
        .value_kind:     global_buffer
      - .offset:         96
        .size:           8
        .value_kind:     by_value
      - .address_space:  global
        .offset:         104
        .size:           8
        .value_kind:     global_buffer
      - .offset:         112
        .size:           8
        .value_kind:     by_value
      - .offset:         120
        .size:           8
        .value_kind:     by_value
      - .offset:         128
        .size:           8
        .value_kind:     by_value
      - .offset:         136
        .size:           4
        .value_kind:     by_value
      - .offset:         144
        .size:           4
        .value_kind:     hidden_block_count_x
      - .offset:         148
        .size:           4
        .value_kind:     hidden_block_count_y
      - .offset:         152
        .size:           4
        .value_kind:     hidden_block_count_z
      - .offset:         156
        .size:           2
        .value_kind:     hidden_group_size_x
      - .offset:         158
        .size:           2
        .value_kind:     hidden_group_size_y
      - .offset:         160
        .size:           2
        .value_kind:     hidden_group_size_z
      - .offset:         162
        .size:           2
        .value_kind:     hidden_remainder_x
      - .offset:         164
        .size:           2
        .value_kind:     hidden_remainder_y
      - .offset:         166
        .size:           2
        .value_kind:     hidden_remainder_z
      - .offset:         184
        .size:           8
        .value_kind:     hidden_global_offset_x
      - .offset:         192
        .size:           8
        .value_kind:     hidden_global_offset_y
      - .offset:         200
        .size:           8
        .value_kind:     hidden_global_offset_z
      - .offset:         208
        .size:           2
        .value_kind:     hidden_grid_dims
    .group_segment_fixed_size: 8192
    .kernarg_segment_align: 8
    .kernarg_segment_size: 400
    .language:       OpenCL C
    .language_version:
      - 2
      - 0
    .max_flat_workgroup_size: 512
    .name:           _ZL20rocblas_gemvn_kernelILi32ELi16ElDF16_PKffEviiT3_lPKT2_lT1_lS5_lS6_lS2_lPT4_lS6_li
    .private_segment_fixed_size: 0
    .sgpr_count:     54
    .sgpr_spill_count: 0
    .symbol:         _ZL20rocblas_gemvn_kernelILi32ELi16ElDF16_PKffEviiT3_lPKT2_lT1_lS5_lS6_lS2_lPT4_lS6_li.kd
    .uniform_work_group_size: 1
    .uses_dynamic_stack: false
    .vgpr_count:     56
    .vgpr_spill_count: 0
    .wavefront_size: 32
    .workgroup_processor_mode: 1
  - .args:
      - .offset:         0
        .size:           4
        .value_kind:     by_value
      - .offset:         4
        .size:           4
        .value_kind:     by_value
      - .offset:         8
        .size:           4
        .value_kind:     by_value
      - .offset:         16
        .size:           8
        .value_kind:     by_value
      - .address_space:  global
        .offset:         24
        .size:           8
        .value_kind:     global_buffer
      - .offset:         32
        .size:           8
        .value_kind:     by_value
      - .offset:         40
        .size:           4
        .value_kind:     by_value
      - .offset:         48
        .size:           8
        .value_kind:     by_value
      - .address_space:  global
        .offset:         56
        .size:           8
        .value_kind:     global_buffer
      - .offset:         64
        .size:           8
        .value_kind:     by_value
      - .offset:         72
        .size:           4
        .value_kind:     by_value
      - .offset:         80
        .size:           8
        .value_kind:     by_value
      - .offset:         88
        .size:           4
        .value_kind:     by_value
      - .offset:         96
        .size:           8
        .value_kind:     by_value
      - .address_space:  global
        .offset:         104
        .size:           8
        .value_kind:     global_buffer
      - .offset:         112
        .size:           8
        .value_kind:     by_value
      - .offset:         120
        .size:           4
        .value_kind:     by_value
      - .offset:         128
        .size:           8
        .value_kind:     by_value
      - .offset:         136
        .size:           4
        .value_kind:     by_value
      - .offset:         144
        .size:           4
        .value_kind:     hidden_block_count_x
      - .offset:         148
        .size:           4
        .value_kind:     hidden_block_count_y
      - .offset:         152
        .size:           4
        .value_kind:     hidden_block_count_z
      - .offset:         156
        .size:           2
        .value_kind:     hidden_group_size_x
      - .offset:         158
        .size:           2
        .value_kind:     hidden_group_size_y
      - .offset:         160
        .size:           2
        .value_kind:     hidden_group_size_z
      - .offset:         162
        .size:           2
        .value_kind:     hidden_remainder_x
      - .offset:         164
        .size:           2
        .value_kind:     hidden_remainder_y
      - .offset:         166
        .size:           2
        .value_kind:     hidden_remainder_z
      - .offset:         184
        .size:           8
        .value_kind:     hidden_global_offset_x
      - .offset:         192
        .size:           8
        .value_kind:     hidden_global_offset_y
      - .offset:         200
        .size:           8
        .value_kind:     hidden_global_offset_z
      - .offset:         208
        .size:           2
        .value_kind:     hidden_grid_dims
    .group_segment_fixed_size: 8192
    .kernarg_segment_align: 8
    .kernarg_segment_size: 400
    .language:       OpenCL C
    .language_version:
      - 2
      - 0
    .max_flat_workgroup_size: 512
    .name:           _ZL20rocblas_gemvn_kernelILi32ELi16EiDF16_ffEviiT3_lPKT2_lT1_lS3_lS4_lS0_lPT4_lS4_li
    .private_segment_fixed_size: 0
    .sgpr_count:     30
    .sgpr_spill_count: 0
    .symbol:         _ZL20rocblas_gemvn_kernelILi32ELi16EiDF16_ffEviiT3_lPKT2_lT1_lS3_lS4_lS0_lPT4_lS4_li.kd
    .uniform_work_group_size: 1
    .uses_dynamic_stack: false
    .vgpr_count:     46
    .vgpr_spill_count: 0
    .wavefront_size: 32
    .workgroup_processor_mode: 1
  - .args:
      - .offset:         0
        .size:           4
        .value_kind:     by_value
      - .offset:         4
        .size:           4
        .value_kind:     by_value
      - .offset:         8
        .size:           4
        .value_kind:     by_value
      - .offset:         16
        .size:           8
        .value_kind:     by_value
      - .address_space:  global
        .offset:         24
        .size:           8
        .value_kind:     global_buffer
      - .offset:         32
        .size:           8
        .value_kind:     by_value
      - .offset:         40
        .size:           8
        .value_kind:     by_value
      - .offset:         48
        .size:           8
        .value_kind:     by_value
      - .address_space:  global
        .offset:         56
        .size:           8
        .value_kind:     global_buffer
      - .offset:         64
        .size:           8
        .value_kind:     by_value
      - .offset:         72
        .size:           8
        .value_kind:     by_value
      - .offset:         80
        .size:           8
        .value_kind:     by_value
      - .offset:         88
        .size:           4
        .value_kind:     by_value
      - .offset:         96
        .size:           8
        .value_kind:     by_value
      - .address_space:  global
        .offset:         104
        .size:           8
        .value_kind:     global_buffer
      - .offset:         112
        .size:           8
        .value_kind:     by_value
      - .offset:         120
        .size:           8
        .value_kind:     by_value
      - .offset:         128
        .size:           8
        .value_kind:     by_value
      - .offset:         136
        .size:           4
        .value_kind:     by_value
      - .offset:         144
        .size:           4
        .value_kind:     hidden_block_count_x
      - .offset:         148
        .size:           4
        .value_kind:     hidden_block_count_y
      - .offset:         152
        .size:           4
        .value_kind:     hidden_block_count_z
      - .offset:         156
        .size:           2
        .value_kind:     hidden_group_size_x
      - .offset:         158
        .size:           2
        .value_kind:     hidden_group_size_y
      - .offset:         160
        .size:           2
        .value_kind:     hidden_group_size_z
      - .offset:         162
        .size:           2
        .value_kind:     hidden_remainder_x
      - .offset:         164
        .size:           2
        .value_kind:     hidden_remainder_y
      - .offset:         166
        .size:           2
        .value_kind:     hidden_remainder_z
      - .offset:         184
        .size:           8
        .value_kind:     hidden_global_offset_x
      - .offset:         192
        .size:           8
        .value_kind:     hidden_global_offset_y
      - .offset:         200
        .size:           8
        .value_kind:     hidden_global_offset_z
      - .offset:         208
        .size:           2
        .value_kind:     hidden_grid_dims
    .group_segment_fixed_size: 8192
    .kernarg_segment_align: 8
    .kernarg_segment_size: 400
    .language:       OpenCL C
    .language_version:
      - 2
      - 0
    .max_flat_workgroup_size: 512
    .name:           _ZL20rocblas_gemvn_kernelILi32ELi16ElDF16_ffEviiT3_lPKT2_lT1_lS3_lS4_lS0_lPT4_lS4_li
    .private_segment_fixed_size: 0
    .sgpr_count:     45
    .sgpr_spill_count: 0
    .symbol:         _ZL20rocblas_gemvn_kernelILi32ELi16ElDF16_ffEviiT3_lPKT2_lT1_lS3_lS4_lS0_lPT4_lS4_li.kd
    .uniform_work_group_size: 1
    .uses_dynamic_stack: false
    .vgpr_count:     56
    .vgpr_spill_count: 0
    .wavefront_size: 32
    .workgroup_processor_mode: 1
  - .args:
      - .offset:         0
        .size:           4
        .value_kind:     by_value
      - .offset:         4
        .size:           4
        .value_kind:     by_value
      - .address_space:  global
        .offset:         8
        .size:           8
        .value_kind:     global_buffer
      - .offset:         16
        .size:           8
        .value_kind:     by_value
      - .address_space:  global
        .offset:         24
        .size:           8
        .value_kind:     global_buffer
      - .offset:         32
        .size:           8
        .value_kind:     by_value
      - .offset:         40
        .size:           4
        .value_kind:     by_value
      - .offset:         48
        .size:           8
        .value_kind:     by_value
      - .address_space:  global
        .offset:         56
        .size:           8
        .value_kind:     global_buffer
      - .offset:         64
        .size:           8
        .value_kind:     by_value
      - .offset:         72
        .size:           4
        .value_kind:     by_value
      - .offset:         80
        .size:           8
        .value_kind:     by_value
      - .address_space:  global
        .offset:         88
        .size:           8
        .value_kind:     global_buffer
      - .offset:         96
        .size:           8
        .value_kind:     by_value
      - .address_space:  global
        .offset:         104
        .size:           8
        .value_kind:     global_buffer
      - .offset:         112
        .size:           8
        .value_kind:     by_value
      - .offset:         120
        .size:           4
        .value_kind:     by_value
      - .offset:         128
        .size:           8
        .value_kind:     by_value
      - .offset:         136
        .size:           4
        .value_kind:     by_value
      - .offset:         144
        .size:           4
        .value_kind:     hidden_block_count_x
      - .offset:         148
        .size:           4
        .value_kind:     hidden_block_count_y
      - .offset:         152
        .size:           4
        .value_kind:     hidden_block_count_z
      - .offset:         156
        .size:           2
        .value_kind:     hidden_group_size_x
      - .offset:         158
        .size:           2
        .value_kind:     hidden_group_size_y
      - .offset:         160
        .size:           2
        .value_kind:     hidden_group_size_z
      - .offset:         162
        .size:           2
        .value_kind:     hidden_remainder_x
      - .offset:         164
        .size:           2
        .value_kind:     hidden_remainder_y
      - .offset:         166
        .size:           2
        .value_kind:     hidden_remainder_z
      - .offset:         184
        .size:           8
        .value_kind:     hidden_global_offset_x
      - .offset:         192
        .size:           8
        .value_kind:     hidden_global_offset_y
      - .offset:         200
        .size:           8
        .value_kind:     hidden_global_offset_z
      - .offset:         208
        .size:           2
        .value_kind:     hidden_grid_dims
    .group_segment_fixed_size: 16384
    .kernarg_segment_align: 8
    .kernarg_segment_size: 400
    .language:       OpenCL C
    .language_version:
      - 2
      - 0
    .max_flat_workgroup_size: 1024
    .name:           _ZL20rocblas_gemvn_kernelILi64ELi16EiDF16_PKffEviiT3_lPKT2_lT1_lS5_lS6_lS2_lPT4_lS6_li
    .private_segment_fixed_size: 0
    .sgpr_count:     30
    .sgpr_spill_count: 0
    .symbol:         _ZL20rocblas_gemvn_kernelILi64ELi16EiDF16_PKffEviiT3_lPKT2_lT1_lS5_lS6_lS2_lPT4_lS6_li.kd
    .uniform_work_group_size: 1
    .uses_dynamic_stack: false
    .vgpr_count:     46
    .vgpr_spill_count: 0
    .wavefront_size: 32
    .workgroup_processor_mode: 1
  - .args:
      - .offset:         0
        .size:           4
        .value_kind:     by_value
      - .offset:         4
        .size:           4
        .value_kind:     by_value
      - .address_space:  global
        .offset:         8
        .size:           8
        .value_kind:     global_buffer
      - .offset:         16
        .size:           8
        .value_kind:     by_value
      - .address_space:  global
        .offset:         24
        .size:           8
        .value_kind:     global_buffer
      - .offset:         32
        .size:           8
        .value_kind:     by_value
      - .offset:         40
        .size:           8
        .value_kind:     by_value
      - .offset:         48
        .size:           8
        .value_kind:     by_value
      - .address_space:  global
        .offset:         56
        .size:           8
        .value_kind:     global_buffer
      - .offset:         64
        .size:           8
        .value_kind:     by_value
      - .offset:         72
        .size:           8
        .value_kind:     by_value
      - .offset:         80
        .size:           8
        .value_kind:     by_value
      - .address_space:  global
        .offset:         88
        .size:           8
        .value_kind:     global_buffer
      - .offset:         96
        .size:           8
        .value_kind:     by_value
      - .address_space:  global
        .offset:         104
        .size:           8
        .value_kind:     global_buffer
      - .offset:         112
        .size:           8
        .value_kind:     by_value
      - .offset:         120
        .size:           8
        .value_kind:     by_value
      - .offset:         128
        .size:           8
        .value_kind:     by_value
      - .offset:         136
        .size:           4
        .value_kind:     by_value
      - .offset:         144
        .size:           4
        .value_kind:     hidden_block_count_x
      - .offset:         148
        .size:           4
        .value_kind:     hidden_block_count_y
      - .offset:         152
        .size:           4
        .value_kind:     hidden_block_count_z
      - .offset:         156
        .size:           2
        .value_kind:     hidden_group_size_x
      - .offset:         158
        .size:           2
        .value_kind:     hidden_group_size_y
      - .offset:         160
        .size:           2
        .value_kind:     hidden_group_size_z
      - .offset:         162
        .size:           2
        .value_kind:     hidden_remainder_x
      - .offset:         164
        .size:           2
        .value_kind:     hidden_remainder_y
      - .offset:         166
        .size:           2
        .value_kind:     hidden_remainder_z
      - .offset:         184
        .size:           8
        .value_kind:     hidden_global_offset_x
      - .offset:         192
        .size:           8
        .value_kind:     hidden_global_offset_y
      - .offset:         200
        .size:           8
        .value_kind:     hidden_global_offset_z
      - .offset:         208
        .size:           2
        .value_kind:     hidden_grid_dims
    .group_segment_fixed_size: 16384
    .kernarg_segment_align: 8
    .kernarg_segment_size: 400
    .language:       OpenCL C
    .language_version:
      - 2
      - 0
    .max_flat_workgroup_size: 1024
    .name:           _ZL20rocblas_gemvn_kernelILi64ELi16ElDF16_PKffEviiT3_lPKT2_lT1_lS5_lS6_lS2_lPT4_lS6_li
    .private_segment_fixed_size: 0
    .sgpr_count:     54
    .sgpr_spill_count: 0
    .symbol:         _ZL20rocblas_gemvn_kernelILi64ELi16ElDF16_PKffEviiT3_lPKT2_lT1_lS5_lS6_lS2_lPT4_lS6_li.kd
    .uniform_work_group_size: 1
    .uses_dynamic_stack: false
    .vgpr_count:     56
    .vgpr_spill_count: 0
    .wavefront_size: 32
    .workgroup_processor_mode: 1
  - .args:
      - .offset:         0
        .size:           4
        .value_kind:     by_value
      - .offset:         4
        .size:           4
        .value_kind:     by_value
      - .offset:         8
        .size:           4
        .value_kind:     by_value
      - .offset:         16
        .size:           8
        .value_kind:     by_value
      - .address_space:  global
        .offset:         24
        .size:           8
        .value_kind:     global_buffer
      - .offset:         32
        .size:           8
        .value_kind:     by_value
      - .offset:         40
        .size:           4
        .value_kind:     by_value
      - .offset:         48
        .size:           8
        .value_kind:     by_value
      - .address_space:  global
        .offset:         56
        .size:           8
        .value_kind:     global_buffer
      - .offset:         64
        .size:           8
        .value_kind:     by_value
      - .offset:         72
        .size:           4
        .value_kind:     by_value
      - .offset:         80
        .size:           8
        .value_kind:     by_value
      - .offset:         88
        .size:           4
        .value_kind:     by_value
      - .offset:         96
        .size:           8
        .value_kind:     by_value
      - .address_space:  global
        .offset:         104
        .size:           8
        .value_kind:     global_buffer
      - .offset:         112
        .size:           8
        .value_kind:     by_value
      - .offset:         120
        .size:           4
        .value_kind:     by_value
      - .offset:         128
        .size:           8
        .value_kind:     by_value
      - .offset:         136
        .size:           4
        .value_kind:     by_value
      - .offset:         144
        .size:           4
        .value_kind:     hidden_block_count_x
      - .offset:         148
        .size:           4
        .value_kind:     hidden_block_count_y
      - .offset:         152
        .size:           4
        .value_kind:     hidden_block_count_z
      - .offset:         156
        .size:           2
        .value_kind:     hidden_group_size_x
      - .offset:         158
        .size:           2
        .value_kind:     hidden_group_size_y
      - .offset:         160
        .size:           2
        .value_kind:     hidden_group_size_z
      - .offset:         162
        .size:           2
        .value_kind:     hidden_remainder_x
      - .offset:         164
        .size:           2
        .value_kind:     hidden_remainder_y
      - .offset:         166
        .size:           2
        .value_kind:     hidden_remainder_z
      - .offset:         184
        .size:           8
        .value_kind:     hidden_global_offset_x
      - .offset:         192
        .size:           8
        .value_kind:     hidden_global_offset_y
      - .offset:         200
        .size:           8
        .value_kind:     hidden_global_offset_z
      - .offset:         208
        .size:           2
        .value_kind:     hidden_grid_dims
    .group_segment_fixed_size: 16384
    .kernarg_segment_align: 8
    .kernarg_segment_size: 400
    .language:       OpenCL C
    .language_version:
      - 2
      - 0
    .max_flat_workgroup_size: 1024
    .name:           _ZL20rocblas_gemvn_kernelILi64ELi16EiDF16_ffEviiT3_lPKT2_lT1_lS3_lS4_lS0_lPT4_lS4_li
    .private_segment_fixed_size: 0
    .sgpr_count:     30
    .sgpr_spill_count: 0
    .symbol:         _ZL20rocblas_gemvn_kernelILi64ELi16EiDF16_ffEviiT3_lPKT2_lT1_lS3_lS4_lS0_lPT4_lS4_li.kd
    .uniform_work_group_size: 1
    .uses_dynamic_stack: false
    .vgpr_count:     46
    .vgpr_spill_count: 0
    .wavefront_size: 32
    .workgroup_processor_mode: 1
  - .args:
      - .offset:         0
        .size:           4
        .value_kind:     by_value
      - .offset:         4
        .size:           4
        .value_kind:     by_value
      - .offset:         8
        .size:           4
        .value_kind:     by_value
      - .offset:         16
        .size:           8
        .value_kind:     by_value
      - .address_space:  global
        .offset:         24
        .size:           8
        .value_kind:     global_buffer
      - .offset:         32
        .size:           8
        .value_kind:     by_value
      - .offset:         40
        .size:           8
        .value_kind:     by_value
      - .offset:         48
        .size:           8
        .value_kind:     by_value
      - .address_space:  global
        .offset:         56
        .size:           8
        .value_kind:     global_buffer
      - .offset:         64
        .size:           8
        .value_kind:     by_value
      - .offset:         72
        .size:           8
        .value_kind:     by_value
      - .offset:         80
        .size:           8
        .value_kind:     by_value
      - .offset:         88
        .size:           4
        .value_kind:     by_value
      - .offset:         96
        .size:           8
        .value_kind:     by_value
      - .address_space:  global
        .offset:         104
        .size:           8
        .value_kind:     global_buffer
      - .offset:         112
        .size:           8
        .value_kind:     by_value
      - .offset:         120
        .size:           8
        .value_kind:     by_value
      - .offset:         128
        .size:           8
        .value_kind:     by_value
      - .offset:         136
        .size:           4
        .value_kind:     by_value
      - .offset:         144
        .size:           4
        .value_kind:     hidden_block_count_x
      - .offset:         148
        .size:           4
        .value_kind:     hidden_block_count_y
      - .offset:         152
        .size:           4
        .value_kind:     hidden_block_count_z
      - .offset:         156
        .size:           2
        .value_kind:     hidden_group_size_x
      - .offset:         158
        .size:           2
        .value_kind:     hidden_group_size_y
      - .offset:         160
        .size:           2
        .value_kind:     hidden_group_size_z
      - .offset:         162
        .size:           2
        .value_kind:     hidden_remainder_x
      - .offset:         164
        .size:           2
        .value_kind:     hidden_remainder_y
      - .offset:         166
        .size:           2
        .value_kind:     hidden_remainder_z
      - .offset:         184
        .size:           8
        .value_kind:     hidden_global_offset_x
      - .offset:         192
        .size:           8
        .value_kind:     hidden_global_offset_y
      - .offset:         200
        .size:           8
        .value_kind:     hidden_global_offset_z
      - .offset:         208
        .size:           2
        .value_kind:     hidden_grid_dims
    .group_segment_fixed_size: 16384
    .kernarg_segment_align: 8
    .kernarg_segment_size: 400
    .language:       OpenCL C
    .language_version:
      - 2
      - 0
    .max_flat_workgroup_size: 1024
    .name:           _ZL20rocblas_gemvn_kernelILi64ELi16ElDF16_ffEviiT3_lPKT2_lT1_lS3_lS4_lS0_lPT4_lS4_li
    .private_segment_fixed_size: 0
    .sgpr_count:     45
    .sgpr_spill_count: 0
    .symbol:         _ZL20rocblas_gemvn_kernelILi64ELi16ElDF16_ffEviiT3_lPKT2_lT1_lS3_lS4_lS0_lPT4_lS4_li.kd
    .uniform_work_group_size: 1
    .uses_dynamic_stack: false
    .vgpr_count:     56
    .vgpr_spill_count: 0
    .wavefront_size: 32
    .workgroup_processor_mode: 1
  - .args:
      - .offset:         0
        .size:           4
        .value_kind:     by_value
      - .offset:         4
        .size:           4
        .value_kind:     by_value
      - .address_space:  global
        .offset:         8
        .size:           8
        .value_kind:     global_buffer
      - .offset:         16
        .size:           8
        .value_kind:     by_value
      - .address_space:  global
        .offset:         24
        .size:           8
        .value_kind:     global_buffer
      - .offset:         32
        .size:           8
        .value_kind:     by_value
      - .offset:         40
        .size:           4
        .value_kind:     by_value
      - .offset:         48
        .size:           8
        .value_kind:     by_value
      - .address_space:  global
        .offset:         56
        .size:           8
        .value_kind:     global_buffer
      - .offset:         64
        .size:           8
        .value_kind:     by_value
      - .offset:         72
        .size:           4
        .value_kind:     by_value
      - .offset:         80
        .size:           8
        .value_kind:     by_value
      - .address_space:  global
        .offset:         88
        .size:           8
        .value_kind:     global_buffer
      - .offset:         96
        .size:           8
        .value_kind:     by_value
      - .address_space:  global
        .offset:         104
        .size:           8
        .value_kind:     global_buffer
      - .offset:         112
        .size:           8
        .value_kind:     by_value
      - .offset:         120
        .size:           4
        .value_kind:     by_value
      - .offset:         128
        .size:           8
        .value_kind:     by_value
    .group_segment_fixed_size: 256
    .kernarg_segment_align: 8
    .kernarg_segment_size: 136
    .language:       OpenCL C
    .language_version:
      - 2
      - 0
    .max_flat_workgroup_size: 256
    .name:           _ZL22rocblas_gemvtsm_kernelILb0ELi256EDF16_PKffEviiT2_lPKT1_lilS5_lilS2_lPT3_lil
    .private_segment_fixed_size: 0
    .sgpr_count:     31
    .sgpr_spill_count: 0
    .symbol:         _ZL22rocblas_gemvtsm_kernelILb0ELi256EDF16_PKffEviiT2_lPKT1_lilS5_lilS2_lPT3_lil.kd
    .uniform_work_group_size: 1
    .uses_dynamic_stack: false
    .vgpr_count:     22
    .vgpr_spill_count: 0
    .wavefront_size: 32
    .workgroup_processor_mode: 1
  - .args:
      - .offset:         0
        .size:           4
        .value_kind:     by_value
      - .offset:         4
        .size:           4
        .value_kind:     by_value
      - .offset:         8
        .size:           4
        .value_kind:     by_value
      - .offset:         16
        .size:           8
        .value_kind:     by_value
      - .address_space:  global
        .offset:         24
        .size:           8
        .value_kind:     global_buffer
      - .offset:         32
        .size:           8
        .value_kind:     by_value
      - .offset:         40
        .size:           4
        .value_kind:     by_value
      - .offset:         48
        .size:           8
        .value_kind:     by_value
      - .address_space:  global
        .offset:         56
        .size:           8
        .value_kind:     global_buffer
      - .offset:         64
        .size:           8
        .value_kind:     by_value
      - .offset:         72
        .size:           4
        .value_kind:     by_value
      - .offset:         80
        .size:           8
        .value_kind:     by_value
      - .offset:         88
        .size:           4
        .value_kind:     by_value
      - .offset:         96
        .size:           8
        .value_kind:     by_value
      - .address_space:  global
        .offset:         104
        .size:           8
        .value_kind:     global_buffer
      - .offset:         112
        .size:           8
        .value_kind:     by_value
      - .offset:         120
        .size:           4
        .value_kind:     by_value
      - .offset:         128
        .size:           8
        .value_kind:     by_value
    .group_segment_fixed_size: 256
    .kernarg_segment_align: 8
    .kernarg_segment_size: 136
    .language:       OpenCL C
    .language_version:
      - 2
      - 0
    .max_flat_workgroup_size: 256
    .name:           _ZL22rocblas_gemvtsm_kernelILb0ELi256EDF16_ffEviiT2_lPKT1_lilS3_lilS0_lPT3_lil
    .private_segment_fixed_size: 0
    .sgpr_count:     28
    .sgpr_spill_count: 0
    .symbol:         _ZL22rocblas_gemvtsm_kernelILb0ELi256EDF16_ffEviiT2_lPKT1_lilS3_lilS0_lPT3_lil.kd
    .uniform_work_group_size: 1
    .uses_dynamic_stack: false
    .vgpr_count:     22
    .vgpr_spill_count: 0
    .wavefront_size: 32
    .workgroup_processor_mode: 1
  - .args:
      - .offset:         0
        .size:           4
        .value_kind:     by_value
      - .address_space:  global
        .offset:         8
        .size:           8
        .value_kind:     global_buffer
      - .offset:         16
        .size:           8
        .value_kind:     by_value
      - .address_space:  global
        .offset:         24
        .size:           8
        .value_kind:     global_buffer
      - .offset:         32
        .size:           8
        .value_kind:     by_value
      - .offset:         40
        .size:           4
        .value_kind:     by_value
      - .offset:         48
        .size:           8
        .value_kind:     by_value
      - .actual_access:  read_only
        .address_space:  global
        .offset:         56
        .size:           8
        .value_kind:     global_buffer
      - .offset:         64
        .size:           4
        .value_kind:     by_value
      - .offset:         72
        .size:           4
        .value_kind:     hidden_block_count_x
      - .offset:         76
        .size:           4
        .value_kind:     hidden_block_count_y
      - .offset:         80
        .size:           4
        .value_kind:     hidden_block_count_z
      - .offset:         84
        .size:           2
        .value_kind:     hidden_group_size_x
      - .offset:         86
        .size:           2
        .value_kind:     hidden_group_size_y
      - .offset:         88
        .size:           2
        .value_kind:     hidden_group_size_z
      - .offset:         90
        .size:           2
        .value_kind:     hidden_remainder_x
      - .offset:         92
        .size:           2
        .value_kind:     hidden_remainder_y
      - .offset:         94
        .size:           2
        .value_kind:     hidden_remainder_z
      - .offset:         112
        .size:           8
        .value_kind:     hidden_global_offset_x
      - .offset:         120
        .size:           8
        .value_kind:     hidden_global_offset_y
      - .offset:         128
        .size:           8
        .value_kind:     hidden_global_offset_z
      - .offset:         136
        .size:           2
        .value_kind:     hidden_grid_dims
    .group_segment_fixed_size: 128
    .kernarg_segment_align: 8
    .kernarg_segment_size: 328
    .language:       OpenCL C
    .language_version:
      - 2
      - 0
    .max_flat_workgroup_size: 256
    .name:           _ZL23rocblas_gemvt_sn_reduceILi256ELi8EfPKffEviT2_lPT3_lilPT1_i
    .private_segment_fixed_size: 0
    .sgpr_count:     24
    .sgpr_spill_count: 0
    .symbol:         _ZL23rocblas_gemvt_sn_reduceILi256ELi8EfPKffEviT2_lPT3_lilPT1_i.kd
    .uniform_work_group_size: 1
    .uses_dynamic_stack: false
    .vgpr_count:     13
    .vgpr_spill_count: 0
    .wavefront_size: 32
    .workgroup_processor_mode: 1
  - .args:
      - .offset:         0
        .size:           4
        .value_kind:     by_value
      - .offset:         4
        .size:           4
        .value_kind:     by_value
      - .offset:         8
        .size:           8
        .value_kind:     by_value
      - .address_space:  global
        .offset:         16
        .size:           8
        .value_kind:     global_buffer
      - .offset:         24
        .size:           8
        .value_kind:     by_value
      - .offset:         32
        .size:           4
        .value_kind:     by_value
      - .offset:         40
        .size:           8
        .value_kind:     by_value
      - .actual_access:  read_only
        .address_space:  global
        .offset:         48
        .size:           8
        .value_kind:     global_buffer
      - .offset:         56
        .size:           4
        .value_kind:     by_value
      - .offset:         64
        .size:           4
        .value_kind:     hidden_block_count_x
      - .offset:         68
        .size:           4
        .value_kind:     hidden_block_count_y
      - .offset:         72
        .size:           4
        .value_kind:     hidden_block_count_z
      - .offset:         76
        .size:           2
        .value_kind:     hidden_group_size_x
      - .offset:         78
        .size:           2
        .value_kind:     hidden_group_size_y
      - .offset:         80
        .size:           2
        .value_kind:     hidden_group_size_z
      - .offset:         82
        .size:           2
        .value_kind:     hidden_remainder_x
      - .offset:         84
        .size:           2
        .value_kind:     hidden_remainder_y
      - .offset:         86
        .size:           2
        .value_kind:     hidden_remainder_z
      - .offset:         104
        .size:           8
        .value_kind:     hidden_global_offset_x
      - .offset:         112
        .size:           8
        .value_kind:     hidden_global_offset_y
      - .offset:         120
        .size:           8
        .value_kind:     hidden_global_offset_z
      - .offset:         128
        .size:           2
        .value_kind:     hidden_grid_dims
    .group_segment_fixed_size: 128
    .kernarg_segment_align: 8
    .kernarg_segment_size: 320
    .language:       OpenCL C
    .language_version:
      - 2
      - 0
    .max_flat_workgroup_size: 256
    .name:           _ZL23rocblas_gemvt_sn_reduceILi256ELi8EfffEviT2_lPT3_lilPT1_i
    .private_segment_fixed_size: 0
    .sgpr_count:     18
    .sgpr_spill_count: 0
    .symbol:         _ZL23rocblas_gemvt_sn_reduceILi256ELi8EfffEviT2_lPT3_lilPT1_i.kd
    .uniform_work_group_size: 1
    .uses_dynamic_stack: false
    .vgpr_count:     13
    .vgpr_spill_count: 0
    .wavefront_size: 32
    .workgroup_processor_mode: 1
  - .args:
      - .offset:         0
        .size:           4
        .value_kind:     by_value
      - .offset:         4
        .size:           4
        .value_kind:     by_value
      - .address_space:  global
        .offset:         8
        .size:           8
        .value_kind:     global_buffer
      - .offset:         16
        .size:           8
        .value_kind:     by_value
      - .address_space:  global
        .offset:         24
        .size:           8
        .value_kind:     global_buffer
      - .offset:         32
        .size:           8
        .value_kind:     by_value
      - .offset:         40
        .size:           4
        .value_kind:     by_value
      - .offset:         48
        .size:           8
        .value_kind:     by_value
      - .address_space:  global
        .offset:         56
        .size:           8
        .value_kind:     global_buffer
      - .offset:         64
        .size:           8
        .value_kind:     by_value
      - .offset:         72
        .size:           4
        .value_kind:     by_value
      - .offset:         80
        .size:           8
        .value_kind:     by_value
      - .address_space:  global
        .offset:         88
        .size:           8
        .value_kind:     global_buffer
      - .offset:         96
        .size:           8
        .value_kind:     by_value
      - .address_space:  global
        .offset:         104
        .size:           8
        .value_kind:     global_buffer
      - .offset:         112
        .size:           8
        .value_kind:     by_value
      - .offset:         120
        .size:           4
        .value_kind:     by_value
      - .offset:         128
        .size:           8
        .value_kind:     by_value
      - .offset:         136
        .size:           4
        .value_kind:     by_value
    .group_segment_fixed_size: 128
    .kernarg_segment_align: 8
    .kernarg_segment_size: 140
    .language:       OpenCL C
    .language_version:
      - 2
      - 0
    .max_flat_workgroup_size: 256
    .name:           _ZL32rocblas_gemvt_warp_reduce_kernelILb0ELi256EiDF16_PKffEviiT3_lPKT2_lT1_lS5_lS6_lS2_lPT4_lS6_li
    .private_segment_fixed_size: 0
    .sgpr_count:     28
    .sgpr_spill_count: 0
    .symbol:         _ZL32rocblas_gemvt_warp_reduce_kernelILb0ELi256EiDF16_PKffEviiT3_lPKT2_lT1_lS5_lS6_lS2_lPT4_lS6_li.kd
    .uniform_work_group_size: 1
    .uses_dynamic_stack: false
    .vgpr_count:     11
    .vgpr_spill_count: 0
    .wavefront_size: 32
    .workgroup_processor_mode: 1
  - .args:
      - .offset:         0
        .size:           4
        .value_kind:     by_value
      - .offset:         4
        .size:           4
        .value_kind:     by_value
      - .address_space:  global
        .offset:         8
        .size:           8
        .value_kind:     global_buffer
      - .offset:         16
        .size:           8
        .value_kind:     by_value
      - .address_space:  global
        .offset:         24
        .size:           8
        .value_kind:     global_buffer
      - .offset:         32
        .size:           8
        .value_kind:     by_value
      - .offset:         40
        .size:           8
        .value_kind:     by_value
      - .offset:         48
        .size:           8
        .value_kind:     by_value
      - .address_space:  global
        .offset:         56
        .size:           8
        .value_kind:     global_buffer
      - .offset:         64
        .size:           8
        .value_kind:     by_value
      - .offset:         72
        .size:           8
        .value_kind:     by_value
      - .offset:         80
        .size:           8
        .value_kind:     by_value
      - .address_space:  global
        .offset:         88
        .size:           8
        .value_kind:     global_buffer
      - .offset:         96
        .size:           8
        .value_kind:     by_value
      - .address_space:  global
        .offset:         104
        .size:           8
        .value_kind:     global_buffer
      - .offset:         112
        .size:           8
        .value_kind:     by_value
      - .offset:         120
        .size:           8
        .value_kind:     by_value
      - .offset:         128
        .size:           8
        .value_kind:     by_value
      - .offset:         136
        .size:           4
        .value_kind:     by_value
    .group_segment_fixed_size: 128
    .kernarg_segment_align: 8
    .kernarg_segment_size: 140
    .language:       OpenCL C
    .language_version:
      - 2
      - 0
    .max_flat_workgroup_size: 256
    .name:           _ZL32rocblas_gemvt_warp_reduce_kernelILb0ELi256ElDF16_PKffEviiT3_lPKT2_lT1_lS5_lS6_lS2_lPT4_lS6_li
    .private_segment_fixed_size: 0
    .sgpr_count:     54
    .sgpr_spill_count: 0
    .symbol:         _ZL32rocblas_gemvt_warp_reduce_kernelILb0ELi256ElDF16_PKffEviiT3_lPKT2_lT1_lS5_lS6_lS2_lPT4_lS6_li.kd
    .uniform_work_group_size: 1
    .uses_dynamic_stack: false
    .vgpr_count:     11
    .vgpr_spill_count: 0
    .wavefront_size: 32
    .workgroup_processor_mode: 1
  - .args:
      - .offset:         0
        .size:           4
        .value_kind:     by_value
      - .offset:         4
        .size:           4
        .value_kind:     by_value
      - .offset:         8
        .size:           4
        .value_kind:     by_value
      - .offset:         16
        .size:           8
        .value_kind:     by_value
      - .address_space:  global
        .offset:         24
        .size:           8
        .value_kind:     global_buffer
      - .offset:         32
        .size:           8
        .value_kind:     by_value
      - .offset:         40
        .size:           4
        .value_kind:     by_value
      - .offset:         48
        .size:           8
        .value_kind:     by_value
      - .address_space:  global
        .offset:         56
        .size:           8
        .value_kind:     global_buffer
      - .offset:         64
        .size:           8
        .value_kind:     by_value
      - .offset:         72
        .size:           4
        .value_kind:     by_value
      - .offset:         80
        .size:           8
        .value_kind:     by_value
      - .offset:         88
        .size:           4
        .value_kind:     by_value
      - .offset:         96
        .size:           8
        .value_kind:     by_value
      - .address_space:  global
        .offset:         104
        .size:           8
        .value_kind:     global_buffer
      - .offset:         112
        .size:           8
        .value_kind:     by_value
      - .offset:         120
        .size:           4
        .value_kind:     by_value
      - .offset:         128
        .size:           8
        .value_kind:     by_value
      - .offset:         136
        .size:           4
        .value_kind:     by_value
    .group_segment_fixed_size: 128
    .kernarg_segment_align: 8
    .kernarg_segment_size: 140
    .language:       OpenCL C
    .language_version:
      - 2
      - 0
    .max_flat_workgroup_size: 256
    .name:           _ZL32rocblas_gemvt_warp_reduce_kernelILb0ELi256EiDF16_ffEviiT3_lPKT2_lT1_lS3_lS4_lS0_lPT4_lS4_li
    .private_segment_fixed_size: 0
    .sgpr_count:     27
    .sgpr_spill_count: 0
    .symbol:         _ZL32rocblas_gemvt_warp_reduce_kernelILb0ELi256EiDF16_ffEviiT3_lPKT2_lT1_lS3_lS4_lS0_lPT4_lS4_li.kd
    .uniform_work_group_size: 1
    .uses_dynamic_stack: false
    .vgpr_count:     11
    .vgpr_spill_count: 0
    .wavefront_size: 32
    .workgroup_processor_mode: 1
  - .args:
      - .offset:         0
        .size:           4
        .value_kind:     by_value
      - .offset:         4
        .size:           4
        .value_kind:     by_value
      - .offset:         8
        .size:           4
        .value_kind:     by_value
      - .offset:         16
        .size:           8
        .value_kind:     by_value
      - .address_space:  global
        .offset:         24
        .size:           8
        .value_kind:     global_buffer
      - .offset:         32
        .size:           8
        .value_kind:     by_value
      - .offset:         40
        .size:           8
        .value_kind:     by_value
      - .offset:         48
        .size:           8
        .value_kind:     by_value
      - .address_space:  global
        .offset:         56
        .size:           8
        .value_kind:     global_buffer
      - .offset:         64
        .size:           8
        .value_kind:     by_value
      - .offset:         72
        .size:           8
        .value_kind:     by_value
      - .offset:         80
        .size:           8
        .value_kind:     by_value
      - .offset:         88
        .size:           4
        .value_kind:     by_value
      - .offset:         96
        .size:           8
        .value_kind:     by_value
      - .address_space:  global
        .offset:         104
        .size:           8
        .value_kind:     global_buffer
      - .offset:         112
        .size:           8
        .value_kind:     by_value
      - .offset:         120
        .size:           8
        .value_kind:     by_value
      - .offset:         128
        .size:           8
        .value_kind:     by_value
      - .offset:         136
        .size:           4
        .value_kind:     by_value
    .group_segment_fixed_size: 128
    .kernarg_segment_align: 8
    .kernarg_segment_size: 140
    .language:       OpenCL C
    .language_version:
      - 2
      - 0
    .max_flat_workgroup_size: 256
    .name:           _ZL32rocblas_gemvt_warp_reduce_kernelILb0ELi256ElDF16_ffEviiT3_lPKT2_lT1_lS3_lS4_lS0_lPT4_lS4_li
    .private_segment_fixed_size: 0
    .sgpr_count:     38
    .sgpr_spill_count: 0
    .symbol:         _ZL32rocblas_gemvt_warp_reduce_kernelILb0ELi256ElDF16_ffEviiT3_lPKT2_lT1_lS3_lS4_lS0_lPT4_lS4_li.kd
    .uniform_work_group_size: 1
    .uses_dynamic_stack: false
    .vgpr_count:     11
    .vgpr_spill_count: 0
    .wavefront_size: 32
    .workgroup_processor_mode: 1
  - .args:
      - .offset:         0
        .size:           4
        .value_kind:     by_value
      - .offset:         4
        .size:           4
        .value_kind:     by_value
      - .address_space:  global
        .offset:         8
        .size:           8
        .value_kind:     global_buffer
      - .offset:         16
        .size:           8
        .value_kind:     by_value
      - .address_space:  global
        .offset:         24
        .size:           8
        .value_kind:     global_buffer
      - .offset:         32
        .size:           8
        .value_kind:     by_value
      - .offset:         40
        .size:           4
        .value_kind:     by_value
      - .offset:         48
        .size:           8
        .value_kind:     by_value
      - .address_space:  global
        .offset:         56
        .size:           8
        .value_kind:     global_buffer
      - .offset:         64
        .size:           8
        .value_kind:     by_value
      - .offset:         72
        .size:           4
        .value_kind:     by_value
      - .offset:         80
        .size:           8
        .value_kind:     by_value
      - .address_space:  global
        .offset:         88
        .size:           8
        .value_kind:     global_buffer
      - .offset:         96
        .size:           8
        .value_kind:     by_value
      - .address_space:  global
        .offset:         104
        .size:           8
        .value_kind:     global_buffer
      - .offset:         112
        .size:           8
        .value_kind:     by_value
      - .offset:         120
        .size:           4
        .value_kind:     by_value
      - .offset:         128
        .size:           8
        .value_kind:     by_value
      - .offset:         136
        .size:           4
        .value_kind:     by_value
    .group_segment_fixed_size: 1024
    .kernarg_segment_align: 8
    .kernarg_segment_size: 140
    .language:       OpenCL C
    .language_version:
      - 2
      - 0
    .max_flat_workgroup_size: 256
    .name:           _ZL20rocblas_gemvt_kernelILb0ELi256EDF16_PKffEviiT2_lPKT1_lilS5_lilS2_lPT3_lili
    .private_segment_fixed_size: 0
    .sgpr_count:     28
    .sgpr_spill_count: 0
    .symbol:         _ZL20rocblas_gemvt_kernelILb0ELi256EDF16_PKffEviiT2_lPKT1_lilS5_lilS2_lPT3_lili.kd
    .uniform_work_group_size: 1
    .uses_dynamic_stack: false
    .vgpr_count:     10
    .vgpr_spill_count: 0
    .wavefront_size: 32
    .workgroup_processor_mode: 1
  - .args:
      - .offset:         0
        .size:           4
        .value_kind:     by_value
      - .offset:         4
        .size:           4
        .value_kind:     by_value
      - .offset:         8
        .size:           4
        .value_kind:     by_value
      - .offset:         16
        .size:           8
        .value_kind:     by_value
      - .address_space:  global
        .offset:         24
        .size:           8
        .value_kind:     global_buffer
      - .offset:         32
        .size:           8
        .value_kind:     by_value
      - .offset:         40
        .size:           4
        .value_kind:     by_value
      - .offset:         48
        .size:           8
        .value_kind:     by_value
      - .address_space:  global
        .offset:         56
        .size:           8
        .value_kind:     global_buffer
      - .offset:         64
        .size:           8
        .value_kind:     by_value
      - .offset:         72
        .size:           4
        .value_kind:     by_value
      - .offset:         80
        .size:           8
        .value_kind:     by_value
      - .offset:         88
        .size:           4
        .value_kind:     by_value
      - .offset:         96
        .size:           8
        .value_kind:     by_value
      - .address_space:  global
        .offset:         104
        .size:           8
        .value_kind:     global_buffer
      - .offset:         112
        .size:           8
        .value_kind:     by_value
      - .offset:         120
        .size:           4
        .value_kind:     by_value
      - .offset:         128
        .size:           8
        .value_kind:     by_value
      - .offset:         136
        .size:           4
        .value_kind:     by_value
    .group_segment_fixed_size: 1024
    .kernarg_segment_align: 8
    .kernarg_segment_size: 140
    .language:       OpenCL C
    .language_version:
      - 2
      - 0
    .max_flat_workgroup_size: 256
    .name:           _ZL20rocblas_gemvt_kernelILb0ELi256EDF16_ffEviiT2_lPKT1_lilS3_lilS0_lPT3_lili
    .private_segment_fixed_size: 0
    .sgpr_count:     30
    .sgpr_spill_count: 0
    .symbol:         _ZL20rocblas_gemvt_kernelILb0ELi256EDF16_ffEviiT2_lPKT1_lilS3_lilS0_lPT3_lili.kd
    .uniform_work_group_size: 1
    .uses_dynamic_stack: false
    .vgpr_count:     10
    .vgpr_spill_count: 0
    .wavefront_size: 32
    .workgroup_processor_mode: 1
  - .args:
      - .offset:         0
        .size:           4
        .value_kind:     by_value
      - .offset:         4
        .size:           4
        .value_kind:     by_value
      - .address_space:  global
        .offset:         8
        .size:           8
        .value_kind:     global_buffer
      - .offset:         16
        .size:           8
        .value_kind:     by_value
      - .address_space:  global
        .offset:         24
        .size:           8
        .value_kind:     global_buffer
      - .offset:         32
        .size:           8
        .value_kind:     by_value
      - .offset:         40
        .size:           4
        .value_kind:     by_value
      - .offset:         48
        .size:           8
        .value_kind:     by_value
      - .address_space:  global
        .offset:         56
        .size:           8
        .value_kind:     global_buffer
      - .offset:         64
        .size:           8
        .value_kind:     by_value
      - .offset:         72
        .size:           4
        .value_kind:     by_value
      - .offset:         80
        .size:           8
        .value_kind:     by_value
      - .address_space:  global
        .offset:         88
        .size:           8
        .value_kind:     global_buffer
      - .offset:         96
        .size:           8
        .value_kind:     by_value
      - .address_space:  global
        .offset:         104
        .size:           8
        .value_kind:     global_buffer
      - .offset:         112
        .size:           8
        .value_kind:     by_value
      - .offset:         120
        .size:           4
        .value_kind:     by_value
      - .offset:         128
        .size:           8
        .value_kind:     by_value
      - .offset:         136
        .size:           4
        .value_kind:     by_value
    .group_segment_fixed_size: 128
    .kernarg_segment_align: 8
    .kernarg_segment_size: 140
    .language:       OpenCL C
    .language_version:
      - 2
      - 0
    .max_flat_workgroup_size: 1024
    .name:           _ZL32rocblas_gemvt_warp_reduce_kernelILb0ELi1024EiDF16_PKffEviiT3_lPKT2_lT1_lS5_lS6_lS2_lPT4_lS6_li
    .private_segment_fixed_size: 0
    .sgpr_count:     28
    .sgpr_spill_count: 0
    .symbol:         _ZL32rocblas_gemvt_warp_reduce_kernelILb0ELi1024EiDF16_PKffEviiT3_lPKT2_lT1_lS5_lS6_lS2_lPT4_lS6_li.kd
    .uniform_work_group_size: 1
    .uses_dynamic_stack: false
    .vgpr_count:     11
    .vgpr_spill_count: 0
    .wavefront_size: 32
    .workgroup_processor_mode: 1
  - .args:
      - .offset:         0
        .size:           4
        .value_kind:     by_value
      - .offset:         4
        .size:           4
        .value_kind:     by_value
      - .address_space:  global
        .offset:         8
        .size:           8
        .value_kind:     global_buffer
      - .offset:         16
        .size:           8
        .value_kind:     by_value
      - .address_space:  global
        .offset:         24
        .size:           8
        .value_kind:     global_buffer
      - .offset:         32
        .size:           8
        .value_kind:     by_value
      - .offset:         40
        .size:           8
        .value_kind:     by_value
      - .offset:         48
        .size:           8
        .value_kind:     by_value
      - .address_space:  global
        .offset:         56
        .size:           8
        .value_kind:     global_buffer
      - .offset:         64
        .size:           8
        .value_kind:     by_value
      - .offset:         72
        .size:           8
        .value_kind:     by_value
      - .offset:         80
        .size:           8
        .value_kind:     by_value
      - .address_space:  global
        .offset:         88
        .size:           8
        .value_kind:     global_buffer
      - .offset:         96
        .size:           8
        .value_kind:     by_value
      - .address_space:  global
        .offset:         104
        .size:           8
        .value_kind:     global_buffer
      - .offset:         112
        .size:           8
        .value_kind:     by_value
      - .offset:         120
        .size:           8
        .value_kind:     by_value
      - .offset:         128
        .size:           8
        .value_kind:     by_value
      - .offset:         136
        .size:           4
        .value_kind:     by_value
    .group_segment_fixed_size: 128
    .kernarg_segment_align: 8
    .kernarg_segment_size: 140
    .language:       OpenCL C
    .language_version:
      - 2
      - 0
    .max_flat_workgroup_size: 1024
    .name:           _ZL32rocblas_gemvt_warp_reduce_kernelILb0ELi1024ElDF16_PKffEviiT3_lPKT2_lT1_lS5_lS6_lS2_lPT4_lS6_li
    .private_segment_fixed_size: 0
    .sgpr_count:     54
    .sgpr_spill_count: 0
    .symbol:         _ZL32rocblas_gemvt_warp_reduce_kernelILb0ELi1024ElDF16_PKffEviiT3_lPKT2_lT1_lS5_lS6_lS2_lPT4_lS6_li.kd
    .uniform_work_group_size: 1
    .uses_dynamic_stack: false
    .vgpr_count:     11
    .vgpr_spill_count: 0
    .wavefront_size: 32
    .workgroup_processor_mode: 1
  - .args:
      - .offset:         0
        .size:           4
        .value_kind:     by_value
      - .offset:         4
        .size:           4
        .value_kind:     by_value
      - .offset:         8
        .size:           4
        .value_kind:     by_value
      - .offset:         16
        .size:           8
        .value_kind:     by_value
      - .address_space:  global
        .offset:         24
        .size:           8
        .value_kind:     global_buffer
      - .offset:         32
        .size:           8
        .value_kind:     by_value
      - .offset:         40
        .size:           4
        .value_kind:     by_value
      - .offset:         48
        .size:           8
        .value_kind:     by_value
      - .address_space:  global
        .offset:         56
        .size:           8
        .value_kind:     global_buffer
      - .offset:         64
        .size:           8
        .value_kind:     by_value
      - .offset:         72
        .size:           4
        .value_kind:     by_value
      - .offset:         80
        .size:           8
        .value_kind:     by_value
      - .offset:         88
        .size:           4
        .value_kind:     by_value
      - .offset:         96
        .size:           8
        .value_kind:     by_value
      - .address_space:  global
        .offset:         104
        .size:           8
        .value_kind:     global_buffer
      - .offset:         112
        .size:           8
        .value_kind:     by_value
      - .offset:         120
        .size:           4
        .value_kind:     by_value
      - .offset:         128
        .size:           8
        .value_kind:     by_value
      - .offset:         136
        .size:           4
        .value_kind:     by_value
    .group_segment_fixed_size: 128
    .kernarg_segment_align: 8
    .kernarg_segment_size: 140
    .language:       OpenCL C
    .language_version:
      - 2
      - 0
    .max_flat_workgroup_size: 1024
    .name:           _ZL32rocblas_gemvt_warp_reduce_kernelILb0ELi1024EiDF16_ffEviiT3_lPKT2_lT1_lS3_lS4_lS0_lPT4_lS4_li
    .private_segment_fixed_size: 0
    .sgpr_count:     27
    .sgpr_spill_count: 0
    .symbol:         _ZL32rocblas_gemvt_warp_reduce_kernelILb0ELi1024EiDF16_ffEviiT3_lPKT2_lT1_lS3_lS4_lS0_lPT4_lS4_li.kd
    .uniform_work_group_size: 1
    .uses_dynamic_stack: false
    .vgpr_count:     11
    .vgpr_spill_count: 0
    .wavefront_size: 32
    .workgroup_processor_mode: 1
  - .args:
      - .offset:         0
        .size:           4
        .value_kind:     by_value
      - .offset:         4
        .size:           4
        .value_kind:     by_value
      - .offset:         8
        .size:           4
        .value_kind:     by_value
      - .offset:         16
        .size:           8
        .value_kind:     by_value
      - .address_space:  global
        .offset:         24
        .size:           8
        .value_kind:     global_buffer
      - .offset:         32
        .size:           8
        .value_kind:     by_value
      - .offset:         40
        .size:           8
        .value_kind:     by_value
      - .offset:         48
        .size:           8
        .value_kind:     by_value
      - .address_space:  global
        .offset:         56
        .size:           8
        .value_kind:     global_buffer
      - .offset:         64
        .size:           8
        .value_kind:     by_value
      - .offset:         72
        .size:           8
        .value_kind:     by_value
      - .offset:         80
        .size:           8
        .value_kind:     by_value
      - .offset:         88
        .size:           4
        .value_kind:     by_value
      - .offset:         96
        .size:           8
        .value_kind:     by_value
      - .address_space:  global
        .offset:         104
        .size:           8
        .value_kind:     global_buffer
      - .offset:         112
        .size:           8
        .value_kind:     by_value
      - .offset:         120
        .size:           8
        .value_kind:     by_value
      - .offset:         128
        .size:           8
        .value_kind:     by_value
      - .offset:         136
        .size:           4
        .value_kind:     by_value
    .group_segment_fixed_size: 128
    .kernarg_segment_align: 8
    .kernarg_segment_size: 140
    .language:       OpenCL C
    .language_version:
      - 2
      - 0
    .max_flat_workgroup_size: 1024
    .name:           _ZL32rocblas_gemvt_warp_reduce_kernelILb0ELi1024ElDF16_ffEviiT3_lPKT2_lT1_lS3_lS4_lS0_lPT4_lS4_li
    .private_segment_fixed_size: 0
    .sgpr_count:     38
    .sgpr_spill_count: 0
    .symbol:         _ZL32rocblas_gemvt_warp_reduce_kernelILb0ELi1024ElDF16_ffEviiT3_lPKT2_lT1_lS3_lS4_lS0_lPT4_lS4_li.kd
    .uniform_work_group_size: 1
    .uses_dynamic_stack: false
    .vgpr_count:     11
    .vgpr_spill_count: 0
    .wavefront_size: 32
    .workgroup_processor_mode: 1
  - .args:
      - .offset:         0
        .size:           4
        .value_kind:     by_value
      - .offset:         4
        .size:           4
        .value_kind:     by_value
      - .address_space:  global
        .offset:         8
        .size:           8
        .value_kind:     global_buffer
      - .offset:         16
        .size:           8
        .value_kind:     by_value
      - .address_space:  global
        .offset:         24
        .size:           8
        .value_kind:     global_buffer
      - .offset:         32
        .size:           8
        .value_kind:     by_value
      - .offset:         40
        .size:           4
        .value_kind:     by_value
      - .offset:         48
        .size:           8
        .value_kind:     by_value
      - .address_space:  global
        .offset:         56
        .size:           8
        .value_kind:     global_buffer
      - .offset:         64
        .size:           8
        .value_kind:     by_value
      - .offset:         72
        .size:           4
        .value_kind:     by_value
      - .offset:         80
        .size:           8
        .value_kind:     by_value
      - .address_space:  global
        .offset:         88
        .size:           8
        .value_kind:     global_buffer
      - .offset:         96
        .size:           8
        .value_kind:     by_value
      - .address_space:  global
        .offset:         104
        .size:           8
        .value_kind:     global_buffer
      - .offset:         112
        .size:           8
        .value_kind:     by_value
      - .offset:         120
        .size:           4
        .value_kind:     by_value
      - .offset:         128
        .size:           8
        .value_kind:     by_value
    .group_segment_fixed_size: 256
    .kernarg_segment_align: 8
    .kernarg_segment_size: 136
    .language:       OpenCL C
    .language_version:
      - 2
      - 0
    .max_flat_workgroup_size: 256
    .name:           _ZL22rocblas_gemvtsm_kernelILb1ELi256EDF16_PKffEviiT2_lPKT1_lilS5_lilS2_lPT3_lil
    .private_segment_fixed_size: 0
    .sgpr_count:     31
    .sgpr_spill_count: 0
    .symbol:         _ZL22rocblas_gemvtsm_kernelILb1ELi256EDF16_PKffEviiT2_lPKT1_lilS5_lilS2_lPT3_lil.kd
    .uniform_work_group_size: 1
    .uses_dynamic_stack: false
    .vgpr_count:     22
    .vgpr_spill_count: 0
    .wavefront_size: 32
    .workgroup_processor_mode: 1
  - .args:
      - .offset:         0
        .size:           4
        .value_kind:     by_value
      - .offset:         4
        .size:           4
        .value_kind:     by_value
      - .offset:         8
        .size:           4
        .value_kind:     by_value
      - .offset:         16
        .size:           8
        .value_kind:     by_value
      - .address_space:  global
        .offset:         24
        .size:           8
        .value_kind:     global_buffer
      - .offset:         32
        .size:           8
        .value_kind:     by_value
      - .offset:         40
        .size:           4
        .value_kind:     by_value
      - .offset:         48
        .size:           8
        .value_kind:     by_value
      - .address_space:  global
        .offset:         56
        .size:           8
        .value_kind:     global_buffer
      - .offset:         64
        .size:           8
        .value_kind:     by_value
      - .offset:         72
        .size:           4
        .value_kind:     by_value
      - .offset:         80
        .size:           8
        .value_kind:     by_value
      - .offset:         88
        .size:           4
        .value_kind:     by_value
      - .offset:         96
        .size:           8
        .value_kind:     by_value
      - .address_space:  global
        .offset:         104
        .size:           8
        .value_kind:     global_buffer
      - .offset:         112
        .size:           8
        .value_kind:     by_value
      - .offset:         120
        .size:           4
        .value_kind:     by_value
      - .offset:         128
        .size:           8
        .value_kind:     by_value
    .group_segment_fixed_size: 256
    .kernarg_segment_align: 8
    .kernarg_segment_size: 136
    .language:       OpenCL C
    .language_version:
      - 2
      - 0
    .max_flat_workgroup_size: 256
    .name:           _ZL22rocblas_gemvtsm_kernelILb1ELi256EDF16_ffEviiT2_lPKT1_lilS3_lilS0_lPT3_lil
    .private_segment_fixed_size: 0
    .sgpr_count:     28
    .sgpr_spill_count: 0
    .symbol:         _ZL22rocblas_gemvtsm_kernelILb1ELi256EDF16_ffEviiT2_lPKT1_lilS3_lilS0_lPT3_lil.kd
    .uniform_work_group_size: 1
    .uses_dynamic_stack: false
    .vgpr_count:     22
    .vgpr_spill_count: 0
    .wavefront_size: 32
    .workgroup_processor_mode: 1
  - .args:
      - .offset:         0
        .size:           4
        .value_kind:     by_value
      - .offset:         4
        .size:           4
        .value_kind:     by_value
      - .address_space:  global
        .offset:         8
        .size:           8
        .value_kind:     global_buffer
      - .offset:         16
        .size:           8
        .value_kind:     by_value
      - .address_space:  global
        .offset:         24
        .size:           8
        .value_kind:     global_buffer
      - .offset:         32
        .size:           8
        .value_kind:     by_value
      - .offset:         40
        .size:           4
        .value_kind:     by_value
      - .offset:         48
        .size:           8
        .value_kind:     by_value
      - .address_space:  global
        .offset:         56
        .size:           8
        .value_kind:     global_buffer
      - .offset:         64
        .size:           8
        .value_kind:     by_value
      - .offset:         72
        .size:           4
        .value_kind:     by_value
      - .offset:         80
        .size:           8
        .value_kind:     by_value
      - .address_space:  global
        .offset:         88
        .size:           8
        .value_kind:     global_buffer
      - .offset:         96
        .size:           8
        .value_kind:     by_value
      - .address_space:  global
        .offset:         104
        .size:           8
        .value_kind:     global_buffer
      - .offset:         112
        .size:           8
        .value_kind:     by_value
      - .offset:         120
        .size:           4
        .value_kind:     by_value
      - .offset:         128
        .size:           8
        .value_kind:     by_value
      - .offset:         136
        .size:           4
        .value_kind:     by_value
    .group_segment_fixed_size: 1024
    .kernarg_segment_align: 8
    .kernarg_segment_size: 140
    .language:       OpenCL C
    .language_version:
      - 2
      - 0
    .max_flat_workgroup_size: 256
    .name:           _ZL20rocblas_gemvt_kernelILb1ELi256EDF16_PKffEviiT2_lPKT1_lilS5_lilS2_lPT3_lili
    .private_segment_fixed_size: 0
    .sgpr_count:     28
    .sgpr_spill_count: 0
    .symbol:         _ZL20rocblas_gemvt_kernelILb1ELi256EDF16_PKffEviiT2_lPKT1_lilS5_lilS2_lPT3_lili.kd
    .uniform_work_group_size: 1
    .uses_dynamic_stack: false
    .vgpr_count:     10
    .vgpr_spill_count: 0
    .wavefront_size: 32
    .workgroup_processor_mode: 1
  - .args:
      - .offset:         0
        .size:           4
        .value_kind:     by_value
      - .offset:         4
        .size:           4
        .value_kind:     by_value
      - .offset:         8
        .size:           4
        .value_kind:     by_value
      - .offset:         16
        .size:           8
        .value_kind:     by_value
      - .address_space:  global
        .offset:         24
        .size:           8
        .value_kind:     global_buffer
      - .offset:         32
        .size:           8
        .value_kind:     by_value
      - .offset:         40
        .size:           4
        .value_kind:     by_value
      - .offset:         48
        .size:           8
        .value_kind:     by_value
      - .address_space:  global
        .offset:         56
        .size:           8
        .value_kind:     global_buffer
      - .offset:         64
        .size:           8
        .value_kind:     by_value
      - .offset:         72
        .size:           4
        .value_kind:     by_value
      - .offset:         80
        .size:           8
        .value_kind:     by_value
      - .offset:         88
        .size:           4
        .value_kind:     by_value
      - .offset:         96
        .size:           8
        .value_kind:     by_value
      - .address_space:  global
        .offset:         104
        .size:           8
        .value_kind:     global_buffer
      - .offset:         112
        .size:           8
        .value_kind:     by_value
      - .offset:         120
        .size:           4
        .value_kind:     by_value
      - .offset:         128
        .size:           8
        .value_kind:     by_value
      - .offset:         136
        .size:           4
        .value_kind:     by_value
    .group_segment_fixed_size: 1024
    .kernarg_segment_align: 8
    .kernarg_segment_size: 140
    .language:       OpenCL C
    .language_version:
      - 2
      - 0
    .max_flat_workgroup_size: 256
    .name:           _ZL20rocblas_gemvt_kernelILb1ELi256EDF16_ffEviiT2_lPKT1_lilS3_lilS0_lPT3_lili
    .private_segment_fixed_size: 0
    .sgpr_count:     30
    .sgpr_spill_count: 0
    .symbol:         _ZL20rocblas_gemvt_kernelILb1ELi256EDF16_ffEviiT2_lPKT1_lilS3_lilS0_lPT3_lili.kd
    .uniform_work_group_size: 1
    .uses_dynamic_stack: false
    .vgpr_count:     10
    .vgpr_spill_count: 0
    .wavefront_size: 32
    .workgroup_processor_mode: 1
  - .args:
      - .offset:         0
        .size:           4
        .value_kind:     by_value
      - .offset:         4
        .size:           4
        .value_kind:     by_value
      - .address_space:  global
        .offset:         8
        .size:           8
        .value_kind:     global_buffer
      - .offset:         16
        .size:           8
        .value_kind:     by_value
      - .address_space:  global
        .offset:         24
        .size:           8
        .value_kind:     global_buffer
      - .offset:         32
        .size:           8
        .value_kind:     by_value
      - .offset:         40
        .size:           4
        .value_kind:     by_value
      - .offset:         48
        .size:           8
        .value_kind:     by_value
      - .address_space:  global
        .offset:         56
        .size:           8
        .value_kind:     global_buffer
      - .offset:         64
        .size:           8
        .value_kind:     by_value
      - .offset:         72
        .size:           4
        .value_kind:     by_value
      - .offset:         80
        .size:           8
        .value_kind:     by_value
      - .address_space:  global
        .offset:         88
        .size:           8
        .value_kind:     global_buffer
      - .offset:         96
        .size:           8
        .value_kind:     by_value
      - .address_space:  global
        .offset:         104
        .size:           8
        .value_kind:     global_buffer
      - .offset:         112
        .size:           8
        .value_kind:     by_value
      - .offset:         120
        .size:           4
        .value_kind:     by_value
      - .offset:         128
        .size:           8
        .value_kind:     by_value
      - .offset:         136
        .size:           4
        .value_kind:     by_value
    .group_segment_fixed_size: 128
    .kernarg_segment_align: 8
    .kernarg_segment_size: 140
    .language:       OpenCL C
    .language_version:
      - 2
      - 0
    .max_flat_workgroup_size: 1024
    .name:           _ZL32rocblas_gemvt_warp_reduce_kernelILb1ELi1024EiDF16_PKffEviiT3_lPKT2_lT1_lS5_lS6_lS2_lPT4_lS6_li
    .private_segment_fixed_size: 0
    .sgpr_count:     28
    .sgpr_spill_count: 0
    .symbol:         _ZL32rocblas_gemvt_warp_reduce_kernelILb1ELi1024EiDF16_PKffEviiT3_lPKT2_lT1_lS5_lS6_lS2_lPT4_lS6_li.kd
    .uniform_work_group_size: 1
    .uses_dynamic_stack: false
    .vgpr_count:     11
    .vgpr_spill_count: 0
    .wavefront_size: 32
    .workgroup_processor_mode: 1
  - .args:
      - .offset:         0
        .size:           4
        .value_kind:     by_value
      - .offset:         4
        .size:           4
        .value_kind:     by_value
      - .address_space:  global
        .offset:         8
        .size:           8
        .value_kind:     global_buffer
      - .offset:         16
        .size:           8
        .value_kind:     by_value
      - .address_space:  global
        .offset:         24
        .size:           8
        .value_kind:     global_buffer
      - .offset:         32
        .size:           8
        .value_kind:     by_value
      - .offset:         40
        .size:           8
        .value_kind:     by_value
      - .offset:         48
        .size:           8
        .value_kind:     by_value
      - .address_space:  global
        .offset:         56
        .size:           8
        .value_kind:     global_buffer
      - .offset:         64
        .size:           8
        .value_kind:     by_value
      - .offset:         72
        .size:           8
        .value_kind:     by_value
      - .offset:         80
        .size:           8
        .value_kind:     by_value
      - .address_space:  global
        .offset:         88
        .size:           8
        .value_kind:     global_buffer
      - .offset:         96
        .size:           8
        .value_kind:     by_value
      - .address_space:  global
        .offset:         104
        .size:           8
        .value_kind:     global_buffer
      - .offset:         112
        .size:           8
        .value_kind:     by_value
      - .offset:         120
        .size:           8
        .value_kind:     by_value
      - .offset:         128
        .size:           8
        .value_kind:     by_value
      - .offset:         136
        .size:           4
        .value_kind:     by_value
    .group_segment_fixed_size: 128
    .kernarg_segment_align: 8
    .kernarg_segment_size: 140
    .language:       OpenCL C
    .language_version:
      - 2
      - 0
    .max_flat_workgroup_size: 1024
    .name:           _ZL32rocblas_gemvt_warp_reduce_kernelILb1ELi1024ElDF16_PKffEviiT3_lPKT2_lT1_lS5_lS6_lS2_lPT4_lS6_li
    .private_segment_fixed_size: 0
    .sgpr_count:     54
    .sgpr_spill_count: 0
    .symbol:         _ZL32rocblas_gemvt_warp_reduce_kernelILb1ELi1024ElDF16_PKffEviiT3_lPKT2_lT1_lS5_lS6_lS2_lPT4_lS6_li.kd
    .uniform_work_group_size: 1
    .uses_dynamic_stack: false
    .vgpr_count:     11
    .vgpr_spill_count: 0
    .wavefront_size: 32
    .workgroup_processor_mode: 1
  - .args:
      - .offset:         0
        .size:           4
        .value_kind:     by_value
      - .offset:         4
        .size:           4
        .value_kind:     by_value
      - .offset:         8
        .size:           4
        .value_kind:     by_value
      - .offset:         16
        .size:           8
        .value_kind:     by_value
      - .address_space:  global
        .offset:         24
        .size:           8
        .value_kind:     global_buffer
      - .offset:         32
        .size:           8
        .value_kind:     by_value
      - .offset:         40
        .size:           4
        .value_kind:     by_value
      - .offset:         48
        .size:           8
        .value_kind:     by_value
      - .address_space:  global
        .offset:         56
        .size:           8
        .value_kind:     global_buffer
      - .offset:         64
        .size:           8
        .value_kind:     by_value
      - .offset:         72
        .size:           4
        .value_kind:     by_value
      - .offset:         80
        .size:           8
        .value_kind:     by_value
      - .offset:         88
        .size:           4
        .value_kind:     by_value
      - .offset:         96
        .size:           8
        .value_kind:     by_value
      - .address_space:  global
        .offset:         104
        .size:           8
        .value_kind:     global_buffer
      - .offset:         112
        .size:           8
        .value_kind:     by_value
      - .offset:         120
        .size:           4
        .value_kind:     by_value
      - .offset:         128
        .size:           8
        .value_kind:     by_value
      - .offset:         136
        .size:           4
        .value_kind:     by_value
    .group_segment_fixed_size: 128
    .kernarg_segment_align: 8
    .kernarg_segment_size: 140
    .language:       OpenCL C
    .language_version:
      - 2
      - 0
    .max_flat_workgroup_size: 1024
    .name:           _ZL32rocblas_gemvt_warp_reduce_kernelILb1ELi1024EiDF16_ffEviiT3_lPKT2_lT1_lS3_lS4_lS0_lPT4_lS4_li
    .private_segment_fixed_size: 0
    .sgpr_count:     27
    .sgpr_spill_count: 0
    .symbol:         _ZL32rocblas_gemvt_warp_reduce_kernelILb1ELi1024EiDF16_ffEviiT3_lPKT2_lT1_lS3_lS4_lS0_lPT4_lS4_li.kd
    .uniform_work_group_size: 1
    .uses_dynamic_stack: false
    .vgpr_count:     11
    .vgpr_spill_count: 0
    .wavefront_size: 32
    .workgroup_processor_mode: 1
  - .args:
      - .offset:         0
        .size:           4
        .value_kind:     by_value
      - .offset:         4
        .size:           4
        .value_kind:     by_value
      - .offset:         8
        .size:           4
        .value_kind:     by_value
      - .offset:         16
        .size:           8
        .value_kind:     by_value
      - .address_space:  global
        .offset:         24
        .size:           8
        .value_kind:     global_buffer
      - .offset:         32
        .size:           8
        .value_kind:     by_value
      - .offset:         40
        .size:           8
        .value_kind:     by_value
      - .offset:         48
        .size:           8
        .value_kind:     by_value
      - .address_space:  global
        .offset:         56
        .size:           8
        .value_kind:     global_buffer
      - .offset:         64
        .size:           8
        .value_kind:     by_value
      - .offset:         72
        .size:           8
        .value_kind:     by_value
      - .offset:         80
        .size:           8
        .value_kind:     by_value
      - .offset:         88
        .size:           4
        .value_kind:     by_value
      - .offset:         96
        .size:           8
        .value_kind:     by_value
      - .address_space:  global
        .offset:         104
        .size:           8
        .value_kind:     global_buffer
      - .offset:         112
        .size:           8
        .value_kind:     by_value
      - .offset:         120
        .size:           8
        .value_kind:     by_value
      - .offset:         128
        .size:           8
        .value_kind:     by_value
      - .offset:         136
        .size:           4
        .value_kind:     by_value
    .group_segment_fixed_size: 128
    .kernarg_segment_align: 8
    .kernarg_segment_size: 140
    .language:       OpenCL C
    .language_version:
      - 2
      - 0
    .max_flat_workgroup_size: 1024
    .name:           _ZL32rocblas_gemvt_warp_reduce_kernelILb1ELi1024ElDF16_ffEviiT3_lPKT2_lT1_lS3_lS4_lS0_lPT4_lS4_li
    .private_segment_fixed_size: 0
    .sgpr_count:     38
    .sgpr_spill_count: 0
    .symbol:         _ZL32rocblas_gemvt_warp_reduce_kernelILb1ELi1024ElDF16_ffEviiT3_lPKT2_lT1_lS3_lS4_lS0_lPT4_lS4_li.kd
    .uniform_work_group_size: 1
    .uses_dynamic_stack: false
    .vgpr_count:     11
    .vgpr_spill_count: 0
    .wavefront_size: 32
    .workgroup_processor_mode: 1
  - .args:
      - .offset:         0
        .size:           4
        .value_kind:     by_value
      - .offset:         4
        .size:           4
        .value_kind:     by_value
      - .address_space:  global
        .offset:         8
        .size:           8
        .value_kind:     global_buffer
      - .offset:         16
        .size:           8
        .value_kind:     by_value
      - .address_space:  global
        .offset:         24
        .size:           8
        .value_kind:     global_buffer
      - .offset:         32
        .size:           8
        .value_kind:     by_value
      - .offset:         40
        .size:           4
        .value_kind:     by_value
      - .offset:         48
        .size:           8
        .value_kind:     by_value
      - .address_space:  global
        .offset:         56
        .size:           8
        .value_kind:     global_buffer
      - .offset:         64
        .size:           8
        .value_kind:     by_value
      - .offset:         72
        .size:           4
        .value_kind:     by_value
      - .offset:         80
        .size:           8
        .value_kind:     by_value
      - .address_space:  global
        .offset:         88
        .size:           8
        .value_kind:     global_buffer
      - .offset:         96
        .size:           8
        .value_kind:     by_value
      - .address_space:  global
        .offset:         104
        .size:           8
        .value_kind:     global_buffer
      - .offset:         112
        .size:           8
        .value_kind:     by_value
      - .offset:         120
        .size:           4
        .value_kind:     by_value
      - .offset:         128
        .size:           8
        .value_kind:     by_value
      - .offset:         136
        .size:           4
        .value_kind:     by_value
    .group_segment_fixed_size: 0
    .kernarg_segment_align: 8
    .kernarg_segment_size: 140
    .language:       OpenCL C
    .language_version:
      - 2
      - 0
    .max_flat_workgroup_size: 768
    .name:           _ZL34rocblas_gemvn_sm_mn_batched_kernelILi32ELi24EPKDF16_PKfKPfEviiT2_lPKT1_lilS9_lilS6_lPT3_lili
    .private_segment_fixed_size: 0
    .sgpr_count:     0
    .sgpr_spill_count: 0
    .symbol:         _ZL34rocblas_gemvn_sm_mn_batched_kernelILi32ELi24EPKDF16_PKfKPfEviiT2_lPKT1_lilS9_lilS6_lPT3_lili.kd
    .uniform_work_group_size: 1
    .uses_dynamic_stack: false
    .vgpr_count:     0
    .vgpr_spill_count: 0
    .wavefront_size: 32
    .workgroup_processor_mode: 1
  - .args:
      - .offset:         0
        .size:           4
        .value_kind:     by_value
      - .offset:         4
        .size:           4
        .value_kind:     by_value
      - .offset:         8
        .size:           4
        .value_kind:     by_value
      - .offset:         16
        .size:           8
        .value_kind:     by_value
      - .address_space:  global
        .offset:         24
        .size:           8
        .value_kind:     global_buffer
      - .offset:         32
        .size:           8
        .value_kind:     by_value
      - .offset:         40
        .size:           4
        .value_kind:     by_value
      - .offset:         48
        .size:           8
        .value_kind:     by_value
      - .address_space:  global
        .offset:         56
        .size:           8
        .value_kind:     global_buffer
      - .offset:         64
        .size:           8
        .value_kind:     by_value
      - .offset:         72
        .size:           4
        .value_kind:     by_value
      - .offset:         80
        .size:           8
        .value_kind:     by_value
      - .offset:         88
        .size:           4
        .value_kind:     by_value
      - .offset:         96
        .size:           8
        .value_kind:     by_value
      - .address_space:  global
        .offset:         104
        .size:           8
        .value_kind:     global_buffer
      - .offset:         112
        .size:           8
        .value_kind:     by_value
      - .offset:         120
        .size:           4
        .value_kind:     by_value
      - .offset:         128
        .size:           8
        .value_kind:     by_value
      - .offset:         136
        .size:           4
        .value_kind:     by_value
    .group_segment_fixed_size: 0
    .kernarg_segment_align: 8
    .kernarg_segment_size: 140
    .language:       OpenCL C
    .language_version:
      - 2
      - 0
    .max_flat_workgroup_size: 768
    .name:           _ZL34rocblas_gemvn_sm_mn_batched_kernelILi32ELi24EPKDF16_fKPfEviiT2_lPKT1_lilS7_lilS4_lPT3_lili
    .private_segment_fixed_size: 0
    .sgpr_count:     0
    .sgpr_spill_count: 0
    .symbol:         _ZL34rocblas_gemvn_sm_mn_batched_kernelILi32ELi24EPKDF16_fKPfEviiT2_lPKT1_lilS7_lilS4_lPT3_lili.kd
    .uniform_work_group_size: 1
    .uses_dynamic_stack: false
    .vgpr_count:     0
    .vgpr_spill_count: 0
    .wavefront_size: 32
    .workgroup_processor_mode: 1
  - .args:
      - .offset:         0
        .size:           4
        .value_kind:     by_value
      - .offset:         4
        .size:           4
        .value_kind:     by_value
      - .address_space:  global
        .offset:         8
        .size:           8
        .value_kind:     global_buffer
      - .offset:         16
        .size:           8
        .value_kind:     by_value
      - .address_space:  global
        .offset:         24
        .size:           8
        .value_kind:     global_buffer
      - .offset:         32
        .size:           8
        .value_kind:     by_value
      - .offset:         40
        .size:           4
        .value_kind:     by_value
      - .offset:         48
        .size:           8
        .value_kind:     by_value
      - .address_space:  global
        .offset:         56
        .size:           8
        .value_kind:     global_buffer
      - .offset:         64
        .size:           8
        .value_kind:     by_value
      - .offset:         72
        .size:           4
        .value_kind:     by_value
      - .offset:         80
        .size:           8
        .value_kind:     by_value
      - .address_space:  global
        .offset:         88
        .size:           8
        .value_kind:     global_buffer
      - .offset:         96
        .size:           8
        .value_kind:     by_value
      - .address_space:  global
        .offset:         104
        .size:           8
        .value_kind:     global_buffer
      - .offset:         112
        .size:           8
        .value_kind:     by_value
      - .offset:         120
        .size:           4
        .value_kind:     by_value
      - .offset:         128
        .size:           8
        .value_kind:     by_value
      - .offset:         136
        .size:           4
        .value_kind:     by_value
      - .offset:         144
        .size:           4
        .value_kind:     hidden_block_count_x
      - .offset:         148
        .size:           4
        .value_kind:     hidden_block_count_y
      - .offset:         152
        .size:           4
        .value_kind:     hidden_block_count_z
      - .offset:         156
        .size:           2
        .value_kind:     hidden_group_size_x
      - .offset:         158
        .size:           2
        .value_kind:     hidden_group_size_y
      - .offset:         160
        .size:           2
        .value_kind:     hidden_group_size_z
      - .offset:         162
        .size:           2
        .value_kind:     hidden_remainder_x
      - .offset:         164
        .size:           2
        .value_kind:     hidden_remainder_y
      - .offset:         166
        .size:           2
        .value_kind:     hidden_remainder_z
      - .offset:         184
        .size:           8
        .value_kind:     hidden_global_offset_x
      - .offset:         192
        .size:           8
        .value_kind:     hidden_global_offset_y
      - .offset:         200
        .size:           8
        .value_kind:     hidden_global_offset_z
      - .offset:         208
        .size:           2
        .value_kind:     hidden_grid_dims
    .group_segment_fixed_size: 4096
    .kernarg_segment_align: 8
    .kernarg_segment_size: 400
    .language:       OpenCL C
    .language_version:
      - 2
      - 0
    .max_flat_workgroup_size: 256
    .name:           _ZL20rocblas_gemvn_kernelILi64ELi4EiPKDF16_PKfKPfEviiT3_lPKT2_lT1_lS9_lSA_lS6_lPT4_lSA_li
    .private_segment_fixed_size: 0
    .sgpr_count:     30
    .sgpr_spill_count: 0
    .symbol:         _ZL20rocblas_gemvn_kernelILi64ELi4EiPKDF16_PKfKPfEviiT3_lPKT2_lT1_lS9_lSA_lS6_lPT4_lSA_li.kd
    .uniform_work_group_size: 1
    .uses_dynamic_stack: false
    .vgpr_count:     46
    .vgpr_spill_count: 0
    .wavefront_size: 32
    .workgroup_processor_mode: 1
  - .args:
      - .offset:         0
        .size:           4
        .value_kind:     by_value
      - .offset:         4
        .size:           4
        .value_kind:     by_value
      - .address_space:  global
        .offset:         8
        .size:           8
        .value_kind:     global_buffer
      - .offset:         16
        .size:           8
        .value_kind:     by_value
      - .address_space:  global
        .offset:         24
        .size:           8
        .value_kind:     global_buffer
      - .offset:         32
        .size:           8
        .value_kind:     by_value
      - .offset:         40
        .size:           8
        .value_kind:     by_value
      - .offset:         48
        .size:           8
        .value_kind:     by_value
      - .address_space:  global
        .offset:         56
        .size:           8
        .value_kind:     global_buffer
      - .offset:         64
        .size:           8
        .value_kind:     by_value
      - .offset:         72
        .size:           8
        .value_kind:     by_value
      - .offset:         80
        .size:           8
        .value_kind:     by_value
      - .address_space:  global
        .offset:         88
        .size:           8
        .value_kind:     global_buffer
      - .offset:         96
        .size:           8
        .value_kind:     by_value
      - .address_space:  global
        .offset:         104
        .size:           8
        .value_kind:     global_buffer
      - .offset:         112
        .size:           8
        .value_kind:     by_value
      - .offset:         120
        .size:           8
        .value_kind:     by_value
      - .offset:         128
        .size:           8
        .value_kind:     by_value
      - .offset:         136
        .size:           4
        .value_kind:     by_value
      - .offset:         144
        .size:           4
        .value_kind:     hidden_block_count_x
      - .offset:         148
        .size:           4
        .value_kind:     hidden_block_count_y
      - .offset:         152
        .size:           4
        .value_kind:     hidden_block_count_z
      - .offset:         156
        .size:           2
        .value_kind:     hidden_group_size_x
      - .offset:         158
        .size:           2
        .value_kind:     hidden_group_size_y
      - .offset:         160
        .size:           2
        .value_kind:     hidden_group_size_z
      - .offset:         162
        .size:           2
        .value_kind:     hidden_remainder_x
      - .offset:         164
        .size:           2
        .value_kind:     hidden_remainder_y
      - .offset:         166
        .size:           2
        .value_kind:     hidden_remainder_z
      - .offset:         184
        .size:           8
        .value_kind:     hidden_global_offset_x
      - .offset:         192
        .size:           8
        .value_kind:     hidden_global_offset_y
      - .offset:         200
        .size:           8
        .value_kind:     hidden_global_offset_z
      - .offset:         208
        .size:           2
        .value_kind:     hidden_grid_dims
    .group_segment_fixed_size: 4096
    .kernarg_segment_align: 8
    .kernarg_segment_size: 400
    .language:       OpenCL C
    .language_version:
      - 2
      - 0
    .max_flat_workgroup_size: 256
    .name:           _ZL20rocblas_gemvn_kernelILi64ELi4ElPKDF16_PKfKPfEviiT3_lPKT2_lT1_lS9_lSA_lS6_lPT4_lSA_li
    .private_segment_fixed_size: 0
    .sgpr_count:     37
    .sgpr_spill_count: 0
    .symbol:         _ZL20rocblas_gemvn_kernelILi64ELi4ElPKDF16_PKfKPfEviiT3_lPKT2_lT1_lS9_lSA_lS6_lPT4_lSA_li.kd
    .uniform_work_group_size: 1
    .uses_dynamic_stack: false
    .vgpr_count:     56
    .vgpr_spill_count: 0
    .wavefront_size: 32
    .workgroup_processor_mode: 1
  - .args:
      - .offset:         0
        .size:           4
        .value_kind:     by_value
      - .offset:         4
        .size:           4
        .value_kind:     by_value
      - .offset:         8
        .size:           4
        .value_kind:     by_value
      - .offset:         16
        .size:           8
        .value_kind:     by_value
      - .address_space:  global
        .offset:         24
        .size:           8
        .value_kind:     global_buffer
      - .offset:         32
        .size:           8
        .value_kind:     by_value
      - .offset:         40
        .size:           4
        .value_kind:     by_value
      - .offset:         48
        .size:           8
        .value_kind:     by_value
      - .address_space:  global
        .offset:         56
        .size:           8
        .value_kind:     global_buffer
      - .offset:         64
        .size:           8
        .value_kind:     by_value
      - .offset:         72
        .size:           4
        .value_kind:     by_value
      - .offset:         80
        .size:           8
        .value_kind:     by_value
      - .offset:         88
        .size:           4
        .value_kind:     by_value
      - .offset:         96
        .size:           8
        .value_kind:     by_value
      - .address_space:  global
        .offset:         104
        .size:           8
        .value_kind:     global_buffer
      - .offset:         112
        .size:           8
        .value_kind:     by_value
      - .offset:         120
        .size:           4
        .value_kind:     by_value
      - .offset:         128
        .size:           8
        .value_kind:     by_value
      - .offset:         136
        .size:           4
        .value_kind:     by_value
      - .offset:         144
        .size:           4
        .value_kind:     hidden_block_count_x
      - .offset:         148
        .size:           4
        .value_kind:     hidden_block_count_y
      - .offset:         152
        .size:           4
        .value_kind:     hidden_block_count_z
      - .offset:         156
        .size:           2
        .value_kind:     hidden_group_size_x
      - .offset:         158
        .size:           2
        .value_kind:     hidden_group_size_y
      - .offset:         160
        .size:           2
        .value_kind:     hidden_group_size_z
      - .offset:         162
        .size:           2
        .value_kind:     hidden_remainder_x
      - .offset:         164
        .size:           2
        .value_kind:     hidden_remainder_y
      - .offset:         166
        .size:           2
        .value_kind:     hidden_remainder_z
      - .offset:         184
        .size:           8
        .value_kind:     hidden_global_offset_x
      - .offset:         192
        .size:           8
        .value_kind:     hidden_global_offset_y
      - .offset:         200
        .size:           8
        .value_kind:     hidden_global_offset_z
      - .offset:         208
        .size:           2
        .value_kind:     hidden_grid_dims
    .group_segment_fixed_size: 4096
    .kernarg_segment_align: 8
    .kernarg_segment_size: 400
    .language:       OpenCL C
    .language_version:
      - 2
      - 0
    .max_flat_workgroup_size: 256
    .name:           _ZL20rocblas_gemvn_kernelILi64ELi4EiPKDF16_fKPfEviiT3_lPKT2_lT1_lS7_lS8_lS4_lPT4_lS8_li
    .private_segment_fixed_size: 0
    .sgpr_count:     30
    .sgpr_spill_count: 0
    .symbol:         _ZL20rocblas_gemvn_kernelILi64ELi4EiPKDF16_fKPfEviiT3_lPKT2_lT1_lS7_lS8_lS4_lPT4_lS8_li.kd
    .uniform_work_group_size: 1
    .uses_dynamic_stack: false
    .vgpr_count:     46
    .vgpr_spill_count: 0
    .wavefront_size: 32
    .workgroup_processor_mode: 1
  - .args:
      - .offset:         0
        .size:           4
        .value_kind:     by_value
      - .offset:         4
        .size:           4
        .value_kind:     by_value
      - .offset:         8
        .size:           4
        .value_kind:     by_value
      - .offset:         16
        .size:           8
        .value_kind:     by_value
      - .address_space:  global
        .offset:         24
        .size:           8
        .value_kind:     global_buffer
      - .offset:         32
        .size:           8
        .value_kind:     by_value
      - .offset:         40
        .size:           8
        .value_kind:     by_value
      - .offset:         48
        .size:           8
        .value_kind:     by_value
      - .address_space:  global
        .offset:         56
        .size:           8
        .value_kind:     global_buffer
      - .offset:         64
        .size:           8
        .value_kind:     by_value
      - .offset:         72
        .size:           8
        .value_kind:     by_value
      - .offset:         80
        .size:           8
        .value_kind:     by_value
      - .offset:         88
        .size:           4
        .value_kind:     by_value
      - .offset:         96
        .size:           8
        .value_kind:     by_value
      - .address_space:  global
        .offset:         104
        .size:           8
        .value_kind:     global_buffer
      - .offset:         112
        .size:           8
        .value_kind:     by_value
      - .offset:         120
        .size:           8
        .value_kind:     by_value
      - .offset:         128
        .size:           8
        .value_kind:     by_value
      - .offset:         136
        .size:           4
        .value_kind:     by_value
      - .offset:         144
        .size:           4
        .value_kind:     hidden_block_count_x
      - .offset:         148
        .size:           4
        .value_kind:     hidden_block_count_y
      - .offset:         152
        .size:           4
        .value_kind:     hidden_block_count_z
      - .offset:         156
        .size:           2
        .value_kind:     hidden_group_size_x
      - .offset:         158
        .size:           2
        .value_kind:     hidden_group_size_y
      - .offset:         160
        .size:           2
        .value_kind:     hidden_group_size_z
      - .offset:         162
        .size:           2
        .value_kind:     hidden_remainder_x
      - .offset:         164
        .size:           2
        .value_kind:     hidden_remainder_y
      - .offset:         166
        .size:           2
        .value_kind:     hidden_remainder_z
      - .offset:         184
        .size:           8
        .value_kind:     hidden_global_offset_x
      - .offset:         192
        .size:           8
        .value_kind:     hidden_global_offset_y
      - .offset:         200
        .size:           8
        .value_kind:     hidden_global_offset_z
      - .offset:         208
        .size:           2
        .value_kind:     hidden_grid_dims
    .group_segment_fixed_size: 4096
    .kernarg_segment_align: 8
    .kernarg_segment_size: 400
    .language:       OpenCL C
    .language_version:
      - 2
      - 0
    .max_flat_workgroup_size: 256
    .name:           _ZL20rocblas_gemvn_kernelILi64ELi4ElPKDF16_fKPfEviiT3_lPKT2_lT1_lS7_lS8_lS4_lPT4_lS8_li
    .private_segment_fixed_size: 0
    .sgpr_count:     37
    .sgpr_spill_count: 0
    .symbol:         _ZL20rocblas_gemvn_kernelILi64ELi4ElPKDF16_fKPfEviiT3_lPKT2_lT1_lS7_lS8_lS4_lPT4_lS8_li.kd
    .uniform_work_group_size: 1
    .uses_dynamic_stack: false
    .vgpr_count:     56
    .vgpr_spill_count: 0
    .wavefront_size: 32
    .workgroup_processor_mode: 1
  - .args:
      - .offset:         0
        .size:           4
        .value_kind:     by_value
      - .offset:         4
        .size:           4
        .value_kind:     by_value
      - .address_space:  global
        .offset:         8
        .size:           8
        .value_kind:     global_buffer
      - .offset:         16
        .size:           8
        .value_kind:     by_value
      - .address_space:  global
        .offset:         24
        .size:           8
        .value_kind:     global_buffer
      - .offset:         32
        .size:           8
        .value_kind:     by_value
      - .offset:         40
        .size:           4
        .value_kind:     by_value
      - .offset:         48
        .size:           8
        .value_kind:     by_value
      - .address_space:  global
        .offset:         56
        .size:           8
        .value_kind:     global_buffer
      - .offset:         64
        .size:           8
        .value_kind:     by_value
      - .offset:         72
        .size:           4
        .value_kind:     by_value
      - .offset:         80
        .size:           8
        .value_kind:     by_value
      - .address_space:  global
        .offset:         88
        .size:           8
        .value_kind:     global_buffer
      - .offset:         96
        .size:           8
        .value_kind:     by_value
      - .address_space:  global
        .offset:         104
        .size:           8
        .value_kind:     global_buffer
      - .offset:         112
        .size:           8
        .value_kind:     by_value
      - .offset:         120
        .size:           4
        .value_kind:     by_value
      - .offset:         128
        .size:           8
        .value_kind:     by_value
      - .offset:         136
        .size:           4
        .value_kind:     by_value
      - .offset:         144
        .size:           4
        .value_kind:     hidden_block_count_x
      - .offset:         148
        .size:           4
        .value_kind:     hidden_block_count_y
      - .offset:         152
        .size:           4
        .value_kind:     hidden_block_count_z
      - .offset:         156
        .size:           2
        .value_kind:     hidden_group_size_x
      - .offset:         158
        .size:           2
        .value_kind:     hidden_group_size_y
      - .offset:         160
        .size:           2
        .value_kind:     hidden_group_size_z
      - .offset:         162
        .size:           2
        .value_kind:     hidden_remainder_x
      - .offset:         164
        .size:           2
        .value_kind:     hidden_remainder_y
      - .offset:         166
        .size:           2
        .value_kind:     hidden_remainder_z
      - .offset:         184
        .size:           8
        .value_kind:     hidden_global_offset_x
      - .offset:         192
        .size:           8
        .value_kind:     hidden_global_offset_y
      - .offset:         200
        .size:           8
        .value_kind:     hidden_global_offset_z
      - .offset:         208
        .size:           2
        .value_kind:     hidden_grid_dims
    .group_segment_fixed_size: 8192
    .kernarg_segment_align: 8
    .kernarg_segment_size: 400
    .language:       OpenCL C
    .language_version:
      - 2
      - 0
    .max_flat_workgroup_size: 512
    .name:           _ZL20rocblas_gemvn_kernelILi32ELi16EiPKDF16_PKfKPfEviiT3_lPKT2_lT1_lS9_lSA_lS6_lPT4_lSA_li
    .private_segment_fixed_size: 0
    .sgpr_count:     30
    .sgpr_spill_count: 0
    .symbol:         _ZL20rocblas_gemvn_kernelILi32ELi16EiPKDF16_PKfKPfEviiT3_lPKT2_lT1_lS9_lSA_lS6_lPT4_lSA_li.kd
    .uniform_work_group_size: 1
    .uses_dynamic_stack: false
    .vgpr_count:     46
    .vgpr_spill_count: 0
    .wavefront_size: 32
    .workgroup_processor_mode: 1
  - .args:
      - .offset:         0
        .size:           4
        .value_kind:     by_value
      - .offset:         4
        .size:           4
        .value_kind:     by_value
      - .address_space:  global
        .offset:         8
        .size:           8
        .value_kind:     global_buffer
      - .offset:         16
        .size:           8
        .value_kind:     by_value
      - .address_space:  global
        .offset:         24
        .size:           8
        .value_kind:     global_buffer
      - .offset:         32
        .size:           8
        .value_kind:     by_value
      - .offset:         40
        .size:           8
        .value_kind:     by_value
      - .offset:         48
        .size:           8
        .value_kind:     by_value
      - .address_space:  global
        .offset:         56
        .size:           8
        .value_kind:     global_buffer
      - .offset:         64
        .size:           8
        .value_kind:     by_value
      - .offset:         72
        .size:           8
        .value_kind:     by_value
      - .offset:         80
        .size:           8
        .value_kind:     by_value
      - .address_space:  global
        .offset:         88
        .size:           8
        .value_kind:     global_buffer
      - .offset:         96
        .size:           8
        .value_kind:     by_value
      - .address_space:  global
        .offset:         104
        .size:           8
        .value_kind:     global_buffer
      - .offset:         112
        .size:           8
        .value_kind:     by_value
      - .offset:         120
        .size:           8
        .value_kind:     by_value
      - .offset:         128
        .size:           8
        .value_kind:     by_value
      - .offset:         136
        .size:           4
        .value_kind:     by_value
      - .offset:         144
        .size:           4
        .value_kind:     hidden_block_count_x
      - .offset:         148
        .size:           4
        .value_kind:     hidden_block_count_y
      - .offset:         152
        .size:           4
        .value_kind:     hidden_block_count_z
      - .offset:         156
        .size:           2
        .value_kind:     hidden_group_size_x
      - .offset:         158
        .size:           2
        .value_kind:     hidden_group_size_y
      - .offset:         160
        .size:           2
        .value_kind:     hidden_group_size_z
      - .offset:         162
        .size:           2
        .value_kind:     hidden_remainder_x
      - .offset:         164
        .size:           2
        .value_kind:     hidden_remainder_y
      - .offset:         166
        .size:           2
        .value_kind:     hidden_remainder_z
      - .offset:         184
        .size:           8
        .value_kind:     hidden_global_offset_x
      - .offset:         192
        .size:           8
        .value_kind:     hidden_global_offset_y
      - .offset:         200
        .size:           8
        .value_kind:     hidden_global_offset_z
      - .offset:         208
        .size:           2
        .value_kind:     hidden_grid_dims
    .group_segment_fixed_size: 8192
    .kernarg_segment_align: 8
    .kernarg_segment_size: 400
    .language:       OpenCL C
    .language_version:
      - 2
      - 0
    .max_flat_workgroup_size: 512
    .name:           _ZL20rocblas_gemvn_kernelILi32ELi16ElPKDF16_PKfKPfEviiT3_lPKT2_lT1_lS9_lSA_lS6_lPT4_lSA_li
    .private_segment_fixed_size: 0
    .sgpr_count:     37
    .sgpr_spill_count: 0
    .symbol:         _ZL20rocblas_gemvn_kernelILi32ELi16ElPKDF16_PKfKPfEviiT3_lPKT2_lT1_lS9_lSA_lS6_lPT4_lSA_li.kd
    .uniform_work_group_size: 1
    .uses_dynamic_stack: false
    .vgpr_count:     56
    .vgpr_spill_count: 0
    .wavefront_size: 32
    .workgroup_processor_mode: 1
  - .args:
      - .offset:         0
        .size:           4
        .value_kind:     by_value
      - .offset:         4
        .size:           4
        .value_kind:     by_value
      - .offset:         8
        .size:           4
        .value_kind:     by_value
      - .offset:         16
        .size:           8
        .value_kind:     by_value
      - .address_space:  global
        .offset:         24
        .size:           8
        .value_kind:     global_buffer
      - .offset:         32
        .size:           8
        .value_kind:     by_value
      - .offset:         40
        .size:           4
        .value_kind:     by_value
      - .offset:         48
        .size:           8
        .value_kind:     by_value
      - .address_space:  global
        .offset:         56
        .size:           8
        .value_kind:     global_buffer
      - .offset:         64
        .size:           8
        .value_kind:     by_value
      - .offset:         72
        .size:           4
        .value_kind:     by_value
      - .offset:         80
        .size:           8
        .value_kind:     by_value
      - .offset:         88
        .size:           4
        .value_kind:     by_value
      - .offset:         96
        .size:           8
        .value_kind:     by_value
      - .address_space:  global
        .offset:         104
        .size:           8
        .value_kind:     global_buffer
      - .offset:         112
        .size:           8
        .value_kind:     by_value
      - .offset:         120
        .size:           4
        .value_kind:     by_value
      - .offset:         128
        .size:           8
        .value_kind:     by_value
      - .offset:         136
        .size:           4
        .value_kind:     by_value
      - .offset:         144
        .size:           4
        .value_kind:     hidden_block_count_x
      - .offset:         148
        .size:           4
        .value_kind:     hidden_block_count_y
      - .offset:         152
        .size:           4
        .value_kind:     hidden_block_count_z
      - .offset:         156
        .size:           2
        .value_kind:     hidden_group_size_x
      - .offset:         158
        .size:           2
        .value_kind:     hidden_group_size_y
      - .offset:         160
        .size:           2
        .value_kind:     hidden_group_size_z
      - .offset:         162
        .size:           2
        .value_kind:     hidden_remainder_x
      - .offset:         164
        .size:           2
        .value_kind:     hidden_remainder_y
      - .offset:         166
        .size:           2
        .value_kind:     hidden_remainder_z
      - .offset:         184
        .size:           8
        .value_kind:     hidden_global_offset_x
      - .offset:         192
        .size:           8
        .value_kind:     hidden_global_offset_y
      - .offset:         200
        .size:           8
        .value_kind:     hidden_global_offset_z
      - .offset:         208
        .size:           2
        .value_kind:     hidden_grid_dims
    .group_segment_fixed_size: 8192
    .kernarg_segment_align: 8
    .kernarg_segment_size: 400
    .language:       OpenCL C
    .language_version:
      - 2
      - 0
    .max_flat_workgroup_size: 512
    .name:           _ZL20rocblas_gemvn_kernelILi32ELi16EiPKDF16_fKPfEviiT3_lPKT2_lT1_lS7_lS8_lS4_lPT4_lS8_li
    .private_segment_fixed_size: 0
    .sgpr_count:     30
    .sgpr_spill_count: 0
    .symbol:         _ZL20rocblas_gemvn_kernelILi32ELi16EiPKDF16_fKPfEviiT3_lPKT2_lT1_lS7_lS8_lS4_lPT4_lS8_li.kd
    .uniform_work_group_size: 1
    .uses_dynamic_stack: false
    .vgpr_count:     46
    .vgpr_spill_count: 0
    .wavefront_size: 32
    .workgroup_processor_mode: 1
  - .args:
      - .offset:         0
        .size:           4
        .value_kind:     by_value
      - .offset:         4
        .size:           4
        .value_kind:     by_value
      - .offset:         8
        .size:           4
        .value_kind:     by_value
      - .offset:         16
        .size:           8
        .value_kind:     by_value
      - .address_space:  global
        .offset:         24
        .size:           8
        .value_kind:     global_buffer
      - .offset:         32
        .size:           8
        .value_kind:     by_value
      - .offset:         40
        .size:           8
        .value_kind:     by_value
      - .offset:         48
        .size:           8
        .value_kind:     by_value
      - .address_space:  global
        .offset:         56
        .size:           8
        .value_kind:     global_buffer
      - .offset:         64
        .size:           8
        .value_kind:     by_value
      - .offset:         72
        .size:           8
        .value_kind:     by_value
      - .offset:         80
        .size:           8
        .value_kind:     by_value
      - .offset:         88
        .size:           4
        .value_kind:     by_value
      - .offset:         96
        .size:           8
        .value_kind:     by_value
      - .address_space:  global
        .offset:         104
        .size:           8
        .value_kind:     global_buffer
      - .offset:         112
        .size:           8
        .value_kind:     by_value
      - .offset:         120
        .size:           8
        .value_kind:     by_value
      - .offset:         128
        .size:           8
        .value_kind:     by_value
      - .offset:         136
        .size:           4
        .value_kind:     by_value
      - .offset:         144
        .size:           4
        .value_kind:     hidden_block_count_x
      - .offset:         148
        .size:           4
        .value_kind:     hidden_block_count_y
      - .offset:         152
        .size:           4
        .value_kind:     hidden_block_count_z
      - .offset:         156
        .size:           2
        .value_kind:     hidden_group_size_x
      - .offset:         158
        .size:           2
        .value_kind:     hidden_group_size_y
      - .offset:         160
        .size:           2
        .value_kind:     hidden_group_size_z
      - .offset:         162
        .size:           2
        .value_kind:     hidden_remainder_x
      - .offset:         164
        .size:           2
        .value_kind:     hidden_remainder_y
      - .offset:         166
        .size:           2
        .value_kind:     hidden_remainder_z
      - .offset:         184
        .size:           8
        .value_kind:     hidden_global_offset_x
      - .offset:         192
        .size:           8
        .value_kind:     hidden_global_offset_y
      - .offset:         200
        .size:           8
        .value_kind:     hidden_global_offset_z
      - .offset:         208
        .size:           2
        .value_kind:     hidden_grid_dims
    .group_segment_fixed_size: 8192
    .kernarg_segment_align: 8
    .kernarg_segment_size: 400
    .language:       OpenCL C
    .language_version:
      - 2
      - 0
    .max_flat_workgroup_size: 512
    .name:           _ZL20rocblas_gemvn_kernelILi32ELi16ElPKDF16_fKPfEviiT3_lPKT2_lT1_lS7_lS8_lS4_lPT4_lS8_li
    .private_segment_fixed_size: 0
    .sgpr_count:     37
    .sgpr_spill_count: 0
    .symbol:         _ZL20rocblas_gemvn_kernelILi32ELi16ElPKDF16_fKPfEviiT3_lPKT2_lT1_lS7_lS8_lS4_lPT4_lS8_li.kd
    .uniform_work_group_size: 1
    .uses_dynamic_stack: false
    .vgpr_count:     56
    .vgpr_spill_count: 0
    .wavefront_size: 32
    .workgroup_processor_mode: 1
  - .args:
      - .offset:         0
        .size:           4
        .value_kind:     by_value
      - .offset:         4
        .size:           4
        .value_kind:     by_value
      - .address_space:  global
        .offset:         8
        .size:           8
        .value_kind:     global_buffer
      - .offset:         16
        .size:           8
        .value_kind:     by_value
      - .address_space:  global
        .offset:         24
        .size:           8
        .value_kind:     global_buffer
      - .offset:         32
        .size:           8
        .value_kind:     by_value
      - .offset:         40
        .size:           4
        .value_kind:     by_value
      - .offset:         48
        .size:           8
        .value_kind:     by_value
      - .address_space:  global
        .offset:         56
        .size:           8
        .value_kind:     global_buffer
      - .offset:         64
        .size:           8
        .value_kind:     by_value
      - .offset:         72
        .size:           4
        .value_kind:     by_value
      - .offset:         80
        .size:           8
        .value_kind:     by_value
      - .address_space:  global
        .offset:         88
        .size:           8
        .value_kind:     global_buffer
      - .offset:         96
        .size:           8
        .value_kind:     by_value
      - .address_space:  global
        .offset:         104
        .size:           8
        .value_kind:     global_buffer
      - .offset:         112
        .size:           8
        .value_kind:     by_value
      - .offset:         120
        .size:           4
        .value_kind:     by_value
      - .offset:         128
        .size:           8
        .value_kind:     by_value
      - .offset:         136
        .size:           4
        .value_kind:     by_value
      - .offset:         144
        .size:           4
        .value_kind:     hidden_block_count_x
      - .offset:         148
        .size:           4
        .value_kind:     hidden_block_count_y
      - .offset:         152
        .size:           4
        .value_kind:     hidden_block_count_z
      - .offset:         156
        .size:           2
        .value_kind:     hidden_group_size_x
      - .offset:         158
        .size:           2
        .value_kind:     hidden_group_size_y
      - .offset:         160
        .size:           2
        .value_kind:     hidden_group_size_z
      - .offset:         162
        .size:           2
        .value_kind:     hidden_remainder_x
      - .offset:         164
        .size:           2
        .value_kind:     hidden_remainder_y
      - .offset:         166
        .size:           2
        .value_kind:     hidden_remainder_z
      - .offset:         184
        .size:           8
        .value_kind:     hidden_global_offset_x
      - .offset:         192
        .size:           8
        .value_kind:     hidden_global_offset_y
      - .offset:         200
        .size:           8
        .value_kind:     hidden_global_offset_z
      - .offset:         208
        .size:           2
        .value_kind:     hidden_grid_dims
    .group_segment_fixed_size: 16384
    .kernarg_segment_align: 8
    .kernarg_segment_size: 400
    .language:       OpenCL C
    .language_version:
      - 2
      - 0
    .max_flat_workgroup_size: 1024
    .name:           _ZL20rocblas_gemvn_kernelILi64ELi16EiPKDF16_PKfKPfEviiT3_lPKT2_lT1_lS9_lSA_lS6_lPT4_lSA_li
    .private_segment_fixed_size: 0
    .sgpr_count:     30
    .sgpr_spill_count: 0
    .symbol:         _ZL20rocblas_gemvn_kernelILi64ELi16EiPKDF16_PKfKPfEviiT3_lPKT2_lT1_lS9_lSA_lS6_lPT4_lSA_li.kd
    .uniform_work_group_size: 1
    .uses_dynamic_stack: false
    .vgpr_count:     46
    .vgpr_spill_count: 0
    .wavefront_size: 32
    .workgroup_processor_mode: 1
  - .args:
      - .offset:         0
        .size:           4
        .value_kind:     by_value
      - .offset:         4
        .size:           4
        .value_kind:     by_value
      - .address_space:  global
        .offset:         8
        .size:           8
        .value_kind:     global_buffer
      - .offset:         16
        .size:           8
        .value_kind:     by_value
      - .address_space:  global
        .offset:         24
        .size:           8
        .value_kind:     global_buffer
      - .offset:         32
        .size:           8
        .value_kind:     by_value
      - .offset:         40
        .size:           8
        .value_kind:     by_value
      - .offset:         48
        .size:           8
        .value_kind:     by_value
      - .address_space:  global
        .offset:         56
        .size:           8
        .value_kind:     global_buffer
      - .offset:         64
        .size:           8
        .value_kind:     by_value
      - .offset:         72
        .size:           8
        .value_kind:     by_value
      - .offset:         80
        .size:           8
        .value_kind:     by_value
      - .address_space:  global
        .offset:         88
        .size:           8
        .value_kind:     global_buffer
      - .offset:         96
        .size:           8
        .value_kind:     by_value
      - .address_space:  global
        .offset:         104
        .size:           8
        .value_kind:     global_buffer
      - .offset:         112
        .size:           8
        .value_kind:     by_value
      - .offset:         120
        .size:           8
        .value_kind:     by_value
      - .offset:         128
        .size:           8
        .value_kind:     by_value
      - .offset:         136
        .size:           4
        .value_kind:     by_value
      - .offset:         144
        .size:           4
        .value_kind:     hidden_block_count_x
      - .offset:         148
        .size:           4
        .value_kind:     hidden_block_count_y
      - .offset:         152
        .size:           4
        .value_kind:     hidden_block_count_z
      - .offset:         156
        .size:           2
        .value_kind:     hidden_group_size_x
      - .offset:         158
        .size:           2
        .value_kind:     hidden_group_size_y
      - .offset:         160
        .size:           2
        .value_kind:     hidden_group_size_z
      - .offset:         162
        .size:           2
        .value_kind:     hidden_remainder_x
      - .offset:         164
        .size:           2
        .value_kind:     hidden_remainder_y
      - .offset:         166
        .size:           2
        .value_kind:     hidden_remainder_z
      - .offset:         184
        .size:           8
        .value_kind:     hidden_global_offset_x
      - .offset:         192
        .size:           8
        .value_kind:     hidden_global_offset_y
      - .offset:         200
        .size:           8
        .value_kind:     hidden_global_offset_z
      - .offset:         208
        .size:           2
        .value_kind:     hidden_grid_dims
    .group_segment_fixed_size: 16384
    .kernarg_segment_align: 8
    .kernarg_segment_size: 400
    .language:       OpenCL C
    .language_version:
      - 2
      - 0
    .max_flat_workgroup_size: 1024
    .name:           _ZL20rocblas_gemvn_kernelILi64ELi16ElPKDF16_PKfKPfEviiT3_lPKT2_lT1_lS9_lSA_lS6_lPT4_lSA_li
    .private_segment_fixed_size: 0
    .sgpr_count:     37
    .sgpr_spill_count: 0
    .symbol:         _ZL20rocblas_gemvn_kernelILi64ELi16ElPKDF16_PKfKPfEviiT3_lPKT2_lT1_lS9_lSA_lS6_lPT4_lSA_li.kd
    .uniform_work_group_size: 1
    .uses_dynamic_stack: false
    .vgpr_count:     56
    .vgpr_spill_count: 0
    .wavefront_size: 32
    .workgroup_processor_mode: 1
  - .args:
      - .offset:         0
        .size:           4
        .value_kind:     by_value
      - .offset:         4
        .size:           4
        .value_kind:     by_value
      - .offset:         8
        .size:           4
        .value_kind:     by_value
      - .offset:         16
        .size:           8
        .value_kind:     by_value
      - .address_space:  global
        .offset:         24
        .size:           8
        .value_kind:     global_buffer
      - .offset:         32
        .size:           8
        .value_kind:     by_value
      - .offset:         40
        .size:           4
        .value_kind:     by_value
      - .offset:         48
        .size:           8
        .value_kind:     by_value
      - .address_space:  global
        .offset:         56
        .size:           8
        .value_kind:     global_buffer
      - .offset:         64
        .size:           8
        .value_kind:     by_value
      - .offset:         72
        .size:           4
        .value_kind:     by_value
      - .offset:         80
        .size:           8
        .value_kind:     by_value
      - .offset:         88
        .size:           4
        .value_kind:     by_value
      - .offset:         96
        .size:           8
        .value_kind:     by_value
      - .address_space:  global
        .offset:         104
        .size:           8
        .value_kind:     global_buffer
      - .offset:         112
        .size:           8
        .value_kind:     by_value
      - .offset:         120
        .size:           4
        .value_kind:     by_value
      - .offset:         128
        .size:           8
        .value_kind:     by_value
      - .offset:         136
        .size:           4
        .value_kind:     by_value
      - .offset:         144
        .size:           4
        .value_kind:     hidden_block_count_x
      - .offset:         148
        .size:           4
        .value_kind:     hidden_block_count_y
      - .offset:         152
        .size:           4
        .value_kind:     hidden_block_count_z
      - .offset:         156
        .size:           2
        .value_kind:     hidden_group_size_x
      - .offset:         158
        .size:           2
        .value_kind:     hidden_group_size_y
      - .offset:         160
        .size:           2
        .value_kind:     hidden_group_size_z
      - .offset:         162
        .size:           2
        .value_kind:     hidden_remainder_x
      - .offset:         164
        .size:           2
        .value_kind:     hidden_remainder_y
      - .offset:         166
        .size:           2
        .value_kind:     hidden_remainder_z
      - .offset:         184
        .size:           8
        .value_kind:     hidden_global_offset_x
      - .offset:         192
        .size:           8
        .value_kind:     hidden_global_offset_y
      - .offset:         200
        .size:           8
        .value_kind:     hidden_global_offset_z
      - .offset:         208
        .size:           2
        .value_kind:     hidden_grid_dims
    .group_segment_fixed_size: 16384
    .kernarg_segment_align: 8
    .kernarg_segment_size: 400
    .language:       OpenCL C
    .language_version:
      - 2
      - 0
    .max_flat_workgroup_size: 1024
    .name:           _ZL20rocblas_gemvn_kernelILi64ELi16EiPKDF16_fKPfEviiT3_lPKT2_lT1_lS7_lS8_lS4_lPT4_lS8_li
    .private_segment_fixed_size: 0
    .sgpr_count:     30
    .sgpr_spill_count: 0
    .symbol:         _ZL20rocblas_gemvn_kernelILi64ELi16EiPKDF16_fKPfEviiT3_lPKT2_lT1_lS7_lS8_lS4_lPT4_lS8_li.kd
    .uniform_work_group_size: 1
    .uses_dynamic_stack: false
    .vgpr_count:     46
    .vgpr_spill_count: 0
    .wavefront_size: 32
    .workgroup_processor_mode: 1
  - .args:
      - .offset:         0
        .size:           4
        .value_kind:     by_value
      - .offset:         4
        .size:           4
        .value_kind:     by_value
      - .offset:         8
        .size:           4
        .value_kind:     by_value
      - .offset:         16
        .size:           8
        .value_kind:     by_value
      - .address_space:  global
        .offset:         24
        .size:           8
        .value_kind:     global_buffer
      - .offset:         32
        .size:           8
        .value_kind:     by_value
      - .offset:         40
        .size:           8
        .value_kind:     by_value
      - .offset:         48
        .size:           8
        .value_kind:     by_value
      - .address_space:  global
        .offset:         56
        .size:           8
        .value_kind:     global_buffer
      - .offset:         64
        .size:           8
        .value_kind:     by_value
      - .offset:         72
        .size:           8
        .value_kind:     by_value
      - .offset:         80
        .size:           8
        .value_kind:     by_value
      - .offset:         88
        .size:           4
        .value_kind:     by_value
      - .offset:         96
        .size:           8
        .value_kind:     by_value
      - .address_space:  global
        .offset:         104
        .size:           8
        .value_kind:     global_buffer
      - .offset:         112
        .size:           8
        .value_kind:     by_value
      - .offset:         120
        .size:           8
        .value_kind:     by_value
      - .offset:         128
        .size:           8
        .value_kind:     by_value
      - .offset:         136
        .size:           4
        .value_kind:     by_value
      - .offset:         144
        .size:           4
        .value_kind:     hidden_block_count_x
      - .offset:         148
        .size:           4
        .value_kind:     hidden_block_count_y
      - .offset:         152
        .size:           4
        .value_kind:     hidden_block_count_z
      - .offset:         156
        .size:           2
        .value_kind:     hidden_group_size_x
      - .offset:         158
        .size:           2
        .value_kind:     hidden_group_size_y
      - .offset:         160
        .size:           2
        .value_kind:     hidden_group_size_z
      - .offset:         162
        .size:           2
        .value_kind:     hidden_remainder_x
      - .offset:         164
        .size:           2
        .value_kind:     hidden_remainder_y
      - .offset:         166
        .size:           2
        .value_kind:     hidden_remainder_z
      - .offset:         184
        .size:           8
        .value_kind:     hidden_global_offset_x
      - .offset:         192
        .size:           8
        .value_kind:     hidden_global_offset_y
      - .offset:         200
        .size:           8
        .value_kind:     hidden_global_offset_z
      - .offset:         208
        .size:           2
        .value_kind:     hidden_grid_dims
    .group_segment_fixed_size: 16384
    .kernarg_segment_align: 8
    .kernarg_segment_size: 400
    .language:       OpenCL C
    .language_version:
      - 2
      - 0
    .max_flat_workgroup_size: 1024
    .name:           _ZL20rocblas_gemvn_kernelILi64ELi16ElPKDF16_fKPfEviiT3_lPKT2_lT1_lS7_lS8_lS4_lPT4_lS8_li
    .private_segment_fixed_size: 0
    .sgpr_count:     37
    .sgpr_spill_count: 0
    .symbol:         _ZL20rocblas_gemvn_kernelILi64ELi16ElPKDF16_fKPfEviiT3_lPKT2_lT1_lS7_lS8_lS4_lPT4_lS8_li.kd
    .uniform_work_group_size: 1
    .uses_dynamic_stack: false
    .vgpr_count:     56
    .vgpr_spill_count: 0
    .wavefront_size: 32
    .workgroup_processor_mode: 1
  - .args:
      - .offset:         0
        .size:           4
        .value_kind:     by_value
      - .offset:         4
        .size:           4
        .value_kind:     by_value
      - .address_space:  global
        .offset:         8
        .size:           8
        .value_kind:     global_buffer
      - .offset:         16
        .size:           8
        .value_kind:     by_value
      - .address_space:  global
        .offset:         24
        .size:           8
        .value_kind:     global_buffer
      - .offset:         32
        .size:           8
        .value_kind:     by_value
      - .offset:         40
        .size:           4
        .value_kind:     by_value
      - .offset:         48
        .size:           8
        .value_kind:     by_value
      - .address_space:  global
        .offset:         56
        .size:           8
        .value_kind:     global_buffer
      - .offset:         64
        .size:           8
        .value_kind:     by_value
      - .offset:         72
        .size:           4
        .value_kind:     by_value
      - .offset:         80
        .size:           8
        .value_kind:     by_value
      - .address_space:  global
        .offset:         88
        .size:           8
        .value_kind:     global_buffer
      - .offset:         96
        .size:           8
        .value_kind:     by_value
      - .address_space:  global
        .offset:         104
        .size:           8
        .value_kind:     global_buffer
      - .offset:         112
        .size:           8
        .value_kind:     by_value
      - .offset:         120
        .size:           4
        .value_kind:     by_value
      - .offset:         128
        .size:           8
        .value_kind:     by_value
    .group_segment_fixed_size: 256
    .kernarg_segment_align: 8
    .kernarg_segment_size: 136
    .language:       OpenCL C
    .language_version:
      - 2
      - 0
    .max_flat_workgroup_size: 256
    .name:           _ZL22rocblas_gemvtsm_kernelILb0ELi256EPKDF16_PKfKPfEviiT2_lPKT1_lilS9_lilS6_lPT3_lil
    .private_segment_fixed_size: 0
    .sgpr_count:     26
    .sgpr_spill_count: 0
    .symbol:         _ZL22rocblas_gemvtsm_kernelILb0ELi256EPKDF16_PKfKPfEviiT2_lPKT1_lilS9_lilS6_lPT3_lil.kd
    .uniform_work_group_size: 1
    .uses_dynamic_stack: false
    .vgpr_count:     20
    .vgpr_spill_count: 0
    .wavefront_size: 32
    .workgroup_processor_mode: 1
  - .args:
      - .offset:         0
        .size:           4
        .value_kind:     by_value
      - .offset:         4
        .size:           4
        .value_kind:     by_value
      - .offset:         8
        .size:           4
        .value_kind:     by_value
      - .offset:         16
        .size:           8
        .value_kind:     by_value
      - .address_space:  global
        .offset:         24
        .size:           8
        .value_kind:     global_buffer
      - .offset:         32
        .size:           8
        .value_kind:     by_value
      - .offset:         40
        .size:           4
        .value_kind:     by_value
      - .offset:         48
        .size:           8
        .value_kind:     by_value
      - .address_space:  global
        .offset:         56
        .size:           8
        .value_kind:     global_buffer
      - .offset:         64
        .size:           8
        .value_kind:     by_value
      - .offset:         72
        .size:           4
        .value_kind:     by_value
      - .offset:         80
        .size:           8
        .value_kind:     by_value
      - .offset:         88
        .size:           4
        .value_kind:     by_value
      - .offset:         96
        .size:           8
        .value_kind:     by_value
      - .address_space:  global
        .offset:         104
        .size:           8
        .value_kind:     global_buffer
      - .offset:         112
        .size:           8
        .value_kind:     by_value
      - .offset:         120
        .size:           4
        .value_kind:     by_value
      - .offset:         128
        .size:           8
        .value_kind:     by_value
    .group_segment_fixed_size: 256
    .kernarg_segment_align: 8
    .kernarg_segment_size: 136
    .language:       OpenCL C
    .language_version:
      - 2
      - 0
    .max_flat_workgroup_size: 256
    .name:           _ZL22rocblas_gemvtsm_kernelILb0ELi256EPKDF16_fKPfEviiT2_lPKT1_lilS7_lilS4_lPT3_lil
    .private_segment_fixed_size: 0
    .sgpr_count:     26
    .sgpr_spill_count: 0
    .symbol:         _ZL22rocblas_gemvtsm_kernelILb0ELi256EPKDF16_fKPfEviiT2_lPKT1_lilS7_lilS4_lPT3_lil.kd
    .uniform_work_group_size: 1
    .uses_dynamic_stack: false
    .vgpr_count:     20
    .vgpr_spill_count: 0
    .wavefront_size: 32
    .workgroup_processor_mode: 1
  - .args:
      - .offset:         0
        .size:           4
        .value_kind:     by_value
      - .address_space:  global
        .offset:         8
        .size:           8
        .value_kind:     global_buffer
      - .offset:         16
        .size:           8
        .value_kind:     by_value
      - .address_space:  global
        .offset:         24
        .size:           8
        .value_kind:     global_buffer
      - .offset:         32
        .size:           8
        .value_kind:     by_value
      - .offset:         40
        .size:           4
        .value_kind:     by_value
      - .offset:         48
        .size:           8
        .value_kind:     by_value
      - .actual_access:  read_only
        .address_space:  global
        .offset:         56
        .size:           8
        .value_kind:     global_buffer
      - .offset:         64
        .size:           4
        .value_kind:     by_value
      - .offset:         72
        .size:           4
        .value_kind:     hidden_block_count_x
      - .offset:         76
        .size:           4
        .value_kind:     hidden_block_count_y
      - .offset:         80
        .size:           4
        .value_kind:     hidden_block_count_z
      - .offset:         84
        .size:           2
        .value_kind:     hidden_group_size_x
      - .offset:         86
        .size:           2
        .value_kind:     hidden_group_size_y
      - .offset:         88
        .size:           2
        .value_kind:     hidden_group_size_z
      - .offset:         90
        .size:           2
        .value_kind:     hidden_remainder_x
      - .offset:         92
        .size:           2
        .value_kind:     hidden_remainder_y
      - .offset:         94
        .size:           2
        .value_kind:     hidden_remainder_z
      - .offset:         112
        .size:           8
        .value_kind:     hidden_global_offset_x
      - .offset:         120
        .size:           8
        .value_kind:     hidden_global_offset_y
      - .offset:         128
        .size:           8
        .value_kind:     hidden_global_offset_z
      - .offset:         136
        .size:           2
        .value_kind:     hidden_grid_dims
    .group_segment_fixed_size: 128
    .kernarg_segment_align: 8
    .kernarg_segment_size: 328
    .language:       OpenCL C
    .language_version:
      - 2
      - 0
    .max_flat_workgroup_size: 256
    .name:           _ZL23rocblas_gemvt_sn_reduceILi256ELi8EfPKfKPfEviT2_lPT3_lilPT1_i
    .private_segment_fixed_size: 0
    .sgpr_count:     25
    .sgpr_spill_count: 0
    .symbol:         _ZL23rocblas_gemvt_sn_reduceILi256ELi8EfPKfKPfEviT2_lPT3_lilPT1_i.kd
    .uniform_work_group_size: 1
    .uses_dynamic_stack: false
    .vgpr_count:     13
    .vgpr_spill_count: 0
    .wavefront_size: 32
    .workgroup_processor_mode: 1
  - .args:
      - .offset:         0
        .size:           4
        .value_kind:     by_value
      - .offset:         4
        .size:           4
        .value_kind:     by_value
      - .offset:         8
        .size:           8
        .value_kind:     by_value
      - .address_space:  global
        .offset:         16
        .size:           8
        .value_kind:     global_buffer
      - .offset:         24
        .size:           8
        .value_kind:     by_value
      - .offset:         32
        .size:           4
        .value_kind:     by_value
      - .offset:         40
        .size:           8
        .value_kind:     by_value
      - .actual_access:  read_only
        .address_space:  global
        .offset:         48
        .size:           8
        .value_kind:     global_buffer
      - .offset:         56
        .size:           4
        .value_kind:     by_value
      - .offset:         64
        .size:           4
        .value_kind:     hidden_block_count_x
      - .offset:         68
        .size:           4
        .value_kind:     hidden_block_count_y
      - .offset:         72
        .size:           4
        .value_kind:     hidden_block_count_z
      - .offset:         76
        .size:           2
        .value_kind:     hidden_group_size_x
      - .offset:         78
        .size:           2
        .value_kind:     hidden_group_size_y
      - .offset:         80
        .size:           2
        .value_kind:     hidden_group_size_z
      - .offset:         82
        .size:           2
        .value_kind:     hidden_remainder_x
      - .offset:         84
        .size:           2
        .value_kind:     hidden_remainder_y
      - .offset:         86
        .size:           2
        .value_kind:     hidden_remainder_z
      - .offset:         104
        .size:           8
        .value_kind:     hidden_global_offset_x
      - .offset:         112
        .size:           8
        .value_kind:     hidden_global_offset_y
      - .offset:         120
        .size:           8
        .value_kind:     hidden_global_offset_z
      - .offset:         128
        .size:           2
        .value_kind:     hidden_grid_dims
    .group_segment_fixed_size: 128
    .kernarg_segment_align: 8
    .kernarg_segment_size: 320
    .language:       OpenCL C
    .language_version:
      - 2
      - 0
    .max_flat_workgroup_size: 256
    .name:           _ZL23rocblas_gemvt_sn_reduceILi256ELi8EffKPfEviT2_lPT3_lilPT1_i
    .private_segment_fixed_size: 0
    .sgpr_count:     22
    .sgpr_spill_count: 0
    .symbol:         _ZL23rocblas_gemvt_sn_reduceILi256ELi8EffKPfEviT2_lPT3_lilPT1_i.kd
    .uniform_work_group_size: 1
    .uses_dynamic_stack: false
    .vgpr_count:     13
    .vgpr_spill_count: 0
    .wavefront_size: 32
    .workgroup_processor_mode: 1
  - .args:
      - .offset:         0
        .size:           4
        .value_kind:     by_value
      - .offset:         4
        .size:           4
        .value_kind:     by_value
      - .address_space:  global
        .offset:         8
        .size:           8
        .value_kind:     global_buffer
      - .offset:         16
        .size:           8
        .value_kind:     by_value
      - .address_space:  global
        .offset:         24
        .size:           8
        .value_kind:     global_buffer
      - .offset:         32
        .size:           8
        .value_kind:     by_value
      - .offset:         40
        .size:           4
        .value_kind:     by_value
      - .offset:         48
        .size:           8
        .value_kind:     by_value
      - .address_space:  global
        .offset:         56
        .size:           8
        .value_kind:     global_buffer
      - .offset:         64
        .size:           8
        .value_kind:     by_value
      - .offset:         72
        .size:           4
        .value_kind:     by_value
      - .offset:         80
        .size:           8
        .value_kind:     by_value
      - .address_space:  global
        .offset:         88
        .size:           8
        .value_kind:     global_buffer
      - .offset:         96
        .size:           8
        .value_kind:     by_value
      - .address_space:  global
        .offset:         104
        .size:           8
        .value_kind:     global_buffer
      - .offset:         112
        .size:           8
        .value_kind:     by_value
      - .offset:         120
        .size:           4
        .value_kind:     by_value
      - .offset:         128
        .size:           8
        .value_kind:     by_value
      - .offset:         136
        .size:           4
        .value_kind:     by_value
    .group_segment_fixed_size: 128
    .kernarg_segment_align: 8
    .kernarg_segment_size: 140
    .language:       OpenCL C
    .language_version:
      - 2
      - 0
    .max_flat_workgroup_size: 256
    .name:           _ZL32rocblas_gemvt_warp_reduce_kernelILb0ELi256EiPKDF16_PKfKPfEviiT3_lPKT2_lT1_lS9_lSA_lS6_lPT4_lSA_li
    .private_segment_fixed_size: 0
    .sgpr_count:     26
    .sgpr_spill_count: 0
    .symbol:         _ZL32rocblas_gemvt_warp_reduce_kernelILb0ELi256EiPKDF16_PKfKPfEviiT3_lPKT2_lT1_lS9_lSA_lS6_lPT4_lSA_li.kd
    .uniform_work_group_size: 1
    .uses_dynamic_stack: false
    .vgpr_count:     11
    .vgpr_spill_count: 0
    .wavefront_size: 32
    .workgroup_processor_mode: 1
  - .args:
      - .offset:         0
        .size:           4
        .value_kind:     by_value
      - .offset:         4
        .size:           4
        .value_kind:     by_value
      - .address_space:  global
        .offset:         8
        .size:           8
        .value_kind:     global_buffer
      - .offset:         16
        .size:           8
        .value_kind:     by_value
      - .address_space:  global
        .offset:         24
        .size:           8
        .value_kind:     global_buffer
      - .offset:         32
        .size:           8
        .value_kind:     by_value
      - .offset:         40
        .size:           8
        .value_kind:     by_value
      - .offset:         48
        .size:           8
        .value_kind:     by_value
      - .address_space:  global
        .offset:         56
        .size:           8
        .value_kind:     global_buffer
      - .offset:         64
        .size:           8
        .value_kind:     by_value
      - .offset:         72
        .size:           8
        .value_kind:     by_value
      - .offset:         80
        .size:           8
        .value_kind:     by_value
      - .address_space:  global
        .offset:         88
        .size:           8
        .value_kind:     global_buffer
      - .offset:         96
        .size:           8
        .value_kind:     by_value
      - .address_space:  global
        .offset:         104
        .size:           8
        .value_kind:     global_buffer
      - .offset:         112
        .size:           8
        .value_kind:     by_value
      - .offset:         120
        .size:           8
        .value_kind:     by_value
      - .offset:         128
        .size:           8
        .value_kind:     by_value
      - .offset:         136
        .size:           4
        .value_kind:     by_value
    .group_segment_fixed_size: 128
    .kernarg_segment_align: 8
    .kernarg_segment_size: 140
    .language:       OpenCL C
    .language_version:
      - 2
      - 0
    .max_flat_workgroup_size: 256
    .name:           _ZL32rocblas_gemvt_warp_reduce_kernelILb0ELi256ElPKDF16_PKfKPfEviiT3_lPKT2_lT1_lS9_lSA_lS6_lPT4_lSA_li
    .private_segment_fixed_size: 0
    .sgpr_count:     33
    .sgpr_spill_count: 0
    .symbol:         _ZL32rocblas_gemvt_warp_reduce_kernelILb0ELi256ElPKDF16_PKfKPfEviiT3_lPKT2_lT1_lS9_lSA_lS6_lPT4_lSA_li.kd
    .uniform_work_group_size: 1
    .uses_dynamic_stack: false
    .vgpr_count:     11
    .vgpr_spill_count: 0
    .wavefront_size: 32
    .workgroup_processor_mode: 1
  - .args:
      - .offset:         0
        .size:           4
        .value_kind:     by_value
      - .offset:         4
        .size:           4
        .value_kind:     by_value
      - .offset:         8
        .size:           4
        .value_kind:     by_value
      - .offset:         16
        .size:           8
        .value_kind:     by_value
      - .address_space:  global
        .offset:         24
        .size:           8
        .value_kind:     global_buffer
      - .offset:         32
        .size:           8
        .value_kind:     by_value
      - .offset:         40
        .size:           4
        .value_kind:     by_value
      - .offset:         48
        .size:           8
        .value_kind:     by_value
      - .address_space:  global
        .offset:         56
        .size:           8
        .value_kind:     global_buffer
      - .offset:         64
        .size:           8
        .value_kind:     by_value
      - .offset:         72
        .size:           4
        .value_kind:     by_value
      - .offset:         80
        .size:           8
        .value_kind:     by_value
      - .offset:         88
        .size:           4
        .value_kind:     by_value
      - .offset:         96
        .size:           8
        .value_kind:     by_value
      - .address_space:  global
        .offset:         104
        .size:           8
        .value_kind:     global_buffer
      - .offset:         112
        .size:           8
        .value_kind:     by_value
      - .offset:         120
        .size:           4
        .value_kind:     by_value
      - .offset:         128
        .size:           8
        .value_kind:     by_value
      - .offset:         136
        .size:           4
        .value_kind:     by_value
    .group_segment_fixed_size: 128
    .kernarg_segment_align: 8
    .kernarg_segment_size: 140
    .language:       OpenCL C
    .language_version:
      - 2
      - 0
    .max_flat_workgroup_size: 256
    .name:           _ZL32rocblas_gemvt_warp_reduce_kernelILb0ELi256EiPKDF16_fKPfEviiT3_lPKT2_lT1_lS7_lS8_lS4_lPT4_lS8_li
    .private_segment_fixed_size: 0
    .sgpr_count:     22
    .sgpr_spill_count: 0
    .symbol:         _ZL32rocblas_gemvt_warp_reduce_kernelILb0ELi256EiPKDF16_fKPfEviiT3_lPKT2_lT1_lS7_lS8_lS4_lPT4_lS8_li.kd
    .uniform_work_group_size: 1
    .uses_dynamic_stack: false
    .vgpr_count:     11
    .vgpr_spill_count: 0
    .wavefront_size: 32
    .workgroup_processor_mode: 1
  - .args:
      - .offset:         0
        .size:           4
        .value_kind:     by_value
      - .offset:         4
        .size:           4
        .value_kind:     by_value
      - .offset:         8
        .size:           4
        .value_kind:     by_value
      - .offset:         16
        .size:           8
        .value_kind:     by_value
      - .address_space:  global
        .offset:         24
        .size:           8
        .value_kind:     global_buffer
      - .offset:         32
        .size:           8
        .value_kind:     by_value
      - .offset:         40
        .size:           8
        .value_kind:     by_value
      - .offset:         48
        .size:           8
        .value_kind:     by_value
      - .address_space:  global
        .offset:         56
        .size:           8
        .value_kind:     global_buffer
      - .offset:         64
        .size:           8
        .value_kind:     by_value
      - .offset:         72
        .size:           8
        .value_kind:     by_value
      - .offset:         80
        .size:           8
        .value_kind:     by_value
      - .offset:         88
        .size:           4
        .value_kind:     by_value
      - .offset:         96
        .size:           8
        .value_kind:     by_value
      - .address_space:  global
        .offset:         104
        .size:           8
        .value_kind:     global_buffer
      - .offset:         112
        .size:           8
        .value_kind:     by_value
      - .offset:         120
        .size:           8
        .value_kind:     by_value
      - .offset:         128
        .size:           8
        .value_kind:     by_value
      - .offset:         136
        .size:           4
        .value_kind:     by_value
    .group_segment_fixed_size: 128
    .kernarg_segment_align: 8
    .kernarg_segment_size: 140
    .language:       OpenCL C
    .language_version:
      - 2
      - 0
    .max_flat_workgroup_size: 256
    .name:           _ZL32rocblas_gemvt_warp_reduce_kernelILb0ELi256ElPKDF16_fKPfEviiT3_lPKT2_lT1_lS7_lS8_lS4_lPT4_lS8_li
    .private_segment_fixed_size: 0
    .sgpr_count:     30
    .sgpr_spill_count: 0
    .symbol:         _ZL32rocblas_gemvt_warp_reduce_kernelILb0ELi256ElPKDF16_fKPfEviiT3_lPKT2_lT1_lS7_lS8_lS4_lPT4_lS8_li.kd
    .uniform_work_group_size: 1
    .uses_dynamic_stack: false
    .vgpr_count:     11
    .vgpr_spill_count: 0
    .wavefront_size: 32
    .workgroup_processor_mode: 1
  - .args:
      - .offset:         0
        .size:           4
        .value_kind:     by_value
      - .offset:         4
        .size:           4
        .value_kind:     by_value
      - .address_space:  global
        .offset:         8
        .size:           8
        .value_kind:     global_buffer
      - .offset:         16
        .size:           8
        .value_kind:     by_value
      - .address_space:  global
        .offset:         24
        .size:           8
        .value_kind:     global_buffer
      - .offset:         32
        .size:           8
        .value_kind:     by_value
      - .offset:         40
        .size:           4
        .value_kind:     by_value
      - .offset:         48
        .size:           8
        .value_kind:     by_value
      - .address_space:  global
        .offset:         56
        .size:           8
        .value_kind:     global_buffer
      - .offset:         64
        .size:           8
        .value_kind:     by_value
      - .offset:         72
        .size:           4
        .value_kind:     by_value
      - .offset:         80
        .size:           8
        .value_kind:     by_value
      - .address_space:  global
        .offset:         88
        .size:           8
        .value_kind:     global_buffer
      - .offset:         96
        .size:           8
        .value_kind:     by_value
      - .address_space:  global
        .offset:         104
        .size:           8
        .value_kind:     global_buffer
      - .offset:         112
        .size:           8
        .value_kind:     by_value
      - .offset:         120
        .size:           4
        .value_kind:     by_value
      - .offset:         128
        .size:           8
        .value_kind:     by_value
      - .offset:         136
        .size:           4
        .value_kind:     by_value
    .group_segment_fixed_size: 1024
    .kernarg_segment_align: 8
    .kernarg_segment_size: 140
    .language:       OpenCL C
    .language_version:
      - 2
      - 0
    .max_flat_workgroup_size: 256
    .name:           _ZL20rocblas_gemvt_kernelILb0ELi256EPKDF16_PKfKPfEviiT2_lPKT1_lilS9_lilS6_lPT3_lili
    .private_segment_fixed_size: 0
    .sgpr_count:     26
    .sgpr_spill_count: 0
    .symbol:         _ZL20rocblas_gemvt_kernelILb0ELi256EPKDF16_PKfKPfEviiT2_lPKT1_lilS9_lilS6_lPT3_lili.kd
    .uniform_work_group_size: 1
    .uses_dynamic_stack: false
    .vgpr_count:     10
    .vgpr_spill_count: 0
    .wavefront_size: 32
    .workgroup_processor_mode: 1
  - .args:
      - .offset:         0
        .size:           4
        .value_kind:     by_value
      - .offset:         4
        .size:           4
        .value_kind:     by_value
      - .offset:         8
        .size:           4
        .value_kind:     by_value
      - .offset:         16
        .size:           8
        .value_kind:     by_value
      - .address_space:  global
        .offset:         24
        .size:           8
        .value_kind:     global_buffer
      - .offset:         32
        .size:           8
        .value_kind:     by_value
      - .offset:         40
        .size:           4
        .value_kind:     by_value
      - .offset:         48
        .size:           8
        .value_kind:     by_value
      - .address_space:  global
        .offset:         56
        .size:           8
        .value_kind:     global_buffer
      - .offset:         64
        .size:           8
        .value_kind:     by_value
      - .offset:         72
        .size:           4
        .value_kind:     by_value
      - .offset:         80
        .size:           8
        .value_kind:     by_value
      - .offset:         88
        .size:           4
        .value_kind:     by_value
      - .offset:         96
        .size:           8
        .value_kind:     by_value
      - .address_space:  global
        .offset:         104
        .size:           8
        .value_kind:     global_buffer
      - .offset:         112
        .size:           8
        .value_kind:     by_value
      - .offset:         120
        .size:           4
        .value_kind:     by_value
      - .offset:         128
        .size:           8
        .value_kind:     by_value
      - .offset:         136
        .size:           4
        .value_kind:     by_value
    .group_segment_fixed_size: 1024
    .kernarg_segment_align: 8
    .kernarg_segment_size: 140
    .language:       OpenCL C
    .language_version:
      - 2
      - 0
    .max_flat_workgroup_size: 256
    .name:           _ZL20rocblas_gemvt_kernelILb0ELi256EPKDF16_fKPfEviiT2_lPKT1_lilS7_lilS4_lPT3_lili
    .private_segment_fixed_size: 0
    .sgpr_count:     26
    .sgpr_spill_count: 0
    .symbol:         _ZL20rocblas_gemvt_kernelILb0ELi256EPKDF16_fKPfEviiT2_lPKT1_lilS7_lilS4_lPT3_lili.kd
    .uniform_work_group_size: 1
    .uses_dynamic_stack: false
    .vgpr_count:     10
    .vgpr_spill_count: 0
    .wavefront_size: 32
    .workgroup_processor_mode: 1
  - .args:
      - .offset:         0
        .size:           4
        .value_kind:     by_value
      - .offset:         4
        .size:           4
        .value_kind:     by_value
      - .address_space:  global
        .offset:         8
        .size:           8
        .value_kind:     global_buffer
      - .offset:         16
        .size:           8
        .value_kind:     by_value
      - .address_space:  global
        .offset:         24
        .size:           8
        .value_kind:     global_buffer
      - .offset:         32
        .size:           8
        .value_kind:     by_value
      - .offset:         40
        .size:           4
        .value_kind:     by_value
      - .offset:         48
        .size:           8
        .value_kind:     by_value
      - .address_space:  global
        .offset:         56
        .size:           8
        .value_kind:     global_buffer
      - .offset:         64
        .size:           8
        .value_kind:     by_value
      - .offset:         72
        .size:           4
        .value_kind:     by_value
      - .offset:         80
        .size:           8
        .value_kind:     by_value
      - .address_space:  global
        .offset:         88
        .size:           8
        .value_kind:     global_buffer
      - .offset:         96
        .size:           8
        .value_kind:     by_value
      - .address_space:  global
        .offset:         104
        .size:           8
        .value_kind:     global_buffer
      - .offset:         112
        .size:           8
        .value_kind:     by_value
      - .offset:         120
        .size:           4
        .value_kind:     by_value
      - .offset:         128
        .size:           8
        .value_kind:     by_value
      - .offset:         136
        .size:           4
        .value_kind:     by_value
    .group_segment_fixed_size: 128
    .kernarg_segment_align: 8
    .kernarg_segment_size: 140
    .language:       OpenCL C
    .language_version:
      - 2
      - 0
    .max_flat_workgroup_size: 1024
    .name:           _ZL32rocblas_gemvt_warp_reduce_kernelILb0ELi1024EiPKDF16_PKfKPfEviiT3_lPKT2_lT1_lS9_lSA_lS6_lPT4_lSA_li
    .private_segment_fixed_size: 0
    .sgpr_count:     26
    .sgpr_spill_count: 0
    .symbol:         _ZL32rocblas_gemvt_warp_reduce_kernelILb0ELi1024EiPKDF16_PKfKPfEviiT3_lPKT2_lT1_lS9_lSA_lS6_lPT4_lSA_li.kd
    .uniform_work_group_size: 1
    .uses_dynamic_stack: false
    .vgpr_count:     11
    .vgpr_spill_count: 0
    .wavefront_size: 32
    .workgroup_processor_mode: 1
  - .args:
      - .offset:         0
        .size:           4
        .value_kind:     by_value
      - .offset:         4
        .size:           4
        .value_kind:     by_value
      - .address_space:  global
        .offset:         8
        .size:           8
        .value_kind:     global_buffer
      - .offset:         16
        .size:           8
        .value_kind:     by_value
      - .address_space:  global
        .offset:         24
        .size:           8
        .value_kind:     global_buffer
      - .offset:         32
        .size:           8
        .value_kind:     by_value
      - .offset:         40
        .size:           8
        .value_kind:     by_value
      - .offset:         48
        .size:           8
        .value_kind:     by_value
      - .address_space:  global
        .offset:         56
        .size:           8
        .value_kind:     global_buffer
      - .offset:         64
        .size:           8
        .value_kind:     by_value
      - .offset:         72
        .size:           8
        .value_kind:     by_value
      - .offset:         80
        .size:           8
        .value_kind:     by_value
      - .address_space:  global
        .offset:         88
        .size:           8
        .value_kind:     global_buffer
      - .offset:         96
        .size:           8
        .value_kind:     by_value
      - .address_space:  global
        .offset:         104
        .size:           8
        .value_kind:     global_buffer
      - .offset:         112
        .size:           8
        .value_kind:     by_value
      - .offset:         120
        .size:           8
        .value_kind:     by_value
      - .offset:         128
        .size:           8
        .value_kind:     by_value
      - .offset:         136
        .size:           4
        .value_kind:     by_value
    .group_segment_fixed_size: 128
    .kernarg_segment_align: 8
    .kernarg_segment_size: 140
    .language:       OpenCL C
    .language_version:
      - 2
      - 0
    .max_flat_workgroup_size: 1024
    .name:           _ZL32rocblas_gemvt_warp_reduce_kernelILb0ELi1024ElPKDF16_PKfKPfEviiT3_lPKT2_lT1_lS9_lSA_lS6_lPT4_lSA_li
    .private_segment_fixed_size: 0
    .sgpr_count:     33
    .sgpr_spill_count: 0
    .symbol:         _ZL32rocblas_gemvt_warp_reduce_kernelILb0ELi1024ElPKDF16_PKfKPfEviiT3_lPKT2_lT1_lS9_lSA_lS6_lPT4_lSA_li.kd
    .uniform_work_group_size: 1
    .uses_dynamic_stack: false
    .vgpr_count:     11
    .vgpr_spill_count: 0
    .wavefront_size: 32
    .workgroup_processor_mode: 1
  - .args:
      - .offset:         0
        .size:           4
        .value_kind:     by_value
      - .offset:         4
        .size:           4
        .value_kind:     by_value
      - .offset:         8
        .size:           4
        .value_kind:     by_value
      - .offset:         16
        .size:           8
        .value_kind:     by_value
      - .address_space:  global
        .offset:         24
        .size:           8
        .value_kind:     global_buffer
      - .offset:         32
        .size:           8
        .value_kind:     by_value
      - .offset:         40
        .size:           4
        .value_kind:     by_value
      - .offset:         48
        .size:           8
        .value_kind:     by_value
      - .address_space:  global
        .offset:         56
        .size:           8
        .value_kind:     global_buffer
      - .offset:         64
        .size:           8
        .value_kind:     by_value
      - .offset:         72
        .size:           4
        .value_kind:     by_value
      - .offset:         80
        .size:           8
        .value_kind:     by_value
      - .offset:         88
        .size:           4
        .value_kind:     by_value
      - .offset:         96
        .size:           8
        .value_kind:     by_value
      - .address_space:  global
        .offset:         104
        .size:           8
        .value_kind:     global_buffer
      - .offset:         112
        .size:           8
        .value_kind:     by_value
      - .offset:         120
        .size:           4
        .value_kind:     by_value
      - .offset:         128
        .size:           8
        .value_kind:     by_value
      - .offset:         136
        .size:           4
        .value_kind:     by_value
    .group_segment_fixed_size: 128
    .kernarg_segment_align: 8
    .kernarg_segment_size: 140
    .language:       OpenCL C
    .language_version:
      - 2
      - 0
    .max_flat_workgroup_size: 1024
    .name:           _ZL32rocblas_gemvt_warp_reduce_kernelILb0ELi1024EiPKDF16_fKPfEviiT3_lPKT2_lT1_lS7_lS8_lS4_lPT4_lS8_li
    .private_segment_fixed_size: 0
    .sgpr_count:     22
    .sgpr_spill_count: 0
    .symbol:         _ZL32rocblas_gemvt_warp_reduce_kernelILb0ELi1024EiPKDF16_fKPfEviiT3_lPKT2_lT1_lS7_lS8_lS4_lPT4_lS8_li.kd
    .uniform_work_group_size: 1
    .uses_dynamic_stack: false
    .vgpr_count:     11
    .vgpr_spill_count: 0
    .wavefront_size: 32
    .workgroup_processor_mode: 1
  - .args:
      - .offset:         0
        .size:           4
        .value_kind:     by_value
      - .offset:         4
        .size:           4
        .value_kind:     by_value
      - .offset:         8
        .size:           4
        .value_kind:     by_value
      - .offset:         16
        .size:           8
        .value_kind:     by_value
      - .address_space:  global
        .offset:         24
        .size:           8
        .value_kind:     global_buffer
      - .offset:         32
        .size:           8
        .value_kind:     by_value
      - .offset:         40
        .size:           8
        .value_kind:     by_value
      - .offset:         48
        .size:           8
        .value_kind:     by_value
      - .address_space:  global
        .offset:         56
        .size:           8
        .value_kind:     global_buffer
      - .offset:         64
        .size:           8
        .value_kind:     by_value
      - .offset:         72
        .size:           8
        .value_kind:     by_value
      - .offset:         80
        .size:           8
        .value_kind:     by_value
      - .offset:         88
        .size:           4
        .value_kind:     by_value
      - .offset:         96
        .size:           8
        .value_kind:     by_value
      - .address_space:  global
        .offset:         104
        .size:           8
        .value_kind:     global_buffer
      - .offset:         112
        .size:           8
        .value_kind:     by_value
      - .offset:         120
        .size:           8
        .value_kind:     by_value
      - .offset:         128
        .size:           8
        .value_kind:     by_value
      - .offset:         136
        .size:           4
        .value_kind:     by_value
    .group_segment_fixed_size: 128
    .kernarg_segment_align: 8
    .kernarg_segment_size: 140
    .language:       OpenCL C
    .language_version:
      - 2
      - 0
    .max_flat_workgroup_size: 1024
    .name:           _ZL32rocblas_gemvt_warp_reduce_kernelILb0ELi1024ElPKDF16_fKPfEviiT3_lPKT2_lT1_lS7_lS8_lS4_lPT4_lS8_li
    .private_segment_fixed_size: 0
    .sgpr_count:     30
    .sgpr_spill_count: 0
    .symbol:         _ZL32rocblas_gemvt_warp_reduce_kernelILb0ELi1024ElPKDF16_fKPfEviiT3_lPKT2_lT1_lS7_lS8_lS4_lPT4_lS8_li.kd
    .uniform_work_group_size: 1
    .uses_dynamic_stack: false
    .vgpr_count:     11
    .vgpr_spill_count: 0
    .wavefront_size: 32
    .workgroup_processor_mode: 1
  - .args:
      - .offset:         0
        .size:           4
        .value_kind:     by_value
      - .offset:         4
        .size:           4
        .value_kind:     by_value
      - .address_space:  global
        .offset:         8
        .size:           8
        .value_kind:     global_buffer
      - .offset:         16
        .size:           8
        .value_kind:     by_value
      - .address_space:  global
        .offset:         24
        .size:           8
        .value_kind:     global_buffer
      - .offset:         32
        .size:           8
        .value_kind:     by_value
      - .offset:         40
        .size:           4
        .value_kind:     by_value
      - .offset:         48
        .size:           8
        .value_kind:     by_value
      - .address_space:  global
        .offset:         56
        .size:           8
        .value_kind:     global_buffer
      - .offset:         64
        .size:           8
        .value_kind:     by_value
      - .offset:         72
        .size:           4
        .value_kind:     by_value
      - .offset:         80
        .size:           8
        .value_kind:     by_value
      - .address_space:  global
        .offset:         88
        .size:           8
        .value_kind:     global_buffer
      - .offset:         96
        .size:           8
        .value_kind:     by_value
      - .address_space:  global
        .offset:         104
        .size:           8
        .value_kind:     global_buffer
      - .offset:         112
        .size:           8
        .value_kind:     by_value
      - .offset:         120
        .size:           4
        .value_kind:     by_value
      - .offset:         128
        .size:           8
        .value_kind:     by_value
    .group_segment_fixed_size: 256
    .kernarg_segment_align: 8
    .kernarg_segment_size: 136
    .language:       OpenCL C
    .language_version:
      - 2
      - 0
    .max_flat_workgroup_size: 256
    .name:           _ZL22rocblas_gemvtsm_kernelILb1ELi256EPKDF16_PKfKPfEviiT2_lPKT1_lilS9_lilS6_lPT3_lil
    .private_segment_fixed_size: 0
    .sgpr_count:     26
    .sgpr_spill_count: 0
    .symbol:         _ZL22rocblas_gemvtsm_kernelILb1ELi256EPKDF16_PKfKPfEviiT2_lPKT1_lilS9_lilS6_lPT3_lil.kd
    .uniform_work_group_size: 1
    .uses_dynamic_stack: false
    .vgpr_count:     20
    .vgpr_spill_count: 0
    .wavefront_size: 32
    .workgroup_processor_mode: 1
  - .args:
      - .offset:         0
        .size:           4
        .value_kind:     by_value
      - .offset:         4
        .size:           4
        .value_kind:     by_value
      - .offset:         8
        .size:           4
        .value_kind:     by_value
      - .offset:         16
        .size:           8
        .value_kind:     by_value
      - .address_space:  global
        .offset:         24
        .size:           8
        .value_kind:     global_buffer
      - .offset:         32
        .size:           8
        .value_kind:     by_value
      - .offset:         40
        .size:           4
        .value_kind:     by_value
      - .offset:         48
        .size:           8
        .value_kind:     by_value
      - .address_space:  global
        .offset:         56
        .size:           8
        .value_kind:     global_buffer
      - .offset:         64
        .size:           8
        .value_kind:     by_value
      - .offset:         72
        .size:           4
        .value_kind:     by_value
      - .offset:         80
        .size:           8
        .value_kind:     by_value
      - .offset:         88
        .size:           4
        .value_kind:     by_value
      - .offset:         96
        .size:           8
        .value_kind:     by_value
      - .address_space:  global
        .offset:         104
        .size:           8
        .value_kind:     global_buffer
      - .offset:         112
        .size:           8
        .value_kind:     by_value
      - .offset:         120
        .size:           4
        .value_kind:     by_value
      - .offset:         128
        .size:           8
        .value_kind:     by_value
    .group_segment_fixed_size: 256
    .kernarg_segment_align: 8
    .kernarg_segment_size: 136
    .language:       OpenCL C
    .language_version:
      - 2
      - 0
    .max_flat_workgroup_size: 256
    .name:           _ZL22rocblas_gemvtsm_kernelILb1ELi256EPKDF16_fKPfEviiT2_lPKT1_lilS7_lilS4_lPT3_lil
    .private_segment_fixed_size: 0
    .sgpr_count:     26
    .sgpr_spill_count: 0
    .symbol:         _ZL22rocblas_gemvtsm_kernelILb1ELi256EPKDF16_fKPfEviiT2_lPKT1_lilS7_lilS4_lPT3_lil.kd
    .uniform_work_group_size: 1
    .uses_dynamic_stack: false
    .vgpr_count:     20
    .vgpr_spill_count: 0
    .wavefront_size: 32
    .workgroup_processor_mode: 1
  - .args:
      - .offset:         0
        .size:           4
        .value_kind:     by_value
      - .offset:         4
        .size:           4
        .value_kind:     by_value
      - .address_space:  global
        .offset:         8
        .size:           8
        .value_kind:     global_buffer
      - .offset:         16
        .size:           8
        .value_kind:     by_value
      - .address_space:  global
        .offset:         24
        .size:           8
        .value_kind:     global_buffer
      - .offset:         32
        .size:           8
        .value_kind:     by_value
      - .offset:         40
        .size:           4
        .value_kind:     by_value
      - .offset:         48
        .size:           8
        .value_kind:     by_value
      - .address_space:  global
        .offset:         56
        .size:           8
        .value_kind:     global_buffer
      - .offset:         64
        .size:           8
        .value_kind:     by_value
      - .offset:         72
        .size:           4
        .value_kind:     by_value
      - .offset:         80
        .size:           8
        .value_kind:     by_value
      - .address_space:  global
        .offset:         88
        .size:           8
        .value_kind:     global_buffer
      - .offset:         96
        .size:           8
        .value_kind:     by_value
      - .address_space:  global
        .offset:         104
        .size:           8
        .value_kind:     global_buffer
      - .offset:         112
        .size:           8
        .value_kind:     by_value
      - .offset:         120
        .size:           4
        .value_kind:     by_value
      - .offset:         128
        .size:           8
        .value_kind:     by_value
      - .offset:         136
        .size:           4
        .value_kind:     by_value
    .group_segment_fixed_size: 1024
    .kernarg_segment_align: 8
    .kernarg_segment_size: 140
    .language:       OpenCL C
    .language_version:
      - 2
      - 0
    .max_flat_workgroup_size: 256
    .name:           _ZL20rocblas_gemvt_kernelILb1ELi256EPKDF16_PKfKPfEviiT2_lPKT1_lilS9_lilS6_lPT3_lili
    .private_segment_fixed_size: 0
    .sgpr_count:     26
    .sgpr_spill_count: 0
    .symbol:         _ZL20rocblas_gemvt_kernelILb1ELi256EPKDF16_PKfKPfEviiT2_lPKT1_lilS9_lilS6_lPT3_lili.kd
    .uniform_work_group_size: 1
    .uses_dynamic_stack: false
    .vgpr_count:     10
    .vgpr_spill_count: 0
    .wavefront_size: 32
    .workgroup_processor_mode: 1
  - .args:
      - .offset:         0
        .size:           4
        .value_kind:     by_value
      - .offset:         4
        .size:           4
        .value_kind:     by_value
      - .offset:         8
        .size:           4
        .value_kind:     by_value
      - .offset:         16
        .size:           8
        .value_kind:     by_value
      - .address_space:  global
        .offset:         24
        .size:           8
        .value_kind:     global_buffer
      - .offset:         32
        .size:           8
        .value_kind:     by_value
      - .offset:         40
        .size:           4
        .value_kind:     by_value
      - .offset:         48
        .size:           8
        .value_kind:     by_value
      - .address_space:  global
        .offset:         56
        .size:           8
        .value_kind:     global_buffer
      - .offset:         64
        .size:           8
        .value_kind:     by_value
      - .offset:         72
        .size:           4
        .value_kind:     by_value
      - .offset:         80
        .size:           8
        .value_kind:     by_value
      - .offset:         88
        .size:           4
        .value_kind:     by_value
      - .offset:         96
        .size:           8
        .value_kind:     by_value
      - .address_space:  global
        .offset:         104
        .size:           8
        .value_kind:     global_buffer
      - .offset:         112
        .size:           8
        .value_kind:     by_value
      - .offset:         120
        .size:           4
        .value_kind:     by_value
      - .offset:         128
        .size:           8
        .value_kind:     by_value
      - .offset:         136
        .size:           4
        .value_kind:     by_value
    .group_segment_fixed_size: 1024
    .kernarg_segment_align: 8
    .kernarg_segment_size: 140
    .language:       OpenCL C
    .language_version:
      - 2
      - 0
    .max_flat_workgroup_size: 256
    .name:           _ZL20rocblas_gemvt_kernelILb1ELi256EPKDF16_fKPfEviiT2_lPKT1_lilS7_lilS4_lPT3_lili
    .private_segment_fixed_size: 0
    .sgpr_count:     26
    .sgpr_spill_count: 0
    .symbol:         _ZL20rocblas_gemvt_kernelILb1ELi256EPKDF16_fKPfEviiT2_lPKT1_lilS7_lilS4_lPT3_lili.kd
    .uniform_work_group_size: 1
    .uses_dynamic_stack: false
    .vgpr_count:     10
    .vgpr_spill_count: 0
    .wavefront_size: 32
    .workgroup_processor_mode: 1
  - .args:
      - .offset:         0
        .size:           4
        .value_kind:     by_value
      - .offset:         4
        .size:           4
        .value_kind:     by_value
      - .address_space:  global
        .offset:         8
        .size:           8
        .value_kind:     global_buffer
      - .offset:         16
        .size:           8
        .value_kind:     by_value
      - .address_space:  global
        .offset:         24
        .size:           8
        .value_kind:     global_buffer
      - .offset:         32
        .size:           8
        .value_kind:     by_value
      - .offset:         40
        .size:           4
        .value_kind:     by_value
      - .offset:         48
        .size:           8
        .value_kind:     by_value
      - .address_space:  global
        .offset:         56
        .size:           8
        .value_kind:     global_buffer
      - .offset:         64
        .size:           8
        .value_kind:     by_value
      - .offset:         72
        .size:           4
        .value_kind:     by_value
      - .offset:         80
        .size:           8
        .value_kind:     by_value
      - .address_space:  global
        .offset:         88
        .size:           8
        .value_kind:     global_buffer
      - .offset:         96
        .size:           8
        .value_kind:     by_value
      - .address_space:  global
        .offset:         104
        .size:           8
        .value_kind:     global_buffer
      - .offset:         112
        .size:           8
        .value_kind:     by_value
      - .offset:         120
        .size:           4
        .value_kind:     by_value
      - .offset:         128
        .size:           8
        .value_kind:     by_value
      - .offset:         136
        .size:           4
        .value_kind:     by_value
    .group_segment_fixed_size: 128
    .kernarg_segment_align: 8
    .kernarg_segment_size: 140
    .language:       OpenCL C
    .language_version:
      - 2
      - 0
    .max_flat_workgroup_size: 1024
    .name:           _ZL32rocblas_gemvt_warp_reduce_kernelILb1ELi1024EiPKDF16_PKfKPfEviiT3_lPKT2_lT1_lS9_lSA_lS6_lPT4_lSA_li
    .private_segment_fixed_size: 0
    .sgpr_count:     26
    .sgpr_spill_count: 0
    .symbol:         _ZL32rocblas_gemvt_warp_reduce_kernelILb1ELi1024EiPKDF16_PKfKPfEviiT3_lPKT2_lT1_lS9_lSA_lS6_lPT4_lSA_li.kd
    .uniform_work_group_size: 1
    .uses_dynamic_stack: false
    .vgpr_count:     11
    .vgpr_spill_count: 0
    .wavefront_size: 32
    .workgroup_processor_mode: 1
  - .args:
      - .offset:         0
        .size:           4
        .value_kind:     by_value
      - .offset:         4
        .size:           4
        .value_kind:     by_value
      - .address_space:  global
        .offset:         8
        .size:           8
        .value_kind:     global_buffer
      - .offset:         16
        .size:           8
        .value_kind:     by_value
      - .address_space:  global
        .offset:         24
        .size:           8
        .value_kind:     global_buffer
      - .offset:         32
        .size:           8
        .value_kind:     by_value
      - .offset:         40
        .size:           8
        .value_kind:     by_value
      - .offset:         48
        .size:           8
        .value_kind:     by_value
      - .address_space:  global
        .offset:         56
        .size:           8
        .value_kind:     global_buffer
      - .offset:         64
        .size:           8
        .value_kind:     by_value
      - .offset:         72
        .size:           8
        .value_kind:     by_value
      - .offset:         80
        .size:           8
        .value_kind:     by_value
      - .address_space:  global
        .offset:         88
        .size:           8
        .value_kind:     global_buffer
      - .offset:         96
        .size:           8
        .value_kind:     by_value
      - .address_space:  global
        .offset:         104
        .size:           8
        .value_kind:     global_buffer
      - .offset:         112
        .size:           8
        .value_kind:     by_value
      - .offset:         120
        .size:           8
        .value_kind:     by_value
      - .offset:         128
        .size:           8
        .value_kind:     by_value
      - .offset:         136
        .size:           4
        .value_kind:     by_value
    .group_segment_fixed_size: 128
    .kernarg_segment_align: 8
    .kernarg_segment_size: 140
    .language:       OpenCL C
    .language_version:
      - 2
      - 0
    .max_flat_workgroup_size: 1024
    .name:           _ZL32rocblas_gemvt_warp_reduce_kernelILb1ELi1024ElPKDF16_PKfKPfEviiT3_lPKT2_lT1_lS9_lSA_lS6_lPT4_lSA_li
    .private_segment_fixed_size: 0
    .sgpr_count:     33
    .sgpr_spill_count: 0
    .symbol:         _ZL32rocblas_gemvt_warp_reduce_kernelILb1ELi1024ElPKDF16_PKfKPfEviiT3_lPKT2_lT1_lS9_lSA_lS6_lPT4_lSA_li.kd
    .uniform_work_group_size: 1
    .uses_dynamic_stack: false
    .vgpr_count:     11
    .vgpr_spill_count: 0
    .wavefront_size: 32
    .workgroup_processor_mode: 1
  - .args:
      - .offset:         0
        .size:           4
        .value_kind:     by_value
      - .offset:         4
        .size:           4
        .value_kind:     by_value
      - .offset:         8
        .size:           4
        .value_kind:     by_value
      - .offset:         16
        .size:           8
        .value_kind:     by_value
      - .address_space:  global
        .offset:         24
        .size:           8
        .value_kind:     global_buffer
      - .offset:         32
        .size:           8
        .value_kind:     by_value
      - .offset:         40
        .size:           4
        .value_kind:     by_value
      - .offset:         48
        .size:           8
        .value_kind:     by_value
      - .address_space:  global
        .offset:         56
        .size:           8
        .value_kind:     global_buffer
      - .offset:         64
        .size:           8
        .value_kind:     by_value
      - .offset:         72
        .size:           4
        .value_kind:     by_value
      - .offset:         80
        .size:           8
        .value_kind:     by_value
      - .offset:         88
        .size:           4
        .value_kind:     by_value
      - .offset:         96
        .size:           8
        .value_kind:     by_value
      - .address_space:  global
        .offset:         104
        .size:           8
        .value_kind:     global_buffer
      - .offset:         112
        .size:           8
        .value_kind:     by_value
      - .offset:         120
        .size:           4
        .value_kind:     by_value
      - .offset:         128
        .size:           8
        .value_kind:     by_value
      - .offset:         136
        .size:           4
        .value_kind:     by_value
    .group_segment_fixed_size: 128
    .kernarg_segment_align: 8
    .kernarg_segment_size: 140
    .language:       OpenCL C
    .language_version:
      - 2
      - 0
    .max_flat_workgroup_size: 1024
    .name:           _ZL32rocblas_gemvt_warp_reduce_kernelILb1ELi1024EiPKDF16_fKPfEviiT3_lPKT2_lT1_lS7_lS8_lS4_lPT4_lS8_li
    .private_segment_fixed_size: 0
    .sgpr_count:     22
    .sgpr_spill_count: 0
    .symbol:         _ZL32rocblas_gemvt_warp_reduce_kernelILb1ELi1024EiPKDF16_fKPfEviiT3_lPKT2_lT1_lS7_lS8_lS4_lPT4_lS8_li.kd
    .uniform_work_group_size: 1
    .uses_dynamic_stack: false
    .vgpr_count:     11
    .vgpr_spill_count: 0
    .wavefront_size: 32
    .workgroup_processor_mode: 1
  - .args:
      - .offset:         0
        .size:           4
        .value_kind:     by_value
      - .offset:         4
        .size:           4
        .value_kind:     by_value
      - .offset:         8
        .size:           4
        .value_kind:     by_value
      - .offset:         16
        .size:           8
        .value_kind:     by_value
      - .address_space:  global
        .offset:         24
        .size:           8
        .value_kind:     global_buffer
      - .offset:         32
        .size:           8
        .value_kind:     by_value
      - .offset:         40
        .size:           8
        .value_kind:     by_value
      - .offset:         48
        .size:           8
        .value_kind:     by_value
      - .address_space:  global
        .offset:         56
        .size:           8
        .value_kind:     global_buffer
      - .offset:         64
        .size:           8
        .value_kind:     by_value
      - .offset:         72
        .size:           8
        .value_kind:     by_value
      - .offset:         80
        .size:           8
        .value_kind:     by_value
      - .offset:         88
        .size:           4
        .value_kind:     by_value
      - .offset:         96
        .size:           8
        .value_kind:     by_value
      - .address_space:  global
        .offset:         104
        .size:           8
        .value_kind:     global_buffer
      - .offset:         112
        .size:           8
        .value_kind:     by_value
      - .offset:         120
        .size:           8
        .value_kind:     by_value
      - .offset:         128
        .size:           8
        .value_kind:     by_value
      - .offset:         136
        .size:           4
        .value_kind:     by_value
    .group_segment_fixed_size: 128
    .kernarg_segment_align: 8
    .kernarg_segment_size: 140
    .language:       OpenCL C
    .language_version:
      - 2
      - 0
    .max_flat_workgroup_size: 1024
    .name:           _ZL32rocblas_gemvt_warp_reduce_kernelILb1ELi1024ElPKDF16_fKPfEviiT3_lPKT2_lT1_lS7_lS8_lS4_lPT4_lS8_li
    .private_segment_fixed_size: 0
    .sgpr_count:     30
    .sgpr_spill_count: 0
    .symbol:         _ZL32rocblas_gemvt_warp_reduce_kernelILb1ELi1024ElPKDF16_fKPfEviiT3_lPKT2_lT1_lS7_lS8_lS4_lPT4_lS8_li.kd
    .uniform_work_group_size: 1
    .uses_dynamic_stack: false
    .vgpr_count:     11
    .vgpr_spill_count: 0
    .wavefront_size: 32
    .workgroup_processor_mode: 1
  - .args:
      - .offset:         0
        .size:           4
        .value_kind:     by_value
      - .offset:         4
        .size:           4
        .value_kind:     by_value
      - .address_space:  global
        .offset:         8
        .size:           8
        .value_kind:     global_buffer
      - .offset:         16
        .size:           8
        .value_kind:     by_value
      - .address_space:  global
        .offset:         24
        .size:           8
        .value_kind:     global_buffer
      - .offset:         32
        .size:           8
        .value_kind:     by_value
      - .offset:         40
        .size:           4
        .value_kind:     by_value
      - .offset:         48
        .size:           8
        .value_kind:     by_value
      - .address_space:  global
        .offset:         56
        .size:           8
        .value_kind:     global_buffer
      - .offset:         64
        .size:           8
        .value_kind:     by_value
      - .offset:         72
        .size:           4
        .value_kind:     by_value
      - .offset:         80
        .size:           8
        .value_kind:     by_value
      - .address_space:  global
        .offset:         88
        .size:           8
        .value_kind:     global_buffer
      - .offset:         96
        .size:           8
        .value_kind:     by_value
      - .address_space:  global
        .offset:         104
        .size:           8
        .value_kind:     global_buffer
      - .offset:         112
        .size:           8
        .value_kind:     by_value
      - .offset:         120
        .size:           4
        .value_kind:     by_value
      - .offset:         128
        .size:           8
        .value_kind:     by_value
      - .offset:         136
        .size:           4
        .value_kind:     by_value
    .group_segment_fixed_size: 0
    .kernarg_segment_align: 8
    .kernarg_segment_size: 140
    .language:       OpenCL C
    .language_version:
      - 2
      - 0
    .max_flat_workgroup_size: 768
    .name:           _ZL34rocblas_gemvn_sm_mn_batched_kernelILi32ELi24E16rocblas_bfloat16PKfS0_EviiT2_lPKT1_lilS6_lilS3_lPT3_lili
    .private_segment_fixed_size: 0
    .sgpr_count:     0
    .sgpr_spill_count: 0
    .symbol:         _ZL34rocblas_gemvn_sm_mn_batched_kernelILi32ELi24E16rocblas_bfloat16PKfS0_EviiT2_lPKT1_lilS6_lilS3_lPT3_lili.kd
    .uniform_work_group_size: 1
    .uses_dynamic_stack: false
    .vgpr_count:     0
    .vgpr_spill_count: 0
    .wavefront_size: 32
    .workgroup_processor_mode: 1
  - .args:
      - .offset:         0
        .size:           4
        .value_kind:     by_value
      - .offset:         4
        .size:           4
        .value_kind:     by_value
      - .offset:         8
        .size:           4
        .value_kind:     by_value
      - .offset:         16
        .size:           8
        .value_kind:     by_value
      - .address_space:  global
        .offset:         24
        .size:           8
        .value_kind:     global_buffer
      - .offset:         32
        .size:           8
        .value_kind:     by_value
      - .offset:         40
        .size:           4
        .value_kind:     by_value
      - .offset:         48
        .size:           8
        .value_kind:     by_value
      - .address_space:  global
        .offset:         56
        .size:           8
        .value_kind:     global_buffer
      - .offset:         64
        .size:           8
        .value_kind:     by_value
      - .offset:         72
        .size:           4
        .value_kind:     by_value
      - .offset:         80
        .size:           8
        .value_kind:     by_value
      - .offset:         88
        .size:           4
        .value_kind:     by_value
      - .offset:         96
        .size:           8
        .value_kind:     by_value
      - .address_space:  global
        .offset:         104
        .size:           8
        .value_kind:     global_buffer
      - .offset:         112
        .size:           8
        .value_kind:     by_value
      - .offset:         120
        .size:           4
        .value_kind:     by_value
      - .offset:         128
        .size:           8
        .value_kind:     by_value
      - .offset:         136
        .size:           4
        .value_kind:     by_value
    .group_segment_fixed_size: 0
    .kernarg_segment_align: 8
    .kernarg_segment_size: 140
    .language:       OpenCL C
    .language_version:
      - 2
      - 0
    .max_flat_workgroup_size: 768
    .name:           _ZL34rocblas_gemvn_sm_mn_batched_kernelILi32ELi24E16rocblas_bfloat16fS0_EviiT2_lPKT1_lilS4_lilS1_lPT3_lili
    .private_segment_fixed_size: 0
    .sgpr_count:     0
    .sgpr_spill_count: 0
    .symbol:         _ZL34rocblas_gemvn_sm_mn_batched_kernelILi32ELi24E16rocblas_bfloat16fS0_EviiT2_lPKT1_lilS4_lilS1_lPT3_lili.kd
    .uniform_work_group_size: 1
    .uses_dynamic_stack: false
    .vgpr_count:     0
    .vgpr_spill_count: 0
    .wavefront_size: 32
    .workgroup_processor_mode: 1
  - .args:
      - .offset:         0
        .size:           4
        .value_kind:     by_value
      - .offset:         4
        .size:           4
        .value_kind:     by_value
      - .address_space:  global
        .offset:         8
        .size:           8
        .value_kind:     global_buffer
      - .offset:         16
        .size:           8
        .value_kind:     by_value
      - .address_space:  global
        .offset:         24
        .size:           8
        .value_kind:     global_buffer
      - .offset:         32
        .size:           8
        .value_kind:     by_value
      - .offset:         40
        .size:           4
        .value_kind:     by_value
      - .offset:         48
        .size:           8
        .value_kind:     by_value
      - .address_space:  global
        .offset:         56
        .size:           8
        .value_kind:     global_buffer
      - .offset:         64
        .size:           8
        .value_kind:     by_value
      - .offset:         72
        .size:           4
        .value_kind:     by_value
      - .offset:         80
        .size:           8
        .value_kind:     by_value
      - .address_space:  global
        .offset:         88
        .size:           8
        .value_kind:     global_buffer
      - .offset:         96
        .size:           8
        .value_kind:     by_value
      - .address_space:  global
        .offset:         104
        .size:           8
        .value_kind:     global_buffer
      - .offset:         112
        .size:           8
        .value_kind:     by_value
      - .offset:         120
        .size:           4
        .value_kind:     by_value
      - .offset:         128
        .size:           8
        .value_kind:     by_value
      - .offset:         136
        .size:           4
        .value_kind:     by_value
      - .offset:         144
        .size:           4
        .value_kind:     hidden_block_count_x
      - .offset:         148
        .size:           4
        .value_kind:     hidden_block_count_y
      - .offset:         152
        .size:           4
        .value_kind:     hidden_block_count_z
      - .offset:         156
        .size:           2
        .value_kind:     hidden_group_size_x
      - .offset:         158
        .size:           2
        .value_kind:     hidden_group_size_y
      - .offset:         160
        .size:           2
        .value_kind:     hidden_group_size_z
      - .offset:         162
        .size:           2
        .value_kind:     hidden_remainder_x
      - .offset:         164
        .size:           2
        .value_kind:     hidden_remainder_y
      - .offset:         166
        .size:           2
        .value_kind:     hidden_remainder_z
      - .offset:         184
        .size:           8
        .value_kind:     hidden_global_offset_x
      - .offset:         192
        .size:           8
        .value_kind:     hidden_global_offset_y
      - .offset:         200
        .size:           8
        .value_kind:     hidden_global_offset_z
      - .offset:         208
        .size:           2
        .value_kind:     hidden_grid_dims
    .group_segment_fixed_size: 4096
    .kernarg_segment_align: 8
    .kernarg_segment_size: 400
    .language:       OpenCL C
    .language_version:
      - 2
      - 0
    .max_flat_workgroup_size: 256
    .name:           _ZL20rocblas_gemvn_kernelILi64ELi4Ei16rocblas_bfloat16PKfS0_EviiT3_lPKT2_lT1_lS6_lS7_lS3_lPT4_lS7_li
    .private_segment_fixed_size: 0
    .sgpr_count:     30
    .sgpr_spill_count: 0
    .symbol:         _ZL20rocblas_gemvn_kernelILi64ELi4Ei16rocblas_bfloat16PKfS0_EviiT3_lPKT2_lT1_lS6_lS7_lS3_lPT4_lS7_li.kd
    .uniform_work_group_size: 1
    .uses_dynamic_stack: false
    .vgpr_count:     42
    .vgpr_spill_count: 0
    .wavefront_size: 32
    .workgroup_processor_mode: 1
  - .args:
      - .offset:         0
        .size:           4
        .value_kind:     by_value
      - .offset:         4
        .size:           4
        .value_kind:     by_value
      - .address_space:  global
        .offset:         8
        .size:           8
        .value_kind:     global_buffer
      - .offset:         16
        .size:           8
        .value_kind:     by_value
      - .address_space:  global
        .offset:         24
        .size:           8
        .value_kind:     global_buffer
      - .offset:         32
        .size:           8
        .value_kind:     by_value
      - .offset:         40
        .size:           8
        .value_kind:     by_value
      - .offset:         48
        .size:           8
        .value_kind:     by_value
      - .address_space:  global
        .offset:         56
        .size:           8
        .value_kind:     global_buffer
      - .offset:         64
        .size:           8
        .value_kind:     by_value
      - .offset:         72
        .size:           8
        .value_kind:     by_value
      - .offset:         80
        .size:           8
        .value_kind:     by_value
      - .address_space:  global
        .offset:         88
        .size:           8
        .value_kind:     global_buffer
      - .offset:         96
        .size:           8
        .value_kind:     by_value
      - .address_space:  global
        .offset:         104
        .size:           8
        .value_kind:     global_buffer
      - .offset:         112
        .size:           8
        .value_kind:     by_value
      - .offset:         120
        .size:           8
        .value_kind:     by_value
      - .offset:         128
        .size:           8
        .value_kind:     by_value
      - .offset:         136
        .size:           4
        .value_kind:     by_value
      - .offset:         144
        .size:           4
        .value_kind:     hidden_block_count_x
      - .offset:         148
        .size:           4
        .value_kind:     hidden_block_count_y
      - .offset:         152
        .size:           4
        .value_kind:     hidden_block_count_z
      - .offset:         156
        .size:           2
        .value_kind:     hidden_group_size_x
      - .offset:         158
        .size:           2
        .value_kind:     hidden_group_size_y
      - .offset:         160
        .size:           2
        .value_kind:     hidden_group_size_z
      - .offset:         162
        .size:           2
        .value_kind:     hidden_remainder_x
      - .offset:         164
        .size:           2
        .value_kind:     hidden_remainder_y
      - .offset:         166
        .size:           2
        .value_kind:     hidden_remainder_z
      - .offset:         184
        .size:           8
        .value_kind:     hidden_global_offset_x
      - .offset:         192
        .size:           8
        .value_kind:     hidden_global_offset_y
      - .offset:         200
        .size:           8
        .value_kind:     hidden_global_offset_z
      - .offset:         208
        .size:           2
        .value_kind:     hidden_grid_dims
    .group_segment_fixed_size: 4096
    .kernarg_segment_align: 8
    .kernarg_segment_size: 400
    .language:       OpenCL C
    .language_version:
      - 2
      - 0
    .max_flat_workgroup_size: 256
    .name:           _ZL20rocblas_gemvn_kernelILi64ELi4El16rocblas_bfloat16PKfS0_EviiT3_lPKT2_lT1_lS6_lS7_lS3_lPT4_lS7_li
    .private_segment_fixed_size: 0
    .sgpr_count:     54
    .sgpr_spill_count: 0
    .symbol:         _ZL20rocblas_gemvn_kernelILi64ELi4El16rocblas_bfloat16PKfS0_EviiT3_lPKT2_lT1_lS6_lS7_lS3_lPT4_lS7_li.kd
    .uniform_work_group_size: 1
    .uses_dynamic_stack: false
    .vgpr_count:     52
    .vgpr_spill_count: 0
    .wavefront_size: 32
    .workgroup_processor_mode: 1
  - .args:
      - .offset:         0
        .size:           4
        .value_kind:     by_value
      - .offset:         4
        .size:           4
        .value_kind:     by_value
      - .offset:         8
        .size:           4
        .value_kind:     by_value
      - .offset:         16
        .size:           8
        .value_kind:     by_value
      - .address_space:  global
        .offset:         24
        .size:           8
        .value_kind:     global_buffer
      - .offset:         32
        .size:           8
        .value_kind:     by_value
      - .offset:         40
        .size:           4
        .value_kind:     by_value
      - .offset:         48
        .size:           8
        .value_kind:     by_value
      - .address_space:  global
        .offset:         56
        .size:           8
        .value_kind:     global_buffer
      - .offset:         64
        .size:           8
        .value_kind:     by_value
      - .offset:         72
        .size:           4
        .value_kind:     by_value
      - .offset:         80
        .size:           8
        .value_kind:     by_value
      - .offset:         88
        .size:           4
        .value_kind:     by_value
      - .offset:         96
        .size:           8
        .value_kind:     by_value
      - .address_space:  global
        .offset:         104
        .size:           8
        .value_kind:     global_buffer
      - .offset:         112
        .size:           8
        .value_kind:     by_value
      - .offset:         120
        .size:           4
        .value_kind:     by_value
      - .offset:         128
        .size:           8
        .value_kind:     by_value
      - .offset:         136
        .size:           4
        .value_kind:     by_value
      - .offset:         144
        .size:           4
        .value_kind:     hidden_block_count_x
      - .offset:         148
        .size:           4
        .value_kind:     hidden_block_count_y
      - .offset:         152
        .size:           4
        .value_kind:     hidden_block_count_z
      - .offset:         156
        .size:           2
        .value_kind:     hidden_group_size_x
      - .offset:         158
        .size:           2
        .value_kind:     hidden_group_size_y
      - .offset:         160
        .size:           2
        .value_kind:     hidden_group_size_z
      - .offset:         162
        .size:           2
        .value_kind:     hidden_remainder_x
      - .offset:         164
        .size:           2
        .value_kind:     hidden_remainder_y
      - .offset:         166
        .size:           2
        .value_kind:     hidden_remainder_z
      - .offset:         184
        .size:           8
        .value_kind:     hidden_global_offset_x
      - .offset:         192
        .size:           8
        .value_kind:     hidden_global_offset_y
      - .offset:         200
        .size:           8
        .value_kind:     hidden_global_offset_z
      - .offset:         208
        .size:           2
        .value_kind:     hidden_grid_dims
    .group_segment_fixed_size: 4096
    .kernarg_segment_align: 8
    .kernarg_segment_size: 400
    .language:       OpenCL C
    .language_version:
      - 2
      - 0
    .max_flat_workgroup_size: 256
    .name:           _ZL20rocblas_gemvn_kernelILi64ELi4Ei16rocblas_bfloat16fS0_EviiT3_lPKT2_lT1_lS4_lS5_lS1_lPT4_lS5_li
    .private_segment_fixed_size: 0
    .sgpr_count:     30
    .sgpr_spill_count: 0
    .symbol:         _ZL20rocblas_gemvn_kernelILi64ELi4Ei16rocblas_bfloat16fS0_EviiT3_lPKT2_lT1_lS4_lS5_lS1_lPT4_lS5_li.kd
    .uniform_work_group_size: 1
    .uses_dynamic_stack: false
    .vgpr_count:     42
    .vgpr_spill_count: 0
    .wavefront_size: 32
    .workgroup_processor_mode: 1
  - .args:
      - .offset:         0
        .size:           4
        .value_kind:     by_value
      - .offset:         4
        .size:           4
        .value_kind:     by_value
      - .offset:         8
        .size:           4
        .value_kind:     by_value
      - .offset:         16
        .size:           8
        .value_kind:     by_value
      - .address_space:  global
        .offset:         24
        .size:           8
        .value_kind:     global_buffer
      - .offset:         32
        .size:           8
        .value_kind:     by_value
      - .offset:         40
        .size:           8
        .value_kind:     by_value
      - .offset:         48
        .size:           8
        .value_kind:     by_value
      - .address_space:  global
        .offset:         56
        .size:           8
        .value_kind:     global_buffer
      - .offset:         64
        .size:           8
        .value_kind:     by_value
      - .offset:         72
        .size:           8
        .value_kind:     by_value
      - .offset:         80
        .size:           8
        .value_kind:     by_value
      - .offset:         88
        .size:           4
        .value_kind:     by_value
      - .offset:         96
        .size:           8
        .value_kind:     by_value
      - .address_space:  global
        .offset:         104
        .size:           8
        .value_kind:     global_buffer
      - .offset:         112
        .size:           8
        .value_kind:     by_value
      - .offset:         120
        .size:           8
        .value_kind:     by_value
      - .offset:         128
        .size:           8
        .value_kind:     by_value
      - .offset:         136
        .size:           4
        .value_kind:     by_value
      - .offset:         144
        .size:           4
        .value_kind:     hidden_block_count_x
      - .offset:         148
        .size:           4
        .value_kind:     hidden_block_count_y
      - .offset:         152
        .size:           4
        .value_kind:     hidden_block_count_z
      - .offset:         156
        .size:           2
        .value_kind:     hidden_group_size_x
      - .offset:         158
        .size:           2
        .value_kind:     hidden_group_size_y
      - .offset:         160
        .size:           2
        .value_kind:     hidden_group_size_z
      - .offset:         162
        .size:           2
        .value_kind:     hidden_remainder_x
      - .offset:         164
        .size:           2
        .value_kind:     hidden_remainder_y
      - .offset:         166
        .size:           2
        .value_kind:     hidden_remainder_z
      - .offset:         184
        .size:           8
        .value_kind:     hidden_global_offset_x
      - .offset:         192
        .size:           8
        .value_kind:     hidden_global_offset_y
      - .offset:         200
        .size:           8
        .value_kind:     hidden_global_offset_z
      - .offset:         208
        .size:           2
        .value_kind:     hidden_grid_dims
    .group_segment_fixed_size: 4096
    .kernarg_segment_align: 8
    .kernarg_segment_size: 400
    .language:       OpenCL C
    .language_version:
      - 2
      - 0
    .max_flat_workgroup_size: 256
    .name:           _ZL20rocblas_gemvn_kernelILi64ELi4El16rocblas_bfloat16fS0_EviiT3_lPKT2_lT1_lS4_lS5_lS1_lPT4_lS5_li
    .private_segment_fixed_size: 0
    .sgpr_count:     45
    .sgpr_spill_count: 0
    .symbol:         _ZL20rocblas_gemvn_kernelILi64ELi4El16rocblas_bfloat16fS0_EviiT3_lPKT2_lT1_lS4_lS5_lS1_lPT4_lS5_li.kd
    .uniform_work_group_size: 1
    .uses_dynamic_stack: false
    .vgpr_count:     52
    .vgpr_spill_count: 0
    .wavefront_size: 32
    .workgroup_processor_mode: 1
  - .args:
      - .offset:         0
        .size:           4
        .value_kind:     by_value
      - .offset:         4
        .size:           4
        .value_kind:     by_value
      - .address_space:  global
        .offset:         8
        .size:           8
        .value_kind:     global_buffer
      - .offset:         16
        .size:           8
        .value_kind:     by_value
      - .address_space:  global
        .offset:         24
        .size:           8
        .value_kind:     global_buffer
      - .offset:         32
        .size:           8
        .value_kind:     by_value
      - .offset:         40
        .size:           4
        .value_kind:     by_value
      - .offset:         48
        .size:           8
        .value_kind:     by_value
      - .address_space:  global
        .offset:         56
        .size:           8
        .value_kind:     global_buffer
      - .offset:         64
        .size:           8
        .value_kind:     by_value
      - .offset:         72
        .size:           4
        .value_kind:     by_value
      - .offset:         80
        .size:           8
        .value_kind:     by_value
      - .address_space:  global
        .offset:         88
        .size:           8
        .value_kind:     global_buffer
      - .offset:         96
        .size:           8
        .value_kind:     by_value
      - .address_space:  global
        .offset:         104
        .size:           8
        .value_kind:     global_buffer
      - .offset:         112
        .size:           8
        .value_kind:     by_value
      - .offset:         120
        .size:           4
        .value_kind:     by_value
      - .offset:         128
        .size:           8
        .value_kind:     by_value
      - .offset:         136
        .size:           4
        .value_kind:     by_value
      - .offset:         144
        .size:           4
        .value_kind:     hidden_block_count_x
      - .offset:         148
        .size:           4
        .value_kind:     hidden_block_count_y
      - .offset:         152
        .size:           4
        .value_kind:     hidden_block_count_z
      - .offset:         156
        .size:           2
        .value_kind:     hidden_group_size_x
      - .offset:         158
        .size:           2
        .value_kind:     hidden_group_size_y
      - .offset:         160
        .size:           2
        .value_kind:     hidden_group_size_z
      - .offset:         162
        .size:           2
        .value_kind:     hidden_remainder_x
      - .offset:         164
        .size:           2
        .value_kind:     hidden_remainder_y
      - .offset:         166
        .size:           2
        .value_kind:     hidden_remainder_z
      - .offset:         184
        .size:           8
        .value_kind:     hidden_global_offset_x
      - .offset:         192
        .size:           8
        .value_kind:     hidden_global_offset_y
      - .offset:         200
        .size:           8
        .value_kind:     hidden_global_offset_z
      - .offset:         208
        .size:           2
        .value_kind:     hidden_grid_dims
    .group_segment_fixed_size: 8192
    .kernarg_segment_align: 8
    .kernarg_segment_size: 400
    .language:       OpenCL C
    .language_version:
      - 2
      - 0
    .max_flat_workgroup_size: 512
    .name:           _ZL20rocblas_gemvn_kernelILi32ELi16Ei16rocblas_bfloat16PKfS0_EviiT3_lPKT2_lT1_lS6_lS7_lS3_lPT4_lS7_li
    .private_segment_fixed_size: 0
    .sgpr_count:     30
    .sgpr_spill_count: 0
    .symbol:         _ZL20rocblas_gemvn_kernelILi32ELi16Ei16rocblas_bfloat16PKfS0_EviiT3_lPKT2_lT1_lS6_lS7_lS3_lPT4_lS7_li.kd
    .uniform_work_group_size: 1
    .uses_dynamic_stack: false
    .vgpr_count:     42
    .vgpr_spill_count: 0
    .wavefront_size: 32
    .workgroup_processor_mode: 1
  - .args:
      - .offset:         0
        .size:           4
        .value_kind:     by_value
      - .offset:         4
        .size:           4
        .value_kind:     by_value
      - .address_space:  global
        .offset:         8
        .size:           8
        .value_kind:     global_buffer
      - .offset:         16
        .size:           8
        .value_kind:     by_value
      - .address_space:  global
        .offset:         24
        .size:           8
        .value_kind:     global_buffer
      - .offset:         32
        .size:           8
        .value_kind:     by_value
      - .offset:         40
        .size:           8
        .value_kind:     by_value
      - .offset:         48
        .size:           8
        .value_kind:     by_value
      - .address_space:  global
        .offset:         56
        .size:           8
        .value_kind:     global_buffer
      - .offset:         64
        .size:           8
        .value_kind:     by_value
      - .offset:         72
        .size:           8
        .value_kind:     by_value
      - .offset:         80
        .size:           8
        .value_kind:     by_value
      - .address_space:  global
        .offset:         88
        .size:           8
        .value_kind:     global_buffer
      - .offset:         96
        .size:           8
        .value_kind:     by_value
      - .address_space:  global
        .offset:         104
        .size:           8
        .value_kind:     global_buffer
      - .offset:         112
        .size:           8
        .value_kind:     by_value
      - .offset:         120
        .size:           8
        .value_kind:     by_value
      - .offset:         128
        .size:           8
        .value_kind:     by_value
      - .offset:         136
        .size:           4
        .value_kind:     by_value
      - .offset:         144
        .size:           4
        .value_kind:     hidden_block_count_x
      - .offset:         148
        .size:           4
        .value_kind:     hidden_block_count_y
      - .offset:         152
        .size:           4
        .value_kind:     hidden_block_count_z
      - .offset:         156
        .size:           2
        .value_kind:     hidden_group_size_x
      - .offset:         158
        .size:           2
        .value_kind:     hidden_group_size_y
      - .offset:         160
        .size:           2
        .value_kind:     hidden_group_size_z
      - .offset:         162
        .size:           2
        .value_kind:     hidden_remainder_x
      - .offset:         164
        .size:           2
        .value_kind:     hidden_remainder_y
      - .offset:         166
        .size:           2
        .value_kind:     hidden_remainder_z
      - .offset:         184
        .size:           8
        .value_kind:     hidden_global_offset_x
      - .offset:         192
        .size:           8
        .value_kind:     hidden_global_offset_y
      - .offset:         200
        .size:           8
        .value_kind:     hidden_global_offset_z
      - .offset:         208
        .size:           2
        .value_kind:     hidden_grid_dims
    .group_segment_fixed_size: 8192
    .kernarg_segment_align: 8
    .kernarg_segment_size: 400
    .language:       OpenCL C
    .language_version:
      - 2
      - 0
    .max_flat_workgroup_size: 512
    .name:           _ZL20rocblas_gemvn_kernelILi32ELi16El16rocblas_bfloat16PKfS0_EviiT3_lPKT2_lT1_lS6_lS7_lS3_lPT4_lS7_li
    .private_segment_fixed_size: 0
    .sgpr_count:     54
    .sgpr_spill_count: 0
    .symbol:         _ZL20rocblas_gemvn_kernelILi32ELi16El16rocblas_bfloat16PKfS0_EviiT3_lPKT2_lT1_lS6_lS7_lS3_lPT4_lS7_li.kd
    .uniform_work_group_size: 1
    .uses_dynamic_stack: false
    .vgpr_count:     52
    .vgpr_spill_count: 0
    .wavefront_size: 32
    .workgroup_processor_mode: 1
  - .args:
      - .offset:         0
        .size:           4
        .value_kind:     by_value
      - .offset:         4
        .size:           4
        .value_kind:     by_value
      - .offset:         8
        .size:           4
        .value_kind:     by_value
      - .offset:         16
        .size:           8
        .value_kind:     by_value
      - .address_space:  global
        .offset:         24
        .size:           8
        .value_kind:     global_buffer
      - .offset:         32
        .size:           8
        .value_kind:     by_value
      - .offset:         40
        .size:           4
        .value_kind:     by_value
      - .offset:         48
        .size:           8
        .value_kind:     by_value
      - .address_space:  global
        .offset:         56
        .size:           8
        .value_kind:     global_buffer
      - .offset:         64
        .size:           8
        .value_kind:     by_value
      - .offset:         72
        .size:           4
        .value_kind:     by_value
      - .offset:         80
        .size:           8
        .value_kind:     by_value
      - .offset:         88
        .size:           4
        .value_kind:     by_value
      - .offset:         96
        .size:           8
        .value_kind:     by_value
      - .address_space:  global
        .offset:         104
        .size:           8
        .value_kind:     global_buffer
      - .offset:         112
        .size:           8
        .value_kind:     by_value
      - .offset:         120
        .size:           4
        .value_kind:     by_value
      - .offset:         128
        .size:           8
        .value_kind:     by_value
      - .offset:         136
        .size:           4
        .value_kind:     by_value
      - .offset:         144
        .size:           4
        .value_kind:     hidden_block_count_x
      - .offset:         148
        .size:           4
        .value_kind:     hidden_block_count_y
      - .offset:         152
        .size:           4
        .value_kind:     hidden_block_count_z
      - .offset:         156
        .size:           2
        .value_kind:     hidden_group_size_x
      - .offset:         158
        .size:           2
        .value_kind:     hidden_group_size_y
      - .offset:         160
        .size:           2
        .value_kind:     hidden_group_size_z
      - .offset:         162
        .size:           2
        .value_kind:     hidden_remainder_x
      - .offset:         164
        .size:           2
        .value_kind:     hidden_remainder_y
      - .offset:         166
        .size:           2
        .value_kind:     hidden_remainder_z
      - .offset:         184
        .size:           8
        .value_kind:     hidden_global_offset_x
      - .offset:         192
        .size:           8
        .value_kind:     hidden_global_offset_y
      - .offset:         200
        .size:           8
        .value_kind:     hidden_global_offset_z
      - .offset:         208
        .size:           2
        .value_kind:     hidden_grid_dims
    .group_segment_fixed_size: 8192
    .kernarg_segment_align: 8
    .kernarg_segment_size: 400
    .language:       OpenCL C
    .language_version:
      - 2
      - 0
    .max_flat_workgroup_size: 512
    .name:           _ZL20rocblas_gemvn_kernelILi32ELi16Ei16rocblas_bfloat16fS0_EviiT3_lPKT2_lT1_lS4_lS5_lS1_lPT4_lS5_li
    .private_segment_fixed_size: 0
    .sgpr_count:     30
    .sgpr_spill_count: 0
    .symbol:         _ZL20rocblas_gemvn_kernelILi32ELi16Ei16rocblas_bfloat16fS0_EviiT3_lPKT2_lT1_lS4_lS5_lS1_lPT4_lS5_li.kd
    .uniform_work_group_size: 1
    .uses_dynamic_stack: false
    .vgpr_count:     42
    .vgpr_spill_count: 0
    .wavefront_size: 32
    .workgroup_processor_mode: 1
  - .args:
      - .offset:         0
        .size:           4
        .value_kind:     by_value
      - .offset:         4
        .size:           4
        .value_kind:     by_value
      - .offset:         8
        .size:           4
        .value_kind:     by_value
      - .offset:         16
        .size:           8
        .value_kind:     by_value
      - .address_space:  global
        .offset:         24
        .size:           8
        .value_kind:     global_buffer
      - .offset:         32
        .size:           8
        .value_kind:     by_value
      - .offset:         40
        .size:           8
        .value_kind:     by_value
      - .offset:         48
        .size:           8
        .value_kind:     by_value
      - .address_space:  global
        .offset:         56
        .size:           8
        .value_kind:     global_buffer
      - .offset:         64
        .size:           8
        .value_kind:     by_value
      - .offset:         72
        .size:           8
        .value_kind:     by_value
      - .offset:         80
        .size:           8
        .value_kind:     by_value
      - .offset:         88
        .size:           4
        .value_kind:     by_value
      - .offset:         96
        .size:           8
        .value_kind:     by_value
      - .address_space:  global
        .offset:         104
        .size:           8
        .value_kind:     global_buffer
      - .offset:         112
        .size:           8
        .value_kind:     by_value
      - .offset:         120
        .size:           8
        .value_kind:     by_value
      - .offset:         128
        .size:           8
        .value_kind:     by_value
      - .offset:         136
        .size:           4
        .value_kind:     by_value
      - .offset:         144
        .size:           4
        .value_kind:     hidden_block_count_x
      - .offset:         148
        .size:           4
        .value_kind:     hidden_block_count_y
      - .offset:         152
        .size:           4
        .value_kind:     hidden_block_count_z
      - .offset:         156
        .size:           2
        .value_kind:     hidden_group_size_x
      - .offset:         158
        .size:           2
        .value_kind:     hidden_group_size_y
      - .offset:         160
        .size:           2
        .value_kind:     hidden_group_size_z
      - .offset:         162
        .size:           2
        .value_kind:     hidden_remainder_x
      - .offset:         164
        .size:           2
        .value_kind:     hidden_remainder_y
      - .offset:         166
        .size:           2
        .value_kind:     hidden_remainder_z
      - .offset:         184
        .size:           8
        .value_kind:     hidden_global_offset_x
      - .offset:         192
        .size:           8
        .value_kind:     hidden_global_offset_y
      - .offset:         200
        .size:           8
        .value_kind:     hidden_global_offset_z
      - .offset:         208
        .size:           2
        .value_kind:     hidden_grid_dims
    .group_segment_fixed_size: 8192
    .kernarg_segment_align: 8
    .kernarg_segment_size: 400
    .language:       OpenCL C
    .language_version:
      - 2
      - 0
    .max_flat_workgroup_size: 512
    .name:           _ZL20rocblas_gemvn_kernelILi32ELi16El16rocblas_bfloat16fS0_EviiT3_lPKT2_lT1_lS4_lS5_lS1_lPT4_lS5_li
    .private_segment_fixed_size: 0
    .sgpr_count:     45
    .sgpr_spill_count: 0
    .symbol:         _ZL20rocblas_gemvn_kernelILi32ELi16El16rocblas_bfloat16fS0_EviiT3_lPKT2_lT1_lS4_lS5_lS1_lPT4_lS5_li.kd
    .uniform_work_group_size: 1
    .uses_dynamic_stack: false
    .vgpr_count:     52
    .vgpr_spill_count: 0
    .wavefront_size: 32
    .workgroup_processor_mode: 1
  - .args:
      - .offset:         0
        .size:           4
        .value_kind:     by_value
      - .offset:         4
        .size:           4
        .value_kind:     by_value
      - .address_space:  global
        .offset:         8
        .size:           8
        .value_kind:     global_buffer
      - .offset:         16
        .size:           8
        .value_kind:     by_value
      - .address_space:  global
        .offset:         24
        .size:           8
        .value_kind:     global_buffer
      - .offset:         32
        .size:           8
        .value_kind:     by_value
      - .offset:         40
        .size:           4
        .value_kind:     by_value
      - .offset:         48
        .size:           8
        .value_kind:     by_value
      - .address_space:  global
        .offset:         56
        .size:           8
        .value_kind:     global_buffer
      - .offset:         64
        .size:           8
        .value_kind:     by_value
      - .offset:         72
        .size:           4
        .value_kind:     by_value
      - .offset:         80
        .size:           8
        .value_kind:     by_value
      - .address_space:  global
        .offset:         88
        .size:           8
        .value_kind:     global_buffer
      - .offset:         96
        .size:           8
        .value_kind:     by_value
      - .address_space:  global
        .offset:         104
        .size:           8
        .value_kind:     global_buffer
      - .offset:         112
        .size:           8
        .value_kind:     by_value
      - .offset:         120
        .size:           4
        .value_kind:     by_value
      - .offset:         128
        .size:           8
        .value_kind:     by_value
      - .offset:         136
        .size:           4
        .value_kind:     by_value
      - .offset:         144
        .size:           4
        .value_kind:     hidden_block_count_x
      - .offset:         148
        .size:           4
        .value_kind:     hidden_block_count_y
      - .offset:         152
        .size:           4
        .value_kind:     hidden_block_count_z
      - .offset:         156
        .size:           2
        .value_kind:     hidden_group_size_x
      - .offset:         158
        .size:           2
        .value_kind:     hidden_group_size_y
      - .offset:         160
        .size:           2
        .value_kind:     hidden_group_size_z
      - .offset:         162
        .size:           2
        .value_kind:     hidden_remainder_x
      - .offset:         164
        .size:           2
        .value_kind:     hidden_remainder_y
      - .offset:         166
        .size:           2
        .value_kind:     hidden_remainder_z
      - .offset:         184
        .size:           8
        .value_kind:     hidden_global_offset_x
      - .offset:         192
        .size:           8
        .value_kind:     hidden_global_offset_y
      - .offset:         200
        .size:           8
        .value_kind:     hidden_global_offset_z
      - .offset:         208
        .size:           2
        .value_kind:     hidden_grid_dims
    .group_segment_fixed_size: 16384
    .kernarg_segment_align: 8
    .kernarg_segment_size: 400
    .language:       OpenCL C
    .language_version:
      - 2
      - 0
    .max_flat_workgroup_size: 1024
    .name:           _ZL20rocblas_gemvn_kernelILi64ELi16Ei16rocblas_bfloat16PKfS0_EviiT3_lPKT2_lT1_lS6_lS7_lS3_lPT4_lS7_li
    .private_segment_fixed_size: 0
    .sgpr_count:     30
    .sgpr_spill_count: 0
    .symbol:         _ZL20rocblas_gemvn_kernelILi64ELi16Ei16rocblas_bfloat16PKfS0_EviiT3_lPKT2_lT1_lS6_lS7_lS3_lPT4_lS7_li.kd
    .uniform_work_group_size: 1
    .uses_dynamic_stack: false
    .vgpr_count:     42
    .vgpr_spill_count: 0
    .wavefront_size: 32
    .workgroup_processor_mode: 1
  - .args:
      - .offset:         0
        .size:           4
        .value_kind:     by_value
      - .offset:         4
        .size:           4
        .value_kind:     by_value
      - .address_space:  global
        .offset:         8
        .size:           8
        .value_kind:     global_buffer
      - .offset:         16
        .size:           8
        .value_kind:     by_value
      - .address_space:  global
        .offset:         24
        .size:           8
        .value_kind:     global_buffer
      - .offset:         32
        .size:           8
        .value_kind:     by_value
      - .offset:         40
        .size:           8
        .value_kind:     by_value
      - .offset:         48
        .size:           8
        .value_kind:     by_value
      - .address_space:  global
        .offset:         56
        .size:           8
        .value_kind:     global_buffer
      - .offset:         64
        .size:           8
        .value_kind:     by_value
      - .offset:         72
        .size:           8
        .value_kind:     by_value
      - .offset:         80
        .size:           8
        .value_kind:     by_value
      - .address_space:  global
        .offset:         88
        .size:           8
        .value_kind:     global_buffer
      - .offset:         96
        .size:           8
        .value_kind:     by_value
      - .address_space:  global
        .offset:         104
        .size:           8
        .value_kind:     global_buffer
      - .offset:         112
        .size:           8
        .value_kind:     by_value
      - .offset:         120
        .size:           8
        .value_kind:     by_value
      - .offset:         128
        .size:           8
        .value_kind:     by_value
      - .offset:         136
        .size:           4
        .value_kind:     by_value
      - .offset:         144
        .size:           4
        .value_kind:     hidden_block_count_x
      - .offset:         148
        .size:           4
        .value_kind:     hidden_block_count_y
      - .offset:         152
        .size:           4
        .value_kind:     hidden_block_count_z
      - .offset:         156
        .size:           2
        .value_kind:     hidden_group_size_x
      - .offset:         158
        .size:           2
        .value_kind:     hidden_group_size_y
      - .offset:         160
        .size:           2
        .value_kind:     hidden_group_size_z
      - .offset:         162
        .size:           2
        .value_kind:     hidden_remainder_x
      - .offset:         164
        .size:           2
        .value_kind:     hidden_remainder_y
      - .offset:         166
        .size:           2
        .value_kind:     hidden_remainder_z
      - .offset:         184
        .size:           8
        .value_kind:     hidden_global_offset_x
      - .offset:         192
        .size:           8
        .value_kind:     hidden_global_offset_y
      - .offset:         200
        .size:           8
        .value_kind:     hidden_global_offset_z
      - .offset:         208
        .size:           2
        .value_kind:     hidden_grid_dims
    .group_segment_fixed_size: 16384
    .kernarg_segment_align: 8
    .kernarg_segment_size: 400
    .language:       OpenCL C
    .language_version:
      - 2
      - 0
    .max_flat_workgroup_size: 1024
    .name:           _ZL20rocblas_gemvn_kernelILi64ELi16El16rocblas_bfloat16PKfS0_EviiT3_lPKT2_lT1_lS6_lS7_lS3_lPT4_lS7_li
    .private_segment_fixed_size: 0
    .sgpr_count:     54
    .sgpr_spill_count: 0
    .symbol:         _ZL20rocblas_gemvn_kernelILi64ELi16El16rocblas_bfloat16PKfS0_EviiT3_lPKT2_lT1_lS6_lS7_lS3_lPT4_lS7_li.kd
    .uniform_work_group_size: 1
    .uses_dynamic_stack: false
    .vgpr_count:     52
    .vgpr_spill_count: 0
    .wavefront_size: 32
    .workgroup_processor_mode: 1
  - .args:
      - .offset:         0
        .size:           4
        .value_kind:     by_value
      - .offset:         4
        .size:           4
        .value_kind:     by_value
      - .offset:         8
        .size:           4
        .value_kind:     by_value
      - .offset:         16
        .size:           8
        .value_kind:     by_value
      - .address_space:  global
        .offset:         24
        .size:           8
        .value_kind:     global_buffer
      - .offset:         32
        .size:           8
        .value_kind:     by_value
      - .offset:         40
        .size:           4
        .value_kind:     by_value
      - .offset:         48
        .size:           8
        .value_kind:     by_value
      - .address_space:  global
        .offset:         56
        .size:           8
        .value_kind:     global_buffer
      - .offset:         64
        .size:           8
        .value_kind:     by_value
      - .offset:         72
        .size:           4
        .value_kind:     by_value
      - .offset:         80
        .size:           8
        .value_kind:     by_value
      - .offset:         88
        .size:           4
        .value_kind:     by_value
      - .offset:         96
        .size:           8
        .value_kind:     by_value
      - .address_space:  global
        .offset:         104
        .size:           8
        .value_kind:     global_buffer
      - .offset:         112
        .size:           8
        .value_kind:     by_value
      - .offset:         120
        .size:           4
        .value_kind:     by_value
      - .offset:         128
        .size:           8
        .value_kind:     by_value
      - .offset:         136
        .size:           4
        .value_kind:     by_value
      - .offset:         144
        .size:           4
        .value_kind:     hidden_block_count_x
      - .offset:         148
        .size:           4
        .value_kind:     hidden_block_count_y
      - .offset:         152
        .size:           4
        .value_kind:     hidden_block_count_z
      - .offset:         156
        .size:           2
        .value_kind:     hidden_group_size_x
      - .offset:         158
        .size:           2
        .value_kind:     hidden_group_size_y
      - .offset:         160
        .size:           2
        .value_kind:     hidden_group_size_z
      - .offset:         162
        .size:           2
        .value_kind:     hidden_remainder_x
      - .offset:         164
        .size:           2
        .value_kind:     hidden_remainder_y
      - .offset:         166
        .size:           2
        .value_kind:     hidden_remainder_z
      - .offset:         184
        .size:           8
        .value_kind:     hidden_global_offset_x
      - .offset:         192
        .size:           8
        .value_kind:     hidden_global_offset_y
      - .offset:         200
        .size:           8
        .value_kind:     hidden_global_offset_z
      - .offset:         208
        .size:           2
        .value_kind:     hidden_grid_dims
    .group_segment_fixed_size: 16384
    .kernarg_segment_align: 8
    .kernarg_segment_size: 400
    .language:       OpenCL C
    .language_version:
      - 2
      - 0
    .max_flat_workgroup_size: 1024
    .name:           _ZL20rocblas_gemvn_kernelILi64ELi16Ei16rocblas_bfloat16fS0_EviiT3_lPKT2_lT1_lS4_lS5_lS1_lPT4_lS5_li
    .private_segment_fixed_size: 0
    .sgpr_count:     30
    .sgpr_spill_count: 0
    .symbol:         _ZL20rocblas_gemvn_kernelILi64ELi16Ei16rocblas_bfloat16fS0_EviiT3_lPKT2_lT1_lS4_lS5_lS1_lPT4_lS5_li.kd
    .uniform_work_group_size: 1
    .uses_dynamic_stack: false
    .vgpr_count:     42
    .vgpr_spill_count: 0
    .wavefront_size: 32
    .workgroup_processor_mode: 1
  - .args:
      - .offset:         0
        .size:           4
        .value_kind:     by_value
      - .offset:         4
        .size:           4
        .value_kind:     by_value
      - .offset:         8
        .size:           4
        .value_kind:     by_value
      - .offset:         16
        .size:           8
        .value_kind:     by_value
      - .address_space:  global
        .offset:         24
        .size:           8
        .value_kind:     global_buffer
      - .offset:         32
        .size:           8
        .value_kind:     by_value
      - .offset:         40
        .size:           8
        .value_kind:     by_value
      - .offset:         48
        .size:           8
        .value_kind:     by_value
      - .address_space:  global
        .offset:         56
        .size:           8
        .value_kind:     global_buffer
      - .offset:         64
        .size:           8
        .value_kind:     by_value
      - .offset:         72
        .size:           8
        .value_kind:     by_value
      - .offset:         80
        .size:           8
        .value_kind:     by_value
      - .offset:         88
        .size:           4
        .value_kind:     by_value
      - .offset:         96
        .size:           8
        .value_kind:     by_value
      - .address_space:  global
        .offset:         104
        .size:           8
        .value_kind:     global_buffer
      - .offset:         112
        .size:           8
        .value_kind:     by_value
      - .offset:         120
        .size:           8
        .value_kind:     by_value
      - .offset:         128
        .size:           8
        .value_kind:     by_value
      - .offset:         136
        .size:           4
        .value_kind:     by_value
      - .offset:         144
        .size:           4
        .value_kind:     hidden_block_count_x
      - .offset:         148
        .size:           4
        .value_kind:     hidden_block_count_y
      - .offset:         152
        .size:           4
        .value_kind:     hidden_block_count_z
      - .offset:         156
        .size:           2
        .value_kind:     hidden_group_size_x
      - .offset:         158
        .size:           2
        .value_kind:     hidden_group_size_y
      - .offset:         160
        .size:           2
        .value_kind:     hidden_group_size_z
      - .offset:         162
        .size:           2
        .value_kind:     hidden_remainder_x
      - .offset:         164
        .size:           2
        .value_kind:     hidden_remainder_y
      - .offset:         166
        .size:           2
        .value_kind:     hidden_remainder_z
      - .offset:         184
        .size:           8
        .value_kind:     hidden_global_offset_x
      - .offset:         192
        .size:           8
        .value_kind:     hidden_global_offset_y
      - .offset:         200
        .size:           8
        .value_kind:     hidden_global_offset_z
      - .offset:         208
        .size:           2
        .value_kind:     hidden_grid_dims
    .group_segment_fixed_size: 16384
    .kernarg_segment_align: 8
    .kernarg_segment_size: 400
    .language:       OpenCL C
    .language_version:
      - 2
      - 0
    .max_flat_workgroup_size: 1024
    .name:           _ZL20rocblas_gemvn_kernelILi64ELi16El16rocblas_bfloat16fS0_EviiT3_lPKT2_lT1_lS4_lS5_lS1_lPT4_lS5_li
    .private_segment_fixed_size: 0
    .sgpr_count:     45
    .sgpr_spill_count: 0
    .symbol:         _ZL20rocblas_gemvn_kernelILi64ELi16El16rocblas_bfloat16fS0_EviiT3_lPKT2_lT1_lS4_lS5_lS1_lPT4_lS5_li.kd
    .uniform_work_group_size: 1
    .uses_dynamic_stack: false
    .vgpr_count:     52
    .vgpr_spill_count: 0
    .wavefront_size: 32
    .workgroup_processor_mode: 1
  - .args:
      - .offset:         0
        .size:           4
        .value_kind:     by_value
      - .offset:         4
        .size:           4
        .value_kind:     by_value
      - .address_space:  global
        .offset:         8
        .size:           8
        .value_kind:     global_buffer
      - .offset:         16
        .size:           8
        .value_kind:     by_value
      - .address_space:  global
        .offset:         24
        .size:           8
        .value_kind:     global_buffer
      - .offset:         32
        .size:           8
        .value_kind:     by_value
      - .offset:         40
        .size:           4
        .value_kind:     by_value
      - .offset:         48
        .size:           8
        .value_kind:     by_value
      - .address_space:  global
        .offset:         56
        .size:           8
        .value_kind:     global_buffer
      - .offset:         64
        .size:           8
        .value_kind:     by_value
      - .offset:         72
        .size:           4
        .value_kind:     by_value
      - .offset:         80
        .size:           8
        .value_kind:     by_value
      - .address_space:  global
        .offset:         88
        .size:           8
        .value_kind:     global_buffer
      - .offset:         96
        .size:           8
        .value_kind:     by_value
      - .address_space:  global
        .offset:         104
        .size:           8
        .value_kind:     global_buffer
      - .offset:         112
        .size:           8
        .value_kind:     by_value
      - .offset:         120
        .size:           4
        .value_kind:     by_value
      - .offset:         128
        .size:           8
        .value_kind:     by_value
    .group_segment_fixed_size: 256
    .kernarg_segment_align: 8
    .kernarg_segment_size: 136
    .language:       OpenCL C
    .language_version:
      - 2
      - 0
    .max_flat_workgroup_size: 256
    .name:           _ZL22rocblas_gemvtsm_kernelILb0ELi256E16rocblas_bfloat16PKfS0_EviiT2_lPKT1_lilS6_lilS3_lPT3_lil
    .private_segment_fixed_size: 0
    .sgpr_count:     31
    .sgpr_spill_count: 0
    .symbol:         _ZL22rocblas_gemvtsm_kernelILb0ELi256E16rocblas_bfloat16PKfS0_EviiT2_lPKT1_lilS6_lilS3_lPT3_lil.kd
    .uniform_work_group_size: 1
    .uses_dynamic_stack: false
    .vgpr_count:     16
    .vgpr_spill_count: 0
    .wavefront_size: 32
    .workgroup_processor_mode: 1
  - .args:
      - .offset:         0
        .size:           4
        .value_kind:     by_value
      - .offset:         4
        .size:           4
        .value_kind:     by_value
      - .offset:         8
        .size:           4
        .value_kind:     by_value
      - .offset:         16
        .size:           8
        .value_kind:     by_value
      - .address_space:  global
        .offset:         24
        .size:           8
        .value_kind:     global_buffer
      - .offset:         32
        .size:           8
        .value_kind:     by_value
      - .offset:         40
        .size:           4
        .value_kind:     by_value
      - .offset:         48
        .size:           8
        .value_kind:     by_value
      - .address_space:  global
        .offset:         56
        .size:           8
        .value_kind:     global_buffer
      - .offset:         64
        .size:           8
        .value_kind:     by_value
      - .offset:         72
        .size:           4
        .value_kind:     by_value
      - .offset:         80
        .size:           8
        .value_kind:     by_value
      - .offset:         88
        .size:           4
        .value_kind:     by_value
      - .offset:         96
        .size:           8
        .value_kind:     by_value
      - .address_space:  global
        .offset:         104
        .size:           8
        .value_kind:     global_buffer
      - .offset:         112
        .size:           8
        .value_kind:     by_value
      - .offset:         120
        .size:           4
        .value_kind:     by_value
      - .offset:         128
        .size:           8
        .value_kind:     by_value
    .group_segment_fixed_size: 256
    .kernarg_segment_align: 8
    .kernarg_segment_size: 136
    .language:       OpenCL C
    .language_version:
      - 2
      - 0
    .max_flat_workgroup_size: 256
    .name:           _ZL22rocblas_gemvtsm_kernelILb0ELi256E16rocblas_bfloat16fS0_EviiT2_lPKT1_lilS4_lilS1_lPT3_lil
    .private_segment_fixed_size: 0
    .sgpr_count:     28
    .sgpr_spill_count: 0
    .symbol:         _ZL22rocblas_gemvtsm_kernelILb0ELi256E16rocblas_bfloat16fS0_EviiT2_lPKT1_lilS4_lilS1_lPT3_lil.kd
    .uniform_work_group_size: 1
    .uses_dynamic_stack: false
    .vgpr_count:     16
    .vgpr_spill_count: 0
    .wavefront_size: 32
    .workgroup_processor_mode: 1
  - .args:
      - .offset:         0
        .size:           4
        .value_kind:     by_value
      - .offset:         4
        .size:           4
        .value_kind:     by_value
      - .address_space:  global
        .offset:         8
        .size:           8
        .value_kind:     global_buffer
      - .offset:         16
        .size:           8
        .value_kind:     by_value
      - .address_space:  global
        .offset:         24
        .size:           8
        .value_kind:     global_buffer
      - .offset:         32
        .size:           8
        .value_kind:     by_value
      - .offset:         40
        .size:           4
        .value_kind:     by_value
      - .offset:         48
        .size:           8
        .value_kind:     by_value
      - .address_space:  global
        .offset:         56
        .size:           8
        .value_kind:     global_buffer
      - .offset:         64
        .size:           8
        .value_kind:     by_value
      - .offset:         72
        .size:           4
        .value_kind:     by_value
      - .offset:         80
        .size:           8
        .value_kind:     by_value
      - .address_space:  global
        .offset:         88
        .size:           8
        .value_kind:     global_buffer
      - .offset:         96
        .size:           4
        .value_kind:     by_value
      - .offset:         104
        .size:           4
        .value_kind:     hidden_block_count_x
      - .offset:         108
        .size:           4
        .value_kind:     hidden_block_count_y
      - .offset:         112
        .size:           4
        .value_kind:     hidden_block_count_z
      - .offset:         116
        .size:           2
        .value_kind:     hidden_group_size_x
      - .offset:         118
        .size:           2
        .value_kind:     hidden_group_size_y
      - .offset:         120
        .size:           2
        .value_kind:     hidden_group_size_z
      - .offset:         122
        .size:           2
        .value_kind:     hidden_remainder_x
      - .offset:         124
        .size:           2
        .value_kind:     hidden_remainder_y
      - .offset:         126
        .size:           2
        .value_kind:     hidden_remainder_z
      - .offset:         144
        .size:           8
        .value_kind:     hidden_global_offset_x
      - .offset:         152
        .size:           8
        .value_kind:     hidden_global_offset_y
      - .offset:         160
        .size:           8
        .value_kind:     hidden_global_offset_z
      - .offset:         168
        .size:           2
        .value_kind:     hidden_grid_dims
    .group_segment_fixed_size: 128
    .kernarg_segment_align: 8
    .kernarg_segment_size: 360
    .language:       OpenCL C
    .language_version:
      - 2
      - 0
    .max_flat_workgroup_size: 256
    .name:           _ZL23rocblas_gemvt_sn_kernelILb0ELi256ELi4Ei16rocblas_bfloat16PKffEviiT4_lPKT3_lilS6_lilPT5_i
    .private_segment_fixed_size: 0
    .sgpr_count:     52
    .sgpr_spill_count: 0
    .symbol:         _ZL23rocblas_gemvt_sn_kernelILb0ELi256ELi4Ei16rocblas_bfloat16PKffEviiT4_lPKT3_lilS6_lilPT5_i.kd
    .uniform_work_group_size: 1
    .uses_dynamic_stack: false
    .vgpr_count:     51
    .vgpr_spill_count: 0
    .wavefront_size: 32
    .workgroup_processor_mode: 1
  - .args:
      - .offset:         0
        .size:           4
        .value_kind:     by_value
      - .offset:         4
        .size:           4
        .value_kind:     by_value
      - .address_space:  global
        .offset:         8
        .size:           8
        .value_kind:     global_buffer
      - .offset:         16
        .size:           8
        .value_kind:     by_value
      - .address_space:  global
        .offset:         24
        .size:           8
        .value_kind:     global_buffer
      - .offset:         32
        .size:           8
        .value_kind:     by_value
      - .offset:         40
        .size:           4
        .value_kind:     by_value
      - .offset:         48
        .size:           8
        .value_kind:     by_value
      - .address_space:  global
        .offset:         56
        .size:           8
        .value_kind:     global_buffer
      - .offset:         64
        .size:           8
        .value_kind:     by_value
      - .offset:         72
        .size:           4
        .value_kind:     by_value
      - .offset:         80
        .size:           8
        .value_kind:     by_value
      - .address_space:  global
        .offset:         88
        .size:           8
        .value_kind:     global_buffer
      - .offset:         96
        .size:           4
        .value_kind:     by_value
      - .offset:         104
        .size:           4
        .value_kind:     hidden_block_count_x
      - .offset:         108
        .size:           4
        .value_kind:     hidden_block_count_y
      - .offset:         112
        .size:           4
        .value_kind:     hidden_block_count_z
      - .offset:         116
        .size:           2
        .value_kind:     hidden_group_size_x
      - .offset:         118
        .size:           2
        .value_kind:     hidden_group_size_y
      - .offset:         120
        .size:           2
        .value_kind:     hidden_group_size_z
      - .offset:         122
        .size:           2
        .value_kind:     hidden_remainder_x
      - .offset:         124
        .size:           2
        .value_kind:     hidden_remainder_y
      - .offset:         126
        .size:           2
        .value_kind:     hidden_remainder_z
      - .offset:         144
        .size:           8
        .value_kind:     hidden_global_offset_x
      - .offset:         152
        .size:           8
        .value_kind:     hidden_global_offset_y
      - .offset:         160
        .size:           8
        .value_kind:     hidden_global_offset_z
      - .offset:         168
        .size:           2
        .value_kind:     hidden_grid_dims
    .group_segment_fixed_size: 128
    .kernarg_segment_align: 8
    .kernarg_segment_size: 360
    .language:       OpenCL C
    .language_version:
      - 2
      - 0
    .max_flat_workgroup_size: 256
    .name:           _ZL23rocblas_gemvt_sn_kernelILb0ELi256ELi4El16rocblas_bfloat16PKffEviiT4_lPKT3_lilS6_lilPT5_i
    .private_segment_fixed_size: 0
    .sgpr_count:     58
    .sgpr_spill_count: 0
    .symbol:         _ZL23rocblas_gemvt_sn_kernelILb0ELi256ELi4El16rocblas_bfloat16PKffEviiT4_lPKT3_lilS6_lilPT5_i.kd
    .uniform_work_group_size: 1
    .uses_dynamic_stack: false
    .vgpr_count:     55
    .vgpr_spill_count: 0
    .wavefront_size: 32
    .workgroup_processor_mode: 1
  - .args:
      - .offset:         0
        .size:           4
        .value_kind:     by_value
      - .address_space:  global
        .offset:         8
        .size:           8
        .value_kind:     global_buffer
      - .offset:         16
        .size:           8
        .value_kind:     by_value
      - .address_space:  global
        .offset:         24
        .size:           8
        .value_kind:     global_buffer
      - .offset:         32
        .size:           8
        .value_kind:     by_value
      - .offset:         40
        .size:           4
        .value_kind:     by_value
      - .offset:         48
        .size:           8
        .value_kind:     by_value
      - .actual_access:  read_only
        .address_space:  global
        .offset:         56
        .size:           8
        .value_kind:     global_buffer
      - .offset:         64
        .size:           4
        .value_kind:     by_value
      - .offset:         72
        .size:           4
        .value_kind:     hidden_block_count_x
      - .offset:         76
        .size:           4
        .value_kind:     hidden_block_count_y
      - .offset:         80
        .size:           4
        .value_kind:     hidden_block_count_z
      - .offset:         84
        .size:           2
        .value_kind:     hidden_group_size_x
      - .offset:         86
        .size:           2
        .value_kind:     hidden_group_size_y
      - .offset:         88
        .size:           2
        .value_kind:     hidden_group_size_z
      - .offset:         90
        .size:           2
        .value_kind:     hidden_remainder_x
      - .offset:         92
        .size:           2
        .value_kind:     hidden_remainder_y
      - .offset:         94
        .size:           2
        .value_kind:     hidden_remainder_z
      - .offset:         112
        .size:           8
        .value_kind:     hidden_global_offset_x
      - .offset:         120
        .size:           8
        .value_kind:     hidden_global_offset_y
      - .offset:         128
        .size:           8
        .value_kind:     hidden_global_offset_z
      - .offset:         136
        .size:           2
        .value_kind:     hidden_grid_dims
    .group_segment_fixed_size: 128
    .kernarg_segment_align: 8
    .kernarg_segment_size: 328
    .language:       OpenCL C
    .language_version:
      - 2
      - 0
    .max_flat_workgroup_size: 256
    .name:           _ZL23rocblas_gemvt_sn_reduceILi256ELi8EfPKf16rocblas_bfloat16EviT2_lPT3_lilPT1_i
    .private_segment_fixed_size: 0
    .sgpr_count:     24
    .sgpr_spill_count: 0
    .symbol:         _ZL23rocblas_gemvt_sn_reduceILi256ELi8EfPKf16rocblas_bfloat16EviT2_lPT3_lilPT1_i.kd
    .uniform_work_group_size: 1
    .uses_dynamic_stack: false
    .vgpr_count:     13
    .vgpr_spill_count: 0
    .wavefront_size: 32
    .workgroup_processor_mode: 1
  - .args:
      - .offset:         0
        .size:           4
        .value_kind:     by_value
      - .offset:         4
        .size:           4
        .value_kind:     by_value
      - .offset:         8
        .size:           4
        .value_kind:     by_value
      - .offset:         16
        .size:           8
        .value_kind:     by_value
      - .address_space:  global
        .offset:         24
        .size:           8
        .value_kind:     global_buffer
      - .offset:         32
        .size:           8
        .value_kind:     by_value
      - .offset:         40
        .size:           4
        .value_kind:     by_value
      - .offset:         48
        .size:           8
        .value_kind:     by_value
      - .address_space:  global
        .offset:         56
        .size:           8
        .value_kind:     global_buffer
      - .offset:         64
        .size:           8
        .value_kind:     by_value
      - .offset:         72
        .size:           4
        .value_kind:     by_value
      - .offset:         80
        .size:           8
        .value_kind:     by_value
      - .address_space:  global
        .offset:         88
        .size:           8
        .value_kind:     global_buffer
      - .offset:         96
        .size:           4
        .value_kind:     by_value
      - .offset:         104
        .size:           4
        .value_kind:     hidden_block_count_x
      - .offset:         108
        .size:           4
        .value_kind:     hidden_block_count_y
      - .offset:         112
        .size:           4
        .value_kind:     hidden_block_count_z
      - .offset:         116
        .size:           2
        .value_kind:     hidden_group_size_x
      - .offset:         118
        .size:           2
        .value_kind:     hidden_group_size_y
      - .offset:         120
        .size:           2
        .value_kind:     hidden_group_size_z
      - .offset:         122
        .size:           2
        .value_kind:     hidden_remainder_x
      - .offset:         124
        .size:           2
        .value_kind:     hidden_remainder_y
      - .offset:         126
        .size:           2
        .value_kind:     hidden_remainder_z
      - .offset:         144
        .size:           8
        .value_kind:     hidden_global_offset_x
      - .offset:         152
        .size:           8
        .value_kind:     hidden_global_offset_y
      - .offset:         160
        .size:           8
        .value_kind:     hidden_global_offset_z
      - .offset:         168
        .size:           2
        .value_kind:     hidden_grid_dims
    .group_segment_fixed_size: 128
    .kernarg_segment_align: 8
    .kernarg_segment_size: 360
    .language:       OpenCL C
    .language_version:
      - 2
      - 0
    .max_flat_workgroup_size: 256
    .name:           _ZL23rocblas_gemvt_sn_kernelILb0ELi256ELi4Ei16rocblas_bfloat16ffEviiT4_lPKT3_lilS4_lilPT5_i
    .private_segment_fixed_size: 0
    .sgpr_count:     52
    .sgpr_spill_count: 0
    .symbol:         _ZL23rocblas_gemvt_sn_kernelILb0ELi256ELi4Ei16rocblas_bfloat16ffEviiT4_lPKT3_lilS4_lilPT5_i.kd
    .uniform_work_group_size: 1
    .uses_dynamic_stack: false
    .vgpr_count:     51
    .vgpr_spill_count: 0
    .wavefront_size: 32
    .workgroup_processor_mode: 1
  - .args:
      - .offset:         0
        .size:           4
        .value_kind:     by_value
      - .offset:         4
        .size:           4
        .value_kind:     by_value
      - .offset:         8
        .size:           4
        .value_kind:     by_value
      - .offset:         16
        .size:           8
        .value_kind:     by_value
      - .address_space:  global
        .offset:         24
        .size:           8
        .value_kind:     global_buffer
      - .offset:         32
        .size:           8
        .value_kind:     by_value
      - .offset:         40
        .size:           4
        .value_kind:     by_value
      - .offset:         48
        .size:           8
        .value_kind:     by_value
      - .address_space:  global
        .offset:         56
        .size:           8
        .value_kind:     global_buffer
      - .offset:         64
        .size:           8
        .value_kind:     by_value
      - .offset:         72
        .size:           4
        .value_kind:     by_value
      - .offset:         80
        .size:           8
        .value_kind:     by_value
      - .address_space:  global
        .offset:         88
        .size:           8
        .value_kind:     global_buffer
      - .offset:         96
        .size:           4
        .value_kind:     by_value
      - .offset:         104
        .size:           4
        .value_kind:     hidden_block_count_x
      - .offset:         108
        .size:           4
        .value_kind:     hidden_block_count_y
      - .offset:         112
        .size:           4
        .value_kind:     hidden_block_count_z
      - .offset:         116
        .size:           2
        .value_kind:     hidden_group_size_x
      - .offset:         118
        .size:           2
        .value_kind:     hidden_group_size_y
      - .offset:         120
        .size:           2
        .value_kind:     hidden_group_size_z
      - .offset:         122
        .size:           2
        .value_kind:     hidden_remainder_x
      - .offset:         124
        .size:           2
        .value_kind:     hidden_remainder_y
      - .offset:         126
        .size:           2
        .value_kind:     hidden_remainder_z
      - .offset:         144
        .size:           8
        .value_kind:     hidden_global_offset_x
      - .offset:         152
        .size:           8
        .value_kind:     hidden_global_offset_y
      - .offset:         160
        .size:           8
        .value_kind:     hidden_global_offset_z
      - .offset:         168
        .size:           2
        .value_kind:     hidden_grid_dims
    .group_segment_fixed_size: 128
    .kernarg_segment_align: 8
    .kernarg_segment_size: 360
    .language:       OpenCL C
    .language_version:
      - 2
      - 0
    .max_flat_workgroup_size: 256
    .name:           _ZL23rocblas_gemvt_sn_kernelILb0ELi256ELi4El16rocblas_bfloat16ffEviiT4_lPKT3_lilS4_lilPT5_i
    .private_segment_fixed_size: 0
    .sgpr_count:     58
    .sgpr_spill_count: 0
    .symbol:         _ZL23rocblas_gemvt_sn_kernelILb0ELi256ELi4El16rocblas_bfloat16ffEviiT4_lPKT3_lilS4_lilPT5_i.kd
    .uniform_work_group_size: 1
    .uses_dynamic_stack: false
    .vgpr_count:     55
    .vgpr_spill_count: 0
    .wavefront_size: 32
    .workgroup_processor_mode: 1
  - .args:
      - .offset:         0
        .size:           4
        .value_kind:     by_value
      - .offset:         4
        .size:           4
        .value_kind:     by_value
      - .offset:         8
        .size:           8
        .value_kind:     by_value
      - .address_space:  global
        .offset:         16
        .size:           8
        .value_kind:     global_buffer
      - .offset:         24
        .size:           8
        .value_kind:     by_value
      - .offset:         32
        .size:           4
        .value_kind:     by_value
      - .offset:         40
        .size:           8
        .value_kind:     by_value
      - .actual_access:  read_only
        .address_space:  global
        .offset:         48
        .size:           8
        .value_kind:     global_buffer
      - .offset:         56
        .size:           4
        .value_kind:     by_value
      - .offset:         64
        .size:           4
        .value_kind:     hidden_block_count_x
      - .offset:         68
        .size:           4
        .value_kind:     hidden_block_count_y
      - .offset:         72
        .size:           4
        .value_kind:     hidden_block_count_z
      - .offset:         76
        .size:           2
        .value_kind:     hidden_group_size_x
      - .offset:         78
        .size:           2
        .value_kind:     hidden_group_size_y
      - .offset:         80
        .size:           2
        .value_kind:     hidden_group_size_z
      - .offset:         82
        .size:           2
        .value_kind:     hidden_remainder_x
      - .offset:         84
        .size:           2
        .value_kind:     hidden_remainder_y
      - .offset:         86
        .size:           2
        .value_kind:     hidden_remainder_z
      - .offset:         104
        .size:           8
        .value_kind:     hidden_global_offset_x
      - .offset:         112
        .size:           8
        .value_kind:     hidden_global_offset_y
      - .offset:         120
        .size:           8
        .value_kind:     hidden_global_offset_z
      - .offset:         128
        .size:           2
        .value_kind:     hidden_grid_dims
    .group_segment_fixed_size: 128
    .kernarg_segment_align: 8
    .kernarg_segment_size: 320
    .language:       OpenCL C
    .language_version:
      - 2
      - 0
    .max_flat_workgroup_size: 256
    .name:           _ZL23rocblas_gemvt_sn_reduceILi256ELi8Eff16rocblas_bfloat16EviT2_lPT3_lilPT1_i
    .private_segment_fixed_size: 0
    .sgpr_count:     18
    .sgpr_spill_count: 0
    .symbol:         _ZL23rocblas_gemvt_sn_reduceILi256ELi8Eff16rocblas_bfloat16EviT2_lPT3_lilPT1_i.kd
    .uniform_work_group_size: 1
    .uses_dynamic_stack: false
    .vgpr_count:     13
    .vgpr_spill_count: 0
    .wavefront_size: 32
    .workgroup_processor_mode: 1
  - .args:
      - .offset:         0
        .size:           4
        .value_kind:     by_value
      - .offset:         4
        .size:           4
        .value_kind:     by_value
      - .address_space:  global
        .offset:         8
        .size:           8
        .value_kind:     global_buffer
      - .offset:         16
        .size:           8
        .value_kind:     by_value
      - .address_space:  global
        .offset:         24
        .size:           8
        .value_kind:     global_buffer
      - .offset:         32
        .size:           8
        .value_kind:     by_value
      - .offset:         40
        .size:           4
        .value_kind:     by_value
      - .offset:         48
        .size:           8
        .value_kind:     by_value
      - .address_space:  global
        .offset:         56
        .size:           8
        .value_kind:     global_buffer
      - .offset:         64
        .size:           8
        .value_kind:     by_value
      - .offset:         72
        .size:           4
        .value_kind:     by_value
      - .offset:         80
        .size:           8
        .value_kind:     by_value
      - .address_space:  global
        .offset:         88
        .size:           8
        .value_kind:     global_buffer
      - .offset:         96
        .size:           8
        .value_kind:     by_value
      - .address_space:  global
        .offset:         104
        .size:           8
        .value_kind:     global_buffer
      - .offset:         112
        .size:           8
        .value_kind:     by_value
      - .offset:         120
        .size:           4
        .value_kind:     by_value
      - .offset:         128
        .size:           8
        .value_kind:     by_value
      - .offset:         136
        .size:           4
        .value_kind:     by_value
    .group_segment_fixed_size: 128
    .kernarg_segment_align: 8
    .kernarg_segment_size: 140
    .language:       OpenCL C
    .language_version:
      - 2
      - 0
    .max_flat_workgroup_size: 256
    .name:           _ZL32rocblas_gemvt_warp_reduce_kernelILb0ELi256Ei16rocblas_bfloat16PKfS0_EviiT3_lPKT2_lT1_lS6_lS7_lS3_lPT4_lS7_li
    .private_segment_fixed_size: 0
    .sgpr_count:     28
    .sgpr_spill_count: 0
    .symbol:         _ZL32rocblas_gemvt_warp_reduce_kernelILb0ELi256Ei16rocblas_bfloat16PKfS0_EviiT3_lPKT2_lT1_lS6_lS7_lS3_lPT4_lS7_li.kd
    .uniform_work_group_size: 1
    .uses_dynamic_stack: false
    .vgpr_count:     12
    .vgpr_spill_count: 0
    .wavefront_size: 32
    .workgroup_processor_mode: 1
  - .args:
      - .offset:         0
        .size:           4
        .value_kind:     by_value
      - .offset:         4
        .size:           4
        .value_kind:     by_value
      - .address_space:  global
        .offset:         8
        .size:           8
        .value_kind:     global_buffer
      - .offset:         16
        .size:           8
        .value_kind:     by_value
      - .address_space:  global
        .offset:         24
        .size:           8
        .value_kind:     global_buffer
      - .offset:         32
        .size:           8
        .value_kind:     by_value
      - .offset:         40
        .size:           8
        .value_kind:     by_value
      - .offset:         48
        .size:           8
        .value_kind:     by_value
      - .address_space:  global
        .offset:         56
        .size:           8
        .value_kind:     global_buffer
      - .offset:         64
        .size:           8
        .value_kind:     by_value
      - .offset:         72
        .size:           8
        .value_kind:     by_value
      - .offset:         80
        .size:           8
        .value_kind:     by_value
      - .address_space:  global
        .offset:         88
        .size:           8
        .value_kind:     global_buffer
      - .offset:         96
        .size:           8
        .value_kind:     by_value
      - .address_space:  global
        .offset:         104
        .size:           8
        .value_kind:     global_buffer
      - .offset:         112
        .size:           8
        .value_kind:     by_value
      - .offset:         120
        .size:           8
        .value_kind:     by_value
      - .offset:         128
        .size:           8
        .value_kind:     by_value
      - .offset:         136
        .size:           4
        .value_kind:     by_value
    .group_segment_fixed_size: 128
    .kernarg_segment_align: 8
    .kernarg_segment_size: 140
    .language:       OpenCL C
    .language_version:
      - 2
      - 0
    .max_flat_workgroup_size: 256
    .name:           _ZL32rocblas_gemvt_warp_reduce_kernelILb0ELi256El16rocblas_bfloat16PKfS0_EviiT3_lPKT2_lT1_lS6_lS7_lS3_lPT4_lS7_li
    .private_segment_fixed_size: 0
    .sgpr_count:     54
    .sgpr_spill_count: 0
    .symbol:         _ZL32rocblas_gemvt_warp_reduce_kernelILb0ELi256El16rocblas_bfloat16PKfS0_EviiT3_lPKT2_lT1_lS6_lS7_lS3_lPT4_lS7_li.kd
    .uniform_work_group_size: 1
    .uses_dynamic_stack: false
    .vgpr_count:     12
    .vgpr_spill_count: 0
    .wavefront_size: 32
    .workgroup_processor_mode: 1
  - .args:
      - .offset:         0
        .size:           4
        .value_kind:     by_value
      - .offset:         4
        .size:           4
        .value_kind:     by_value
      - .offset:         8
        .size:           4
        .value_kind:     by_value
      - .offset:         16
        .size:           8
        .value_kind:     by_value
      - .address_space:  global
        .offset:         24
        .size:           8
        .value_kind:     global_buffer
      - .offset:         32
        .size:           8
        .value_kind:     by_value
      - .offset:         40
        .size:           4
        .value_kind:     by_value
      - .offset:         48
        .size:           8
        .value_kind:     by_value
      - .address_space:  global
        .offset:         56
        .size:           8
        .value_kind:     global_buffer
      - .offset:         64
        .size:           8
        .value_kind:     by_value
      - .offset:         72
        .size:           4
        .value_kind:     by_value
      - .offset:         80
        .size:           8
        .value_kind:     by_value
      - .offset:         88
        .size:           4
        .value_kind:     by_value
      - .offset:         96
        .size:           8
        .value_kind:     by_value
      - .address_space:  global
        .offset:         104
        .size:           8
        .value_kind:     global_buffer
      - .offset:         112
        .size:           8
        .value_kind:     by_value
      - .offset:         120
        .size:           4
        .value_kind:     by_value
      - .offset:         128
        .size:           8
        .value_kind:     by_value
      - .offset:         136
        .size:           4
        .value_kind:     by_value
    .group_segment_fixed_size: 128
    .kernarg_segment_align: 8
    .kernarg_segment_size: 140
    .language:       OpenCL C
    .language_version:
      - 2
      - 0
    .max_flat_workgroup_size: 256
    .name:           _ZL32rocblas_gemvt_warp_reduce_kernelILb0ELi256Ei16rocblas_bfloat16fS0_EviiT3_lPKT2_lT1_lS4_lS5_lS1_lPT4_lS5_li
    .private_segment_fixed_size: 0
    .sgpr_count:     27
    .sgpr_spill_count: 0
    .symbol:         _ZL32rocblas_gemvt_warp_reduce_kernelILb0ELi256Ei16rocblas_bfloat16fS0_EviiT3_lPKT2_lT1_lS4_lS5_lS1_lPT4_lS5_li.kd
    .uniform_work_group_size: 1
    .uses_dynamic_stack: false
    .vgpr_count:     12
    .vgpr_spill_count: 0
    .wavefront_size: 32
    .workgroup_processor_mode: 1
  - .args:
      - .offset:         0
        .size:           4
        .value_kind:     by_value
      - .offset:         4
        .size:           4
        .value_kind:     by_value
      - .offset:         8
        .size:           4
        .value_kind:     by_value
      - .offset:         16
        .size:           8
        .value_kind:     by_value
      - .address_space:  global
        .offset:         24
        .size:           8
        .value_kind:     global_buffer
      - .offset:         32
        .size:           8
        .value_kind:     by_value
      - .offset:         40
        .size:           8
        .value_kind:     by_value
      - .offset:         48
        .size:           8
        .value_kind:     by_value
      - .address_space:  global
        .offset:         56
        .size:           8
        .value_kind:     global_buffer
      - .offset:         64
        .size:           8
        .value_kind:     by_value
      - .offset:         72
        .size:           8
        .value_kind:     by_value
      - .offset:         80
        .size:           8
        .value_kind:     by_value
      - .offset:         88
        .size:           4
        .value_kind:     by_value
      - .offset:         96
        .size:           8
        .value_kind:     by_value
      - .address_space:  global
        .offset:         104
        .size:           8
        .value_kind:     global_buffer
      - .offset:         112
        .size:           8
        .value_kind:     by_value
      - .offset:         120
        .size:           8
        .value_kind:     by_value
      - .offset:         128
        .size:           8
        .value_kind:     by_value
      - .offset:         136
        .size:           4
        .value_kind:     by_value
    .group_segment_fixed_size: 128
    .kernarg_segment_align: 8
    .kernarg_segment_size: 140
    .language:       OpenCL C
    .language_version:
      - 2
      - 0
    .max_flat_workgroup_size: 256
    .name:           _ZL32rocblas_gemvt_warp_reduce_kernelILb0ELi256El16rocblas_bfloat16fS0_EviiT3_lPKT2_lT1_lS4_lS5_lS1_lPT4_lS5_li
    .private_segment_fixed_size: 0
    .sgpr_count:     38
    .sgpr_spill_count: 0
    .symbol:         _ZL32rocblas_gemvt_warp_reduce_kernelILb0ELi256El16rocblas_bfloat16fS0_EviiT3_lPKT2_lT1_lS4_lS5_lS1_lPT4_lS5_li.kd
    .uniform_work_group_size: 1
    .uses_dynamic_stack: false
    .vgpr_count:     12
    .vgpr_spill_count: 0
    .wavefront_size: 32
    .workgroup_processor_mode: 1
  - .args:
      - .offset:         0
        .size:           4
        .value_kind:     by_value
      - .offset:         4
        .size:           4
        .value_kind:     by_value
      - .address_space:  global
        .offset:         8
        .size:           8
        .value_kind:     global_buffer
      - .offset:         16
        .size:           8
        .value_kind:     by_value
      - .address_space:  global
        .offset:         24
        .size:           8
        .value_kind:     global_buffer
      - .offset:         32
        .size:           8
        .value_kind:     by_value
      - .offset:         40
        .size:           4
        .value_kind:     by_value
      - .offset:         48
        .size:           8
        .value_kind:     by_value
      - .address_space:  global
        .offset:         56
        .size:           8
        .value_kind:     global_buffer
      - .offset:         64
        .size:           8
        .value_kind:     by_value
      - .offset:         72
        .size:           4
        .value_kind:     by_value
      - .offset:         80
        .size:           8
        .value_kind:     by_value
      - .address_space:  global
        .offset:         88
        .size:           8
        .value_kind:     global_buffer
      - .offset:         96
        .size:           8
        .value_kind:     by_value
      - .address_space:  global
        .offset:         104
        .size:           8
        .value_kind:     global_buffer
      - .offset:         112
        .size:           8
        .value_kind:     by_value
      - .offset:         120
        .size:           4
        .value_kind:     by_value
      - .offset:         128
        .size:           8
        .value_kind:     by_value
      - .offset:         136
        .size:           4
        .value_kind:     by_value
    .group_segment_fixed_size: 1024
    .kernarg_segment_align: 8
    .kernarg_segment_size: 140
    .language:       OpenCL C
    .language_version:
      - 2
      - 0
    .max_flat_workgroup_size: 256
    .name:           _ZL20rocblas_gemvt_kernelILb0ELi256E16rocblas_bfloat16PKfS0_EviiT2_lPKT1_lilS6_lilS3_lPT3_lili
    .private_segment_fixed_size: 0
    .sgpr_count:     28
    .sgpr_spill_count: 0
    .symbol:         _ZL20rocblas_gemvt_kernelILb0ELi256E16rocblas_bfloat16PKfS0_EviiT2_lPKT1_lilS6_lilS3_lPT3_lili.kd
    .uniform_work_group_size: 1
    .uses_dynamic_stack: false
    .vgpr_count:     11
    .vgpr_spill_count: 0
    .wavefront_size: 32
    .workgroup_processor_mode: 1
  - .args:
      - .offset:         0
        .size:           4
        .value_kind:     by_value
      - .offset:         4
        .size:           4
        .value_kind:     by_value
      - .offset:         8
        .size:           4
        .value_kind:     by_value
      - .offset:         16
        .size:           8
        .value_kind:     by_value
      - .address_space:  global
        .offset:         24
        .size:           8
        .value_kind:     global_buffer
      - .offset:         32
        .size:           8
        .value_kind:     by_value
      - .offset:         40
        .size:           4
        .value_kind:     by_value
      - .offset:         48
        .size:           8
        .value_kind:     by_value
      - .address_space:  global
        .offset:         56
        .size:           8
        .value_kind:     global_buffer
      - .offset:         64
        .size:           8
        .value_kind:     by_value
      - .offset:         72
        .size:           4
        .value_kind:     by_value
      - .offset:         80
        .size:           8
        .value_kind:     by_value
      - .offset:         88
        .size:           4
        .value_kind:     by_value
      - .offset:         96
        .size:           8
        .value_kind:     by_value
      - .address_space:  global
        .offset:         104
        .size:           8
        .value_kind:     global_buffer
      - .offset:         112
        .size:           8
        .value_kind:     by_value
      - .offset:         120
        .size:           4
        .value_kind:     by_value
      - .offset:         128
        .size:           8
        .value_kind:     by_value
      - .offset:         136
        .size:           4
        .value_kind:     by_value
    .group_segment_fixed_size: 1024
    .kernarg_segment_align: 8
    .kernarg_segment_size: 140
    .language:       OpenCL C
    .language_version:
      - 2
      - 0
    .max_flat_workgroup_size: 256
    .name:           _ZL20rocblas_gemvt_kernelILb0ELi256E16rocblas_bfloat16fS0_EviiT2_lPKT1_lilS4_lilS1_lPT3_lili
    .private_segment_fixed_size: 0
    .sgpr_count:     30
    .sgpr_spill_count: 0
    .symbol:         _ZL20rocblas_gemvt_kernelILb0ELi256E16rocblas_bfloat16fS0_EviiT2_lPKT1_lilS4_lilS1_lPT3_lili.kd
    .uniform_work_group_size: 1
    .uses_dynamic_stack: false
    .vgpr_count:     11
    .vgpr_spill_count: 0
    .wavefront_size: 32
    .workgroup_processor_mode: 1
  - .args:
      - .offset:         0
        .size:           4
        .value_kind:     by_value
      - .offset:         4
        .size:           4
        .value_kind:     by_value
      - .address_space:  global
        .offset:         8
        .size:           8
        .value_kind:     global_buffer
      - .offset:         16
        .size:           8
        .value_kind:     by_value
      - .address_space:  global
        .offset:         24
        .size:           8
        .value_kind:     global_buffer
      - .offset:         32
        .size:           8
        .value_kind:     by_value
      - .offset:         40
        .size:           4
        .value_kind:     by_value
      - .offset:         48
        .size:           8
        .value_kind:     by_value
      - .address_space:  global
        .offset:         56
        .size:           8
        .value_kind:     global_buffer
      - .offset:         64
        .size:           8
        .value_kind:     by_value
      - .offset:         72
        .size:           4
        .value_kind:     by_value
      - .offset:         80
        .size:           8
        .value_kind:     by_value
      - .address_space:  global
        .offset:         88
        .size:           8
        .value_kind:     global_buffer
      - .offset:         96
        .size:           8
        .value_kind:     by_value
      - .address_space:  global
        .offset:         104
        .size:           8
        .value_kind:     global_buffer
      - .offset:         112
        .size:           8
        .value_kind:     by_value
      - .offset:         120
        .size:           4
        .value_kind:     by_value
      - .offset:         128
        .size:           8
        .value_kind:     by_value
      - .offset:         136
        .size:           4
        .value_kind:     by_value
    .group_segment_fixed_size: 128
    .kernarg_segment_align: 8
    .kernarg_segment_size: 140
    .language:       OpenCL C
    .language_version:
      - 2
      - 0
    .max_flat_workgroup_size: 1024
    .name:           _ZL32rocblas_gemvt_warp_reduce_kernelILb0ELi1024Ei16rocblas_bfloat16PKfS0_EviiT3_lPKT2_lT1_lS6_lS7_lS3_lPT4_lS7_li
    .private_segment_fixed_size: 0
    .sgpr_count:     28
    .sgpr_spill_count: 0
    .symbol:         _ZL32rocblas_gemvt_warp_reduce_kernelILb0ELi1024Ei16rocblas_bfloat16PKfS0_EviiT3_lPKT2_lT1_lS6_lS7_lS3_lPT4_lS7_li.kd
    .uniform_work_group_size: 1
    .uses_dynamic_stack: false
    .vgpr_count:     12
    .vgpr_spill_count: 0
    .wavefront_size: 32
    .workgroup_processor_mode: 1
  - .args:
      - .offset:         0
        .size:           4
        .value_kind:     by_value
      - .offset:         4
        .size:           4
        .value_kind:     by_value
      - .address_space:  global
        .offset:         8
        .size:           8
        .value_kind:     global_buffer
      - .offset:         16
        .size:           8
        .value_kind:     by_value
      - .address_space:  global
        .offset:         24
        .size:           8
        .value_kind:     global_buffer
      - .offset:         32
        .size:           8
        .value_kind:     by_value
      - .offset:         40
        .size:           8
        .value_kind:     by_value
      - .offset:         48
        .size:           8
        .value_kind:     by_value
      - .address_space:  global
        .offset:         56
        .size:           8
        .value_kind:     global_buffer
      - .offset:         64
        .size:           8
        .value_kind:     by_value
      - .offset:         72
        .size:           8
        .value_kind:     by_value
      - .offset:         80
        .size:           8
        .value_kind:     by_value
      - .address_space:  global
        .offset:         88
        .size:           8
        .value_kind:     global_buffer
      - .offset:         96
        .size:           8
        .value_kind:     by_value
      - .address_space:  global
        .offset:         104
        .size:           8
        .value_kind:     global_buffer
      - .offset:         112
        .size:           8
        .value_kind:     by_value
      - .offset:         120
        .size:           8
        .value_kind:     by_value
      - .offset:         128
        .size:           8
        .value_kind:     by_value
      - .offset:         136
        .size:           4
        .value_kind:     by_value
    .group_segment_fixed_size: 128
    .kernarg_segment_align: 8
    .kernarg_segment_size: 140
    .language:       OpenCL C
    .language_version:
      - 2
      - 0
    .max_flat_workgroup_size: 1024
    .name:           _ZL32rocblas_gemvt_warp_reduce_kernelILb0ELi1024El16rocblas_bfloat16PKfS0_EviiT3_lPKT2_lT1_lS6_lS7_lS3_lPT4_lS7_li
    .private_segment_fixed_size: 0
    .sgpr_count:     54
    .sgpr_spill_count: 0
    .symbol:         _ZL32rocblas_gemvt_warp_reduce_kernelILb0ELi1024El16rocblas_bfloat16PKfS0_EviiT3_lPKT2_lT1_lS6_lS7_lS3_lPT4_lS7_li.kd
    .uniform_work_group_size: 1
    .uses_dynamic_stack: false
    .vgpr_count:     12
    .vgpr_spill_count: 0
    .wavefront_size: 32
    .workgroup_processor_mode: 1
  - .args:
      - .offset:         0
        .size:           4
        .value_kind:     by_value
      - .offset:         4
        .size:           4
        .value_kind:     by_value
      - .offset:         8
        .size:           4
        .value_kind:     by_value
      - .offset:         16
        .size:           8
        .value_kind:     by_value
      - .address_space:  global
        .offset:         24
        .size:           8
        .value_kind:     global_buffer
      - .offset:         32
        .size:           8
        .value_kind:     by_value
      - .offset:         40
        .size:           4
        .value_kind:     by_value
      - .offset:         48
        .size:           8
        .value_kind:     by_value
      - .address_space:  global
        .offset:         56
        .size:           8
        .value_kind:     global_buffer
      - .offset:         64
        .size:           8
        .value_kind:     by_value
      - .offset:         72
        .size:           4
        .value_kind:     by_value
      - .offset:         80
        .size:           8
        .value_kind:     by_value
      - .offset:         88
        .size:           4
        .value_kind:     by_value
      - .offset:         96
        .size:           8
        .value_kind:     by_value
      - .address_space:  global
        .offset:         104
        .size:           8
        .value_kind:     global_buffer
      - .offset:         112
        .size:           8
        .value_kind:     by_value
      - .offset:         120
        .size:           4
        .value_kind:     by_value
      - .offset:         128
        .size:           8
        .value_kind:     by_value
      - .offset:         136
        .size:           4
        .value_kind:     by_value
    .group_segment_fixed_size: 128
    .kernarg_segment_align: 8
    .kernarg_segment_size: 140
    .language:       OpenCL C
    .language_version:
      - 2
      - 0
    .max_flat_workgroup_size: 1024
    .name:           _ZL32rocblas_gemvt_warp_reduce_kernelILb0ELi1024Ei16rocblas_bfloat16fS0_EviiT3_lPKT2_lT1_lS4_lS5_lS1_lPT4_lS5_li
    .private_segment_fixed_size: 0
    .sgpr_count:     27
    .sgpr_spill_count: 0
    .symbol:         _ZL32rocblas_gemvt_warp_reduce_kernelILb0ELi1024Ei16rocblas_bfloat16fS0_EviiT3_lPKT2_lT1_lS4_lS5_lS1_lPT4_lS5_li.kd
    .uniform_work_group_size: 1
    .uses_dynamic_stack: false
    .vgpr_count:     12
    .vgpr_spill_count: 0
    .wavefront_size: 32
    .workgroup_processor_mode: 1
  - .args:
      - .offset:         0
        .size:           4
        .value_kind:     by_value
      - .offset:         4
        .size:           4
        .value_kind:     by_value
      - .offset:         8
        .size:           4
        .value_kind:     by_value
      - .offset:         16
        .size:           8
        .value_kind:     by_value
      - .address_space:  global
        .offset:         24
        .size:           8
        .value_kind:     global_buffer
      - .offset:         32
        .size:           8
        .value_kind:     by_value
      - .offset:         40
        .size:           8
        .value_kind:     by_value
      - .offset:         48
        .size:           8
        .value_kind:     by_value
      - .address_space:  global
        .offset:         56
        .size:           8
        .value_kind:     global_buffer
      - .offset:         64
        .size:           8
        .value_kind:     by_value
      - .offset:         72
        .size:           8
        .value_kind:     by_value
      - .offset:         80
        .size:           8
        .value_kind:     by_value
      - .offset:         88
        .size:           4
        .value_kind:     by_value
      - .offset:         96
        .size:           8
        .value_kind:     by_value
      - .address_space:  global
        .offset:         104
        .size:           8
        .value_kind:     global_buffer
      - .offset:         112
        .size:           8
        .value_kind:     by_value
      - .offset:         120
        .size:           8
        .value_kind:     by_value
      - .offset:         128
        .size:           8
        .value_kind:     by_value
      - .offset:         136
        .size:           4
        .value_kind:     by_value
    .group_segment_fixed_size: 128
    .kernarg_segment_align: 8
    .kernarg_segment_size: 140
    .language:       OpenCL C
    .language_version:
      - 2
      - 0
    .max_flat_workgroup_size: 1024
    .name:           _ZL32rocblas_gemvt_warp_reduce_kernelILb0ELi1024El16rocblas_bfloat16fS0_EviiT3_lPKT2_lT1_lS4_lS5_lS1_lPT4_lS5_li
    .private_segment_fixed_size: 0
    .sgpr_count:     38
    .sgpr_spill_count: 0
    .symbol:         _ZL32rocblas_gemvt_warp_reduce_kernelILb0ELi1024El16rocblas_bfloat16fS0_EviiT3_lPKT2_lT1_lS4_lS5_lS1_lPT4_lS5_li.kd
    .uniform_work_group_size: 1
    .uses_dynamic_stack: false
    .vgpr_count:     12
    .vgpr_spill_count: 0
    .wavefront_size: 32
    .workgroup_processor_mode: 1
  - .args:
      - .offset:         0
        .size:           4
        .value_kind:     by_value
      - .offset:         4
        .size:           4
        .value_kind:     by_value
      - .address_space:  global
        .offset:         8
        .size:           8
        .value_kind:     global_buffer
      - .offset:         16
        .size:           8
        .value_kind:     by_value
      - .address_space:  global
        .offset:         24
        .size:           8
        .value_kind:     global_buffer
      - .offset:         32
        .size:           8
        .value_kind:     by_value
      - .offset:         40
        .size:           4
        .value_kind:     by_value
      - .offset:         48
        .size:           8
        .value_kind:     by_value
      - .address_space:  global
        .offset:         56
        .size:           8
        .value_kind:     global_buffer
      - .offset:         64
        .size:           8
        .value_kind:     by_value
      - .offset:         72
        .size:           4
        .value_kind:     by_value
      - .offset:         80
        .size:           8
        .value_kind:     by_value
      - .address_space:  global
        .offset:         88
        .size:           8
        .value_kind:     global_buffer
      - .offset:         96
        .size:           8
        .value_kind:     by_value
      - .address_space:  global
        .offset:         104
        .size:           8
        .value_kind:     global_buffer
      - .offset:         112
        .size:           8
        .value_kind:     by_value
      - .offset:         120
        .size:           4
        .value_kind:     by_value
      - .offset:         128
        .size:           8
        .value_kind:     by_value
    .group_segment_fixed_size: 256
    .kernarg_segment_align: 8
    .kernarg_segment_size: 136
    .language:       OpenCL C
    .language_version:
      - 2
      - 0
    .max_flat_workgroup_size: 256
    .name:           _ZL22rocblas_gemvtsm_kernelILb1ELi256E16rocblas_bfloat16PKfS0_EviiT2_lPKT1_lilS6_lilS3_lPT3_lil
    .private_segment_fixed_size: 0
    .sgpr_count:     31
    .sgpr_spill_count: 0
    .symbol:         _ZL22rocblas_gemvtsm_kernelILb1ELi256E16rocblas_bfloat16PKfS0_EviiT2_lPKT1_lilS6_lilS3_lPT3_lil.kd
    .uniform_work_group_size: 1
    .uses_dynamic_stack: false
    .vgpr_count:     16
    .vgpr_spill_count: 0
    .wavefront_size: 32
    .workgroup_processor_mode: 1
  - .args:
      - .offset:         0
        .size:           4
        .value_kind:     by_value
      - .offset:         4
        .size:           4
        .value_kind:     by_value
      - .offset:         8
        .size:           4
        .value_kind:     by_value
      - .offset:         16
        .size:           8
        .value_kind:     by_value
      - .address_space:  global
        .offset:         24
        .size:           8
        .value_kind:     global_buffer
      - .offset:         32
        .size:           8
        .value_kind:     by_value
      - .offset:         40
        .size:           4
        .value_kind:     by_value
      - .offset:         48
        .size:           8
        .value_kind:     by_value
      - .address_space:  global
        .offset:         56
        .size:           8
        .value_kind:     global_buffer
      - .offset:         64
        .size:           8
        .value_kind:     by_value
      - .offset:         72
        .size:           4
        .value_kind:     by_value
      - .offset:         80
        .size:           8
        .value_kind:     by_value
      - .offset:         88
        .size:           4
        .value_kind:     by_value
      - .offset:         96
        .size:           8
        .value_kind:     by_value
      - .address_space:  global
        .offset:         104
        .size:           8
        .value_kind:     global_buffer
      - .offset:         112
        .size:           8
        .value_kind:     by_value
      - .offset:         120
        .size:           4
        .value_kind:     by_value
      - .offset:         128
        .size:           8
        .value_kind:     by_value
    .group_segment_fixed_size: 256
    .kernarg_segment_align: 8
    .kernarg_segment_size: 136
    .language:       OpenCL C
    .language_version:
      - 2
      - 0
    .max_flat_workgroup_size: 256
    .name:           _ZL22rocblas_gemvtsm_kernelILb1ELi256E16rocblas_bfloat16fS0_EviiT2_lPKT1_lilS4_lilS1_lPT3_lil
    .private_segment_fixed_size: 0
    .sgpr_count:     28
    .sgpr_spill_count: 0
    .symbol:         _ZL22rocblas_gemvtsm_kernelILb1ELi256E16rocblas_bfloat16fS0_EviiT2_lPKT1_lilS4_lilS1_lPT3_lil.kd
    .uniform_work_group_size: 1
    .uses_dynamic_stack: false
    .vgpr_count:     16
    .vgpr_spill_count: 0
    .wavefront_size: 32
    .workgroup_processor_mode: 1
  - .args:
      - .offset:         0
        .size:           4
        .value_kind:     by_value
      - .offset:         4
        .size:           4
        .value_kind:     by_value
      - .address_space:  global
        .offset:         8
        .size:           8
        .value_kind:     global_buffer
      - .offset:         16
        .size:           8
        .value_kind:     by_value
      - .address_space:  global
        .offset:         24
        .size:           8
        .value_kind:     global_buffer
      - .offset:         32
        .size:           8
        .value_kind:     by_value
      - .offset:         40
        .size:           4
        .value_kind:     by_value
      - .offset:         48
        .size:           8
        .value_kind:     by_value
      - .address_space:  global
        .offset:         56
        .size:           8
        .value_kind:     global_buffer
      - .offset:         64
        .size:           8
        .value_kind:     by_value
      - .offset:         72
        .size:           4
        .value_kind:     by_value
      - .offset:         80
        .size:           8
        .value_kind:     by_value
      - .address_space:  global
        .offset:         88
        .size:           8
        .value_kind:     global_buffer
      - .offset:         96
        .size:           4
        .value_kind:     by_value
      - .offset:         104
        .size:           4
        .value_kind:     hidden_block_count_x
      - .offset:         108
        .size:           4
        .value_kind:     hidden_block_count_y
      - .offset:         112
        .size:           4
        .value_kind:     hidden_block_count_z
      - .offset:         116
        .size:           2
        .value_kind:     hidden_group_size_x
      - .offset:         118
        .size:           2
        .value_kind:     hidden_group_size_y
      - .offset:         120
        .size:           2
        .value_kind:     hidden_group_size_z
      - .offset:         122
        .size:           2
        .value_kind:     hidden_remainder_x
      - .offset:         124
        .size:           2
        .value_kind:     hidden_remainder_y
      - .offset:         126
        .size:           2
        .value_kind:     hidden_remainder_z
      - .offset:         144
        .size:           8
        .value_kind:     hidden_global_offset_x
      - .offset:         152
        .size:           8
        .value_kind:     hidden_global_offset_y
      - .offset:         160
        .size:           8
        .value_kind:     hidden_global_offset_z
      - .offset:         168
        .size:           2
        .value_kind:     hidden_grid_dims
    .group_segment_fixed_size: 128
    .kernarg_segment_align: 8
    .kernarg_segment_size: 360
    .language:       OpenCL C
    .language_version:
      - 2
      - 0
    .max_flat_workgroup_size: 256
    .name:           _ZL23rocblas_gemvt_sn_kernelILb1ELi256ELi4Ei16rocblas_bfloat16PKffEviiT4_lPKT3_lilS6_lilPT5_i
    .private_segment_fixed_size: 0
    .sgpr_count:     52
    .sgpr_spill_count: 0
    .symbol:         _ZL23rocblas_gemvt_sn_kernelILb1ELi256ELi4Ei16rocblas_bfloat16PKffEviiT4_lPKT3_lilS6_lilPT5_i.kd
    .uniform_work_group_size: 1
    .uses_dynamic_stack: false
    .vgpr_count:     51
    .vgpr_spill_count: 0
    .wavefront_size: 32
    .workgroup_processor_mode: 1
  - .args:
      - .offset:         0
        .size:           4
        .value_kind:     by_value
      - .offset:         4
        .size:           4
        .value_kind:     by_value
      - .address_space:  global
        .offset:         8
        .size:           8
        .value_kind:     global_buffer
      - .offset:         16
        .size:           8
        .value_kind:     by_value
      - .address_space:  global
        .offset:         24
        .size:           8
        .value_kind:     global_buffer
      - .offset:         32
        .size:           8
        .value_kind:     by_value
      - .offset:         40
        .size:           4
        .value_kind:     by_value
      - .offset:         48
        .size:           8
        .value_kind:     by_value
      - .address_space:  global
        .offset:         56
        .size:           8
        .value_kind:     global_buffer
      - .offset:         64
        .size:           8
        .value_kind:     by_value
      - .offset:         72
        .size:           4
        .value_kind:     by_value
      - .offset:         80
        .size:           8
        .value_kind:     by_value
      - .address_space:  global
        .offset:         88
        .size:           8
        .value_kind:     global_buffer
      - .offset:         96
        .size:           4
        .value_kind:     by_value
      - .offset:         104
        .size:           4
        .value_kind:     hidden_block_count_x
      - .offset:         108
        .size:           4
        .value_kind:     hidden_block_count_y
      - .offset:         112
        .size:           4
        .value_kind:     hidden_block_count_z
      - .offset:         116
        .size:           2
        .value_kind:     hidden_group_size_x
      - .offset:         118
        .size:           2
        .value_kind:     hidden_group_size_y
      - .offset:         120
        .size:           2
        .value_kind:     hidden_group_size_z
      - .offset:         122
        .size:           2
        .value_kind:     hidden_remainder_x
      - .offset:         124
        .size:           2
        .value_kind:     hidden_remainder_y
      - .offset:         126
        .size:           2
        .value_kind:     hidden_remainder_z
      - .offset:         144
        .size:           8
        .value_kind:     hidden_global_offset_x
      - .offset:         152
        .size:           8
        .value_kind:     hidden_global_offset_y
      - .offset:         160
        .size:           8
        .value_kind:     hidden_global_offset_z
      - .offset:         168
        .size:           2
        .value_kind:     hidden_grid_dims
    .group_segment_fixed_size: 128
    .kernarg_segment_align: 8
    .kernarg_segment_size: 360
    .language:       OpenCL C
    .language_version:
      - 2
      - 0
    .max_flat_workgroup_size: 256
    .name:           _ZL23rocblas_gemvt_sn_kernelILb1ELi256ELi4El16rocblas_bfloat16PKffEviiT4_lPKT3_lilS6_lilPT5_i
    .private_segment_fixed_size: 0
    .sgpr_count:     58
    .sgpr_spill_count: 0
    .symbol:         _ZL23rocblas_gemvt_sn_kernelILb1ELi256ELi4El16rocblas_bfloat16PKffEviiT4_lPKT3_lilS6_lilPT5_i.kd
    .uniform_work_group_size: 1
    .uses_dynamic_stack: false
    .vgpr_count:     55
    .vgpr_spill_count: 0
    .wavefront_size: 32
    .workgroup_processor_mode: 1
  - .args:
      - .offset:         0
        .size:           4
        .value_kind:     by_value
      - .offset:         4
        .size:           4
        .value_kind:     by_value
      - .offset:         8
        .size:           4
        .value_kind:     by_value
      - .offset:         16
        .size:           8
        .value_kind:     by_value
      - .address_space:  global
        .offset:         24
        .size:           8
        .value_kind:     global_buffer
      - .offset:         32
        .size:           8
        .value_kind:     by_value
      - .offset:         40
        .size:           4
        .value_kind:     by_value
      - .offset:         48
        .size:           8
        .value_kind:     by_value
      - .address_space:  global
        .offset:         56
        .size:           8
        .value_kind:     global_buffer
      - .offset:         64
        .size:           8
        .value_kind:     by_value
      - .offset:         72
        .size:           4
        .value_kind:     by_value
      - .offset:         80
        .size:           8
        .value_kind:     by_value
      - .address_space:  global
        .offset:         88
        .size:           8
        .value_kind:     global_buffer
      - .offset:         96
        .size:           4
        .value_kind:     by_value
      - .offset:         104
        .size:           4
        .value_kind:     hidden_block_count_x
      - .offset:         108
        .size:           4
        .value_kind:     hidden_block_count_y
      - .offset:         112
        .size:           4
        .value_kind:     hidden_block_count_z
      - .offset:         116
        .size:           2
        .value_kind:     hidden_group_size_x
      - .offset:         118
        .size:           2
        .value_kind:     hidden_group_size_y
      - .offset:         120
        .size:           2
        .value_kind:     hidden_group_size_z
      - .offset:         122
        .size:           2
        .value_kind:     hidden_remainder_x
      - .offset:         124
        .size:           2
        .value_kind:     hidden_remainder_y
      - .offset:         126
        .size:           2
        .value_kind:     hidden_remainder_z
      - .offset:         144
        .size:           8
        .value_kind:     hidden_global_offset_x
      - .offset:         152
        .size:           8
        .value_kind:     hidden_global_offset_y
      - .offset:         160
        .size:           8
        .value_kind:     hidden_global_offset_z
      - .offset:         168
        .size:           2
        .value_kind:     hidden_grid_dims
    .group_segment_fixed_size: 128
    .kernarg_segment_align: 8
    .kernarg_segment_size: 360
    .language:       OpenCL C
    .language_version:
      - 2
      - 0
    .max_flat_workgroup_size: 256
    .name:           _ZL23rocblas_gemvt_sn_kernelILb1ELi256ELi4Ei16rocblas_bfloat16ffEviiT4_lPKT3_lilS4_lilPT5_i
    .private_segment_fixed_size: 0
    .sgpr_count:     52
    .sgpr_spill_count: 0
    .symbol:         _ZL23rocblas_gemvt_sn_kernelILb1ELi256ELi4Ei16rocblas_bfloat16ffEviiT4_lPKT3_lilS4_lilPT5_i.kd
    .uniform_work_group_size: 1
    .uses_dynamic_stack: false
    .vgpr_count:     51
    .vgpr_spill_count: 0
    .wavefront_size: 32
    .workgroup_processor_mode: 1
  - .args:
      - .offset:         0
        .size:           4
        .value_kind:     by_value
      - .offset:         4
        .size:           4
        .value_kind:     by_value
      - .offset:         8
        .size:           4
        .value_kind:     by_value
      - .offset:         16
        .size:           8
        .value_kind:     by_value
      - .address_space:  global
        .offset:         24
        .size:           8
        .value_kind:     global_buffer
      - .offset:         32
        .size:           8
        .value_kind:     by_value
      - .offset:         40
        .size:           4
        .value_kind:     by_value
      - .offset:         48
        .size:           8
        .value_kind:     by_value
      - .address_space:  global
        .offset:         56
        .size:           8
        .value_kind:     global_buffer
      - .offset:         64
        .size:           8
        .value_kind:     by_value
      - .offset:         72
        .size:           4
        .value_kind:     by_value
      - .offset:         80
        .size:           8
        .value_kind:     by_value
      - .address_space:  global
        .offset:         88
        .size:           8
        .value_kind:     global_buffer
      - .offset:         96
        .size:           4
        .value_kind:     by_value
      - .offset:         104
        .size:           4
        .value_kind:     hidden_block_count_x
      - .offset:         108
        .size:           4
        .value_kind:     hidden_block_count_y
      - .offset:         112
        .size:           4
        .value_kind:     hidden_block_count_z
      - .offset:         116
        .size:           2
        .value_kind:     hidden_group_size_x
      - .offset:         118
        .size:           2
        .value_kind:     hidden_group_size_y
      - .offset:         120
        .size:           2
        .value_kind:     hidden_group_size_z
      - .offset:         122
        .size:           2
        .value_kind:     hidden_remainder_x
      - .offset:         124
        .size:           2
        .value_kind:     hidden_remainder_y
      - .offset:         126
        .size:           2
        .value_kind:     hidden_remainder_z
      - .offset:         144
        .size:           8
        .value_kind:     hidden_global_offset_x
      - .offset:         152
        .size:           8
        .value_kind:     hidden_global_offset_y
      - .offset:         160
        .size:           8
        .value_kind:     hidden_global_offset_z
      - .offset:         168
        .size:           2
        .value_kind:     hidden_grid_dims
    .group_segment_fixed_size: 128
    .kernarg_segment_align: 8
    .kernarg_segment_size: 360
    .language:       OpenCL C
    .language_version:
      - 2
      - 0
    .max_flat_workgroup_size: 256
    .name:           _ZL23rocblas_gemvt_sn_kernelILb1ELi256ELi4El16rocblas_bfloat16ffEviiT4_lPKT3_lilS4_lilPT5_i
    .private_segment_fixed_size: 0
    .sgpr_count:     58
    .sgpr_spill_count: 0
    .symbol:         _ZL23rocblas_gemvt_sn_kernelILb1ELi256ELi4El16rocblas_bfloat16ffEviiT4_lPKT3_lilS4_lilPT5_i.kd
    .uniform_work_group_size: 1
    .uses_dynamic_stack: false
    .vgpr_count:     55
    .vgpr_spill_count: 0
    .wavefront_size: 32
    .workgroup_processor_mode: 1
  - .args:
      - .offset:         0
        .size:           4
        .value_kind:     by_value
      - .offset:         4
        .size:           4
        .value_kind:     by_value
      - .address_space:  global
        .offset:         8
        .size:           8
        .value_kind:     global_buffer
      - .offset:         16
        .size:           8
        .value_kind:     by_value
      - .address_space:  global
        .offset:         24
        .size:           8
        .value_kind:     global_buffer
      - .offset:         32
        .size:           8
        .value_kind:     by_value
      - .offset:         40
        .size:           4
        .value_kind:     by_value
      - .offset:         48
        .size:           8
        .value_kind:     by_value
      - .address_space:  global
        .offset:         56
        .size:           8
        .value_kind:     global_buffer
      - .offset:         64
        .size:           8
        .value_kind:     by_value
      - .offset:         72
        .size:           4
        .value_kind:     by_value
      - .offset:         80
        .size:           8
        .value_kind:     by_value
      - .address_space:  global
        .offset:         88
        .size:           8
        .value_kind:     global_buffer
      - .offset:         96
        .size:           8
        .value_kind:     by_value
      - .address_space:  global
        .offset:         104
        .size:           8
        .value_kind:     global_buffer
      - .offset:         112
        .size:           8
        .value_kind:     by_value
      - .offset:         120
        .size:           4
        .value_kind:     by_value
      - .offset:         128
        .size:           8
        .value_kind:     by_value
      - .offset:         136
        .size:           4
        .value_kind:     by_value
    .group_segment_fixed_size: 1024
    .kernarg_segment_align: 8
    .kernarg_segment_size: 140
    .language:       OpenCL C
    .language_version:
      - 2
      - 0
    .max_flat_workgroup_size: 256
    .name:           _ZL20rocblas_gemvt_kernelILb1ELi256E16rocblas_bfloat16PKfS0_EviiT2_lPKT1_lilS6_lilS3_lPT3_lili
    .private_segment_fixed_size: 0
    .sgpr_count:     28
    .sgpr_spill_count: 0
    .symbol:         _ZL20rocblas_gemvt_kernelILb1ELi256E16rocblas_bfloat16PKfS0_EviiT2_lPKT1_lilS6_lilS3_lPT3_lili.kd
    .uniform_work_group_size: 1
    .uses_dynamic_stack: false
    .vgpr_count:     11
    .vgpr_spill_count: 0
    .wavefront_size: 32
    .workgroup_processor_mode: 1
  - .args:
      - .offset:         0
        .size:           4
        .value_kind:     by_value
      - .offset:         4
        .size:           4
        .value_kind:     by_value
      - .offset:         8
        .size:           4
        .value_kind:     by_value
      - .offset:         16
        .size:           8
        .value_kind:     by_value
      - .address_space:  global
        .offset:         24
        .size:           8
        .value_kind:     global_buffer
      - .offset:         32
        .size:           8
        .value_kind:     by_value
      - .offset:         40
        .size:           4
        .value_kind:     by_value
      - .offset:         48
        .size:           8
        .value_kind:     by_value
      - .address_space:  global
        .offset:         56
        .size:           8
        .value_kind:     global_buffer
      - .offset:         64
        .size:           8
        .value_kind:     by_value
      - .offset:         72
        .size:           4
        .value_kind:     by_value
      - .offset:         80
        .size:           8
        .value_kind:     by_value
      - .offset:         88
        .size:           4
        .value_kind:     by_value
      - .offset:         96
        .size:           8
        .value_kind:     by_value
      - .address_space:  global
        .offset:         104
        .size:           8
        .value_kind:     global_buffer
      - .offset:         112
        .size:           8
        .value_kind:     by_value
      - .offset:         120
        .size:           4
        .value_kind:     by_value
      - .offset:         128
        .size:           8
        .value_kind:     by_value
      - .offset:         136
        .size:           4
        .value_kind:     by_value
    .group_segment_fixed_size: 1024
    .kernarg_segment_align: 8
    .kernarg_segment_size: 140
    .language:       OpenCL C
    .language_version:
      - 2
      - 0
    .max_flat_workgroup_size: 256
    .name:           _ZL20rocblas_gemvt_kernelILb1ELi256E16rocblas_bfloat16fS0_EviiT2_lPKT1_lilS4_lilS1_lPT3_lili
    .private_segment_fixed_size: 0
    .sgpr_count:     30
    .sgpr_spill_count: 0
    .symbol:         _ZL20rocblas_gemvt_kernelILb1ELi256E16rocblas_bfloat16fS0_EviiT2_lPKT1_lilS4_lilS1_lPT3_lili.kd
    .uniform_work_group_size: 1
    .uses_dynamic_stack: false
    .vgpr_count:     11
    .vgpr_spill_count: 0
    .wavefront_size: 32
    .workgroup_processor_mode: 1
  - .args:
      - .offset:         0
        .size:           4
        .value_kind:     by_value
      - .offset:         4
        .size:           4
        .value_kind:     by_value
      - .address_space:  global
        .offset:         8
        .size:           8
        .value_kind:     global_buffer
      - .offset:         16
        .size:           8
        .value_kind:     by_value
      - .address_space:  global
        .offset:         24
        .size:           8
        .value_kind:     global_buffer
      - .offset:         32
        .size:           8
        .value_kind:     by_value
      - .offset:         40
        .size:           4
        .value_kind:     by_value
      - .offset:         48
        .size:           8
        .value_kind:     by_value
      - .address_space:  global
        .offset:         56
        .size:           8
        .value_kind:     global_buffer
      - .offset:         64
        .size:           8
        .value_kind:     by_value
      - .offset:         72
        .size:           4
        .value_kind:     by_value
      - .offset:         80
        .size:           8
        .value_kind:     by_value
      - .address_space:  global
        .offset:         88
        .size:           8
        .value_kind:     global_buffer
      - .offset:         96
        .size:           8
        .value_kind:     by_value
      - .address_space:  global
        .offset:         104
        .size:           8
        .value_kind:     global_buffer
      - .offset:         112
        .size:           8
        .value_kind:     by_value
      - .offset:         120
        .size:           4
        .value_kind:     by_value
      - .offset:         128
        .size:           8
        .value_kind:     by_value
      - .offset:         136
        .size:           4
        .value_kind:     by_value
    .group_segment_fixed_size: 128
    .kernarg_segment_align: 8
    .kernarg_segment_size: 140
    .language:       OpenCL C
    .language_version:
      - 2
      - 0
    .max_flat_workgroup_size: 1024
    .name:           _ZL32rocblas_gemvt_warp_reduce_kernelILb1ELi1024Ei16rocblas_bfloat16PKfS0_EviiT3_lPKT2_lT1_lS6_lS7_lS3_lPT4_lS7_li
    .private_segment_fixed_size: 0
    .sgpr_count:     28
    .sgpr_spill_count: 0
    .symbol:         _ZL32rocblas_gemvt_warp_reduce_kernelILb1ELi1024Ei16rocblas_bfloat16PKfS0_EviiT3_lPKT2_lT1_lS6_lS7_lS3_lPT4_lS7_li.kd
    .uniform_work_group_size: 1
    .uses_dynamic_stack: false
    .vgpr_count:     12
    .vgpr_spill_count: 0
    .wavefront_size: 32
    .workgroup_processor_mode: 1
  - .args:
      - .offset:         0
        .size:           4
        .value_kind:     by_value
      - .offset:         4
        .size:           4
        .value_kind:     by_value
      - .address_space:  global
        .offset:         8
        .size:           8
        .value_kind:     global_buffer
      - .offset:         16
        .size:           8
        .value_kind:     by_value
      - .address_space:  global
        .offset:         24
        .size:           8
        .value_kind:     global_buffer
      - .offset:         32
        .size:           8
        .value_kind:     by_value
      - .offset:         40
        .size:           8
        .value_kind:     by_value
      - .offset:         48
        .size:           8
        .value_kind:     by_value
      - .address_space:  global
        .offset:         56
        .size:           8
        .value_kind:     global_buffer
      - .offset:         64
        .size:           8
        .value_kind:     by_value
      - .offset:         72
        .size:           8
        .value_kind:     by_value
      - .offset:         80
        .size:           8
        .value_kind:     by_value
      - .address_space:  global
        .offset:         88
        .size:           8
        .value_kind:     global_buffer
      - .offset:         96
        .size:           8
        .value_kind:     by_value
      - .address_space:  global
        .offset:         104
        .size:           8
        .value_kind:     global_buffer
      - .offset:         112
        .size:           8
        .value_kind:     by_value
      - .offset:         120
        .size:           8
        .value_kind:     by_value
      - .offset:         128
        .size:           8
        .value_kind:     by_value
      - .offset:         136
        .size:           4
        .value_kind:     by_value
    .group_segment_fixed_size: 128
    .kernarg_segment_align: 8
    .kernarg_segment_size: 140
    .language:       OpenCL C
    .language_version:
      - 2
      - 0
    .max_flat_workgroup_size: 1024
    .name:           _ZL32rocblas_gemvt_warp_reduce_kernelILb1ELi1024El16rocblas_bfloat16PKfS0_EviiT3_lPKT2_lT1_lS6_lS7_lS3_lPT4_lS7_li
    .private_segment_fixed_size: 0
    .sgpr_count:     54
    .sgpr_spill_count: 0
    .symbol:         _ZL32rocblas_gemvt_warp_reduce_kernelILb1ELi1024El16rocblas_bfloat16PKfS0_EviiT3_lPKT2_lT1_lS6_lS7_lS3_lPT4_lS7_li.kd
    .uniform_work_group_size: 1
    .uses_dynamic_stack: false
    .vgpr_count:     12
    .vgpr_spill_count: 0
    .wavefront_size: 32
    .workgroup_processor_mode: 1
  - .args:
      - .offset:         0
        .size:           4
        .value_kind:     by_value
      - .offset:         4
        .size:           4
        .value_kind:     by_value
      - .offset:         8
        .size:           4
        .value_kind:     by_value
      - .offset:         16
        .size:           8
        .value_kind:     by_value
      - .address_space:  global
        .offset:         24
        .size:           8
        .value_kind:     global_buffer
      - .offset:         32
        .size:           8
        .value_kind:     by_value
      - .offset:         40
        .size:           4
        .value_kind:     by_value
      - .offset:         48
        .size:           8
        .value_kind:     by_value
      - .address_space:  global
        .offset:         56
        .size:           8
        .value_kind:     global_buffer
      - .offset:         64
        .size:           8
        .value_kind:     by_value
      - .offset:         72
        .size:           4
        .value_kind:     by_value
      - .offset:         80
        .size:           8
        .value_kind:     by_value
      - .offset:         88
        .size:           4
        .value_kind:     by_value
      - .offset:         96
        .size:           8
        .value_kind:     by_value
      - .address_space:  global
        .offset:         104
        .size:           8
        .value_kind:     global_buffer
      - .offset:         112
        .size:           8
        .value_kind:     by_value
      - .offset:         120
        .size:           4
        .value_kind:     by_value
      - .offset:         128
        .size:           8
        .value_kind:     by_value
      - .offset:         136
        .size:           4
        .value_kind:     by_value
    .group_segment_fixed_size: 128
    .kernarg_segment_align: 8
    .kernarg_segment_size: 140
    .language:       OpenCL C
    .language_version:
      - 2
      - 0
    .max_flat_workgroup_size: 1024
    .name:           _ZL32rocblas_gemvt_warp_reduce_kernelILb1ELi1024Ei16rocblas_bfloat16fS0_EviiT3_lPKT2_lT1_lS4_lS5_lS1_lPT4_lS5_li
    .private_segment_fixed_size: 0
    .sgpr_count:     27
    .sgpr_spill_count: 0
    .symbol:         _ZL32rocblas_gemvt_warp_reduce_kernelILb1ELi1024Ei16rocblas_bfloat16fS0_EviiT3_lPKT2_lT1_lS4_lS5_lS1_lPT4_lS5_li.kd
    .uniform_work_group_size: 1
    .uses_dynamic_stack: false
    .vgpr_count:     12
    .vgpr_spill_count: 0
    .wavefront_size: 32
    .workgroup_processor_mode: 1
  - .args:
      - .offset:         0
        .size:           4
        .value_kind:     by_value
      - .offset:         4
        .size:           4
        .value_kind:     by_value
      - .offset:         8
        .size:           4
        .value_kind:     by_value
      - .offset:         16
        .size:           8
        .value_kind:     by_value
      - .address_space:  global
        .offset:         24
        .size:           8
        .value_kind:     global_buffer
      - .offset:         32
        .size:           8
        .value_kind:     by_value
      - .offset:         40
        .size:           8
        .value_kind:     by_value
      - .offset:         48
        .size:           8
        .value_kind:     by_value
      - .address_space:  global
        .offset:         56
        .size:           8
        .value_kind:     global_buffer
      - .offset:         64
        .size:           8
        .value_kind:     by_value
      - .offset:         72
        .size:           8
        .value_kind:     by_value
      - .offset:         80
        .size:           8
        .value_kind:     by_value
      - .offset:         88
        .size:           4
        .value_kind:     by_value
      - .offset:         96
        .size:           8
        .value_kind:     by_value
      - .address_space:  global
        .offset:         104
        .size:           8
        .value_kind:     global_buffer
      - .offset:         112
        .size:           8
        .value_kind:     by_value
      - .offset:         120
        .size:           8
        .value_kind:     by_value
      - .offset:         128
        .size:           8
        .value_kind:     by_value
      - .offset:         136
        .size:           4
        .value_kind:     by_value
    .group_segment_fixed_size: 128
    .kernarg_segment_align: 8
    .kernarg_segment_size: 140
    .language:       OpenCL C
    .language_version:
      - 2
      - 0
    .max_flat_workgroup_size: 1024
    .name:           _ZL32rocblas_gemvt_warp_reduce_kernelILb1ELi1024El16rocblas_bfloat16fS0_EviiT3_lPKT2_lT1_lS4_lS5_lS1_lPT4_lS5_li
    .private_segment_fixed_size: 0
    .sgpr_count:     38
    .sgpr_spill_count: 0
    .symbol:         _ZL32rocblas_gemvt_warp_reduce_kernelILb1ELi1024El16rocblas_bfloat16fS0_EviiT3_lPKT2_lT1_lS4_lS5_lS1_lPT4_lS5_li.kd
    .uniform_work_group_size: 1
    .uses_dynamic_stack: false
    .vgpr_count:     12
    .vgpr_spill_count: 0
    .wavefront_size: 32
    .workgroup_processor_mode: 1
  - .args:
      - .offset:         0
        .size:           4
        .value_kind:     by_value
      - .offset:         4
        .size:           4
        .value_kind:     by_value
      - .address_space:  global
        .offset:         8
        .size:           8
        .value_kind:     global_buffer
      - .offset:         16
        .size:           8
        .value_kind:     by_value
      - .address_space:  global
        .offset:         24
        .size:           8
        .value_kind:     global_buffer
      - .offset:         32
        .size:           8
        .value_kind:     by_value
      - .offset:         40
        .size:           4
        .value_kind:     by_value
      - .offset:         48
        .size:           8
        .value_kind:     by_value
      - .address_space:  global
        .offset:         56
        .size:           8
        .value_kind:     global_buffer
      - .offset:         64
        .size:           8
        .value_kind:     by_value
      - .offset:         72
        .size:           4
        .value_kind:     by_value
      - .offset:         80
        .size:           8
        .value_kind:     by_value
      - .address_space:  global
        .offset:         88
        .size:           8
        .value_kind:     global_buffer
      - .offset:         96
        .size:           8
        .value_kind:     by_value
      - .address_space:  global
        .offset:         104
        .size:           8
        .value_kind:     global_buffer
      - .offset:         112
        .size:           8
        .value_kind:     by_value
      - .offset:         120
        .size:           4
        .value_kind:     by_value
      - .offset:         128
        .size:           8
        .value_kind:     by_value
      - .offset:         136
        .size:           4
        .value_kind:     by_value
    .group_segment_fixed_size: 0
    .kernarg_segment_align: 8
    .kernarg_segment_size: 140
    .language:       OpenCL C
    .language_version:
      - 2
      - 0
    .max_flat_workgroup_size: 768
    .name:           _ZL34rocblas_gemvn_sm_mn_batched_kernelILi32ELi24EPK16rocblas_bfloat16PKfKPS0_EviiT2_lPKT1_lilSA_lilS7_lPT3_lili
    .private_segment_fixed_size: 0
    .sgpr_count:     0
    .sgpr_spill_count: 0
    .symbol:         _ZL34rocblas_gemvn_sm_mn_batched_kernelILi32ELi24EPK16rocblas_bfloat16PKfKPS0_EviiT2_lPKT1_lilSA_lilS7_lPT3_lili.kd
    .uniform_work_group_size: 1
    .uses_dynamic_stack: false
    .vgpr_count:     0
    .vgpr_spill_count: 0
    .wavefront_size: 32
    .workgroup_processor_mode: 1
  - .args:
      - .offset:         0
        .size:           4
        .value_kind:     by_value
      - .offset:         4
        .size:           4
        .value_kind:     by_value
      - .offset:         8
        .size:           4
        .value_kind:     by_value
      - .offset:         16
        .size:           8
        .value_kind:     by_value
      - .address_space:  global
        .offset:         24
        .size:           8
        .value_kind:     global_buffer
      - .offset:         32
        .size:           8
        .value_kind:     by_value
      - .offset:         40
        .size:           4
        .value_kind:     by_value
      - .offset:         48
        .size:           8
        .value_kind:     by_value
      - .address_space:  global
        .offset:         56
        .size:           8
        .value_kind:     global_buffer
      - .offset:         64
        .size:           8
        .value_kind:     by_value
      - .offset:         72
        .size:           4
        .value_kind:     by_value
      - .offset:         80
        .size:           8
        .value_kind:     by_value
      - .offset:         88
        .size:           4
        .value_kind:     by_value
      - .offset:         96
        .size:           8
        .value_kind:     by_value
      - .address_space:  global
        .offset:         104
        .size:           8
        .value_kind:     global_buffer
      - .offset:         112
        .size:           8
        .value_kind:     by_value
      - .offset:         120
        .size:           4
        .value_kind:     by_value
      - .offset:         128
        .size:           8
        .value_kind:     by_value
      - .offset:         136
        .size:           4
        .value_kind:     by_value
    .group_segment_fixed_size: 0
    .kernarg_segment_align: 8
    .kernarg_segment_size: 140
    .language:       OpenCL C
    .language_version:
      - 2
      - 0
    .max_flat_workgroup_size: 768
    .name:           _ZL34rocblas_gemvn_sm_mn_batched_kernelILi32ELi24EPK16rocblas_bfloat16fKPS0_EviiT2_lPKT1_lilS8_lilS5_lPT3_lili
    .private_segment_fixed_size: 0
    .sgpr_count:     0
    .sgpr_spill_count: 0
    .symbol:         _ZL34rocblas_gemvn_sm_mn_batched_kernelILi32ELi24EPK16rocblas_bfloat16fKPS0_EviiT2_lPKT1_lilS8_lilS5_lPT3_lili.kd
    .uniform_work_group_size: 1
    .uses_dynamic_stack: false
    .vgpr_count:     0
    .vgpr_spill_count: 0
    .wavefront_size: 32
    .workgroup_processor_mode: 1
  - .args:
      - .offset:         0
        .size:           4
        .value_kind:     by_value
      - .offset:         4
        .size:           4
        .value_kind:     by_value
      - .address_space:  global
        .offset:         8
        .size:           8
        .value_kind:     global_buffer
      - .offset:         16
        .size:           8
        .value_kind:     by_value
      - .address_space:  global
        .offset:         24
        .size:           8
        .value_kind:     global_buffer
      - .offset:         32
        .size:           8
        .value_kind:     by_value
      - .offset:         40
        .size:           4
        .value_kind:     by_value
      - .offset:         48
        .size:           8
        .value_kind:     by_value
      - .address_space:  global
        .offset:         56
        .size:           8
        .value_kind:     global_buffer
      - .offset:         64
        .size:           8
        .value_kind:     by_value
      - .offset:         72
        .size:           4
        .value_kind:     by_value
      - .offset:         80
        .size:           8
        .value_kind:     by_value
      - .address_space:  global
        .offset:         88
        .size:           8
        .value_kind:     global_buffer
      - .offset:         96
        .size:           8
        .value_kind:     by_value
      - .address_space:  global
        .offset:         104
        .size:           8
        .value_kind:     global_buffer
      - .offset:         112
        .size:           8
        .value_kind:     by_value
      - .offset:         120
        .size:           4
        .value_kind:     by_value
      - .offset:         128
        .size:           8
        .value_kind:     by_value
      - .offset:         136
        .size:           4
        .value_kind:     by_value
      - .offset:         144
        .size:           4
        .value_kind:     hidden_block_count_x
      - .offset:         148
        .size:           4
        .value_kind:     hidden_block_count_y
      - .offset:         152
        .size:           4
        .value_kind:     hidden_block_count_z
      - .offset:         156
        .size:           2
        .value_kind:     hidden_group_size_x
      - .offset:         158
        .size:           2
        .value_kind:     hidden_group_size_y
      - .offset:         160
        .size:           2
        .value_kind:     hidden_group_size_z
      - .offset:         162
        .size:           2
        .value_kind:     hidden_remainder_x
      - .offset:         164
        .size:           2
        .value_kind:     hidden_remainder_y
      - .offset:         166
        .size:           2
        .value_kind:     hidden_remainder_z
      - .offset:         184
        .size:           8
        .value_kind:     hidden_global_offset_x
      - .offset:         192
        .size:           8
        .value_kind:     hidden_global_offset_y
      - .offset:         200
        .size:           8
        .value_kind:     hidden_global_offset_z
      - .offset:         208
        .size:           2
        .value_kind:     hidden_grid_dims
    .group_segment_fixed_size: 4096
    .kernarg_segment_align: 8
    .kernarg_segment_size: 400
    .language:       OpenCL C
    .language_version:
      - 2
      - 0
    .max_flat_workgroup_size: 256
    .name:           _ZL20rocblas_gemvn_kernelILi64ELi4EiPK16rocblas_bfloat16PKfKPS0_EviiT3_lPKT2_lT1_lSA_lSB_lS7_lPT4_lSB_li
    .private_segment_fixed_size: 0
    .sgpr_count:     30
    .sgpr_spill_count: 0
    .symbol:         _ZL20rocblas_gemvn_kernelILi64ELi4EiPK16rocblas_bfloat16PKfKPS0_EviiT3_lPKT2_lT1_lSA_lSB_lS7_lPT4_lSB_li.kd
    .uniform_work_group_size: 1
    .uses_dynamic_stack: false
    .vgpr_count:     42
    .vgpr_spill_count: 0
    .wavefront_size: 32
    .workgroup_processor_mode: 1
  - .args:
      - .offset:         0
        .size:           4
        .value_kind:     by_value
      - .offset:         4
        .size:           4
        .value_kind:     by_value
      - .address_space:  global
        .offset:         8
        .size:           8
        .value_kind:     global_buffer
      - .offset:         16
        .size:           8
        .value_kind:     by_value
      - .address_space:  global
        .offset:         24
        .size:           8
        .value_kind:     global_buffer
      - .offset:         32
        .size:           8
        .value_kind:     by_value
      - .offset:         40
        .size:           8
        .value_kind:     by_value
      - .offset:         48
        .size:           8
        .value_kind:     by_value
      - .address_space:  global
        .offset:         56
        .size:           8
        .value_kind:     global_buffer
      - .offset:         64
        .size:           8
        .value_kind:     by_value
      - .offset:         72
        .size:           8
        .value_kind:     by_value
      - .offset:         80
        .size:           8
        .value_kind:     by_value
      - .address_space:  global
        .offset:         88
        .size:           8
        .value_kind:     global_buffer
      - .offset:         96
        .size:           8
        .value_kind:     by_value
      - .address_space:  global
        .offset:         104
        .size:           8
        .value_kind:     global_buffer
      - .offset:         112
        .size:           8
        .value_kind:     by_value
      - .offset:         120
        .size:           8
        .value_kind:     by_value
      - .offset:         128
        .size:           8
        .value_kind:     by_value
      - .offset:         136
        .size:           4
        .value_kind:     by_value
      - .offset:         144
        .size:           4
        .value_kind:     hidden_block_count_x
      - .offset:         148
        .size:           4
        .value_kind:     hidden_block_count_y
      - .offset:         152
        .size:           4
        .value_kind:     hidden_block_count_z
      - .offset:         156
        .size:           2
        .value_kind:     hidden_group_size_x
      - .offset:         158
        .size:           2
        .value_kind:     hidden_group_size_y
      - .offset:         160
        .size:           2
        .value_kind:     hidden_group_size_z
      - .offset:         162
        .size:           2
        .value_kind:     hidden_remainder_x
      - .offset:         164
        .size:           2
        .value_kind:     hidden_remainder_y
      - .offset:         166
        .size:           2
        .value_kind:     hidden_remainder_z
      - .offset:         184
        .size:           8
        .value_kind:     hidden_global_offset_x
      - .offset:         192
        .size:           8
        .value_kind:     hidden_global_offset_y
      - .offset:         200
        .size:           8
        .value_kind:     hidden_global_offset_z
      - .offset:         208
        .size:           2
        .value_kind:     hidden_grid_dims
    .group_segment_fixed_size: 4096
    .kernarg_segment_align: 8
    .kernarg_segment_size: 400
    .language:       OpenCL C
    .language_version:
      - 2
      - 0
    .max_flat_workgroup_size: 256
    .name:           _ZL20rocblas_gemvn_kernelILi64ELi4ElPK16rocblas_bfloat16PKfKPS0_EviiT3_lPKT2_lT1_lSA_lSB_lS7_lPT4_lSB_li
    .private_segment_fixed_size: 0
    .sgpr_count:     37
    .sgpr_spill_count: 0
    .symbol:         _ZL20rocblas_gemvn_kernelILi64ELi4ElPK16rocblas_bfloat16PKfKPS0_EviiT3_lPKT2_lT1_lSA_lSB_lS7_lPT4_lSB_li.kd
    .uniform_work_group_size: 1
    .uses_dynamic_stack: false
    .vgpr_count:     52
    .vgpr_spill_count: 0
    .wavefront_size: 32
    .workgroup_processor_mode: 1
  - .args:
      - .offset:         0
        .size:           4
        .value_kind:     by_value
      - .offset:         4
        .size:           4
        .value_kind:     by_value
      - .offset:         8
        .size:           4
        .value_kind:     by_value
      - .offset:         16
        .size:           8
        .value_kind:     by_value
      - .address_space:  global
        .offset:         24
        .size:           8
        .value_kind:     global_buffer
      - .offset:         32
        .size:           8
        .value_kind:     by_value
      - .offset:         40
        .size:           4
        .value_kind:     by_value
      - .offset:         48
        .size:           8
        .value_kind:     by_value
      - .address_space:  global
        .offset:         56
        .size:           8
        .value_kind:     global_buffer
      - .offset:         64
        .size:           8
        .value_kind:     by_value
      - .offset:         72
        .size:           4
        .value_kind:     by_value
      - .offset:         80
        .size:           8
        .value_kind:     by_value
      - .offset:         88
        .size:           4
        .value_kind:     by_value
      - .offset:         96
        .size:           8
        .value_kind:     by_value
      - .address_space:  global
        .offset:         104
        .size:           8
        .value_kind:     global_buffer
      - .offset:         112
        .size:           8
        .value_kind:     by_value
      - .offset:         120
        .size:           4
        .value_kind:     by_value
      - .offset:         128
        .size:           8
        .value_kind:     by_value
      - .offset:         136
        .size:           4
        .value_kind:     by_value
      - .offset:         144
        .size:           4
        .value_kind:     hidden_block_count_x
      - .offset:         148
        .size:           4
        .value_kind:     hidden_block_count_y
      - .offset:         152
        .size:           4
        .value_kind:     hidden_block_count_z
      - .offset:         156
        .size:           2
        .value_kind:     hidden_group_size_x
      - .offset:         158
        .size:           2
        .value_kind:     hidden_group_size_y
      - .offset:         160
        .size:           2
        .value_kind:     hidden_group_size_z
      - .offset:         162
        .size:           2
        .value_kind:     hidden_remainder_x
      - .offset:         164
        .size:           2
        .value_kind:     hidden_remainder_y
      - .offset:         166
        .size:           2
        .value_kind:     hidden_remainder_z
      - .offset:         184
        .size:           8
        .value_kind:     hidden_global_offset_x
      - .offset:         192
        .size:           8
        .value_kind:     hidden_global_offset_y
      - .offset:         200
        .size:           8
        .value_kind:     hidden_global_offset_z
      - .offset:         208
        .size:           2
        .value_kind:     hidden_grid_dims
    .group_segment_fixed_size: 4096
    .kernarg_segment_align: 8
    .kernarg_segment_size: 400
    .language:       OpenCL C
    .language_version:
      - 2
      - 0
    .max_flat_workgroup_size: 256
    .name:           _ZL20rocblas_gemvn_kernelILi64ELi4EiPK16rocblas_bfloat16fKPS0_EviiT3_lPKT2_lT1_lS8_lS9_lS5_lPT4_lS9_li
    .private_segment_fixed_size: 0
    .sgpr_count:     30
    .sgpr_spill_count: 0
    .symbol:         _ZL20rocblas_gemvn_kernelILi64ELi4EiPK16rocblas_bfloat16fKPS0_EviiT3_lPKT2_lT1_lS8_lS9_lS5_lPT4_lS9_li.kd
    .uniform_work_group_size: 1
    .uses_dynamic_stack: false
    .vgpr_count:     42
    .vgpr_spill_count: 0
    .wavefront_size: 32
    .workgroup_processor_mode: 1
  - .args:
      - .offset:         0
        .size:           4
        .value_kind:     by_value
      - .offset:         4
        .size:           4
        .value_kind:     by_value
      - .offset:         8
        .size:           4
        .value_kind:     by_value
      - .offset:         16
        .size:           8
        .value_kind:     by_value
      - .address_space:  global
        .offset:         24
        .size:           8
        .value_kind:     global_buffer
      - .offset:         32
        .size:           8
        .value_kind:     by_value
      - .offset:         40
        .size:           8
        .value_kind:     by_value
      - .offset:         48
        .size:           8
        .value_kind:     by_value
      - .address_space:  global
        .offset:         56
        .size:           8
        .value_kind:     global_buffer
      - .offset:         64
        .size:           8
        .value_kind:     by_value
      - .offset:         72
        .size:           8
        .value_kind:     by_value
      - .offset:         80
        .size:           8
        .value_kind:     by_value
      - .offset:         88
        .size:           4
        .value_kind:     by_value
      - .offset:         96
        .size:           8
        .value_kind:     by_value
      - .address_space:  global
        .offset:         104
        .size:           8
        .value_kind:     global_buffer
      - .offset:         112
        .size:           8
        .value_kind:     by_value
      - .offset:         120
        .size:           8
        .value_kind:     by_value
      - .offset:         128
        .size:           8
        .value_kind:     by_value
      - .offset:         136
        .size:           4
        .value_kind:     by_value
      - .offset:         144
        .size:           4
        .value_kind:     hidden_block_count_x
      - .offset:         148
        .size:           4
        .value_kind:     hidden_block_count_y
      - .offset:         152
        .size:           4
        .value_kind:     hidden_block_count_z
      - .offset:         156
        .size:           2
        .value_kind:     hidden_group_size_x
      - .offset:         158
        .size:           2
        .value_kind:     hidden_group_size_y
      - .offset:         160
        .size:           2
        .value_kind:     hidden_group_size_z
      - .offset:         162
        .size:           2
        .value_kind:     hidden_remainder_x
      - .offset:         164
        .size:           2
        .value_kind:     hidden_remainder_y
      - .offset:         166
        .size:           2
        .value_kind:     hidden_remainder_z
      - .offset:         184
        .size:           8
        .value_kind:     hidden_global_offset_x
      - .offset:         192
        .size:           8
        .value_kind:     hidden_global_offset_y
      - .offset:         200
        .size:           8
        .value_kind:     hidden_global_offset_z
      - .offset:         208
        .size:           2
        .value_kind:     hidden_grid_dims
    .group_segment_fixed_size: 4096
    .kernarg_segment_align: 8
    .kernarg_segment_size: 400
    .language:       OpenCL C
    .language_version:
      - 2
      - 0
    .max_flat_workgroup_size: 256
    .name:           _ZL20rocblas_gemvn_kernelILi64ELi4ElPK16rocblas_bfloat16fKPS0_EviiT3_lPKT2_lT1_lS8_lS9_lS5_lPT4_lS9_li
    .private_segment_fixed_size: 0
    .sgpr_count:     37
    .sgpr_spill_count: 0
    .symbol:         _ZL20rocblas_gemvn_kernelILi64ELi4ElPK16rocblas_bfloat16fKPS0_EviiT3_lPKT2_lT1_lS8_lS9_lS5_lPT4_lS9_li.kd
    .uniform_work_group_size: 1
    .uses_dynamic_stack: false
    .vgpr_count:     52
    .vgpr_spill_count: 0
    .wavefront_size: 32
    .workgroup_processor_mode: 1
  - .args:
      - .offset:         0
        .size:           4
        .value_kind:     by_value
      - .offset:         4
        .size:           4
        .value_kind:     by_value
      - .address_space:  global
        .offset:         8
        .size:           8
        .value_kind:     global_buffer
      - .offset:         16
        .size:           8
        .value_kind:     by_value
      - .address_space:  global
        .offset:         24
        .size:           8
        .value_kind:     global_buffer
      - .offset:         32
        .size:           8
        .value_kind:     by_value
      - .offset:         40
        .size:           4
        .value_kind:     by_value
      - .offset:         48
        .size:           8
        .value_kind:     by_value
      - .address_space:  global
        .offset:         56
        .size:           8
        .value_kind:     global_buffer
      - .offset:         64
        .size:           8
        .value_kind:     by_value
      - .offset:         72
        .size:           4
        .value_kind:     by_value
      - .offset:         80
        .size:           8
        .value_kind:     by_value
      - .address_space:  global
        .offset:         88
        .size:           8
        .value_kind:     global_buffer
      - .offset:         96
        .size:           8
        .value_kind:     by_value
      - .address_space:  global
        .offset:         104
        .size:           8
        .value_kind:     global_buffer
      - .offset:         112
        .size:           8
        .value_kind:     by_value
      - .offset:         120
        .size:           4
        .value_kind:     by_value
      - .offset:         128
        .size:           8
        .value_kind:     by_value
      - .offset:         136
        .size:           4
        .value_kind:     by_value
      - .offset:         144
        .size:           4
        .value_kind:     hidden_block_count_x
      - .offset:         148
        .size:           4
        .value_kind:     hidden_block_count_y
      - .offset:         152
        .size:           4
        .value_kind:     hidden_block_count_z
      - .offset:         156
        .size:           2
        .value_kind:     hidden_group_size_x
      - .offset:         158
        .size:           2
        .value_kind:     hidden_group_size_y
      - .offset:         160
        .size:           2
        .value_kind:     hidden_group_size_z
      - .offset:         162
        .size:           2
        .value_kind:     hidden_remainder_x
      - .offset:         164
        .size:           2
        .value_kind:     hidden_remainder_y
      - .offset:         166
        .size:           2
        .value_kind:     hidden_remainder_z
      - .offset:         184
        .size:           8
        .value_kind:     hidden_global_offset_x
      - .offset:         192
        .size:           8
        .value_kind:     hidden_global_offset_y
      - .offset:         200
        .size:           8
        .value_kind:     hidden_global_offset_z
      - .offset:         208
        .size:           2
        .value_kind:     hidden_grid_dims
    .group_segment_fixed_size: 8192
    .kernarg_segment_align: 8
    .kernarg_segment_size: 400
    .language:       OpenCL C
    .language_version:
      - 2
      - 0
    .max_flat_workgroup_size: 512
    .name:           _ZL20rocblas_gemvn_kernelILi32ELi16EiPK16rocblas_bfloat16PKfKPS0_EviiT3_lPKT2_lT1_lSA_lSB_lS7_lPT4_lSB_li
    .private_segment_fixed_size: 0
    .sgpr_count:     30
    .sgpr_spill_count: 0
    .symbol:         _ZL20rocblas_gemvn_kernelILi32ELi16EiPK16rocblas_bfloat16PKfKPS0_EviiT3_lPKT2_lT1_lSA_lSB_lS7_lPT4_lSB_li.kd
    .uniform_work_group_size: 1
    .uses_dynamic_stack: false
    .vgpr_count:     42
    .vgpr_spill_count: 0
    .wavefront_size: 32
    .workgroup_processor_mode: 1
  - .args:
      - .offset:         0
        .size:           4
        .value_kind:     by_value
      - .offset:         4
        .size:           4
        .value_kind:     by_value
      - .address_space:  global
        .offset:         8
        .size:           8
        .value_kind:     global_buffer
      - .offset:         16
        .size:           8
        .value_kind:     by_value
      - .address_space:  global
        .offset:         24
        .size:           8
        .value_kind:     global_buffer
      - .offset:         32
        .size:           8
        .value_kind:     by_value
      - .offset:         40
        .size:           8
        .value_kind:     by_value
      - .offset:         48
        .size:           8
        .value_kind:     by_value
      - .address_space:  global
        .offset:         56
        .size:           8
        .value_kind:     global_buffer
      - .offset:         64
        .size:           8
        .value_kind:     by_value
      - .offset:         72
        .size:           8
        .value_kind:     by_value
      - .offset:         80
        .size:           8
        .value_kind:     by_value
      - .address_space:  global
        .offset:         88
        .size:           8
        .value_kind:     global_buffer
      - .offset:         96
        .size:           8
        .value_kind:     by_value
      - .address_space:  global
        .offset:         104
        .size:           8
        .value_kind:     global_buffer
      - .offset:         112
        .size:           8
        .value_kind:     by_value
      - .offset:         120
        .size:           8
        .value_kind:     by_value
      - .offset:         128
        .size:           8
        .value_kind:     by_value
      - .offset:         136
        .size:           4
        .value_kind:     by_value
      - .offset:         144
        .size:           4
        .value_kind:     hidden_block_count_x
      - .offset:         148
        .size:           4
        .value_kind:     hidden_block_count_y
      - .offset:         152
        .size:           4
        .value_kind:     hidden_block_count_z
      - .offset:         156
        .size:           2
        .value_kind:     hidden_group_size_x
      - .offset:         158
        .size:           2
        .value_kind:     hidden_group_size_y
      - .offset:         160
        .size:           2
        .value_kind:     hidden_group_size_z
      - .offset:         162
        .size:           2
        .value_kind:     hidden_remainder_x
      - .offset:         164
        .size:           2
        .value_kind:     hidden_remainder_y
      - .offset:         166
        .size:           2
        .value_kind:     hidden_remainder_z
      - .offset:         184
        .size:           8
        .value_kind:     hidden_global_offset_x
      - .offset:         192
        .size:           8
        .value_kind:     hidden_global_offset_y
      - .offset:         200
        .size:           8
        .value_kind:     hidden_global_offset_z
      - .offset:         208
        .size:           2
        .value_kind:     hidden_grid_dims
    .group_segment_fixed_size: 8192
    .kernarg_segment_align: 8
    .kernarg_segment_size: 400
    .language:       OpenCL C
    .language_version:
      - 2
      - 0
    .max_flat_workgroup_size: 512
    .name:           _ZL20rocblas_gemvn_kernelILi32ELi16ElPK16rocblas_bfloat16PKfKPS0_EviiT3_lPKT2_lT1_lSA_lSB_lS7_lPT4_lSB_li
    .private_segment_fixed_size: 0
    .sgpr_count:     37
    .sgpr_spill_count: 0
    .symbol:         _ZL20rocblas_gemvn_kernelILi32ELi16ElPK16rocblas_bfloat16PKfKPS0_EviiT3_lPKT2_lT1_lSA_lSB_lS7_lPT4_lSB_li.kd
    .uniform_work_group_size: 1
    .uses_dynamic_stack: false
    .vgpr_count:     52
    .vgpr_spill_count: 0
    .wavefront_size: 32
    .workgroup_processor_mode: 1
  - .args:
      - .offset:         0
        .size:           4
        .value_kind:     by_value
      - .offset:         4
        .size:           4
        .value_kind:     by_value
      - .offset:         8
        .size:           4
        .value_kind:     by_value
      - .offset:         16
        .size:           8
        .value_kind:     by_value
      - .address_space:  global
        .offset:         24
        .size:           8
        .value_kind:     global_buffer
      - .offset:         32
        .size:           8
        .value_kind:     by_value
      - .offset:         40
        .size:           4
        .value_kind:     by_value
      - .offset:         48
        .size:           8
        .value_kind:     by_value
      - .address_space:  global
        .offset:         56
        .size:           8
        .value_kind:     global_buffer
      - .offset:         64
        .size:           8
        .value_kind:     by_value
      - .offset:         72
        .size:           4
        .value_kind:     by_value
      - .offset:         80
        .size:           8
        .value_kind:     by_value
      - .offset:         88
        .size:           4
        .value_kind:     by_value
      - .offset:         96
        .size:           8
        .value_kind:     by_value
      - .address_space:  global
        .offset:         104
        .size:           8
        .value_kind:     global_buffer
      - .offset:         112
        .size:           8
        .value_kind:     by_value
      - .offset:         120
        .size:           4
        .value_kind:     by_value
      - .offset:         128
        .size:           8
        .value_kind:     by_value
      - .offset:         136
        .size:           4
        .value_kind:     by_value
      - .offset:         144
        .size:           4
        .value_kind:     hidden_block_count_x
      - .offset:         148
        .size:           4
        .value_kind:     hidden_block_count_y
      - .offset:         152
        .size:           4
        .value_kind:     hidden_block_count_z
      - .offset:         156
        .size:           2
        .value_kind:     hidden_group_size_x
      - .offset:         158
        .size:           2
        .value_kind:     hidden_group_size_y
      - .offset:         160
        .size:           2
        .value_kind:     hidden_group_size_z
      - .offset:         162
        .size:           2
        .value_kind:     hidden_remainder_x
      - .offset:         164
        .size:           2
        .value_kind:     hidden_remainder_y
      - .offset:         166
        .size:           2
        .value_kind:     hidden_remainder_z
      - .offset:         184
        .size:           8
        .value_kind:     hidden_global_offset_x
      - .offset:         192
        .size:           8
        .value_kind:     hidden_global_offset_y
      - .offset:         200
        .size:           8
        .value_kind:     hidden_global_offset_z
      - .offset:         208
        .size:           2
        .value_kind:     hidden_grid_dims
    .group_segment_fixed_size: 8192
    .kernarg_segment_align: 8
    .kernarg_segment_size: 400
    .language:       OpenCL C
    .language_version:
      - 2
      - 0
    .max_flat_workgroup_size: 512
    .name:           _ZL20rocblas_gemvn_kernelILi32ELi16EiPK16rocblas_bfloat16fKPS0_EviiT3_lPKT2_lT1_lS8_lS9_lS5_lPT4_lS9_li
    .private_segment_fixed_size: 0
    .sgpr_count:     30
    .sgpr_spill_count: 0
    .symbol:         _ZL20rocblas_gemvn_kernelILi32ELi16EiPK16rocblas_bfloat16fKPS0_EviiT3_lPKT2_lT1_lS8_lS9_lS5_lPT4_lS9_li.kd
    .uniform_work_group_size: 1
    .uses_dynamic_stack: false
    .vgpr_count:     42
    .vgpr_spill_count: 0
    .wavefront_size: 32
    .workgroup_processor_mode: 1
  - .args:
      - .offset:         0
        .size:           4
        .value_kind:     by_value
      - .offset:         4
        .size:           4
        .value_kind:     by_value
      - .offset:         8
        .size:           4
        .value_kind:     by_value
      - .offset:         16
        .size:           8
        .value_kind:     by_value
      - .address_space:  global
        .offset:         24
        .size:           8
        .value_kind:     global_buffer
      - .offset:         32
        .size:           8
        .value_kind:     by_value
      - .offset:         40
        .size:           8
        .value_kind:     by_value
      - .offset:         48
        .size:           8
        .value_kind:     by_value
      - .address_space:  global
        .offset:         56
        .size:           8
        .value_kind:     global_buffer
      - .offset:         64
        .size:           8
        .value_kind:     by_value
      - .offset:         72
        .size:           8
        .value_kind:     by_value
      - .offset:         80
        .size:           8
        .value_kind:     by_value
      - .offset:         88
        .size:           4
        .value_kind:     by_value
      - .offset:         96
        .size:           8
        .value_kind:     by_value
      - .address_space:  global
        .offset:         104
        .size:           8
        .value_kind:     global_buffer
      - .offset:         112
        .size:           8
        .value_kind:     by_value
      - .offset:         120
        .size:           8
        .value_kind:     by_value
      - .offset:         128
        .size:           8
        .value_kind:     by_value
      - .offset:         136
        .size:           4
        .value_kind:     by_value
      - .offset:         144
        .size:           4
        .value_kind:     hidden_block_count_x
      - .offset:         148
        .size:           4
        .value_kind:     hidden_block_count_y
      - .offset:         152
        .size:           4
        .value_kind:     hidden_block_count_z
      - .offset:         156
        .size:           2
        .value_kind:     hidden_group_size_x
      - .offset:         158
        .size:           2
        .value_kind:     hidden_group_size_y
      - .offset:         160
        .size:           2
        .value_kind:     hidden_group_size_z
      - .offset:         162
        .size:           2
        .value_kind:     hidden_remainder_x
      - .offset:         164
        .size:           2
        .value_kind:     hidden_remainder_y
      - .offset:         166
        .size:           2
        .value_kind:     hidden_remainder_z
      - .offset:         184
        .size:           8
        .value_kind:     hidden_global_offset_x
      - .offset:         192
        .size:           8
        .value_kind:     hidden_global_offset_y
      - .offset:         200
        .size:           8
        .value_kind:     hidden_global_offset_z
      - .offset:         208
        .size:           2
        .value_kind:     hidden_grid_dims
    .group_segment_fixed_size: 8192
    .kernarg_segment_align: 8
    .kernarg_segment_size: 400
    .language:       OpenCL C
    .language_version:
      - 2
      - 0
    .max_flat_workgroup_size: 512
    .name:           _ZL20rocblas_gemvn_kernelILi32ELi16ElPK16rocblas_bfloat16fKPS0_EviiT3_lPKT2_lT1_lS8_lS9_lS5_lPT4_lS9_li
    .private_segment_fixed_size: 0
    .sgpr_count:     37
    .sgpr_spill_count: 0
    .symbol:         _ZL20rocblas_gemvn_kernelILi32ELi16ElPK16rocblas_bfloat16fKPS0_EviiT3_lPKT2_lT1_lS8_lS9_lS5_lPT4_lS9_li.kd
    .uniform_work_group_size: 1
    .uses_dynamic_stack: false
    .vgpr_count:     52
    .vgpr_spill_count: 0
    .wavefront_size: 32
    .workgroup_processor_mode: 1
  - .args:
      - .offset:         0
        .size:           4
        .value_kind:     by_value
      - .offset:         4
        .size:           4
        .value_kind:     by_value
      - .address_space:  global
        .offset:         8
        .size:           8
        .value_kind:     global_buffer
      - .offset:         16
        .size:           8
        .value_kind:     by_value
      - .address_space:  global
        .offset:         24
        .size:           8
        .value_kind:     global_buffer
      - .offset:         32
        .size:           8
        .value_kind:     by_value
      - .offset:         40
        .size:           4
        .value_kind:     by_value
      - .offset:         48
        .size:           8
        .value_kind:     by_value
      - .address_space:  global
        .offset:         56
        .size:           8
        .value_kind:     global_buffer
      - .offset:         64
        .size:           8
        .value_kind:     by_value
      - .offset:         72
        .size:           4
        .value_kind:     by_value
      - .offset:         80
        .size:           8
        .value_kind:     by_value
      - .address_space:  global
        .offset:         88
        .size:           8
        .value_kind:     global_buffer
      - .offset:         96
        .size:           8
        .value_kind:     by_value
      - .address_space:  global
        .offset:         104
        .size:           8
        .value_kind:     global_buffer
      - .offset:         112
        .size:           8
        .value_kind:     by_value
      - .offset:         120
        .size:           4
        .value_kind:     by_value
      - .offset:         128
        .size:           8
        .value_kind:     by_value
      - .offset:         136
        .size:           4
        .value_kind:     by_value
      - .offset:         144
        .size:           4
        .value_kind:     hidden_block_count_x
      - .offset:         148
        .size:           4
        .value_kind:     hidden_block_count_y
      - .offset:         152
        .size:           4
        .value_kind:     hidden_block_count_z
      - .offset:         156
        .size:           2
        .value_kind:     hidden_group_size_x
      - .offset:         158
        .size:           2
        .value_kind:     hidden_group_size_y
      - .offset:         160
        .size:           2
        .value_kind:     hidden_group_size_z
      - .offset:         162
        .size:           2
        .value_kind:     hidden_remainder_x
      - .offset:         164
        .size:           2
        .value_kind:     hidden_remainder_y
      - .offset:         166
        .size:           2
        .value_kind:     hidden_remainder_z
      - .offset:         184
        .size:           8
        .value_kind:     hidden_global_offset_x
      - .offset:         192
        .size:           8
        .value_kind:     hidden_global_offset_y
      - .offset:         200
        .size:           8
        .value_kind:     hidden_global_offset_z
      - .offset:         208
        .size:           2
        .value_kind:     hidden_grid_dims
    .group_segment_fixed_size: 16384
    .kernarg_segment_align: 8
    .kernarg_segment_size: 400
    .language:       OpenCL C
    .language_version:
      - 2
      - 0
    .max_flat_workgroup_size: 1024
    .name:           _ZL20rocblas_gemvn_kernelILi64ELi16EiPK16rocblas_bfloat16PKfKPS0_EviiT3_lPKT2_lT1_lSA_lSB_lS7_lPT4_lSB_li
    .private_segment_fixed_size: 0
    .sgpr_count:     30
    .sgpr_spill_count: 0
    .symbol:         _ZL20rocblas_gemvn_kernelILi64ELi16EiPK16rocblas_bfloat16PKfKPS0_EviiT3_lPKT2_lT1_lSA_lSB_lS7_lPT4_lSB_li.kd
    .uniform_work_group_size: 1
    .uses_dynamic_stack: false
    .vgpr_count:     42
    .vgpr_spill_count: 0
    .wavefront_size: 32
    .workgroup_processor_mode: 1
  - .args:
      - .offset:         0
        .size:           4
        .value_kind:     by_value
      - .offset:         4
        .size:           4
        .value_kind:     by_value
      - .address_space:  global
        .offset:         8
        .size:           8
        .value_kind:     global_buffer
      - .offset:         16
        .size:           8
        .value_kind:     by_value
      - .address_space:  global
        .offset:         24
        .size:           8
        .value_kind:     global_buffer
      - .offset:         32
        .size:           8
        .value_kind:     by_value
      - .offset:         40
        .size:           8
        .value_kind:     by_value
      - .offset:         48
        .size:           8
        .value_kind:     by_value
      - .address_space:  global
        .offset:         56
        .size:           8
        .value_kind:     global_buffer
      - .offset:         64
        .size:           8
        .value_kind:     by_value
      - .offset:         72
        .size:           8
        .value_kind:     by_value
      - .offset:         80
        .size:           8
        .value_kind:     by_value
      - .address_space:  global
        .offset:         88
        .size:           8
        .value_kind:     global_buffer
      - .offset:         96
        .size:           8
        .value_kind:     by_value
      - .address_space:  global
        .offset:         104
        .size:           8
        .value_kind:     global_buffer
      - .offset:         112
        .size:           8
        .value_kind:     by_value
      - .offset:         120
        .size:           8
        .value_kind:     by_value
      - .offset:         128
        .size:           8
        .value_kind:     by_value
      - .offset:         136
        .size:           4
        .value_kind:     by_value
      - .offset:         144
        .size:           4
        .value_kind:     hidden_block_count_x
      - .offset:         148
        .size:           4
        .value_kind:     hidden_block_count_y
      - .offset:         152
        .size:           4
        .value_kind:     hidden_block_count_z
      - .offset:         156
        .size:           2
        .value_kind:     hidden_group_size_x
      - .offset:         158
        .size:           2
        .value_kind:     hidden_group_size_y
      - .offset:         160
        .size:           2
        .value_kind:     hidden_group_size_z
      - .offset:         162
        .size:           2
        .value_kind:     hidden_remainder_x
      - .offset:         164
        .size:           2
        .value_kind:     hidden_remainder_y
      - .offset:         166
        .size:           2
        .value_kind:     hidden_remainder_z
      - .offset:         184
        .size:           8
        .value_kind:     hidden_global_offset_x
      - .offset:         192
        .size:           8
        .value_kind:     hidden_global_offset_y
      - .offset:         200
        .size:           8
        .value_kind:     hidden_global_offset_z
      - .offset:         208
        .size:           2
        .value_kind:     hidden_grid_dims
    .group_segment_fixed_size: 16384
    .kernarg_segment_align: 8
    .kernarg_segment_size: 400
    .language:       OpenCL C
    .language_version:
      - 2
      - 0
    .max_flat_workgroup_size: 1024
    .name:           _ZL20rocblas_gemvn_kernelILi64ELi16ElPK16rocblas_bfloat16PKfKPS0_EviiT3_lPKT2_lT1_lSA_lSB_lS7_lPT4_lSB_li
    .private_segment_fixed_size: 0
    .sgpr_count:     37
    .sgpr_spill_count: 0
    .symbol:         _ZL20rocblas_gemvn_kernelILi64ELi16ElPK16rocblas_bfloat16PKfKPS0_EviiT3_lPKT2_lT1_lSA_lSB_lS7_lPT4_lSB_li.kd
    .uniform_work_group_size: 1
    .uses_dynamic_stack: false
    .vgpr_count:     52
    .vgpr_spill_count: 0
    .wavefront_size: 32
    .workgroup_processor_mode: 1
  - .args:
      - .offset:         0
        .size:           4
        .value_kind:     by_value
      - .offset:         4
        .size:           4
        .value_kind:     by_value
      - .offset:         8
        .size:           4
        .value_kind:     by_value
      - .offset:         16
        .size:           8
        .value_kind:     by_value
      - .address_space:  global
        .offset:         24
        .size:           8
        .value_kind:     global_buffer
      - .offset:         32
        .size:           8
        .value_kind:     by_value
      - .offset:         40
        .size:           4
        .value_kind:     by_value
      - .offset:         48
        .size:           8
        .value_kind:     by_value
      - .address_space:  global
        .offset:         56
        .size:           8
        .value_kind:     global_buffer
      - .offset:         64
        .size:           8
        .value_kind:     by_value
      - .offset:         72
        .size:           4
        .value_kind:     by_value
      - .offset:         80
        .size:           8
        .value_kind:     by_value
      - .offset:         88
        .size:           4
        .value_kind:     by_value
      - .offset:         96
        .size:           8
        .value_kind:     by_value
      - .address_space:  global
        .offset:         104
        .size:           8
        .value_kind:     global_buffer
      - .offset:         112
        .size:           8
        .value_kind:     by_value
      - .offset:         120
        .size:           4
        .value_kind:     by_value
      - .offset:         128
        .size:           8
        .value_kind:     by_value
      - .offset:         136
        .size:           4
        .value_kind:     by_value
      - .offset:         144
        .size:           4
        .value_kind:     hidden_block_count_x
      - .offset:         148
        .size:           4
        .value_kind:     hidden_block_count_y
      - .offset:         152
        .size:           4
        .value_kind:     hidden_block_count_z
      - .offset:         156
        .size:           2
        .value_kind:     hidden_group_size_x
      - .offset:         158
        .size:           2
        .value_kind:     hidden_group_size_y
      - .offset:         160
        .size:           2
        .value_kind:     hidden_group_size_z
      - .offset:         162
        .size:           2
        .value_kind:     hidden_remainder_x
      - .offset:         164
        .size:           2
        .value_kind:     hidden_remainder_y
      - .offset:         166
        .size:           2
        .value_kind:     hidden_remainder_z
      - .offset:         184
        .size:           8
        .value_kind:     hidden_global_offset_x
      - .offset:         192
        .size:           8
        .value_kind:     hidden_global_offset_y
      - .offset:         200
        .size:           8
        .value_kind:     hidden_global_offset_z
      - .offset:         208
        .size:           2
        .value_kind:     hidden_grid_dims
    .group_segment_fixed_size: 16384
    .kernarg_segment_align: 8
    .kernarg_segment_size: 400
    .language:       OpenCL C
    .language_version:
      - 2
      - 0
    .max_flat_workgroup_size: 1024
    .name:           _ZL20rocblas_gemvn_kernelILi64ELi16EiPK16rocblas_bfloat16fKPS0_EviiT3_lPKT2_lT1_lS8_lS9_lS5_lPT4_lS9_li
    .private_segment_fixed_size: 0
    .sgpr_count:     30
    .sgpr_spill_count: 0
    .symbol:         _ZL20rocblas_gemvn_kernelILi64ELi16EiPK16rocblas_bfloat16fKPS0_EviiT3_lPKT2_lT1_lS8_lS9_lS5_lPT4_lS9_li.kd
    .uniform_work_group_size: 1
    .uses_dynamic_stack: false
    .vgpr_count:     42
    .vgpr_spill_count: 0
    .wavefront_size: 32
    .workgroup_processor_mode: 1
  - .args:
      - .offset:         0
        .size:           4
        .value_kind:     by_value
      - .offset:         4
        .size:           4
        .value_kind:     by_value
      - .offset:         8
        .size:           4
        .value_kind:     by_value
      - .offset:         16
        .size:           8
        .value_kind:     by_value
      - .address_space:  global
        .offset:         24
        .size:           8
        .value_kind:     global_buffer
      - .offset:         32
        .size:           8
        .value_kind:     by_value
      - .offset:         40
        .size:           8
        .value_kind:     by_value
      - .offset:         48
        .size:           8
        .value_kind:     by_value
      - .address_space:  global
        .offset:         56
        .size:           8
        .value_kind:     global_buffer
      - .offset:         64
        .size:           8
        .value_kind:     by_value
      - .offset:         72
        .size:           8
        .value_kind:     by_value
      - .offset:         80
        .size:           8
        .value_kind:     by_value
      - .offset:         88
        .size:           4
        .value_kind:     by_value
      - .offset:         96
        .size:           8
        .value_kind:     by_value
      - .address_space:  global
        .offset:         104
        .size:           8
        .value_kind:     global_buffer
      - .offset:         112
        .size:           8
        .value_kind:     by_value
      - .offset:         120
        .size:           8
        .value_kind:     by_value
      - .offset:         128
        .size:           8
        .value_kind:     by_value
      - .offset:         136
        .size:           4
        .value_kind:     by_value
      - .offset:         144
        .size:           4
        .value_kind:     hidden_block_count_x
      - .offset:         148
        .size:           4
        .value_kind:     hidden_block_count_y
      - .offset:         152
        .size:           4
        .value_kind:     hidden_block_count_z
      - .offset:         156
        .size:           2
        .value_kind:     hidden_group_size_x
      - .offset:         158
        .size:           2
        .value_kind:     hidden_group_size_y
      - .offset:         160
        .size:           2
        .value_kind:     hidden_group_size_z
      - .offset:         162
        .size:           2
        .value_kind:     hidden_remainder_x
      - .offset:         164
        .size:           2
        .value_kind:     hidden_remainder_y
      - .offset:         166
        .size:           2
        .value_kind:     hidden_remainder_z
      - .offset:         184
        .size:           8
        .value_kind:     hidden_global_offset_x
      - .offset:         192
        .size:           8
        .value_kind:     hidden_global_offset_y
      - .offset:         200
        .size:           8
        .value_kind:     hidden_global_offset_z
      - .offset:         208
        .size:           2
        .value_kind:     hidden_grid_dims
    .group_segment_fixed_size: 16384
    .kernarg_segment_align: 8
    .kernarg_segment_size: 400
    .language:       OpenCL C
    .language_version:
      - 2
      - 0
    .max_flat_workgroup_size: 1024
    .name:           _ZL20rocblas_gemvn_kernelILi64ELi16ElPK16rocblas_bfloat16fKPS0_EviiT3_lPKT2_lT1_lS8_lS9_lS5_lPT4_lS9_li
    .private_segment_fixed_size: 0
    .sgpr_count:     37
    .sgpr_spill_count: 0
    .symbol:         _ZL20rocblas_gemvn_kernelILi64ELi16ElPK16rocblas_bfloat16fKPS0_EviiT3_lPKT2_lT1_lS8_lS9_lS5_lPT4_lS9_li.kd
    .uniform_work_group_size: 1
    .uses_dynamic_stack: false
    .vgpr_count:     52
    .vgpr_spill_count: 0
    .wavefront_size: 32
    .workgroup_processor_mode: 1
  - .args:
      - .offset:         0
        .size:           4
        .value_kind:     by_value
      - .offset:         4
        .size:           4
        .value_kind:     by_value
      - .address_space:  global
        .offset:         8
        .size:           8
        .value_kind:     global_buffer
      - .offset:         16
        .size:           8
        .value_kind:     by_value
      - .address_space:  global
        .offset:         24
        .size:           8
        .value_kind:     global_buffer
      - .offset:         32
        .size:           8
        .value_kind:     by_value
      - .offset:         40
        .size:           4
        .value_kind:     by_value
      - .offset:         48
        .size:           8
        .value_kind:     by_value
      - .address_space:  global
        .offset:         56
        .size:           8
        .value_kind:     global_buffer
      - .offset:         64
        .size:           8
        .value_kind:     by_value
      - .offset:         72
        .size:           4
        .value_kind:     by_value
      - .offset:         80
        .size:           8
        .value_kind:     by_value
      - .address_space:  global
        .offset:         88
        .size:           8
        .value_kind:     global_buffer
      - .offset:         96
        .size:           8
        .value_kind:     by_value
      - .address_space:  global
        .offset:         104
        .size:           8
        .value_kind:     global_buffer
      - .offset:         112
        .size:           8
        .value_kind:     by_value
      - .offset:         120
        .size:           4
        .value_kind:     by_value
      - .offset:         128
        .size:           8
        .value_kind:     by_value
    .group_segment_fixed_size: 256
    .kernarg_segment_align: 8
    .kernarg_segment_size: 136
    .language:       OpenCL C
    .language_version:
      - 2
      - 0
    .max_flat_workgroup_size: 256
    .name:           _ZL22rocblas_gemvtsm_kernelILb0ELi256EPK16rocblas_bfloat16PKfKPS0_EviiT2_lPKT1_lilSA_lilS7_lPT3_lil
    .private_segment_fixed_size: 0
    .sgpr_count:     26
    .sgpr_spill_count: 0
    .symbol:         _ZL22rocblas_gemvtsm_kernelILb0ELi256EPK16rocblas_bfloat16PKfKPS0_EviiT2_lPKT1_lilSA_lilS7_lPT3_lil.kd
    .uniform_work_group_size: 1
    .uses_dynamic_stack: false
    .vgpr_count:     14
    .vgpr_spill_count: 0
    .wavefront_size: 32
    .workgroup_processor_mode: 1
  - .args:
      - .offset:         0
        .size:           4
        .value_kind:     by_value
      - .offset:         4
        .size:           4
        .value_kind:     by_value
      - .offset:         8
        .size:           4
        .value_kind:     by_value
      - .offset:         16
        .size:           8
        .value_kind:     by_value
      - .address_space:  global
        .offset:         24
        .size:           8
        .value_kind:     global_buffer
      - .offset:         32
        .size:           8
        .value_kind:     by_value
      - .offset:         40
        .size:           4
        .value_kind:     by_value
      - .offset:         48
        .size:           8
        .value_kind:     by_value
      - .address_space:  global
        .offset:         56
        .size:           8
        .value_kind:     global_buffer
      - .offset:         64
        .size:           8
        .value_kind:     by_value
      - .offset:         72
        .size:           4
        .value_kind:     by_value
      - .offset:         80
        .size:           8
        .value_kind:     by_value
      - .offset:         88
        .size:           4
        .value_kind:     by_value
      - .offset:         96
        .size:           8
        .value_kind:     by_value
      - .address_space:  global
        .offset:         104
        .size:           8
        .value_kind:     global_buffer
      - .offset:         112
        .size:           8
        .value_kind:     by_value
      - .offset:         120
        .size:           4
        .value_kind:     by_value
      - .offset:         128
        .size:           8
        .value_kind:     by_value
    .group_segment_fixed_size: 256
    .kernarg_segment_align: 8
    .kernarg_segment_size: 136
    .language:       OpenCL C
    .language_version:
      - 2
      - 0
    .max_flat_workgroup_size: 256
    .name:           _ZL22rocblas_gemvtsm_kernelILb0ELi256EPK16rocblas_bfloat16fKPS0_EviiT2_lPKT1_lilS8_lilS5_lPT3_lil
    .private_segment_fixed_size: 0
    .sgpr_count:     26
    .sgpr_spill_count: 0
    .symbol:         _ZL22rocblas_gemvtsm_kernelILb0ELi256EPK16rocblas_bfloat16fKPS0_EviiT2_lPKT1_lilS8_lilS5_lPT3_lil.kd
    .uniform_work_group_size: 1
    .uses_dynamic_stack: false
    .vgpr_count:     14
    .vgpr_spill_count: 0
    .wavefront_size: 32
    .workgroup_processor_mode: 1
  - .args:
      - .offset:         0
        .size:           4
        .value_kind:     by_value
      - .offset:         4
        .size:           4
        .value_kind:     by_value
      - .address_space:  global
        .offset:         8
        .size:           8
        .value_kind:     global_buffer
      - .offset:         16
        .size:           8
        .value_kind:     by_value
      - .address_space:  global
        .offset:         24
        .size:           8
        .value_kind:     global_buffer
      - .offset:         32
        .size:           8
        .value_kind:     by_value
      - .offset:         40
        .size:           4
        .value_kind:     by_value
      - .offset:         48
        .size:           8
        .value_kind:     by_value
      - .address_space:  global
        .offset:         56
        .size:           8
        .value_kind:     global_buffer
      - .offset:         64
        .size:           8
        .value_kind:     by_value
      - .offset:         72
        .size:           4
        .value_kind:     by_value
      - .offset:         80
        .size:           8
        .value_kind:     by_value
      - .address_space:  global
        .offset:         88
        .size:           8
        .value_kind:     global_buffer
      - .offset:         96
        .size:           4
        .value_kind:     by_value
      - .offset:         104
        .size:           4
        .value_kind:     hidden_block_count_x
      - .offset:         108
        .size:           4
        .value_kind:     hidden_block_count_y
      - .offset:         112
        .size:           4
        .value_kind:     hidden_block_count_z
      - .offset:         116
        .size:           2
        .value_kind:     hidden_group_size_x
      - .offset:         118
        .size:           2
        .value_kind:     hidden_group_size_y
      - .offset:         120
        .size:           2
        .value_kind:     hidden_group_size_z
      - .offset:         122
        .size:           2
        .value_kind:     hidden_remainder_x
      - .offset:         124
        .size:           2
        .value_kind:     hidden_remainder_y
      - .offset:         126
        .size:           2
        .value_kind:     hidden_remainder_z
      - .offset:         144
        .size:           8
        .value_kind:     hidden_global_offset_x
      - .offset:         152
        .size:           8
        .value_kind:     hidden_global_offset_y
      - .offset:         160
        .size:           8
        .value_kind:     hidden_global_offset_z
      - .offset:         168
        .size:           2
        .value_kind:     hidden_grid_dims
    .group_segment_fixed_size: 128
    .kernarg_segment_align: 8
    .kernarg_segment_size: 360
    .language:       OpenCL C
    .language_version:
      - 2
      - 0
    .max_flat_workgroup_size: 256
    .name:           _ZL23rocblas_gemvt_sn_kernelILb0ELi256ELi4EiPK16rocblas_bfloat16PKffEviiT4_lPKT3_lilS8_lilPT5_i
    .private_segment_fixed_size: 0
    .sgpr_count:     46
    .sgpr_spill_count: 0
    .symbol:         _ZL23rocblas_gemvt_sn_kernelILb0ELi256ELi4EiPK16rocblas_bfloat16PKffEviiT4_lPKT3_lilS8_lilPT5_i.kd
    .uniform_work_group_size: 1
    .uses_dynamic_stack: false
    .vgpr_count:     47
    .vgpr_spill_count: 0
    .wavefront_size: 32
    .workgroup_processor_mode: 1
  - .args:
      - .offset:         0
        .size:           4
        .value_kind:     by_value
      - .offset:         4
        .size:           4
        .value_kind:     by_value
      - .address_space:  global
        .offset:         8
        .size:           8
        .value_kind:     global_buffer
      - .offset:         16
        .size:           8
        .value_kind:     by_value
      - .address_space:  global
        .offset:         24
        .size:           8
        .value_kind:     global_buffer
      - .offset:         32
        .size:           8
        .value_kind:     by_value
      - .offset:         40
        .size:           4
        .value_kind:     by_value
      - .offset:         48
        .size:           8
        .value_kind:     by_value
      - .address_space:  global
        .offset:         56
        .size:           8
        .value_kind:     global_buffer
      - .offset:         64
        .size:           8
        .value_kind:     by_value
      - .offset:         72
        .size:           4
        .value_kind:     by_value
      - .offset:         80
        .size:           8
        .value_kind:     by_value
      - .address_space:  global
        .offset:         88
        .size:           8
        .value_kind:     global_buffer
      - .offset:         96
        .size:           4
        .value_kind:     by_value
      - .offset:         104
        .size:           4
        .value_kind:     hidden_block_count_x
      - .offset:         108
        .size:           4
        .value_kind:     hidden_block_count_y
      - .offset:         112
        .size:           4
        .value_kind:     hidden_block_count_z
      - .offset:         116
        .size:           2
        .value_kind:     hidden_group_size_x
      - .offset:         118
        .size:           2
        .value_kind:     hidden_group_size_y
      - .offset:         120
        .size:           2
        .value_kind:     hidden_group_size_z
      - .offset:         122
        .size:           2
        .value_kind:     hidden_remainder_x
      - .offset:         124
        .size:           2
        .value_kind:     hidden_remainder_y
      - .offset:         126
        .size:           2
        .value_kind:     hidden_remainder_z
      - .offset:         144
        .size:           8
        .value_kind:     hidden_global_offset_x
      - .offset:         152
        .size:           8
        .value_kind:     hidden_global_offset_y
      - .offset:         160
        .size:           8
        .value_kind:     hidden_global_offset_z
      - .offset:         168
        .size:           2
        .value_kind:     hidden_grid_dims
    .group_segment_fixed_size: 128
    .kernarg_segment_align: 8
    .kernarg_segment_size: 360
    .language:       OpenCL C
    .language_version:
      - 2
      - 0
    .max_flat_workgroup_size: 256
    .name:           _ZL23rocblas_gemvt_sn_kernelILb0ELi256ELi4ElPK16rocblas_bfloat16PKffEviiT4_lPKT3_lilS8_lilPT5_i
    .private_segment_fixed_size: 0
    .sgpr_count:     48
    .sgpr_spill_count: 0
    .symbol:         _ZL23rocblas_gemvt_sn_kernelILb0ELi256ELi4ElPK16rocblas_bfloat16PKffEviiT4_lPKT3_lilS8_lilPT5_i.kd
    .uniform_work_group_size: 1
    .uses_dynamic_stack: false
    .vgpr_count:     53
    .vgpr_spill_count: 0
    .wavefront_size: 32
    .workgroup_processor_mode: 1
  - .args:
      - .offset:         0
        .size:           4
        .value_kind:     by_value
      - .address_space:  global
        .offset:         8
        .size:           8
        .value_kind:     global_buffer
      - .offset:         16
        .size:           8
        .value_kind:     by_value
      - .address_space:  global
        .offset:         24
        .size:           8
        .value_kind:     global_buffer
      - .offset:         32
        .size:           8
        .value_kind:     by_value
      - .offset:         40
        .size:           4
        .value_kind:     by_value
      - .offset:         48
        .size:           8
        .value_kind:     by_value
      - .actual_access:  read_only
        .address_space:  global
        .offset:         56
        .size:           8
        .value_kind:     global_buffer
      - .offset:         64
        .size:           4
        .value_kind:     by_value
      - .offset:         72
        .size:           4
        .value_kind:     hidden_block_count_x
      - .offset:         76
        .size:           4
        .value_kind:     hidden_block_count_y
      - .offset:         80
        .size:           4
        .value_kind:     hidden_block_count_z
      - .offset:         84
        .size:           2
        .value_kind:     hidden_group_size_x
      - .offset:         86
        .size:           2
        .value_kind:     hidden_group_size_y
      - .offset:         88
        .size:           2
        .value_kind:     hidden_group_size_z
      - .offset:         90
        .size:           2
        .value_kind:     hidden_remainder_x
      - .offset:         92
        .size:           2
        .value_kind:     hidden_remainder_y
      - .offset:         94
        .size:           2
        .value_kind:     hidden_remainder_z
      - .offset:         112
        .size:           8
        .value_kind:     hidden_global_offset_x
      - .offset:         120
        .size:           8
        .value_kind:     hidden_global_offset_y
      - .offset:         128
        .size:           8
        .value_kind:     hidden_global_offset_z
      - .offset:         136
        .size:           2
        .value_kind:     hidden_grid_dims
    .group_segment_fixed_size: 128
    .kernarg_segment_align: 8
    .kernarg_segment_size: 328
    .language:       OpenCL C
    .language_version:
      - 2
      - 0
    .max_flat_workgroup_size: 256
    .name:           _ZL23rocblas_gemvt_sn_reduceILi256ELi8EfPKfKP16rocblas_bfloat16EviT2_lPT3_lilPT1_i
    .private_segment_fixed_size: 0
    .sgpr_count:     25
    .sgpr_spill_count: 0
    .symbol:         _ZL23rocblas_gemvt_sn_reduceILi256ELi8EfPKfKP16rocblas_bfloat16EviT2_lPT3_lilPT1_i.kd
    .uniform_work_group_size: 1
    .uses_dynamic_stack: false
    .vgpr_count:     13
    .vgpr_spill_count: 0
    .wavefront_size: 32
    .workgroup_processor_mode: 1
  - .args:
      - .offset:         0
        .size:           4
        .value_kind:     by_value
      - .offset:         4
        .size:           4
        .value_kind:     by_value
      - .offset:         8
        .size:           4
        .value_kind:     by_value
      - .offset:         16
        .size:           8
        .value_kind:     by_value
      - .address_space:  global
        .offset:         24
        .size:           8
        .value_kind:     global_buffer
      - .offset:         32
        .size:           8
        .value_kind:     by_value
      - .offset:         40
        .size:           4
        .value_kind:     by_value
      - .offset:         48
        .size:           8
        .value_kind:     by_value
      - .address_space:  global
        .offset:         56
        .size:           8
        .value_kind:     global_buffer
      - .offset:         64
        .size:           8
        .value_kind:     by_value
      - .offset:         72
        .size:           4
        .value_kind:     by_value
      - .offset:         80
        .size:           8
        .value_kind:     by_value
      - .address_space:  global
        .offset:         88
        .size:           8
        .value_kind:     global_buffer
      - .offset:         96
        .size:           4
        .value_kind:     by_value
      - .offset:         104
        .size:           4
        .value_kind:     hidden_block_count_x
      - .offset:         108
        .size:           4
        .value_kind:     hidden_block_count_y
      - .offset:         112
        .size:           4
        .value_kind:     hidden_block_count_z
      - .offset:         116
        .size:           2
        .value_kind:     hidden_group_size_x
      - .offset:         118
        .size:           2
        .value_kind:     hidden_group_size_y
      - .offset:         120
        .size:           2
        .value_kind:     hidden_group_size_z
      - .offset:         122
        .size:           2
        .value_kind:     hidden_remainder_x
      - .offset:         124
        .size:           2
        .value_kind:     hidden_remainder_y
      - .offset:         126
        .size:           2
        .value_kind:     hidden_remainder_z
      - .offset:         144
        .size:           8
        .value_kind:     hidden_global_offset_x
      - .offset:         152
        .size:           8
        .value_kind:     hidden_global_offset_y
      - .offset:         160
        .size:           8
        .value_kind:     hidden_global_offset_z
      - .offset:         168
        .size:           2
        .value_kind:     hidden_grid_dims
    .group_segment_fixed_size: 128
    .kernarg_segment_align: 8
    .kernarg_segment_size: 360
    .language:       OpenCL C
    .language_version:
      - 2
      - 0
    .max_flat_workgroup_size: 256
    .name:           _ZL23rocblas_gemvt_sn_kernelILb0ELi256ELi4EiPK16rocblas_bfloat16ffEviiT4_lPKT3_lilS6_lilPT5_i
    .private_segment_fixed_size: 0
    .sgpr_count:     46
    .sgpr_spill_count: 0
    .symbol:         _ZL23rocblas_gemvt_sn_kernelILb0ELi256ELi4EiPK16rocblas_bfloat16ffEviiT4_lPKT3_lilS6_lilPT5_i.kd
    .uniform_work_group_size: 1
    .uses_dynamic_stack: false
    .vgpr_count:     47
    .vgpr_spill_count: 0
    .wavefront_size: 32
    .workgroup_processor_mode: 1
  - .args:
      - .offset:         0
        .size:           4
        .value_kind:     by_value
      - .offset:         4
        .size:           4
        .value_kind:     by_value
      - .offset:         8
        .size:           4
        .value_kind:     by_value
      - .offset:         16
        .size:           8
        .value_kind:     by_value
      - .address_space:  global
        .offset:         24
        .size:           8
        .value_kind:     global_buffer
      - .offset:         32
        .size:           8
        .value_kind:     by_value
      - .offset:         40
        .size:           4
        .value_kind:     by_value
      - .offset:         48
        .size:           8
        .value_kind:     by_value
      - .address_space:  global
        .offset:         56
        .size:           8
        .value_kind:     global_buffer
      - .offset:         64
        .size:           8
        .value_kind:     by_value
      - .offset:         72
        .size:           4
        .value_kind:     by_value
      - .offset:         80
        .size:           8
        .value_kind:     by_value
      - .address_space:  global
        .offset:         88
        .size:           8
        .value_kind:     global_buffer
      - .offset:         96
        .size:           4
        .value_kind:     by_value
      - .offset:         104
        .size:           4
        .value_kind:     hidden_block_count_x
      - .offset:         108
        .size:           4
        .value_kind:     hidden_block_count_y
      - .offset:         112
        .size:           4
        .value_kind:     hidden_block_count_z
      - .offset:         116
        .size:           2
        .value_kind:     hidden_group_size_x
      - .offset:         118
        .size:           2
        .value_kind:     hidden_group_size_y
      - .offset:         120
        .size:           2
        .value_kind:     hidden_group_size_z
      - .offset:         122
        .size:           2
        .value_kind:     hidden_remainder_x
      - .offset:         124
        .size:           2
        .value_kind:     hidden_remainder_y
      - .offset:         126
        .size:           2
        .value_kind:     hidden_remainder_z
      - .offset:         144
        .size:           8
        .value_kind:     hidden_global_offset_x
      - .offset:         152
        .size:           8
        .value_kind:     hidden_global_offset_y
      - .offset:         160
        .size:           8
        .value_kind:     hidden_global_offset_z
      - .offset:         168
        .size:           2
        .value_kind:     hidden_grid_dims
    .group_segment_fixed_size: 128
    .kernarg_segment_align: 8
    .kernarg_segment_size: 360
    .language:       OpenCL C
    .language_version:
      - 2
      - 0
    .max_flat_workgroup_size: 256
    .name:           _ZL23rocblas_gemvt_sn_kernelILb0ELi256ELi4ElPK16rocblas_bfloat16ffEviiT4_lPKT3_lilS6_lilPT5_i
    .private_segment_fixed_size: 0
    .sgpr_count:     48
    .sgpr_spill_count: 0
    .symbol:         _ZL23rocblas_gemvt_sn_kernelILb0ELi256ELi4ElPK16rocblas_bfloat16ffEviiT4_lPKT3_lilS6_lilPT5_i.kd
    .uniform_work_group_size: 1
    .uses_dynamic_stack: false
    .vgpr_count:     53
    .vgpr_spill_count: 0
    .wavefront_size: 32
    .workgroup_processor_mode: 1
  - .args:
      - .offset:         0
        .size:           4
        .value_kind:     by_value
      - .offset:         4
        .size:           4
        .value_kind:     by_value
      - .offset:         8
        .size:           8
        .value_kind:     by_value
      - .address_space:  global
        .offset:         16
        .size:           8
        .value_kind:     global_buffer
      - .offset:         24
        .size:           8
        .value_kind:     by_value
      - .offset:         32
        .size:           4
        .value_kind:     by_value
      - .offset:         40
        .size:           8
        .value_kind:     by_value
      - .actual_access:  read_only
        .address_space:  global
        .offset:         48
        .size:           8
        .value_kind:     global_buffer
      - .offset:         56
        .size:           4
        .value_kind:     by_value
      - .offset:         64
        .size:           4
        .value_kind:     hidden_block_count_x
      - .offset:         68
        .size:           4
        .value_kind:     hidden_block_count_y
      - .offset:         72
        .size:           4
        .value_kind:     hidden_block_count_z
      - .offset:         76
        .size:           2
        .value_kind:     hidden_group_size_x
      - .offset:         78
        .size:           2
        .value_kind:     hidden_group_size_y
      - .offset:         80
        .size:           2
        .value_kind:     hidden_group_size_z
      - .offset:         82
        .size:           2
        .value_kind:     hidden_remainder_x
      - .offset:         84
        .size:           2
        .value_kind:     hidden_remainder_y
      - .offset:         86
        .size:           2
        .value_kind:     hidden_remainder_z
      - .offset:         104
        .size:           8
        .value_kind:     hidden_global_offset_x
      - .offset:         112
        .size:           8
        .value_kind:     hidden_global_offset_y
      - .offset:         120
        .size:           8
        .value_kind:     hidden_global_offset_z
      - .offset:         128
        .size:           2
        .value_kind:     hidden_grid_dims
    .group_segment_fixed_size: 128
    .kernarg_segment_align: 8
    .kernarg_segment_size: 320
    .language:       OpenCL C
    .language_version:
      - 2
      - 0
    .max_flat_workgroup_size: 256
    .name:           _ZL23rocblas_gemvt_sn_reduceILi256ELi8EffKP16rocblas_bfloat16EviT2_lPT3_lilPT1_i
    .private_segment_fixed_size: 0
    .sgpr_count:     22
    .sgpr_spill_count: 0
    .symbol:         _ZL23rocblas_gemvt_sn_reduceILi256ELi8EffKP16rocblas_bfloat16EviT2_lPT3_lilPT1_i.kd
    .uniform_work_group_size: 1
    .uses_dynamic_stack: false
    .vgpr_count:     13
    .vgpr_spill_count: 0
    .wavefront_size: 32
    .workgroup_processor_mode: 1
  - .args:
      - .offset:         0
        .size:           4
        .value_kind:     by_value
      - .offset:         4
        .size:           4
        .value_kind:     by_value
      - .address_space:  global
        .offset:         8
        .size:           8
        .value_kind:     global_buffer
      - .offset:         16
        .size:           8
        .value_kind:     by_value
      - .address_space:  global
        .offset:         24
        .size:           8
        .value_kind:     global_buffer
      - .offset:         32
        .size:           8
        .value_kind:     by_value
      - .offset:         40
        .size:           4
        .value_kind:     by_value
      - .offset:         48
        .size:           8
        .value_kind:     by_value
      - .address_space:  global
        .offset:         56
        .size:           8
        .value_kind:     global_buffer
      - .offset:         64
        .size:           8
        .value_kind:     by_value
      - .offset:         72
        .size:           4
        .value_kind:     by_value
      - .offset:         80
        .size:           8
        .value_kind:     by_value
      - .address_space:  global
        .offset:         88
        .size:           8
        .value_kind:     global_buffer
      - .offset:         96
        .size:           8
        .value_kind:     by_value
      - .address_space:  global
        .offset:         104
        .size:           8
        .value_kind:     global_buffer
      - .offset:         112
        .size:           8
        .value_kind:     by_value
      - .offset:         120
        .size:           4
        .value_kind:     by_value
      - .offset:         128
        .size:           8
        .value_kind:     by_value
      - .offset:         136
        .size:           4
        .value_kind:     by_value
    .group_segment_fixed_size: 128
    .kernarg_segment_align: 8
    .kernarg_segment_size: 140
    .language:       OpenCL C
    .language_version:
      - 2
      - 0
    .max_flat_workgroup_size: 256
    .name:           _ZL32rocblas_gemvt_warp_reduce_kernelILb0ELi256EiPK16rocblas_bfloat16PKfKPS0_EviiT3_lPKT2_lT1_lSA_lSB_lS7_lPT4_lSB_li
    .private_segment_fixed_size: 0
    .sgpr_count:     26
    .sgpr_spill_count: 0
    .symbol:         _ZL32rocblas_gemvt_warp_reduce_kernelILb0ELi256EiPK16rocblas_bfloat16PKfKPS0_EviiT3_lPKT2_lT1_lSA_lSB_lS7_lPT4_lSB_li.kd
    .uniform_work_group_size: 1
    .uses_dynamic_stack: false
    .vgpr_count:     12
    .vgpr_spill_count: 0
    .wavefront_size: 32
    .workgroup_processor_mode: 1
  - .args:
      - .offset:         0
        .size:           4
        .value_kind:     by_value
      - .offset:         4
        .size:           4
        .value_kind:     by_value
      - .address_space:  global
        .offset:         8
        .size:           8
        .value_kind:     global_buffer
      - .offset:         16
        .size:           8
        .value_kind:     by_value
      - .address_space:  global
        .offset:         24
        .size:           8
        .value_kind:     global_buffer
      - .offset:         32
        .size:           8
        .value_kind:     by_value
      - .offset:         40
        .size:           8
        .value_kind:     by_value
      - .offset:         48
        .size:           8
        .value_kind:     by_value
      - .address_space:  global
        .offset:         56
        .size:           8
        .value_kind:     global_buffer
      - .offset:         64
        .size:           8
        .value_kind:     by_value
      - .offset:         72
        .size:           8
        .value_kind:     by_value
      - .offset:         80
        .size:           8
        .value_kind:     by_value
      - .address_space:  global
        .offset:         88
        .size:           8
        .value_kind:     global_buffer
      - .offset:         96
        .size:           8
        .value_kind:     by_value
      - .address_space:  global
        .offset:         104
        .size:           8
        .value_kind:     global_buffer
      - .offset:         112
        .size:           8
        .value_kind:     by_value
      - .offset:         120
        .size:           8
        .value_kind:     by_value
      - .offset:         128
        .size:           8
        .value_kind:     by_value
      - .offset:         136
        .size:           4
        .value_kind:     by_value
    .group_segment_fixed_size: 128
    .kernarg_segment_align: 8
    .kernarg_segment_size: 140
    .language:       OpenCL C
    .language_version:
      - 2
      - 0
    .max_flat_workgroup_size: 256
    .name:           _ZL32rocblas_gemvt_warp_reduce_kernelILb0ELi256ElPK16rocblas_bfloat16PKfKPS0_EviiT3_lPKT2_lT1_lSA_lSB_lS7_lPT4_lSB_li
    .private_segment_fixed_size: 0
    .sgpr_count:     33
    .sgpr_spill_count: 0
    .symbol:         _ZL32rocblas_gemvt_warp_reduce_kernelILb0ELi256ElPK16rocblas_bfloat16PKfKPS0_EviiT3_lPKT2_lT1_lSA_lSB_lS7_lPT4_lSB_li.kd
    .uniform_work_group_size: 1
    .uses_dynamic_stack: false
    .vgpr_count:     12
    .vgpr_spill_count: 0
    .wavefront_size: 32
    .workgroup_processor_mode: 1
  - .args:
      - .offset:         0
        .size:           4
        .value_kind:     by_value
      - .offset:         4
        .size:           4
        .value_kind:     by_value
      - .offset:         8
        .size:           4
        .value_kind:     by_value
      - .offset:         16
        .size:           8
        .value_kind:     by_value
      - .address_space:  global
        .offset:         24
        .size:           8
        .value_kind:     global_buffer
      - .offset:         32
        .size:           8
        .value_kind:     by_value
      - .offset:         40
        .size:           4
        .value_kind:     by_value
      - .offset:         48
        .size:           8
        .value_kind:     by_value
      - .address_space:  global
        .offset:         56
        .size:           8
        .value_kind:     global_buffer
      - .offset:         64
        .size:           8
        .value_kind:     by_value
      - .offset:         72
        .size:           4
        .value_kind:     by_value
      - .offset:         80
        .size:           8
        .value_kind:     by_value
      - .offset:         88
        .size:           4
        .value_kind:     by_value
      - .offset:         96
        .size:           8
        .value_kind:     by_value
      - .address_space:  global
        .offset:         104
        .size:           8
        .value_kind:     global_buffer
      - .offset:         112
        .size:           8
        .value_kind:     by_value
      - .offset:         120
        .size:           4
        .value_kind:     by_value
      - .offset:         128
        .size:           8
        .value_kind:     by_value
      - .offset:         136
        .size:           4
        .value_kind:     by_value
    .group_segment_fixed_size: 128
    .kernarg_segment_align: 8
    .kernarg_segment_size: 140
    .language:       OpenCL C
    .language_version:
      - 2
      - 0
    .max_flat_workgroup_size: 256
    .name:           _ZL32rocblas_gemvt_warp_reduce_kernelILb0ELi256EiPK16rocblas_bfloat16fKPS0_EviiT3_lPKT2_lT1_lS8_lS9_lS5_lPT4_lS9_li
    .private_segment_fixed_size: 0
    .sgpr_count:     22
    .sgpr_spill_count: 0
    .symbol:         _ZL32rocblas_gemvt_warp_reduce_kernelILb0ELi256EiPK16rocblas_bfloat16fKPS0_EviiT3_lPKT2_lT1_lS8_lS9_lS5_lPT4_lS9_li.kd
    .uniform_work_group_size: 1
    .uses_dynamic_stack: false
    .vgpr_count:     12
    .vgpr_spill_count: 0
    .wavefront_size: 32
    .workgroup_processor_mode: 1
  - .args:
      - .offset:         0
        .size:           4
        .value_kind:     by_value
      - .offset:         4
        .size:           4
        .value_kind:     by_value
      - .offset:         8
        .size:           4
        .value_kind:     by_value
      - .offset:         16
        .size:           8
        .value_kind:     by_value
      - .address_space:  global
        .offset:         24
        .size:           8
        .value_kind:     global_buffer
      - .offset:         32
        .size:           8
        .value_kind:     by_value
      - .offset:         40
        .size:           8
        .value_kind:     by_value
      - .offset:         48
        .size:           8
        .value_kind:     by_value
      - .address_space:  global
        .offset:         56
        .size:           8
        .value_kind:     global_buffer
      - .offset:         64
        .size:           8
        .value_kind:     by_value
      - .offset:         72
        .size:           8
        .value_kind:     by_value
      - .offset:         80
        .size:           8
        .value_kind:     by_value
      - .offset:         88
        .size:           4
        .value_kind:     by_value
      - .offset:         96
        .size:           8
        .value_kind:     by_value
      - .address_space:  global
        .offset:         104
        .size:           8
        .value_kind:     global_buffer
      - .offset:         112
        .size:           8
        .value_kind:     by_value
      - .offset:         120
        .size:           8
        .value_kind:     by_value
      - .offset:         128
        .size:           8
        .value_kind:     by_value
      - .offset:         136
        .size:           4
        .value_kind:     by_value
    .group_segment_fixed_size: 128
    .kernarg_segment_align: 8
    .kernarg_segment_size: 140
    .language:       OpenCL C
    .language_version:
      - 2
      - 0
    .max_flat_workgroup_size: 256
    .name:           _ZL32rocblas_gemvt_warp_reduce_kernelILb0ELi256ElPK16rocblas_bfloat16fKPS0_EviiT3_lPKT2_lT1_lS8_lS9_lS5_lPT4_lS9_li
    .private_segment_fixed_size: 0
    .sgpr_count:     30
    .sgpr_spill_count: 0
    .symbol:         _ZL32rocblas_gemvt_warp_reduce_kernelILb0ELi256ElPK16rocblas_bfloat16fKPS0_EviiT3_lPKT2_lT1_lS8_lS9_lS5_lPT4_lS9_li.kd
    .uniform_work_group_size: 1
    .uses_dynamic_stack: false
    .vgpr_count:     12
    .vgpr_spill_count: 0
    .wavefront_size: 32
    .workgroup_processor_mode: 1
  - .args:
      - .offset:         0
        .size:           4
        .value_kind:     by_value
      - .offset:         4
        .size:           4
        .value_kind:     by_value
      - .address_space:  global
        .offset:         8
        .size:           8
        .value_kind:     global_buffer
      - .offset:         16
        .size:           8
        .value_kind:     by_value
      - .address_space:  global
        .offset:         24
        .size:           8
        .value_kind:     global_buffer
      - .offset:         32
        .size:           8
        .value_kind:     by_value
      - .offset:         40
        .size:           4
        .value_kind:     by_value
      - .offset:         48
        .size:           8
        .value_kind:     by_value
      - .address_space:  global
        .offset:         56
        .size:           8
        .value_kind:     global_buffer
      - .offset:         64
        .size:           8
        .value_kind:     by_value
      - .offset:         72
        .size:           4
        .value_kind:     by_value
      - .offset:         80
        .size:           8
        .value_kind:     by_value
      - .address_space:  global
        .offset:         88
        .size:           8
        .value_kind:     global_buffer
      - .offset:         96
        .size:           8
        .value_kind:     by_value
      - .address_space:  global
        .offset:         104
        .size:           8
        .value_kind:     global_buffer
      - .offset:         112
        .size:           8
        .value_kind:     by_value
      - .offset:         120
        .size:           4
        .value_kind:     by_value
      - .offset:         128
        .size:           8
        .value_kind:     by_value
      - .offset:         136
        .size:           4
        .value_kind:     by_value
    .group_segment_fixed_size: 1024
    .kernarg_segment_align: 8
    .kernarg_segment_size: 140
    .language:       OpenCL C
    .language_version:
      - 2
      - 0
    .max_flat_workgroup_size: 256
    .name:           _ZL20rocblas_gemvt_kernelILb0ELi256EPK16rocblas_bfloat16PKfKPS0_EviiT2_lPKT1_lilSA_lilS7_lPT3_lili
    .private_segment_fixed_size: 0
    .sgpr_count:     26
    .sgpr_spill_count: 0
    .symbol:         _ZL20rocblas_gemvt_kernelILb0ELi256EPK16rocblas_bfloat16PKfKPS0_EviiT2_lPKT1_lilSA_lilS7_lPT3_lili.kd
    .uniform_work_group_size: 1
    .uses_dynamic_stack: false
    .vgpr_count:     11
    .vgpr_spill_count: 0
    .wavefront_size: 32
    .workgroup_processor_mode: 1
  - .args:
      - .offset:         0
        .size:           4
        .value_kind:     by_value
      - .offset:         4
        .size:           4
        .value_kind:     by_value
      - .offset:         8
        .size:           4
        .value_kind:     by_value
      - .offset:         16
        .size:           8
        .value_kind:     by_value
      - .address_space:  global
        .offset:         24
        .size:           8
        .value_kind:     global_buffer
      - .offset:         32
        .size:           8
        .value_kind:     by_value
      - .offset:         40
        .size:           4
        .value_kind:     by_value
      - .offset:         48
        .size:           8
        .value_kind:     by_value
      - .address_space:  global
        .offset:         56
        .size:           8
        .value_kind:     global_buffer
      - .offset:         64
        .size:           8
        .value_kind:     by_value
      - .offset:         72
        .size:           4
        .value_kind:     by_value
      - .offset:         80
        .size:           8
        .value_kind:     by_value
      - .offset:         88
        .size:           4
        .value_kind:     by_value
      - .offset:         96
        .size:           8
        .value_kind:     by_value
      - .address_space:  global
        .offset:         104
        .size:           8
        .value_kind:     global_buffer
      - .offset:         112
        .size:           8
        .value_kind:     by_value
      - .offset:         120
        .size:           4
        .value_kind:     by_value
      - .offset:         128
        .size:           8
        .value_kind:     by_value
      - .offset:         136
        .size:           4
        .value_kind:     by_value
    .group_segment_fixed_size: 1024
    .kernarg_segment_align: 8
    .kernarg_segment_size: 140
    .language:       OpenCL C
    .language_version:
      - 2
      - 0
    .max_flat_workgroup_size: 256
    .name:           _ZL20rocblas_gemvt_kernelILb0ELi256EPK16rocblas_bfloat16fKPS0_EviiT2_lPKT1_lilS8_lilS5_lPT3_lili
    .private_segment_fixed_size: 0
    .sgpr_count:     26
    .sgpr_spill_count: 0
    .symbol:         _ZL20rocblas_gemvt_kernelILb0ELi256EPK16rocblas_bfloat16fKPS0_EviiT2_lPKT1_lilS8_lilS5_lPT3_lili.kd
    .uniform_work_group_size: 1
    .uses_dynamic_stack: false
    .vgpr_count:     11
    .vgpr_spill_count: 0
    .wavefront_size: 32
    .workgroup_processor_mode: 1
  - .args:
      - .offset:         0
        .size:           4
        .value_kind:     by_value
      - .offset:         4
        .size:           4
        .value_kind:     by_value
      - .address_space:  global
        .offset:         8
        .size:           8
        .value_kind:     global_buffer
      - .offset:         16
        .size:           8
        .value_kind:     by_value
      - .address_space:  global
        .offset:         24
        .size:           8
        .value_kind:     global_buffer
      - .offset:         32
        .size:           8
        .value_kind:     by_value
      - .offset:         40
        .size:           4
        .value_kind:     by_value
      - .offset:         48
        .size:           8
        .value_kind:     by_value
      - .address_space:  global
        .offset:         56
        .size:           8
        .value_kind:     global_buffer
      - .offset:         64
        .size:           8
        .value_kind:     by_value
      - .offset:         72
        .size:           4
        .value_kind:     by_value
      - .offset:         80
        .size:           8
        .value_kind:     by_value
      - .address_space:  global
        .offset:         88
        .size:           8
        .value_kind:     global_buffer
      - .offset:         96
        .size:           8
        .value_kind:     by_value
      - .address_space:  global
        .offset:         104
        .size:           8
        .value_kind:     global_buffer
      - .offset:         112
        .size:           8
        .value_kind:     by_value
      - .offset:         120
        .size:           4
        .value_kind:     by_value
      - .offset:         128
        .size:           8
        .value_kind:     by_value
      - .offset:         136
        .size:           4
        .value_kind:     by_value
    .group_segment_fixed_size: 128
    .kernarg_segment_align: 8
    .kernarg_segment_size: 140
    .language:       OpenCL C
    .language_version:
      - 2
      - 0
    .max_flat_workgroup_size: 1024
    .name:           _ZL32rocblas_gemvt_warp_reduce_kernelILb0ELi1024EiPK16rocblas_bfloat16PKfKPS0_EviiT3_lPKT2_lT1_lSA_lSB_lS7_lPT4_lSB_li
    .private_segment_fixed_size: 0
    .sgpr_count:     26
    .sgpr_spill_count: 0
    .symbol:         _ZL32rocblas_gemvt_warp_reduce_kernelILb0ELi1024EiPK16rocblas_bfloat16PKfKPS0_EviiT3_lPKT2_lT1_lSA_lSB_lS7_lPT4_lSB_li.kd
    .uniform_work_group_size: 1
    .uses_dynamic_stack: false
    .vgpr_count:     12
    .vgpr_spill_count: 0
    .wavefront_size: 32
    .workgroup_processor_mode: 1
  - .args:
      - .offset:         0
        .size:           4
        .value_kind:     by_value
      - .offset:         4
        .size:           4
        .value_kind:     by_value
      - .address_space:  global
        .offset:         8
        .size:           8
        .value_kind:     global_buffer
      - .offset:         16
        .size:           8
        .value_kind:     by_value
      - .address_space:  global
        .offset:         24
        .size:           8
        .value_kind:     global_buffer
      - .offset:         32
        .size:           8
        .value_kind:     by_value
      - .offset:         40
        .size:           8
        .value_kind:     by_value
      - .offset:         48
        .size:           8
        .value_kind:     by_value
      - .address_space:  global
        .offset:         56
        .size:           8
        .value_kind:     global_buffer
      - .offset:         64
        .size:           8
        .value_kind:     by_value
      - .offset:         72
        .size:           8
        .value_kind:     by_value
      - .offset:         80
        .size:           8
        .value_kind:     by_value
      - .address_space:  global
        .offset:         88
        .size:           8
        .value_kind:     global_buffer
      - .offset:         96
        .size:           8
        .value_kind:     by_value
      - .address_space:  global
        .offset:         104
        .size:           8
        .value_kind:     global_buffer
      - .offset:         112
        .size:           8
        .value_kind:     by_value
      - .offset:         120
        .size:           8
        .value_kind:     by_value
      - .offset:         128
        .size:           8
        .value_kind:     by_value
      - .offset:         136
        .size:           4
        .value_kind:     by_value
    .group_segment_fixed_size: 128
    .kernarg_segment_align: 8
    .kernarg_segment_size: 140
    .language:       OpenCL C
    .language_version:
      - 2
      - 0
    .max_flat_workgroup_size: 1024
    .name:           _ZL32rocblas_gemvt_warp_reduce_kernelILb0ELi1024ElPK16rocblas_bfloat16PKfKPS0_EviiT3_lPKT2_lT1_lSA_lSB_lS7_lPT4_lSB_li
    .private_segment_fixed_size: 0
    .sgpr_count:     33
    .sgpr_spill_count: 0
    .symbol:         _ZL32rocblas_gemvt_warp_reduce_kernelILb0ELi1024ElPK16rocblas_bfloat16PKfKPS0_EviiT3_lPKT2_lT1_lSA_lSB_lS7_lPT4_lSB_li.kd
    .uniform_work_group_size: 1
    .uses_dynamic_stack: false
    .vgpr_count:     12
    .vgpr_spill_count: 0
    .wavefront_size: 32
    .workgroup_processor_mode: 1
  - .args:
      - .offset:         0
        .size:           4
        .value_kind:     by_value
      - .offset:         4
        .size:           4
        .value_kind:     by_value
      - .offset:         8
        .size:           4
        .value_kind:     by_value
      - .offset:         16
        .size:           8
        .value_kind:     by_value
      - .address_space:  global
        .offset:         24
        .size:           8
        .value_kind:     global_buffer
      - .offset:         32
        .size:           8
        .value_kind:     by_value
      - .offset:         40
        .size:           4
        .value_kind:     by_value
      - .offset:         48
        .size:           8
        .value_kind:     by_value
      - .address_space:  global
        .offset:         56
        .size:           8
        .value_kind:     global_buffer
      - .offset:         64
        .size:           8
        .value_kind:     by_value
      - .offset:         72
        .size:           4
        .value_kind:     by_value
      - .offset:         80
        .size:           8
        .value_kind:     by_value
      - .offset:         88
        .size:           4
        .value_kind:     by_value
      - .offset:         96
        .size:           8
        .value_kind:     by_value
      - .address_space:  global
        .offset:         104
        .size:           8
        .value_kind:     global_buffer
      - .offset:         112
        .size:           8
        .value_kind:     by_value
      - .offset:         120
        .size:           4
        .value_kind:     by_value
      - .offset:         128
        .size:           8
        .value_kind:     by_value
      - .offset:         136
        .size:           4
        .value_kind:     by_value
    .group_segment_fixed_size: 128
    .kernarg_segment_align: 8
    .kernarg_segment_size: 140
    .language:       OpenCL C
    .language_version:
      - 2
      - 0
    .max_flat_workgroup_size: 1024
    .name:           _ZL32rocblas_gemvt_warp_reduce_kernelILb0ELi1024EiPK16rocblas_bfloat16fKPS0_EviiT3_lPKT2_lT1_lS8_lS9_lS5_lPT4_lS9_li
    .private_segment_fixed_size: 0
    .sgpr_count:     22
    .sgpr_spill_count: 0
    .symbol:         _ZL32rocblas_gemvt_warp_reduce_kernelILb0ELi1024EiPK16rocblas_bfloat16fKPS0_EviiT3_lPKT2_lT1_lS8_lS9_lS5_lPT4_lS9_li.kd
    .uniform_work_group_size: 1
    .uses_dynamic_stack: false
    .vgpr_count:     12
    .vgpr_spill_count: 0
    .wavefront_size: 32
    .workgroup_processor_mode: 1
  - .args:
      - .offset:         0
        .size:           4
        .value_kind:     by_value
      - .offset:         4
        .size:           4
        .value_kind:     by_value
      - .offset:         8
        .size:           4
        .value_kind:     by_value
      - .offset:         16
        .size:           8
        .value_kind:     by_value
      - .address_space:  global
        .offset:         24
        .size:           8
        .value_kind:     global_buffer
      - .offset:         32
        .size:           8
        .value_kind:     by_value
      - .offset:         40
        .size:           8
        .value_kind:     by_value
      - .offset:         48
        .size:           8
        .value_kind:     by_value
      - .address_space:  global
        .offset:         56
        .size:           8
        .value_kind:     global_buffer
      - .offset:         64
        .size:           8
        .value_kind:     by_value
      - .offset:         72
        .size:           8
        .value_kind:     by_value
      - .offset:         80
        .size:           8
        .value_kind:     by_value
      - .offset:         88
        .size:           4
        .value_kind:     by_value
      - .offset:         96
        .size:           8
        .value_kind:     by_value
      - .address_space:  global
        .offset:         104
        .size:           8
        .value_kind:     global_buffer
      - .offset:         112
        .size:           8
        .value_kind:     by_value
      - .offset:         120
        .size:           8
        .value_kind:     by_value
      - .offset:         128
        .size:           8
        .value_kind:     by_value
      - .offset:         136
        .size:           4
        .value_kind:     by_value
    .group_segment_fixed_size: 128
    .kernarg_segment_align: 8
    .kernarg_segment_size: 140
    .language:       OpenCL C
    .language_version:
      - 2
      - 0
    .max_flat_workgroup_size: 1024
    .name:           _ZL32rocblas_gemvt_warp_reduce_kernelILb0ELi1024ElPK16rocblas_bfloat16fKPS0_EviiT3_lPKT2_lT1_lS8_lS9_lS5_lPT4_lS9_li
    .private_segment_fixed_size: 0
    .sgpr_count:     30
    .sgpr_spill_count: 0
    .symbol:         _ZL32rocblas_gemvt_warp_reduce_kernelILb0ELi1024ElPK16rocblas_bfloat16fKPS0_EviiT3_lPKT2_lT1_lS8_lS9_lS5_lPT4_lS9_li.kd
    .uniform_work_group_size: 1
    .uses_dynamic_stack: false
    .vgpr_count:     12
    .vgpr_spill_count: 0
    .wavefront_size: 32
    .workgroup_processor_mode: 1
  - .args:
      - .offset:         0
        .size:           4
        .value_kind:     by_value
      - .offset:         4
        .size:           4
        .value_kind:     by_value
      - .address_space:  global
        .offset:         8
        .size:           8
        .value_kind:     global_buffer
      - .offset:         16
        .size:           8
        .value_kind:     by_value
      - .address_space:  global
        .offset:         24
        .size:           8
        .value_kind:     global_buffer
      - .offset:         32
        .size:           8
        .value_kind:     by_value
      - .offset:         40
        .size:           4
        .value_kind:     by_value
      - .offset:         48
        .size:           8
        .value_kind:     by_value
      - .address_space:  global
        .offset:         56
        .size:           8
        .value_kind:     global_buffer
      - .offset:         64
        .size:           8
        .value_kind:     by_value
      - .offset:         72
        .size:           4
        .value_kind:     by_value
      - .offset:         80
        .size:           8
        .value_kind:     by_value
      - .address_space:  global
        .offset:         88
        .size:           8
        .value_kind:     global_buffer
      - .offset:         96
        .size:           8
        .value_kind:     by_value
      - .address_space:  global
        .offset:         104
        .size:           8
        .value_kind:     global_buffer
      - .offset:         112
        .size:           8
        .value_kind:     by_value
      - .offset:         120
        .size:           4
        .value_kind:     by_value
      - .offset:         128
        .size:           8
        .value_kind:     by_value
    .group_segment_fixed_size: 256
    .kernarg_segment_align: 8
    .kernarg_segment_size: 136
    .language:       OpenCL C
    .language_version:
      - 2
      - 0
    .max_flat_workgroup_size: 256
    .name:           _ZL22rocblas_gemvtsm_kernelILb1ELi256EPK16rocblas_bfloat16PKfKPS0_EviiT2_lPKT1_lilSA_lilS7_lPT3_lil
    .private_segment_fixed_size: 0
    .sgpr_count:     26
    .sgpr_spill_count: 0
    .symbol:         _ZL22rocblas_gemvtsm_kernelILb1ELi256EPK16rocblas_bfloat16PKfKPS0_EviiT2_lPKT1_lilSA_lilS7_lPT3_lil.kd
    .uniform_work_group_size: 1
    .uses_dynamic_stack: false
    .vgpr_count:     14
    .vgpr_spill_count: 0
    .wavefront_size: 32
    .workgroup_processor_mode: 1
  - .args:
      - .offset:         0
        .size:           4
        .value_kind:     by_value
      - .offset:         4
        .size:           4
        .value_kind:     by_value
      - .offset:         8
        .size:           4
        .value_kind:     by_value
      - .offset:         16
        .size:           8
        .value_kind:     by_value
      - .address_space:  global
        .offset:         24
        .size:           8
        .value_kind:     global_buffer
      - .offset:         32
        .size:           8
        .value_kind:     by_value
      - .offset:         40
        .size:           4
        .value_kind:     by_value
      - .offset:         48
        .size:           8
        .value_kind:     by_value
      - .address_space:  global
        .offset:         56
        .size:           8
        .value_kind:     global_buffer
      - .offset:         64
        .size:           8
        .value_kind:     by_value
      - .offset:         72
        .size:           4
        .value_kind:     by_value
      - .offset:         80
        .size:           8
        .value_kind:     by_value
      - .offset:         88
        .size:           4
        .value_kind:     by_value
      - .offset:         96
        .size:           8
        .value_kind:     by_value
      - .address_space:  global
        .offset:         104
        .size:           8
        .value_kind:     global_buffer
      - .offset:         112
        .size:           8
        .value_kind:     by_value
      - .offset:         120
        .size:           4
        .value_kind:     by_value
      - .offset:         128
        .size:           8
        .value_kind:     by_value
    .group_segment_fixed_size: 256
    .kernarg_segment_align: 8
    .kernarg_segment_size: 136
    .language:       OpenCL C
    .language_version:
      - 2
      - 0
    .max_flat_workgroup_size: 256
    .name:           _ZL22rocblas_gemvtsm_kernelILb1ELi256EPK16rocblas_bfloat16fKPS0_EviiT2_lPKT1_lilS8_lilS5_lPT3_lil
    .private_segment_fixed_size: 0
    .sgpr_count:     26
    .sgpr_spill_count: 0
    .symbol:         _ZL22rocblas_gemvtsm_kernelILb1ELi256EPK16rocblas_bfloat16fKPS0_EviiT2_lPKT1_lilS8_lilS5_lPT3_lil.kd
    .uniform_work_group_size: 1
    .uses_dynamic_stack: false
    .vgpr_count:     14
    .vgpr_spill_count: 0
    .wavefront_size: 32
    .workgroup_processor_mode: 1
  - .args:
      - .offset:         0
        .size:           4
        .value_kind:     by_value
      - .offset:         4
        .size:           4
        .value_kind:     by_value
      - .address_space:  global
        .offset:         8
        .size:           8
        .value_kind:     global_buffer
      - .offset:         16
        .size:           8
        .value_kind:     by_value
      - .address_space:  global
        .offset:         24
        .size:           8
        .value_kind:     global_buffer
      - .offset:         32
        .size:           8
        .value_kind:     by_value
      - .offset:         40
        .size:           4
        .value_kind:     by_value
      - .offset:         48
        .size:           8
        .value_kind:     by_value
      - .address_space:  global
        .offset:         56
        .size:           8
        .value_kind:     global_buffer
      - .offset:         64
        .size:           8
        .value_kind:     by_value
      - .offset:         72
        .size:           4
        .value_kind:     by_value
      - .offset:         80
        .size:           8
        .value_kind:     by_value
      - .address_space:  global
        .offset:         88
        .size:           8
        .value_kind:     global_buffer
      - .offset:         96
        .size:           4
        .value_kind:     by_value
      - .offset:         104
        .size:           4
        .value_kind:     hidden_block_count_x
      - .offset:         108
        .size:           4
        .value_kind:     hidden_block_count_y
      - .offset:         112
        .size:           4
        .value_kind:     hidden_block_count_z
      - .offset:         116
        .size:           2
        .value_kind:     hidden_group_size_x
      - .offset:         118
        .size:           2
        .value_kind:     hidden_group_size_y
      - .offset:         120
        .size:           2
        .value_kind:     hidden_group_size_z
      - .offset:         122
        .size:           2
        .value_kind:     hidden_remainder_x
      - .offset:         124
        .size:           2
        .value_kind:     hidden_remainder_y
      - .offset:         126
        .size:           2
        .value_kind:     hidden_remainder_z
      - .offset:         144
        .size:           8
        .value_kind:     hidden_global_offset_x
      - .offset:         152
        .size:           8
        .value_kind:     hidden_global_offset_y
      - .offset:         160
        .size:           8
        .value_kind:     hidden_global_offset_z
      - .offset:         168
        .size:           2
        .value_kind:     hidden_grid_dims
    .group_segment_fixed_size: 128
    .kernarg_segment_align: 8
    .kernarg_segment_size: 360
    .language:       OpenCL C
    .language_version:
      - 2
      - 0
    .max_flat_workgroup_size: 256
    .name:           _ZL23rocblas_gemvt_sn_kernelILb1ELi256ELi4EiPK16rocblas_bfloat16PKffEviiT4_lPKT3_lilS8_lilPT5_i
    .private_segment_fixed_size: 0
    .sgpr_count:     46
    .sgpr_spill_count: 0
    .symbol:         _ZL23rocblas_gemvt_sn_kernelILb1ELi256ELi4EiPK16rocblas_bfloat16PKffEviiT4_lPKT3_lilS8_lilPT5_i.kd
    .uniform_work_group_size: 1
    .uses_dynamic_stack: false
    .vgpr_count:     47
    .vgpr_spill_count: 0
    .wavefront_size: 32
    .workgroup_processor_mode: 1
  - .args:
      - .offset:         0
        .size:           4
        .value_kind:     by_value
      - .offset:         4
        .size:           4
        .value_kind:     by_value
      - .address_space:  global
        .offset:         8
        .size:           8
        .value_kind:     global_buffer
      - .offset:         16
        .size:           8
        .value_kind:     by_value
      - .address_space:  global
        .offset:         24
        .size:           8
        .value_kind:     global_buffer
      - .offset:         32
        .size:           8
        .value_kind:     by_value
      - .offset:         40
        .size:           4
        .value_kind:     by_value
      - .offset:         48
        .size:           8
        .value_kind:     by_value
      - .address_space:  global
        .offset:         56
        .size:           8
        .value_kind:     global_buffer
      - .offset:         64
        .size:           8
        .value_kind:     by_value
      - .offset:         72
        .size:           4
        .value_kind:     by_value
      - .offset:         80
        .size:           8
        .value_kind:     by_value
      - .address_space:  global
        .offset:         88
        .size:           8
        .value_kind:     global_buffer
      - .offset:         96
        .size:           4
        .value_kind:     by_value
      - .offset:         104
        .size:           4
        .value_kind:     hidden_block_count_x
      - .offset:         108
        .size:           4
        .value_kind:     hidden_block_count_y
      - .offset:         112
        .size:           4
        .value_kind:     hidden_block_count_z
      - .offset:         116
        .size:           2
        .value_kind:     hidden_group_size_x
      - .offset:         118
        .size:           2
        .value_kind:     hidden_group_size_y
      - .offset:         120
        .size:           2
        .value_kind:     hidden_group_size_z
      - .offset:         122
        .size:           2
        .value_kind:     hidden_remainder_x
      - .offset:         124
        .size:           2
        .value_kind:     hidden_remainder_y
      - .offset:         126
        .size:           2
        .value_kind:     hidden_remainder_z
      - .offset:         144
        .size:           8
        .value_kind:     hidden_global_offset_x
      - .offset:         152
        .size:           8
        .value_kind:     hidden_global_offset_y
      - .offset:         160
        .size:           8
        .value_kind:     hidden_global_offset_z
      - .offset:         168
        .size:           2
        .value_kind:     hidden_grid_dims
    .group_segment_fixed_size: 128
    .kernarg_segment_align: 8
    .kernarg_segment_size: 360
    .language:       OpenCL C
    .language_version:
      - 2
      - 0
    .max_flat_workgroup_size: 256
    .name:           _ZL23rocblas_gemvt_sn_kernelILb1ELi256ELi4ElPK16rocblas_bfloat16PKffEviiT4_lPKT3_lilS8_lilPT5_i
    .private_segment_fixed_size: 0
    .sgpr_count:     48
    .sgpr_spill_count: 0
    .symbol:         _ZL23rocblas_gemvt_sn_kernelILb1ELi256ELi4ElPK16rocblas_bfloat16PKffEviiT4_lPKT3_lilS8_lilPT5_i.kd
    .uniform_work_group_size: 1
    .uses_dynamic_stack: false
    .vgpr_count:     53
    .vgpr_spill_count: 0
    .wavefront_size: 32
    .workgroup_processor_mode: 1
  - .args:
      - .offset:         0
        .size:           4
        .value_kind:     by_value
      - .offset:         4
        .size:           4
        .value_kind:     by_value
      - .offset:         8
        .size:           4
        .value_kind:     by_value
      - .offset:         16
        .size:           8
        .value_kind:     by_value
      - .address_space:  global
        .offset:         24
        .size:           8
        .value_kind:     global_buffer
      - .offset:         32
        .size:           8
        .value_kind:     by_value
      - .offset:         40
        .size:           4
        .value_kind:     by_value
      - .offset:         48
        .size:           8
        .value_kind:     by_value
      - .address_space:  global
        .offset:         56
        .size:           8
        .value_kind:     global_buffer
      - .offset:         64
        .size:           8
        .value_kind:     by_value
      - .offset:         72
        .size:           4
        .value_kind:     by_value
      - .offset:         80
        .size:           8
        .value_kind:     by_value
      - .address_space:  global
        .offset:         88
        .size:           8
        .value_kind:     global_buffer
      - .offset:         96
        .size:           4
        .value_kind:     by_value
      - .offset:         104
        .size:           4
        .value_kind:     hidden_block_count_x
      - .offset:         108
        .size:           4
        .value_kind:     hidden_block_count_y
      - .offset:         112
        .size:           4
        .value_kind:     hidden_block_count_z
      - .offset:         116
        .size:           2
        .value_kind:     hidden_group_size_x
      - .offset:         118
        .size:           2
        .value_kind:     hidden_group_size_y
      - .offset:         120
        .size:           2
        .value_kind:     hidden_group_size_z
      - .offset:         122
        .size:           2
        .value_kind:     hidden_remainder_x
      - .offset:         124
        .size:           2
        .value_kind:     hidden_remainder_y
      - .offset:         126
        .size:           2
        .value_kind:     hidden_remainder_z
      - .offset:         144
        .size:           8
        .value_kind:     hidden_global_offset_x
      - .offset:         152
        .size:           8
        .value_kind:     hidden_global_offset_y
      - .offset:         160
        .size:           8
        .value_kind:     hidden_global_offset_z
      - .offset:         168
        .size:           2
        .value_kind:     hidden_grid_dims
    .group_segment_fixed_size: 128
    .kernarg_segment_align: 8
    .kernarg_segment_size: 360
    .language:       OpenCL C
    .language_version:
      - 2
      - 0
    .max_flat_workgroup_size: 256
    .name:           _ZL23rocblas_gemvt_sn_kernelILb1ELi256ELi4EiPK16rocblas_bfloat16ffEviiT4_lPKT3_lilS6_lilPT5_i
    .private_segment_fixed_size: 0
    .sgpr_count:     46
    .sgpr_spill_count: 0
    .symbol:         _ZL23rocblas_gemvt_sn_kernelILb1ELi256ELi4EiPK16rocblas_bfloat16ffEviiT4_lPKT3_lilS6_lilPT5_i.kd
    .uniform_work_group_size: 1
    .uses_dynamic_stack: false
    .vgpr_count:     47
    .vgpr_spill_count: 0
    .wavefront_size: 32
    .workgroup_processor_mode: 1
  - .args:
      - .offset:         0
        .size:           4
        .value_kind:     by_value
      - .offset:         4
        .size:           4
        .value_kind:     by_value
      - .offset:         8
        .size:           4
        .value_kind:     by_value
      - .offset:         16
        .size:           8
        .value_kind:     by_value
      - .address_space:  global
        .offset:         24
        .size:           8
        .value_kind:     global_buffer
      - .offset:         32
        .size:           8
        .value_kind:     by_value
      - .offset:         40
        .size:           4
        .value_kind:     by_value
      - .offset:         48
        .size:           8
        .value_kind:     by_value
      - .address_space:  global
        .offset:         56
        .size:           8
        .value_kind:     global_buffer
      - .offset:         64
        .size:           8
        .value_kind:     by_value
      - .offset:         72
        .size:           4
        .value_kind:     by_value
      - .offset:         80
        .size:           8
        .value_kind:     by_value
      - .address_space:  global
        .offset:         88
        .size:           8
        .value_kind:     global_buffer
      - .offset:         96
        .size:           4
        .value_kind:     by_value
      - .offset:         104
        .size:           4
        .value_kind:     hidden_block_count_x
      - .offset:         108
        .size:           4
        .value_kind:     hidden_block_count_y
      - .offset:         112
        .size:           4
        .value_kind:     hidden_block_count_z
      - .offset:         116
        .size:           2
        .value_kind:     hidden_group_size_x
      - .offset:         118
        .size:           2
        .value_kind:     hidden_group_size_y
      - .offset:         120
        .size:           2
        .value_kind:     hidden_group_size_z
      - .offset:         122
        .size:           2
        .value_kind:     hidden_remainder_x
      - .offset:         124
        .size:           2
        .value_kind:     hidden_remainder_y
      - .offset:         126
        .size:           2
        .value_kind:     hidden_remainder_z
      - .offset:         144
        .size:           8
        .value_kind:     hidden_global_offset_x
      - .offset:         152
        .size:           8
        .value_kind:     hidden_global_offset_y
      - .offset:         160
        .size:           8
        .value_kind:     hidden_global_offset_z
      - .offset:         168
        .size:           2
        .value_kind:     hidden_grid_dims
    .group_segment_fixed_size: 128
    .kernarg_segment_align: 8
    .kernarg_segment_size: 360
    .language:       OpenCL C
    .language_version:
      - 2
      - 0
    .max_flat_workgroup_size: 256
    .name:           _ZL23rocblas_gemvt_sn_kernelILb1ELi256ELi4ElPK16rocblas_bfloat16ffEviiT4_lPKT3_lilS6_lilPT5_i
    .private_segment_fixed_size: 0
    .sgpr_count:     48
    .sgpr_spill_count: 0
    .symbol:         _ZL23rocblas_gemvt_sn_kernelILb1ELi256ELi4ElPK16rocblas_bfloat16ffEviiT4_lPKT3_lilS6_lilPT5_i.kd
    .uniform_work_group_size: 1
    .uses_dynamic_stack: false
    .vgpr_count:     53
    .vgpr_spill_count: 0
    .wavefront_size: 32
    .workgroup_processor_mode: 1
  - .args:
      - .offset:         0
        .size:           4
        .value_kind:     by_value
      - .offset:         4
        .size:           4
        .value_kind:     by_value
      - .address_space:  global
        .offset:         8
        .size:           8
        .value_kind:     global_buffer
      - .offset:         16
        .size:           8
        .value_kind:     by_value
      - .address_space:  global
        .offset:         24
        .size:           8
        .value_kind:     global_buffer
      - .offset:         32
        .size:           8
        .value_kind:     by_value
      - .offset:         40
        .size:           4
        .value_kind:     by_value
      - .offset:         48
        .size:           8
        .value_kind:     by_value
      - .address_space:  global
        .offset:         56
        .size:           8
        .value_kind:     global_buffer
      - .offset:         64
        .size:           8
        .value_kind:     by_value
      - .offset:         72
        .size:           4
        .value_kind:     by_value
      - .offset:         80
        .size:           8
        .value_kind:     by_value
      - .address_space:  global
        .offset:         88
        .size:           8
        .value_kind:     global_buffer
      - .offset:         96
        .size:           8
        .value_kind:     by_value
      - .address_space:  global
        .offset:         104
        .size:           8
        .value_kind:     global_buffer
      - .offset:         112
        .size:           8
        .value_kind:     by_value
      - .offset:         120
        .size:           4
        .value_kind:     by_value
      - .offset:         128
        .size:           8
        .value_kind:     by_value
      - .offset:         136
        .size:           4
        .value_kind:     by_value
    .group_segment_fixed_size: 1024
    .kernarg_segment_align: 8
    .kernarg_segment_size: 140
    .language:       OpenCL C
    .language_version:
      - 2
      - 0
    .max_flat_workgroup_size: 256
    .name:           _ZL20rocblas_gemvt_kernelILb1ELi256EPK16rocblas_bfloat16PKfKPS0_EviiT2_lPKT1_lilSA_lilS7_lPT3_lili
    .private_segment_fixed_size: 0
    .sgpr_count:     26
    .sgpr_spill_count: 0
    .symbol:         _ZL20rocblas_gemvt_kernelILb1ELi256EPK16rocblas_bfloat16PKfKPS0_EviiT2_lPKT1_lilSA_lilS7_lPT3_lili.kd
    .uniform_work_group_size: 1
    .uses_dynamic_stack: false
    .vgpr_count:     11
    .vgpr_spill_count: 0
    .wavefront_size: 32
    .workgroup_processor_mode: 1
  - .args:
      - .offset:         0
        .size:           4
        .value_kind:     by_value
      - .offset:         4
        .size:           4
        .value_kind:     by_value
      - .offset:         8
        .size:           4
        .value_kind:     by_value
      - .offset:         16
        .size:           8
        .value_kind:     by_value
      - .address_space:  global
        .offset:         24
        .size:           8
        .value_kind:     global_buffer
      - .offset:         32
        .size:           8
        .value_kind:     by_value
      - .offset:         40
        .size:           4
        .value_kind:     by_value
      - .offset:         48
        .size:           8
        .value_kind:     by_value
      - .address_space:  global
        .offset:         56
        .size:           8
        .value_kind:     global_buffer
      - .offset:         64
        .size:           8
        .value_kind:     by_value
      - .offset:         72
        .size:           4
        .value_kind:     by_value
      - .offset:         80
        .size:           8
        .value_kind:     by_value
      - .offset:         88
        .size:           4
        .value_kind:     by_value
      - .offset:         96
        .size:           8
        .value_kind:     by_value
      - .address_space:  global
        .offset:         104
        .size:           8
        .value_kind:     global_buffer
      - .offset:         112
        .size:           8
        .value_kind:     by_value
      - .offset:         120
        .size:           4
        .value_kind:     by_value
      - .offset:         128
        .size:           8
        .value_kind:     by_value
      - .offset:         136
        .size:           4
        .value_kind:     by_value
    .group_segment_fixed_size: 1024
    .kernarg_segment_align: 8
    .kernarg_segment_size: 140
    .language:       OpenCL C
    .language_version:
      - 2
      - 0
    .max_flat_workgroup_size: 256
    .name:           _ZL20rocblas_gemvt_kernelILb1ELi256EPK16rocblas_bfloat16fKPS0_EviiT2_lPKT1_lilS8_lilS5_lPT3_lili
    .private_segment_fixed_size: 0
    .sgpr_count:     26
    .sgpr_spill_count: 0
    .symbol:         _ZL20rocblas_gemvt_kernelILb1ELi256EPK16rocblas_bfloat16fKPS0_EviiT2_lPKT1_lilS8_lilS5_lPT3_lili.kd
    .uniform_work_group_size: 1
    .uses_dynamic_stack: false
    .vgpr_count:     11
    .vgpr_spill_count: 0
    .wavefront_size: 32
    .workgroup_processor_mode: 1
  - .args:
      - .offset:         0
        .size:           4
        .value_kind:     by_value
      - .offset:         4
        .size:           4
        .value_kind:     by_value
      - .address_space:  global
        .offset:         8
        .size:           8
        .value_kind:     global_buffer
      - .offset:         16
        .size:           8
        .value_kind:     by_value
      - .address_space:  global
        .offset:         24
        .size:           8
        .value_kind:     global_buffer
      - .offset:         32
        .size:           8
        .value_kind:     by_value
      - .offset:         40
        .size:           4
        .value_kind:     by_value
      - .offset:         48
        .size:           8
        .value_kind:     by_value
      - .address_space:  global
        .offset:         56
        .size:           8
        .value_kind:     global_buffer
      - .offset:         64
        .size:           8
        .value_kind:     by_value
      - .offset:         72
        .size:           4
        .value_kind:     by_value
      - .offset:         80
        .size:           8
        .value_kind:     by_value
      - .address_space:  global
        .offset:         88
        .size:           8
        .value_kind:     global_buffer
      - .offset:         96
        .size:           8
        .value_kind:     by_value
      - .address_space:  global
        .offset:         104
        .size:           8
        .value_kind:     global_buffer
      - .offset:         112
        .size:           8
        .value_kind:     by_value
      - .offset:         120
        .size:           4
        .value_kind:     by_value
      - .offset:         128
        .size:           8
        .value_kind:     by_value
      - .offset:         136
        .size:           4
        .value_kind:     by_value
    .group_segment_fixed_size: 128
    .kernarg_segment_align: 8
    .kernarg_segment_size: 140
    .language:       OpenCL C
    .language_version:
      - 2
      - 0
    .max_flat_workgroup_size: 1024
    .name:           _ZL32rocblas_gemvt_warp_reduce_kernelILb1ELi1024EiPK16rocblas_bfloat16PKfKPS0_EviiT3_lPKT2_lT1_lSA_lSB_lS7_lPT4_lSB_li
    .private_segment_fixed_size: 0
    .sgpr_count:     26
    .sgpr_spill_count: 0
    .symbol:         _ZL32rocblas_gemvt_warp_reduce_kernelILb1ELi1024EiPK16rocblas_bfloat16PKfKPS0_EviiT3_lPKT2_lT1_lSA_lSB_lS7_lPT4_lSB_li.kd
    .uniform_work_group_size: 1
    .uses_dynamic_stack: false
    .vgpr_count:     12
    .vgpr_spill_count: 0
    .wavefront_size: 32
    .workgroup_processor_mode: 1
  - .args:
      - .offset:         0
        .size:           4
        .value_kind:     by_value
      - .offset:         4
        .size:           4
        .value_kind:     by_value
      - .address_space:  global
        .offset:         8
        .size:           8
        .value_kind:     global_buffer
      - .offset:         16
        .size:           8
        .value_kind:     by_value
      - .address_space:  global
        .offset:         24
        .size:           8
        .value_kind:     global_buffer
      - .offset:         32
        .size:           8
        .value_kind:     by_value
      - .offset:         40
        .size:           8
        .value_kind:     by_value
      - .offset:         48
        .size:           8
        .value_kind:     by_value
      - .address_space:  global
        .offset:         56
        .size:           8
        .value_kind:     global_buffer
      - .offset:         64
        .size:           8
        .value_kind:     by_value
      - .offset:         72
        .size:           8
        .value_kind:     by_value
      - .offset:         80
        .size:           8
        .value_kind:     by_value
      - .address_space:  global
        .offset:         88
        .size:           8
        .value_kind:     global_buffer
      - .offset:         96
        .size:           8
        .value_kind:     by_value
      - .address_space:  global
        .offset:         104
        .size:           8
        .value_kind:     global_buffer
      - .offset:         112
        .size:           8
        .value_kind:     by_value
      - .offset:         120
        .size:           8
        .value_kind:     by_value
      - .offset:         128
        .size:           8
        .value_kind:     by_value
      - .offset:         136
        .size:           4
        .value_kind:     by_value
    .group_segment_fixed_size: 128
    .kernarg_segment_align: 8
    .kernarg_segment_size: 140
    .language:       OpenCL C
    .language_version:
      - 2
      - 0
    .max_flat_workgroup_size: 1024
    .name:           _ZL32rocblas_gemvt_warp_reduce_kernelILb1ELi1024ElPK16rocblas_bfloat16PKfKPS0_EviiT3_lPKT2_lT1_lSA_lSB_lS7_lPT4_lSB_li
    .private_segment_fixed_size: 0
    .sgpr_count:     33
    .sgpr_spill_count: 0
    .symbol:         _ZL32rocblas_gemvt_warp_reduce_kernelILb1ELi1024ElPK16rocblas_bfloat16PKfKPS0_EviiT3_lPKT2_lT1_lSA_lSB_lS7_lPT4_lSB_li.kd
    .uniform_work_group_size: 1
    .uses_dynamic_stack: false
    .vgpr_count:     12
    .vgpr_spill_count: 0
    .wavefront_size: 32
    .workgroup_processor_mode: 1
  - .args:
      - .offset:         0
        .size:           4
        .value_kind:     by_value
      - .offset:         4
        .size:           4
        .value_kind:     by_value
      - .offset:         8
        .size:           4
        .value_kind:     by_value
      - .offset:         16
        .size:           8
        .value_kind:     by_value
      - .address_space:  global
        .offset:         24
        .size:           8
        .value_kind:     global_buffer
      - .offset:         32
        .size:           8
        .value_kind:     by_value
      - .offset:         40
        .size:           4
        .value_kind:     by_value
      - .offset:         48
        .size:           8
        .value_kind:     by_value
      - .address_space:  global
        .offset:         56
        .size:           8
        .value_kind:     global_buffer
      - .offset:         64
        .size:           8
        .value_kind:     by_value
      - .offset:         72
        .size:           4
        .value_kind:     by_value
      - .offset:         80
        .size:           8
        .value_kind:     by_value
      - .offset:         88
        .size:           4
        .value_kind:     by_value
      - .offset:         96
        .size:           8
        .value_kind:     by_value
      - .address_space:  global
        .offset:         104
        .size:           8
        .value_kind:     global_buffer
      - .offset:         112
        .size:           8
        .value_kind:     by_value
      - .offset:         120
        .size:           4
        .value_kind:     by_value
      - .offset:         128
        .size:           8
        .value_kind:     by_value
      - .offset:         136
        .size:           4
        .value_kind:     by_value
    .group_segment_fixed_size: 128
    .kernarg_segment_align: 8
    .kernarg_segment_size: 140
    .language:       OpenCL C
    .language_version:
      - 2
      - 0
    .max_flat_workgroup_size: 1024
    .name:           _ZL32rocblas_gemvt_warp_reduce_kernelILb1ELi1024EiPK16rocblas_bfloat16fKPS0_EviiT3_lPKT2_lT1_lS8_lS9_lS5_lPT4_lS9_li
    .private_segment_fixed_size: 0
    .sgpr_count:     22
    .sgpr_spill_count: 0
    .symbol:         _ZL32rocblas_gemvt_warp_reduce_kernelILb1ELi1024EiPK16rocblas_bfloat16fKPS0_EviiT3_lPKT2_lT1_lS8_lS9_lS5_lPT4_lS9_li.kd
    .uniform_work_group_size: 1
    .uses_dynamic_stack: false
    .vgpr_count:     12
    .vgpr_spill_count: 0
    .wavefront_size: 32
    .workgroup_processor_mode: 1
  - .args:
      - .offset:         0
        .size:           4
        .value_kind:     by_value
      - .offset:         4
        .size:           4
        .value_kind:     by_value
      - .offset:         8
        .size:           4
        .value_kind:     by_value
      - .offset:         16
        .size:           8
        .value_kind:     by_value
      - .address_space:  global
        .offset:         24
        .size:           8
        .value_kind:     global_buffer
      - .offset:         32
        .size:           8
        .value_kind:     by_value
      - .offset:         40
        .size:           8
        .value_kind:     by_value
      - .offset:         48
        .size:           8
        .value_kind:     by_value
      - .address_space:  global
        .offset:         56
        .size:           8
        .value_kind:     global_buffer
      - .offset:         64
        .size:           8
        .value_kind:     by_value
      - .offset:         72
        .size:           8
        .value_kind:     by_value
      - .offset:         80
        .size:           8
        .value_kind:     by_value
      - .offset:         88
        .size:           4
        .value_kind:     by_value
      - .offset:         96
        .size:           8
        .value_kind:     by_value
      - .address_space:  global
        .offset:         104
        .size:           8
        .value_kind:     global_buffer
      - .offset:         112
        .size:           8
        .value_kind:     by_value
      - .offset:         120
        .size:           8
        .value_kind:     by_value
      - .offset:         128
        .size:           8
        .value_kind:     by_value
      - .offset:         136
        .size:           4
        .value_kind:     by_value
    .group_segment_fixed_size: 128
    .kernarg_segment_align: 8
    .kernarg_segment_size: 140
    .language:       OpenCL C
    .language_version:
      - 2
      - 0
    .max_flat_workgroup_size: 1024
    .name:           _ZL32rocblas_gemvt_warp_reduce_kernelILb1ELi1024ElPK16rocblas_bfloat16fKPS0_EviiT3_lPKT2_lT1_lS8_lS9_lS5_lPT4_lS9_li
    .private_segment_fixed_size: 0
    .sgpr_count:     30
    .sgpr_spill_count: 0
    .symbol:         _ZL32rocblas_gemvt_warp_reduce_kernelILb1ELi1024ElPK16rocblas_bfloat16fKPS0_EviiT3_lPKT2_lT1_lS8_lS9_lS5_lPT4_lS9_li.kd
    .uniform_work_group_size: 1
    .uses_dynamic_stack: false
    .vgpr_count:     12
    .vgpr_spill_count: 0
    .wavefront_size: 32
    .workgroup_processor_mode: 1
  - .args:
      - .offset:         0
        .size:           4
        .value_kind:     by_value
      - .offset:         4
        .size:           4
        .value_kind:     by_value
      - .address_space:  global
        .offset:         8
        .size:           8
        .value_kind:     global_buffer
      - .offset:         16
        .size:           8
        .value_kind:     by_value
      - .address_space:  global
        .offset:         24
        .size:           8
        .value_kind:     global_buffer
      - .offset:         32
        .size:           8
        .value_kind:     by_value
      - .offset:         40
        .size:           4
        .value_kind:     by_value
      - .offset:         48
        .size:           8
        .value_kind:     by_value
      - .address_space:  global
        .offset:         56
        .size:           8
        .value_kind:     global_buffer
      - .offset:         64
        .size:           8
        .value_kind:     by_value
      - .offset:         72
        .size:           4
        .value_kind:     by_value
      - .offset:         80
        .size:           8
        .value_kind:     by_value
      - .address_space:  global
        .offset:         88
        .size:           8
        .value_kind:     global_buffer
      - .offset:         96
        .size:           8
        .value_kind:     by_value
      - .address_space:  global
        .offset:         104
        .size:           8
        .value_kind:     global_buffer
      - .offset:         112
        .size:           8
        .value_kind:     by_value
      - .offset:         120
        .size:           4
        .value_kind:     by_value
      - .offset:         128
        .size:           8
        .value_kind:     by_value
      - .offset:         136
        .size:           4
        .value_kind:     by_value
    .group_segment_fixed_size: 0
    .kernarg_segment_align: 8
    .kernarg_segment_size: 140
    .language:       OpenCL C
    .language_version:
      - 2
      - 0
    .max_flat_workgroup_size: 768
    .name:           _ZL34rocblas_gemvn_sm_mn_batched_kernelILi32ELi24E16rocblas_bfloat16PKffEviiT2_lPKT1_lilS6_lilS3_lPT3_lili
    .private_segment_fixed_size: 0
    .sgpr_count:     0
    .sgpr_spill_count: 0
    .symbol:         _ZL34rocblas_gemvn_sm_mn_batched_kernelILi32ELi24E16rocblas_bfloat16PKffEviiT2_lPKT1_lilS6_lilS3_lPT3_lili.kd
    .uniform_work_group_size: 1
    .uses_dynamic_stack: false
    .vgpr_count:     0
    .vgpr_spill_count: 0
    .wavefront_size: 32
    .workgroup_processor_mode: 1
  - .args:
      - .offset:         0
        .size:           4
        .value_kind:     by_value
      - .offset:         4
        .size:           4
        .value_kind:     by_value
      - .offset:         8
        .size:           4
        .value_kind:     by_value
      - .offset:         16
        .size:           8
        .value_kind:     by_value
      - .address_space:  global
        .offset:         24
        .size:           8
        .value_kind:     global_buffer
      - .offset:         32
        .size:           8
        .value_kind:     by_value
      - .offset:         40
        .size:           4
        .value_kind:     by_value
      - .offset:         48
        .size:           8
        .value_kind:     by_value
      - .address_space:  global
        .offset:         56
        .size:           8
        .value_kind:     global_buffer
      - .offset:         64
        .size:           8
        .value_kind:     by_value
      - .offset:         72
        .size:           4
        .value_kind:     by_value
      - .offset:         80
        .size:           8
        .value_kind:     by_value
      - .offset:         88
        .size:           4
        .value_kind:     by_value
      - .offset:         96
        .size:           8
        .value_kind:     by_value
      - .address_space:  global
        .offset:         104
        .size:           8
        .value_kind:     global_buffer
      - .offset:         112
        .size:           8
        .value_kind:     by_value
      - .offset:         120
        .size:           4
        .value_kind:     by_value
      - .offset:         128
        .size:           8
        .value_kind:     by_value
      - .offset:         136
        .size:           4
        .value_kind:     by_value
    .group_segment_fixed_size: 0
    .kernarg_segment_align: 8
    .kernarg_segment_size: 140
    .language:       OpenCL C
    .language_version:
      - 2
      - 0
    .max_flat_workgroup_size: 768
    .name:           _ZL34rocblas_gemvn_sm_mn_batched_kernelILi32ELi24E16rocblas_bfloat16ffEviiT2_lPKT1_lilS4_lilS1_lPT3_lili
    .private_segment_fixed_size: 0
    .sgpr_count:     0
    .sgpr_spill_count: 0
    .symbol:         _ZL34rocblas_gemvn_sm_mn_batched_kernelILi32ELi24E16rocblas_bfloat16ffEviiT2_lPKT1_lilS4_lilS1_lPT3_lili.kd
    .uniform_work_group_size: 1
    .uses_dynamic_stack: false
    .vgpr_count:     0
    .vgpr_spill_count: 0
    .wavefront_size: 32
    .workgroup_processor_mode: 1
  - .args:
      - .offset:         0
        .size:           4
        .value_kind:     by_value
      - .offset:         4
        .size:           4
        .value_kind:     by_value
      - .address_space:  global
        .offset:         8
        .size:           8
        .value_kind:     global_buffer
      - .offset:         16
        .size:           8
        .value_kind:     by_value
      - .address_space:  global
        .offset:         24
        .size:           8
        .value_kind:     global_buffer
      - .offset:         32
        .size:           8
        .value_kind:     by_value
      - .offset:         40
        .size:           4
        .value_kind:     by_value
      - .offset:         48
        .size:           8
        .value_kind:     by_value
      - .address_space:  global
        .offset:         56
        .size:           8
        .value_kind:     global_buffer
      - .offset:         64
        .size:           8
        .value_kind:     by_value
      - .offset:         72
        .size:           4
        .value_kind:     by_value
      - .offset:         80
        .size:           8
        .value_kind:     by_value
      - .address_space:  global
        .offset:         88
        .size:           8
        .value_kind:     global_buffer
      - .offset:         96
        .size:           8
        .value_kind:     by_value
      - .address_space:  global
        .offset:         104
        .size:           8
        .value_kind:     global_buffer
      - .offset:         112
        .size:           8
        .value_kind:     by_value
      - .offset:         120
        .size:           4
        .value_kind:     by_value
      - .offset:         128
        .size:           8
        .value_kind:     by_value
      - .offset:         136
        .size:           4
        .value_kind:     by_value
      - .offset:         144
        .size:           4
        .value_kind:     hidden_block_count_x
      - .offset:         148
        .size:           4
        .value_kind:     hidden_block_count_y
      - .offset:         152
        .size:           4
        .value_kind:     hidden_block_count_z
      - .offset:         156
        .size:           2
        .value_kind:     hidden_group_size_x
      - .offset:         158
        .size:           2
        .value_kind:     hidden_group_size_y
      - .offset:         160
        .size:           2
        .value_kind:     hidden_group_size_z
      - .offset:         162
        .size:           2
        .value_kind:     hidden_remainder_x
      - .offset:         164
        .size:           2
        .value_kind:     hidden_remainder_y
      - .offset:         166
        .size:           2
        .value_kind:     hidden_remainder_z
      - .offset:         184
        .size:           8
        .value_kind:     hidden_global_offset_x
      - .offset:         192
        .size:           8
        .value_kind:     hidden_global_offset_y
      - .offset:         200
        .size:           8
        .value_kind:     hidden_global_offset_z
      - .offset:         208
        .size:           2
        .value_kind:     hidden_grid_dims
    .group_segment_fixed_size: 4096
    .kernarg_segment_align: 8
    .kernarg_segment_size: 400
    .language:       OpenCL C
    .language_version:
      - 2
      - 0
    .max_flat_workgroup_size: 256
    .name:           _ZL20rocblas_gemvn_kernelILi64ELi4Ei16rocblas_bfloat16PKffEviiT3_lPKT2_lT1_lS6_lS7_lS3_lPT4_lS7_li
    .private_segment_fixed_size: 0
    .sgpr_count:     30
    .sgpr_spill_count: 0
    .symbol:         _ZL20rocblas_gemvn_kernelILi64ELi4Ei16rocblas_bfloat16PKffEviiT3_lPKT2_lT1_lS6_lS7_lS3_lPT4_lS7_li.kd
    .uniform_work_group_size: 1
    .uses_dynamic_stack: false
    .vgpr_count:     42
    .vgpr_spill_count: 0
    .wavefront_size: 32
    .workgroup_processor_mode: 1
  - .args:
      - .offset:         0
        .size:           4
        .value_kind:     by_value
      - .offset:         4
        .size:           4
        .value_kind:     by_value
      - .address_space:  global
        .offset:         8
        .size:           8
        .value_kind:     global_buffer
      - .offset:         16
        .size:           8
        .value_kind:     by_value
      - .address_space:  global
        .offset:         24
        .size:           8
        .value_kind:     global_buffer
      - .offset:         32
        .size:           8
        .value_kind:     by_value
      - .offset:         40
        .size:           8
        .value_kind:     by_value
      - .offset:         48
        .size:           8
        .value_kind:     by_value
      - .address_space:  global
        .offset:         56
        .size:           8
        .value_kind:     global_buffer
      - .offset:         64
        .size:           8
        .value_kind:     by_value
      - .offset:         72
        .size:           8
        .value_kind:     by_value
      - .offset:         80
        .size:           8
        .value_kind:     by_value
      - .address_space:  global
        .offset:         88
        .size:           8
        .value_kind:     global_buffer
      - .offset:         96
        .size:           8
        .value_kind:     by_value
      - .address_space:  global
        .offset:         104
        .size:           8
        .value_kind:     global_buffer
      - .offset:         112
        .size:           8
        .value_kind:     by_value
      - .offset:         120
        .size:           8
        .value_kind:     by_value
      - .offset:         128
        .size:           8
        .value_kind:     by_value
      - .offset:         136
        .size:           4
        .value_kind:     by_value
      - .offset:         144
        .size:           4
        .value_kind:     hidden_block_count_x
      - .offset:         148
        .size:           4
        .value_kind:     hidden_block_count_y
      - .offset:         152
        .size:           4
        .value_kind:     hidden_block_count_z
      - .offset:         156
        .size:           2
        .value_kind:     hidden_group_size_x
      - .offset:         158
        .size:           2
        .value_kind:     hidden_group_size_y
      - .offset:         160
        .size:           2
        .value_kind:     hidden_group_size_z
      - .offset:         162
        .size:           2
        .value_kind:     hidden_remainder_x
      - .offset:         164
        .size:           2
        .value_kind:     hidden_remainder_y
      - .offset:         166
        .size:           2
        .value_kind:     hidden_remainder_z
      - .offset:         184
        .size:           8
        .value_kind:     hidden_global_offset_x
      - .offset:         192
        .size:           8
        .value_kind:     hidden_global_offset_y
      - .offset:         200
        .size:           8
        .value_kind:     hidden_global_offset_z
      - .offset:         208
        .size:           2
        .value_kind:     hidden_grid_dims
    .group_segment_fixed_size: 4096
    .kernarg_segment_align: 8
    .kernarg_segment_size: 400
    .language:       OpenCL C
    .language_version:
      - 2
      - 0
    .max_flat_workgroup_size: 256
    .name:           _ZL20rocblas_gemvn_kernelILi64ELi4El16rocblas_bfloat16PKffEviiT3_lPKT2_lT1_lS6_lS7_lS3_lPT4_lS7_li
    .private_segment_fixed_size: 0
    .sgpr_count:     54
    .sgpr_spill_count: 0
    .symbol:         _ZL20rocblas_gemvn_kernelILi64ELi4El16rocblas_bfloat16PKffEviiT3_lPKT2_lT1_lS6_lS7_lS3_lPT4_lS7_li.kd
    .uniform_work_group_size: 1
    .uses_dynamic_stack: false
    .vgpr_count:     52
    .vgpr_spill_count: 0
    .wavefront_size: 32
    .workgroup_processor_mode: 1
  - .args:
      - .offset:         0
        .size:           4
        .value_kind:     by_value
      - .offset:         4
        .size:           4
        .value_kind:     by_value
      - .offset:         8
        .size:           4
        .value_kind:     by_value
      - .offset:         16
        .size:           8
        .value_kind:     by_value
      - .address_space:  global
        .offset:         24
        .size:           8
        .value_kind:     global_buffer
      - .offset:         32
        .size:           8
        .value_kind:     by_value
      - .offset:         40
        .size:           4
        .value_kind:     by_value
      - .offset:         48
        .size:           8
        .value_kind:     by_value
      - .address_space:  global
        .offset:         56
        .size:           8
        .value_kind:     global_buffer
      - .offset:         64
        .size:           8
        .value_kind:     by_value
      - .offset:         72
        .size:           4
        .value_kind:     by_value
      - .offset:         80
        .size:           8
        .value_kind:     by_value
      - .offset:         88
        .size:           4
        .value_kind:     by_value
      - .offset:         96
        .size:           8
        .value_kind:     by_value
      - .address_space:  global
        .offset:         104
        .size:           8
        .value_kind:     global_buffer
      - .offset:         112
        .size:           8
        .value_kind:     by_value
      - .offset:         120
        .size:           4
        .value_kind:     by_value
      - .offset:         128
        .size:           8
        .value_kind:     by_value
      - .offset:         136
        .size:           4
        .value_kind:     by_value
      - .offset:         144
        .size:           4
        .value_kind:     hidden_block_count_x
      - .offset:         148
        .size:           4
        .value_kind:     hidden_block_count_y
      - .offset:         152
        .size:           4
        .value_kind:     hidden_block_count_z
      - .offset:         156
        .size:           2
        .value_kind:     hidden_group_size_x
      - .offset:         158
        .size:           2
        .value_kind:     hidden_group_size_y
      - .offset:         160
        .size:           2
        .value_kind:     hidden_group_size_z
      - .offset:         162
        .size:           2
        .value_kind:     hidden_remainder_x
      - .offset:         164
        .size:           2
        .value_kind:     hidden_remainder_y
      - .offset:         166
        .size:           2
        .value_kind:     hidden_remainder_z
      - .offset:         184
        .size:           8
        .value_kind:     hidden_global_offset_x
      - .offset:         192
        .size:           8
        .value_kind:     hidden_global_offset_y
      - .offset:         200
        .size:           8
        .value_kind:     hidden_global_offset_z
      - .offset:         208
        .size:           2
        .value_kind:     hidden_grid_dims
    .group_segment_fixed_size: 4096
    .kernarg_segment_align: 8
    .kernarg_segment_size: 400
    .language:       OpenCL C
    .language_version:
      - 2
      - 0
    .max_flat_workgroup_size: 256
    .name:           _ZL20rocblas_gemvn_kernelILi64ELi4Ei16rocblas_bfloat16ffEviiT3_lPKT2_lT1_lS4_lS5_lS1_lPT4_lS5_li
    .private_segment_fixed_size: 0
    .sgpr_count:     30
    .sgpr_spill_count: 0
    .symbol:         _ZL20rocblas_gemvn_kernelILi64ELi4Ei16rocblas_bfloat16ffEviiT3_lPKT2_lT1_lS4_lS5_lS1_lPT4_lS5_li.kd
    .uniform_work_group_size: 1
    .uses_dynamic_stack: false
    .vgpr_count:     42
    .vgpr_spill_count: 0
    .wavefront_size: 32
    .workgroup_processor_mode: 1
  - .args:
      - .offset:         0
        .size:           4
        .value_kind:     by_value
      - .offset:         4
        .size:           4
        .value_kind:     by_value
      - .offset:         8
        .size:           4
        .value_kind:     by_value
      - .offset:         16
        .size:           8
        .value_kind:     by_value
      - .address_space:  global
        .offset:         24
        .size:           8
        .value_kind:     global_buffer
      - .offset:         32
        .size:           8
        .value_kind:     by_value
      - .offset:         40
        .size:           8
        .value_kind:     by_value
      - .offset:         48
        .size:           8
        .value_kind:     by_value
      - .address_space:  global
        .offset:         56
        .size:           8
        .value_kind:     global_buffer
      - .offset:         64
        .size:           8
        .value_kind:     by_value
      - .offset:         72
        .size:           8
        .value_kind:     by_value
      - .offset:         80
        .size:           8
        .value_kind:     by_value
      - .offset:         88
        .size:           4
        .value_kind:     by_value
      - .offset:         96
        .size:           8
        .value_kind:     by_value
      - .address_space:  global
        .offset:         104
        .size:           8
        .value_kind:     global_buffer
      - .offset:         112
        .size:           8
        .value_kind:     by_value
      - .offset:         120
        .size:           8
        .value_kind:     by_value
      - .offset:         128
        .size:           8
        .value_kind:     by_value
      - .offset:         136
        .size:           4
        .value_kind:     by_value
      - .offset:         144
        .size:           4
        .value_kind:     hidden_block_count_x
      - .offset:         148
        .size:           4
        .value_kind:     hidden_block_count_y
      - .offset:         152
        .size:           4
        .value_kind:     hidden_block_count_z
      - .offset:         156
        .size:           2
        .value_kind:     hidden_group_size_x
      - .offset:         158
        .size:           2
        .value_kind:     hidden_group_size_y
      - .offset:         160
        .size:           2
        .value_kind:     hidden_group_size_z
      - .offset:         162
        .size:           2
        .value_kind:     hidden_remainder_x
      - .offset:         164
        .size:           2
        .value_kind:     hidden_remainder_y
      - .offset:         166
        .size:           2
        .value_kind:     hidden_remainder_z
      - .offset:         184
        .size:           8
        .value_kind:     hidden_global_offset_x
      - .offset:         192
        .size:           8
        .value_kind:     hidden_global_offset_y
      - .offset:         200
        .size:           8
        .value_kind:     hidden_global_offset_z
      - .offset:         208
        .size:           2
        .value_kind:     hidden_grid_dims
    .group_segment_fixed_size: 4096
    .kernarg_segment_align: 8
    .kernarg_segment_size: 400
    .language:       OpenCL C
    .language_version:
      - 2
      - 0
    .max_flat_workgroup_size: 256
    .name:           _ZL20rocblas_gemvn_kernelILi64ELi4El16rocblas_bfloat16ffEviiT3_lPKT2_lT1_lS4_lS5_lS1_lPT4_lS5_li
    .private_segment_fixed_size: 0
    .sgpr_count:     45
    .sgpr_spill_count: 0
    .symbol:         _ZL20rocblas_gemvn_kernelILi64ELi4El16rocblas_bfloat16ffEviiT3_lPKT2_lT1_lS4_lS5_lS1_lPT4_lS5_li.kd
    .uniform_work_group_size: 1
    .uses_dynamic_stack: false
    .vgpr_count:     52
    .vgpr_spill_count: 0
    .wavefront_size: 32
    .workgroup_processor_mode: 1
  - .args:
      - .offset:         0
        .size:           4
        .value_kind:     by_value
      - .offset:         4
        .size:           4
        .value_kind:     by_value
      - .address_space:  global
        .offset:         8
        .size:           8
        .value_kind:     global_buffer
      - .offset:         16
        .size:           8
        .value_kind:     by_value
      - .address_space:  global
        .offset:         24
        .size:           8
        .value_kind:     global_buffer
      - .offset:         32
        .size:           8
        .value_kind:     by_value
      - .offset:         40
        .size:           4
        .value_kind:     by_value
      - .offset:         48
        .size:           8
        .value_kind:     by_value
      - .address_space:  global
        .offset:         56
        .size:           8
        .value_kind:     global_buffer
      - .offset:         64
        .size:           8
        .value_kind:     by_value
      - .offset:         72
        .size:           4
        .value_kind:     by_value
      - .offset:         80
        .size:           8
        .value_kind:     by_value
      - .address_space:  global
        .offset:         88
        .size:           8
        .value_kind:     global_buffer
      - .offset:         96
        .size:           8
        .value_kind:     by_value
      - .address_space:  global
        .offset:         104
        .size:           8
        .value_kind:     global_buffer
      - .offset:         112
        .size:           8
        .value_kind:     by_value
      - .offset:         120
        .size:           4
        .value_kind:     by_value
      - .offset:         128
        .size:           8
        .value_kind:     by_value
      - .offset:         136
        .size:           4
        .value_kind:     by_value
      - .offset:         144
        .size:           4
        .value_kind:     hidden_block_count_x
      - .offset:         148
        .size:           4
        .value_kind:     hidden_block_count_y
      - .offset:         152
        .size:           4
        .value_kind:     hidden_block_count_z
      - .offset:         156
        .size:           2
        .value_kind:     hidden_group_size_x
      - .offset:         158
        .size:           2
        .value_kind:     hidden_group_size_y
      - .offset:         160
        .size:           2
        .value_kind:     hidden_group_size_z
      - .offset:         162
        .size:           2
        .value_kind:     hidden_remainder_x
      - .offset:         164
        .size:           2
        .value_kind:     hidden_remainder_y
      - .offset:         166
        .size:           2
        .value_kind:     hidden_remainder_z
      - .offset:         184
        .size:           8
        .value_kind:     hidden_global_offset_x
      - .offset:         192
        .size:           8
        .value_kind:     hidden_global_offset_y
      - .offset:         200
        .size:           8
        .value_kind:     hidden_global_offset_z
      - .offset:         208
        .size:           2
        .value_kind:     hidden_grid_dims
    .group_segment_fixed_size: 8192
    .kernarg_segment_align: 8
    .kernarg_segment_size: 400
    .language:       OpenCL C
    .language_version:
      - 2
      - 0
    .max_flat_workgroup_size: 512
    .name:           _ZL20rocblas_gemvn_kernelILi32ELi16Ei16rocblas_bfloat16PKffEviiT3_lPKT2_lT1_lS6_lS7_lS3_lPT4_lS7_li
    .private_segment_fixed_size: 0
    .sgpr_count:     30
    .sgpr_spill_count: 0
    .symbol:         _ZL20rocblas_gemvn_kernelILi32ELi16Ei16rocblas_bfloat16PKffEviiT3_lPKT2_lT1_lS6_lS7_lS3_lPT4_lS7_li.kd
    .uniform_work_group_size: 1
    .uses_dynamic_stack: false
    .vgpr_count:     42
    .vgpr_spill_count: 0
    .wavefront_size: 32
    .workgroup_processor_mode: 1
  - .args:
      - .offset:         0
        .size:           4
        .value_kind:     by_value
      - .offset:         4
        .size:           4
        .value_kind:     by_value
      - .address_space:  global
        .offset:         8
        .size:           8
        .value_kind:     global_buffer
      - .offset:         16
        .size:           8
        .value_kind:     by_value
      - .address_space:  global
        .offset:         24
        .size:           8
        .value_kind:     global_buffer
      - .offset:         32
        .size:           8
        .value_kind:     by_value
      - .offset:         40
        .size:           8
        .value_kind:     by_value
      - .offset:         48
        .size:           8
        .value_kind:     by_value
      - .address_space:  global
        .offset:         56
        .size:           8
        .value_kind:     global_buffer
      - .offset:         64
        .size:           8
        .value_kind:     by_value
      - .offset:         72
        .size:           8
        .value_kind:     by_value
      - .offset:         80
        .size:           8
        .value_kind:     by_value
      - .address_space:  global
        .offset:         88
        .size:           8
        .value_kind:     global_buffer
      - .offset:         96
        .size:           8
        .value_kind:     by_value
      - .address_space:  global
        .offset:         104
        .size:           8
        .value_kind:     global_buffer
      - .offset:         112
        .size:           8
        .value_kind:     by_value
      - .offset:         120
        .size:           8
        .value_kind:     by_value
      - .offset:         128
        .size:           8
        .value_kind:     by_value
      - .offset:         136
        .size:           4
        .value_kind:     by_value
      - .offset:         144
        .size:           4
        .value_kind:     hidden_block_count_x
      - .offset:         148
        .size:           4
        .value_kind:     hidden_block_count_y
      - .offset:         152
        .size:           4
        .value_kind:     hidden_block_count_z
      - .offset:         156
        .size:           2
        .value_kind:     hidden_group_size_x
      - .offset:         158
        .size:           2
        .value_kind:     hidden_group_size_y
      - .offset:         160
        .size:           2
        .value_kind:     hidden_group_size_z
      - .offset:         162
        .size:           2
        .value_kind:     hidden_remainder_x
      - .offset:         164
        .size:           2
        .value_kind:     hidden_remainder_y
      - .offset:         166
        .size:           2
        .value_kind:     hidden_remainder_z
      - .offset:         184
        .size:           8
        .value_kind:     hidden_global_offset_x
      - .offset:         192
        .size:           8
        .value_kind:     hidden_global_offset_y
      - .offset:         200
        .size:           8
        .value_kind:     hidden_global_offset_z
      - .offset:         208
        .size:           2
        .value_kind:     hidden_grid_dims
    .group_segment_fixed_size: 8192
    .kernarg_segment_align: 8
    .kernarg_segment_size: 400
    .language:       OpenCL C
    .language_version:
      - 2
      - 0
    .max_flat_workgroup_size: 512
    .name:           _ZL20rocblas_gemvn_kernelILi32ELi16El16rocblas_bfloat16PKffEviiT3_lPKT2_lT1_lS6_lS7_lS3_lPT4_lS7_li
    .private_segment_fixed_size: 0
    .sgpr_count:     54
    .sgpr_spill_count: 0
    .symbol:         _ZL20rocblas_gemvn_kernelILi32ELi16El16rocblas_bfloat16PKffEviiT3_lPKT2_lT1_lS6_lS7_lS3_lPT4_lS7_li.kd
    .uniform_work_group_size: 1
    .uses_dynamic_stack: false
    .vgpr_count:     52
    .vgpr_spill_count: 0
    .wavefront_size: 32
    .workgroup_processor_mode: 1
  - .args:
      - .offset:         0
        .size:           4
        .value_kind:     by_value
      - .offset:         4
        .size:           4
        .value_kind:     by_value
      - .offset:         8
        .size:           4
        .value_kind:     by_value
      - .offset:         16
        .size:           8
        .value_kind:     by_value
      - .address_space:  global
        .offset:         24
        .size:           8
        .value_kind:     global_buffer
      - .offset:         32
        .size:           8
        .value_kind:     by_value
      - .offset:         40
        .size:           4
        .value_kind:     by_value
      - .offset:         48
        .size:           8
        .value_kind:     by_value
      - .address_space:  global
        .offset:         56
        .size:           8
        .value_kind:     global_buffer
      - .offset:         64
        .size:           8
        .value_kind:     by_value
      - .offset:         72
        .size:           4
        .value_kind:     by_value
      - .offset:         80
        .size:           8
        .value_kind:     by_value
      - .offset:         88
        .size:           4
        .value_kind:     by_value
      - .offset:         96
        .size:           8
        .value_kind:     by_value
      - .address_space:  global
        .offset:         104
        .size:           8
        .value_kind:     global_buffer
      - .offset:         112
        .size:           8
        .value_kind:     by_value
      - .offset:         120
        .size:           4
        .value_kind:     by_value
      - .offset:         128
        .size:           8
        .value_kind:     by_value
      - .offset:         136
        .size:           4
        .value_kind:     by_value
      - .offset:         144
        .size:           4
        .value_kind:     hidden_block_count_x
      - .offset:         148
        .size:           4
        .value_kind:     hidden_block_count_y
      - .offset:         152
        .size:           4
        .value_kind:     hidden_block_count_z
      - .offset:         156
        .size:           2
        .value_kind:     hidden_group_size_x
      - .offset:         158
        .size:           2
        .value_kind:     hidden_group_size_y
      - .offset:         160
        .size:           2
        .value_kind:     hidden_group_size_z
      - .offset:         162
        .size:           2
        .value_kind:     hidden_remainder_x
      - .offset:         164
        .size:           2
        .value_kind:     hidden_remainder_y
      - .offset:         166
        .size:           2
        .value_kind:     hidden_remainder_z
      - .offset:         184
        .size:           8
        .value_kind:     hidden_global_offset_x
      - .offset:         192
        .size:           8
        .value_kind:     hidden_global_offset_y
      - .offset:         200
        .size:           8
        .value_kind:     hidden_global_offset_z
      - .offset:         208
        .size:           2
        .value_kind:     hidden_grid_dims
    .group_segment_fixed_size: 8192
    .kernarg_segment_align: 8
    .kernarg_segment_size: 400
    .language:       OpenCL C
    .language_version:
      - 2
      - 0
    .max_flat_workgroup_size: 512
    .name:           _ZL20rocblas_gemvn_kernelILi32ELi16Ei16rocblas_bfloat16ffEviiT3_lPKT2_lT1_lS4_lS5_lS1_lPT4_lS5_li
    .private_segment_fixed_size: 0
    .sgpr_count:     30
    .sgpr_spill_count: 0
    .symbol:         _ZL20rocblas_gemvn_kernelILi32ELi16Ei16rocblas_bfloat16ffEviiT3_lPKT2_lT1_lS4_lS5_lS1_lPT4_lS5_li.kd
    .uniform_work_group_size: 1
    .uses_dynamic_stack: false
    .vgpr_count:     42
    .vgpr_spill_count: 0
    .wavefront_size: 32
    .workgroup_processor_mode: 1
  - .args:
      - .offset:         0
        .size:           4
        .value_kind:     by_value
      - .offset:         4
        .size:           4
        .value_kind:     by_value
      - .offset:         8
        .size:           4
        .value_kind:     by_value
      - .offset:         16
        .size:           8
        .value_kind:     by_value
      - .address_space:  global
        .offset:         24
        .size:           8
        .value_kind:     global_buffer
      - .offset:         32
        .size:           8
        .value_kind:     by_value
      - .offset:         40
        .size:           8
        .value_kind:     by_value
      - .offset:         48
        .size:           8
        .value_kind:     by_value
      - .address_space:  global
        .offset:         56
        .size:           8
        .value_kind:     global_buffer
      - .offset:         64
        .size:           8
        .value_kind:     by_value
      - .offset:         72
        .size:           8
        .value_kind:     by_value
      - .offset:         80
        .size:           8
        .value_kind:     by_value
      - .offset:         88
        .size:           4
        .value_kind:     by_value
      - .offset:         96
        .size:           8
        .value_kind:     by_value
      - .address_space:  global
        .offset:         104
        .size:           8
        .value_kind:     global_buffer
      - .offset:         112
        .size:           8
        .value_kind:     by_value
      - .offset:         120
        .size:           8
        .value_kind:     by_value
      - .offset:         128
        .size:           8
        .value_kind:     by_value
      - .offset:         136
        .size:           4
        .value_kind:     by_value
      - .offset:         144
        .size:           4
        .value_kind:     hidden_block_count_x
      - .offset:         148
        .size:           4
        .value_kind:     hidden_block_count_y
      - .offset:         152
        .size:           4
        .value_kind:     hidden_block_count_z
      - .offset:         156
        .size:           2
        .value_kind:     hidden_group_size_x
      - .offset:         158
        .size:           2
        .value_kind:     hidden_group_size_y
      - .offset:         160
        .size:           2
        .value_kind:     hidden_group_size_z
      - .offset:         162
        .size:           2
        .value_kind:     hidden_remainder_x
      - .offset:         164
        .size:           2
        .value_kind:     hidden_remainder_y
      - .offset:         166
        .size:           2
        .value_kind:     hidden_remainder_z
      - .offset:         184
        .size:           8
        .value_kind:     hidden_global_offset_x
      - .offset:         192
        .size:           8
        .value_kind:     hidden_global_offset_y
      - .offset:         200
        .size:           8
        .value_kind:     hidden_global_offset_z
      - .offset:         208
        .size:           2
        .value_kind:     hidden_grid_dims
    .group_segment_fixed_size: 8192
    .kernarg_segment_align: 8
    .kernarg_segment_size: 400
    .language:       OpenCL C
    .language_version:
      - 2
      - 0
    .max_flat_workgroup_size: 512
    .name:           _ZL20rocblas_gemvn_kernelILi32ELi16El16rocblas_bfloat16ffEviiT3_lPKT2_lT1_lS4_lS5_lS1_lPT4_lS5_li
    .private_segment_fixed_size: 0
    .sgpr_count:     45
    .sgpr_spill_count: 0
    .symbol:         _ZL20rocblas_gemvn_kernelILi32ELi16El16rocblas_bfloat16ffEviiT3_lPKT2_lT1_lS4_lS5_lS1_lPT4_lS5_li.kd
    .uniform_work_group_size: 1
    .uses_dynamic_stack: false
    .vgpr_count:     52
    .vgpr_spill_count: 0
    .wavefront_size: 32
    .workgroup_processor_mode: 1
  - .args:
      - .offset:         0
        .size:           4
        .value_kind:     by_value
      - .offset:         4
        .size:           4
        .value_kind:     by_value
      - .address_space:  global
        .offset:         8
        .size:           8
        .value_kind:     global_buffer
      - .offset:         16
        .size:           8
        .value_kind:     by_value
      - .address_space:  global
        .offset:         24
        .size:           8
        .value_kind:     global_buffer
      - .offset:         32
        .size:           8
        .value_kind:     by_value
      - .offset:         40
        .size:           4
        .value_kind:     by_value
      - .offset:         48
        .size:           8
        .value_kind:     by_value
      - .address_space:  global
        .offset:         56
        .size:           8
        .value_kind:     global_buffer
      - .offset:         64
        .size:           8
        .value_kind:     by_value
      - .offset:         72
        .size:           4
        .value_kind:     by_value
      - .offset:         80
        .size:           8
        .value_kind:     by_value
      - .address_space:  global
        .offset:         88
        .size:           8
        .value_kind:     global_buffer
      - .offset:         96
        .size:           8
        .value_kind:     by_value
      - .address_space:  global
        .offset:         104
        .size:           8
        .value_kind:     global_buffer
      - .offset:         112
        .size:           8
        .value_kind:     by_value
      - .offset:         120
        .size:           4
        .value_kind:     by_value
      - .offset:         128
        .size:           8
        .value_kind:     by_value
      - .offset:         136
        .size:           4
        .value_kind:     by_value
      - .offset:         144
        .size:           4
        .value_kind:     hidden_block_count_x
      - .offset:         148
        .size:           4
        .value_kind:     hidden_block_count_y
      - .offset:         152
        .size:           4
        .value_kind:     hidden_block_count_z
      - .offset:         156
        .size:           2
        .value_kind:     hidden_group_size_x
      - .offset:         158
        .size:           2
        .value_kind:     hidden_group_size_y
      - .offset:         160
        .size:           2
        .value_kind:     hidden_group_size_z
      - .offset:         162
        .size:           2
        .value_kind:     hidden_remainder_x
      - .offset:         164
        .size:           2
        .value_kind:     hidden_remainder_y
      - .offset:         166
        .size:           2
        .value_kind:     hidden_remainder_z
      - .offset:         184
        .size:           8
        .value_kind:     hidden_global_offset_x
      - .offset:         192
        .size:           8
        .value_kind:     hidden_global_offset_y
      - .offset:         200
        .size:           8
        .value_kind:     hidden_global_offset_z
      - .offset:         208
        .size:           2
        .value_kind:     hidden_grid_dims
    .group_segment_fixed_size: 16384
    .kernarg_segment_align: 8
    .kernarg_segment_size: 400
    .language:       OpenCL C
    .language_version:
      - 2
      - 0
    .max_flat_workgroup_size: 1024
    .name:           _ZL20rocblas_gemvn_kernelILi64ELi16Ei16rocblas_bfloat16PKffEviiT3_lPKT2_lT1_lS6_lS7_lS3_lPT4_lS7_li
    .private_segment_fixed_size: 0
    .sgpr_count:     30
    .sgpr_spill_count: 0
    .symbol:         _ZL20rocblas_gemvn_kernelILi64ELi16Ei16rocblas_bfloat16PKffEviiT3_lPKT2_lT1_lS6_lS7_lS3_lPT4_lS7_li.kd
    .uniform_work_group_size: 1
    .uses_dynamic_stack: false
    .vgpr_count:     42
    .vgpr_spill_count: 0
    .wavefront_size: 32
    .workgroup_processor_mode: 1
  - .args:
      - .offset:         0
        .size:           4
        .value_kind:     by_value
      - .offset:         4
        .size:           4
        .value_kind:     by_value
      - .address_space:  global
        .offset:         8
        .size:           8
        .value_kind:     global_buffer
      - .offset:         16
        .size:           8
        .value_kind:     by_value
      - .address_space:  global
        .offset:         24
        .size:           8
        .value_kind:     global_buffer
      - .offset:         32
        .size:           8
        .value_kind:     by_value
      - .offset:         40
        .size:           8
        .value_kind:     by_value
      - .offset:         48
        .size:           8
        .value_kind:     by_value
      - .address_space:  global
        .offset:         56
        .size:           8
        .value_kind:     global_buffer
      - .offset:         64
        .size:           8
        .value_kind:     by_value
      - .offset:         72
        .size:           8
        .value_kind:     by_value
      - .offset:         80
        .size:           8
        .value_kind:     by_value
      - .address_space:  global
        .offset:         88
        .size:           8
        .value_kind:     global_buffer
      - .offset:         96
        .size:           8
        .value_kind:     by_value
      - .address_space:  global
        .offset:         104
        .size:           8
        .value_kind:     global_buffer
      - .offset:         112
        .size:           8
        .value_kind:     by_value
      - .offset:         120
        .size:           8
        .value_kind:     by_value
      - .offset:         128
        .size:           8
        .value_kind:     by_value
      - .offset:         136
        .size:           4
        .value_kind:     by_value
      - .offset:         144
        .size:           4
        .value_kind:     hidden_block_count_x
      - .offset:         148
        .size:           4
        .value_kind:     hidden_block_count_y
      - .offset:         152
        .size:           4
        .value_kind:     hidden_block_count_z
      - .offset:         156
        .size:           2
        .value_kind:     hidden_group_size_x
      - .offset:         158
        .size:           2
        .value_kind:     hidden_group_size_y
      - .offset:         160
        .size:           2
        .value_kind:     hidden_group_size_z
      - .offset:         162
        .size:           2
        .value_kind:     hidden_remainder_x
      - .offset:         164
        .size:           2
        .value_kind:     hidden_remainder_y
      - .offset:         166
        .size:           2
        .value_kind:     hidden_remainder_z
      - .offset:         184
        .size:           8
        .value_kind:     hidden_global_offset_x
      - .offset:         192
        .size:           8
        .value_kind:     hidden_global_offset_y
      - .offset:         200
        .size:           8
        .value_kind:     hidden_global_offset_z
      - .offset:         208
        .size:           2
        .value_kind:     hidden_grid_dims
    .group_segment_fixed_size: 16384
    .kernarg_segment_align: 8
    .kernarg_segment_size: 400
    .language:       OpenCL C
    .language_version:
      - 2
      - 0
    .max_flat_workgroup_size: 1024
    .name:           _ZL20rocblas_gemvn_kernelILi64ELi16El16rocblas_bfloat16PKffEviiT3_lPKT2_lT1_lS6_lS7_lS3_lPT4_lS7_li
    .private_segment_fixed_size: 0
    .sgpr_count:     54
    .sgpr_spill_count: 0
    .symbol:         _ZL20rocblas_gemvn_kernelILi64ELi16El16rocblas_bfloat16PKffEviiT3_lPKT2_lT1_lS6_lS7_lS3_lPT4_lS7_li.kd
    .uniform_work_group_size: 1
    .uses_dynamic_stack: false
    .vgpr_count:     52
    .vgpr_spill_count: 0
    .wavefront_size: 32
    .workgroup_processor_mode: 1
  - .args:
      - .offset:         0
        .size:           4
        .value_kind:     by_value
      - .offset:         4
        .size:           4
        .value_kind:     by_value
      - .offset:         8
        .size:           4
        .value_kind:     by_value
      - .offset:         16
        .size:           8
        .value_kind:     by_value
      - .address_space:  global
        .offset:         24
        .size:           8
        .value_kind:     global_buffer
      - .offset:         32
        .size:           8
        .value_kind:     by_value
      - .offset:         40
        .size:           4
        .value_kind:     by_value
      - .offset:         48
        .size:           8
        .value_kind:     by_value
      - .address_space:  global
        .offset:         56
        .size:           8
        .value_kind:     global_buffer
      - .offset:         64
        .size:           8
        .value_kind:     by_value
      - .offset:         72
        .size:           4
        .value_kind:     by_value
      - .offset:         80
        .size:           8
        .value_kind:     by_value
      - .offset:         88
        .size:           4
        .value_kind:     by_value
      - .offset:         96
        .size:           8
        .value_kind:     by_value
      - .address_space:  global
        .offset:         104
        .size:           8
        .value_kind:     global_buffer
      - .offset:         112
        .size:           8
        .value_kind:     by_value
      - .offset:         120
        .size:           4
        .value_kind:     by_value
      - .offset:         128
        .size:           8
        .value_kind:     by_value
      - .offset:         136
        .size:           4
        .value_kind:     by_value
      - .offset:         144
        .size:           4
        .value_kind:     hidden_block_count_x
      - .offset:         148
        .size:           4
        .value_kind:     hidden_block_count_y
      - .offset:         152
        .size:           4
        .value_kind:     hidden_block_count_z
      - .offset:         156
        .size:           2
        .value_kind:     hidden_group_size_x
      - .offset:         158
        .size:           2
        .value_kind:     hidden_group_size_y
      - .offset:         160
        .size:           2
        .value_kind:     hidden_group_size_z
      - .offset:         162
        .size:           2
        .value_kind:     hidden_remainder_x
      - .offset:         164
        .size:           2
        .value_kind:     hidden_remainder_y
      - .offset:         166
        .size:           2
        .value_kind:     hidden_remainder_z
      - .offset:         184
        .size:           8
        .value_kind:     hidden_global_offset_x
      - .offset:         192
        .size:           8
        .value_kind:     hidden_global_offset_y
      - .offset:         200
        .size:           8
        .value_kind:     hidden_global_offset_z
      - .offset:         208
        .size:           2
        .value_kind:     hidden_grid_dims
    .group_segment_fixed_size: 16384
    .kernarg_segment_align: 8
    .kernarg_segment_size: 400
    .language:       OpenCL C
    .language_version:
      - 2
      - 0
    .max_flat_workgroup_size: 1024
    .name:           _ZL20rocblas_gemvn_kernelILi64ELi16Ei16rocblas_bfloat16ffEviiT3_lPKT2_lT1_lS4_lS5_lS1_lPT4_lS5_li
    .private_segment_fixed_size: 0
    .sgpr_count:     30
    .sgpr_spill_count: 0
    .symbol:         _ZL20rocblas_gemvn_kernelILi64ELi16Ei16rocblas_bfloat16ffEviiT3_lPKT2_lT1_lS4_lS5_lS1_lPT4_lS5_li.kd
    .uniform_work_group_size: 1
    .uses_dynamic_stack: false
    .vgpr_count:     42
    .vgpr_spill_count: 0
    .wavefront_size: 32
    .workgroup_processor_mode: 1
  - .args:
      - .offset:         0
        .size:           4
        .value_kind:     by_value
      - .offset:         4
        .size:           4
        .value_kind:     by_value
      - .offset:         8
        .size:           4
        .value_kind:     by_value
      - .offset:         16
        .size:           8
        .value_kind:     by_value
      - .address_space:  global
        .offset:         24
        .size:           8
        .value_kind:     global_buffer
      - .offset:         32
        .size:           8
        .value_kind:     by_value
      - .offset:         40
        .size:           8
        .value_kind:     by_value
      - .offset:         48
        .size:           8
        .value_kind:     by_value
      - .address_space:  global
        .offset:         56
        .size:           8
        .value_kind:     global_buffer
      - .offset:         64
        .size:           8
        .value_kind:     by_value
      - .offset:         72
        .size:           8
        .value_kind:     by_value
      - .offset:         80
        .size:           8
        .value_kind:     by_value
      - .offset:         88
        .size:           4
        .value_kind:     by_value
      - .offset:         96
        .size:           8
        .value_kind:     by_value
      - .address_space:  global
        .offset:         104
        .size:           8
        .value_kind:     global_buffer
      - .offset:         112
        .size:           8
        .value_kind:     by_value
      - .offset:         120
        .size:           8
        .value_kind:     by_value
      - .offset:         128
        .size:           8
        .value_kind:     by_value
      - .offset:         136
        .size:           4
        .value_kind:     by_value
      - .offset:         144
        .size:           4
        .value_kind:     hidden_block_count_x
      - .offset:         148
        .size:           4
        .value_kind:     hidden_block_count_y
      - .offset:         152
        .size:           4
        .value_kind:     hidden_block_count_z
      - .offset:         156
        .size:           2
        .value_kind:     hidden_group_size_x
      - .offset:         158
        .size:           2
        .value_kind:     hidden_group_size_y
      - .offset:         160
        .size:           2
        .value_kind:     hidden_group_size_z
      - .offset:         162
        .size:           2
        .value_kind:     hidden_remainder_x
      - .offset:         164
        .size:           2
        .value_kind:     hidden_remainder_y
      - .offset:         166
        .size:           2
        .value_kind:     hidden_remainder_z
      - .offset:         184
        .size:           8
        .value_kind:     hidden_global_offset_x
      - .offset:         192
        .size:           8
        .value_kind:     hidden_global_offset_y
      - .offset:         200
        .size:           8
        .value_kind:     hidden_global_offset_z
      - .offset:         208
        .size:           2
        .value_kind:     hidden_grid_dims
    .group_segment_fixed_size: 16384
    .kernarg_segment_align: 8
    .kernarg_segment_size: 400
    .language:       OpenCL C
    .language_version:
      - 2
      - 0
    .max_flat_workgroup_size: 1024
    .name:           _ZL20rocblas_gemvn_kernelILi64ELi16El16rocblas_bfloat16ffEviiT3_lPKT2_lT1_lS4_lS5_lS1_lPT4_lS5_li
    .private_segment_fixed_size: 0
    .sgpr_count:     45
    .sgpr_spill_count: 0
    .symbol:         _ZL20rocblas_gemvn_kernelILi64ELi16El16rocblas_bfloat16ffEviiT3_lPKT2_lT1_lS4_lS5_lS1_lPT4_lS5_li.kd
    .uniform_work_group_size: 1
    .uses_dynamic_stack: false
    .vgpr_count:     52
    .vgpr_spill_count: 0
    .wavefront_size: 32
    .workgroup_processor_mode: 1
  - .args:
      - .offset:         0
        .size:           4
        .value_kind:     by_value
      - .offset:         4
        .size:           4
        .value_kind:     by_value
      - .address_space:  global
        .offset:         8
        .size:           8
        .value_kind:     global_buffer
      - .offset:         16
        .size:           8
        .value_kind:     by_value
      - .address_space:  global
        .offset:         24
        .size:           8
        .value_kind:     global_buffer
      - .offset:         32
        .size:           8
        .value_kind:     by_value
      - .offset:         40
        .size:           4
        .value_kind:     by_value
      - .offset:         48
        .size:           8
        .value_kind:     by_value
      - .address_space:  global
        .offset:         56
        .size:           8
        .value_kind:     global_buffer
      - .offset:         64
        .size:           8
        .value_kind:     by_value
      - .offset:         72
        .size:           4
        .value_kind:     by_value
      - .offset:         80
        .size:           8
        .value_kind:     by_value
      - .address_space:  global
        .offset:         88
        .size:           8
        .value_kind:     global_buffer
      - .offset:         96
        .size:           8
        .value_kind:     by_value
      - .address_space:  global
        .offset:         104
        .size:           8
        .value_kind:     global_buffer
      - .offset:         112
        .size:           8
        .value_kind:     by_value
      - .offset:         120
        .size:           4
        .value_kind:     by_value
      - .offset:         128
        .size:           8
        .value_kind:     by_value
    .group_segment_fixed_size: 256
    .kernarg_segment_align: 8
    .kernarg_segment_size: 136
    .language:       OpenCL C
    .language_version:
      - 2
      - 0
    .max_flat_workgroup_size: 256
    .name:           _ZL22rocblas_gemvtsm_kernelILb0ELi256E16rocblas_bfloat16PKffEviiT2_lPKT1_lilS6_lilS3_lPT3_lil
    .private_segment_fixed_size: 0
    .sgpr_count:     31
    .sgpr_spill_count: 0
    .symbol:         _ZL22rocblas_gemvtsm_kernelILb0ELi256E16rocblas_bfloat16PKffEviiT2_lPKT1_lilS6_lilS3_lPT3_lil.kd
    .uniform_work_group_size: 1
    .uses_dynamic_stack: false
    .vgpr_count:     16
    .vgpr_spill_count: 0
    .wavefront_size: 32
    .workgroup_processor_mode: 1
  - .args:
      - .offset:         0
        .size:           4
        .value_kind:     by_value
      - .offset:         4
        .size:           4
        .value_kind:     by_value
      - .offset:         8
        .size:           4
        .value_kind:     by_value
      - .offset:         16
        .size:           8
        .value_kind:     by_value
      - .address_space:  global
        .offset:         24
        .size:           8
        .value_kind:     global_buffer
      - .offset:         32
        .size:           8
        .value_kind:     by_value
      - .offset:         40
        .size:           4
        .value_kind:     by_value
      - .offset:         48
        .size:           8
        .value_kind:     by_value
      - .address_space:  global
        .offset:         56
        .size:           8
        .value_kind:     global_buffer
      - .offset:         64
        .size:           8
        .value_kind:     by_value
      - .offset:         72
        .size:           4
        .value_kind:     by_value
      - .offset:         80
        .size:           8
        .value_kind:     by_value
      - .offset:         88
        .size:           4
        .value_kind:     by_value
      - .offset:         96
        .size:           8
        .value_kind:     by_value
      - .address_space:  global
        .offset:         104
        .size:           8
        .value_kind:     global_buffer
      - .offset:         112
        .size:           8
        .value_kind:     by_value
      - .offset:         120
        .size:           4
        .value_kind:     by_value
      - .offset:         128
        .size:           8
        .value_kind:     by_value
    .group_segment_fixed_size: 256
    .kernarg_segment_align: 8
    .kernarg_segment_size: 136
    .language:       OpenCL C
    .language_version:
      - 2
      - 0
    .max_flat_workgroup_size: 256
    .name:           _ZL22rocblas_gemvtsm_kernelILb0ELi256E16rocblas_bfloat16ffEviiT2_lPKT1_lilS4_lilS1_lPT3_lil
    .private_segment_fixed_size: 0
    .sgpr_count:     28
    .sgpr_spill_count: 0
    .symbol:         _ZL22rocblas_gemvtsm_kernelILb0ELi256E16rocblas_bfloat16ffEviiT2_lPKT1_lilS4_lilS1_lPT3_lil.kd
    .uniform_work_group_size: 1
    .uses_dynamic_stack: false
    .vgpr_count:     16
    .vgpr_spill_count: 0
    .wavefront_size: 32
    .workgroup_processor_mode: 1
  - .args:
      - .offset:         0
        .size:           4
        .value_kind:     by_value
      - .offset:         4
        .size:           4
        .value_kind:     by_value
      - .address_space:  global
        .offset:         8
        .size:           8
        .value_kind:     global_buffer
      - .offset:         16
        .size:           8
        .value_kind:     by_value
      - .address_space:  global
        .offset:         24
        .size:           8
        .value_kind:     global_buffer
      - .offset:         32
        .size:           8
        .value_kind:     by_value
      - .offset:         40
        .size:           4
        .value_kind:     by_value
      - .offset:         48
        .size:           8
        .value_kind:     by_value
      - .address_space:  global
        .offset:         56
        .size:           8
        .value_kind:     global_buffer
      - .offset:         64
        .size:           8
        .value_kind:     by_value
      - .offset:         72
        .size:           4
        .value_kind:     by_value
      - .offset:         80
        .size:           8
        .value_kind:     by_value
      - .address_space:  global
        .offset:         88
        .size:           8
        .value_kind:     global_buffer
      - .offset:         96
        .size:           8
        .value_kind:     by_value
      - .address_space:  global
        .offset:         104
        .size:           8
        .value_kind:     global_buffer
      - .offset:         112
        .size:           8
        .value_kind:     by_value
      - .offset:         120
        .size:           4
        .value_kind:     by_value
      - .offset:         128
        .size:           8
        .value_kind:     by_value
      - .offset:         136
        .size:           4
        .value_kind:     by_value
    .group_segment_fixed_size: 128
    .kernarg_segment_align: 8
    .kernarg_segment_size: 140
    .language:       OpenCL C
    .language_version:
      - 2
      - 0
    .max_flat_workgroup_size: 256
    .name:           _ZL32rocblas_gemvt_warp_reduce_kernelILb0ELi256Ei16rocblas_bfloat16PKffEviiT3_lPKT2_lT1_lS6_lS7_lS3_lPT4_lS7_li
    .private_segment_fixed_size: 0
    .sgpr_count:     28
    .sgpr_spill_count: 0
    .symbol:         _ZL32rocblas_gemvt_warp_reduce_kernelILb0ELi256Ei16rocblas_bfloat16PKffEviiT3_lPKT2_lT1_lS6_lS7_lS3_lPT4_lS7_li.kd
    .uniform_work_group_size: 1
    .uses_dynamic_stack: false
    .vgpr_count:     12
    .vgpr_spill_count: 0
    .wavefront_size: 32
    .workgroup_processor_mode: 1
  - .args:
      - .offset:         0
        .size:           4
        .value_kind:     by_value
      - .offset:         4
        .size:           4
        .value_kind:     by_value
      - .address_space:  global
        .offset:         8
        .size:           8
        .value_kind:     global_buffer
      - .offset:         16
        .size:           8
        .value_kind:     by_value
      - .address_space:  global
        .offset:         24
        .size:           8
        .value_kind:     global_buffer
      - .offset:         32
        .size:           8
        .value_kind:     by_value
      - .offset:         40
        .size:           8
        .value_kind:     by_value
      - .offset:         48
        .size:           8
        .value_kind:     by_value
      - .address_space:  global
        .offset:         56
        .size:           8
        .value_kind:     global_buffer
      - .offset:         64
        .size:           8
        .value_kind:     by_value
      - .offset:         72
        .size:           8
        .value_kind:     by_value
      - .offset:         80
        .size:           8
        .value_kind:     by_value
      - .address_space:  global
        .offset:         88
        .size:           8
        .value_kind:     global_buffer
      - .offset:         96
        .size:           8
        .value_kind:     by_value
      - .address_space:  global
        .offset:         104
        .size:           8
        .value_kind:     global_buffer
      - .offset:         112
        .size:           8
        .value_kind:     by_value
      - .offset:         120
        .size:           8
        .value_kind:     by_value
      - .offset:         128
        .size:           8
        .value_kind:     by_value
      - .offset:         136
        .size:           4
        .value_kind:     by_value
    .group_segment_fixed_size: 128
    .kernarg_segment_align: 8
    .kernarg_segment_size: 140
    .language:       OpenCL C
    .language_version:
      - 2
      - 0
    .max_flat_workgroup_size: 256
    .name:           _ZL32rocblas_gemvt_warp_reduce_kernelILb0ELi256El16rocblas_bfloat16PKffEviiT3_lPKT2_lT1_lS6_lS7_lS3_lPT4_lS7_li
    .private_segment_fixed_size: 0
    .sgpr_count:     54
    .sgpr_spill_count: 0
    .symbol:         _ZL32rocblas_gemvt_warp_reduce_kernelILb0ELi256El16rocblas_bfloat16PKffEviiT3_lPKT2_lT1_lS6_lS7_lS3_lPT4_lS7_li.kd
    .uniform_work_group_size: 1
    .uses_dynamic_stack: false
    .vgpr_count:     12
    .vgpr_spill_count: 0
    .wavefront_size: 32
    .workgroup_processor_mode: 1
  - .args:
      - .offset:         0
        .size:           4
        .value_kind:     by_value
      - .offset:         4
        .size:           4
        .value_kind:     by_value
      - .offset:         8
        .size:           4
        .value_kind:     by_value
      - .offset:         16
        .size:           8
        .value_kind:     by_value
      - .address_space:  global
        .offset:         24
        .size:           8
        .value_kind:     global_buffer
      - .offset:         32
        .size:           8
        .value_kind:     by_value
      - .offset:         40
        .size:           4
        .value_kind:     by_value
      - .offset:         48
        .size:           8
        .value_kind:     by_value
      - .address_space:  global
        .offset:         56
        .size:           8
        .value_kind:     global_buffer
      - .offset:         64
        .size:           8
        .value_kind:     by_value
      - .offset:         72
        .size:           4
        .value_kind:     by_value
      - .offset:         80
        .size:           8
        .value_kind:     by_value
      - .offset:         88
        .size:           4
        .value_kind:     by_value
      - .offset:         96
        .size:           8
        .value_kind:     by_value
      - .address_space:  global
        .offset:         104
        .size:           8
        .value_kind:     global_buffer
      - .offset:         112
        .size:           8
        .value_kind:     by_value
      - .offset:         120
        .size:           4
        .value_kind:     by_value
      - .offset:         128
        .size:           8
        .value_kind:     by_value
      - .offset:         136
        .size:           4
        .value_kind:     by_value
    .group_segment_fixed_size: 128
    .kernarg_segment_align: 8
    .kernarg_segment_size: 140
    .language:       OpenCL C
    .language_version:
      - 2
      - 0
    .max_flat_workgroup_size: 256
    .name:           _ZL32rocblas_gemvt_warp_reduce_kernelILb0ELi256Ei16rocblas_bfloat16ffEviiT3_lPKT2_lT1_lS4_lS5_lS1_lPT4_lS5_li
    .private_segment_fixed_size: 0
    .sgpr_count:     27
    .sgpr_spill_count: 0
    .symbol:         _ZL32rocblas_gemvt_warp_reduce_kernelILb0ELi256Ei16rocblas_bfloat16ffEviiT3_lPKT2_lT1_lS4_lS5_lS1_lPT4_lS5_li.kd
    .uniform_work_group_size: 1
    .uses_dynamic_stack: false
    .vgpr_count:     12
    .vgpr_spill_count: 0
    .wavefront_size: 32
    .workgroup_processor_mode: 1
  - .args:
      - .offset:         0
        .size:           4
        .value_kind:     by_value
      - .offset:         4
        .size:           4
        .value_kind:     by_value
      - .offset:         8
        .size:           4
        .value_kind:     by_value
      - .offset:         16
        .size:           8
        .value_kind:     by_value
      - .address_space:  global
        .offset:         24
        .size:           8
        .value_kind:     global_buffer
      - .offset:         32
        .size:           8
        .value_kind:     by_value
      - .offset:         40
        .size:           8
        .value_kind:     by_value
      - .offset:         48
        .size:           8
        .value_kind:     by_value
      - .address_space:  global
        .offset:         56
        .size:           8
        .value_kind:     global_buffer
      - .offset:         64
        .size:           8
        .value_kind:     by_value
      - .offset:         72
        .size:           8
        .value_kind:     by_value
      - .offset:         80
        .size:           8
        .value_kind:     by_value
      - .offset:         88
        .size:           4
        .value_kind:     by_value
      - .offset:         96
        .size:           8
        .value_kind:     by_value
      - .address_space:  global
        .offset:         104
        .size:           8
        .value_kind:     global_buffer
      - .offset:         112
        .size:           8
        .value_kind:     by_value
      - .offset:         120
        .size:           8
        .value_kind:     by_value
      - .offset:         128
        .size:           8
        .value_kind:     by_value
      - .offset:         136
        .size:           4
        .value_kind:     by_value
    .group_segment_fixed_size: 128
    .kernarg_segment_align: 8
    .kernarg_segment_size: 140
    .language:       OpenCL C
    .language_version:
      - 2
      - 0
    .max_flat_workgroup_size: 256
    .name:           _ZL32rocblas_gemvt_warp_reduce_kernelILb0ELi256El16rocblas_bfloat16ffEviiT3_lPKT2_lT1_lS4_lS5_lS1_lPT4_lS5_li
    .private_segment_fixed_size: 0
    .sgpr_count:     38
    .sgpr_spill_count: 0
    .symbol:         _ZL32rocblas_gemvt_warp_reduce_kernelILb0ELi256El16rocblas_bfloat16ffEviiT3_lPKT2_lT1_lS4_lS5_lS1_lPT4_lS5_li.kd
    .uniform_work_group_size: 1
    .uses_dynamic_stack: false
    .vgpr_count:     12
    .vgpr_spill_count: 0
    .wavefront_size: 32
    .workgroup_processor_mode: 1
  - .args:
      - .offset:         0
        .size:           4
        .value_kind:     by_value
      - .offset:         4
        .size:           4
        .value_kind:     by_value
      - .address_space:  global
        .offset:         8
        .size:           8
        .value_kind:     global_buffer
      - .offset:         16
        .size:           8
        .value_kind:     by_value
      - .address_space:  global
        .offset:         24
        .size:           8
        .value_kind:     global_buffer
      - .offset:         32
        .size:           8
        .value_kind:     by_value
      - .offset:         40
        .size:           4
        .value_kind:     by_value
      - .offset:         48
        .size:           8
        .value_kind:     by_value
      - .address_space:  global
        .offset:         56
        .size:           8
        .value_kind:     global_buffer
      - .offset:         64
        .size:           8
        .value_kind:     by_value
      - .offset:         72
        .size:           4
        .value_kind:     by_value
      - .offset:         80
        .size:           8
        .value_kind:     by_value
      - .address_space:  global
        .offset:         88
        .size:           8
        .value_kind:     global_buffer
      - .offset:         96
        .size:           8
        .value_kind:     by_value
      - .address_space:  global
        .offset:         104
        .size:           8
        .value_kind:     global_buffer
      - .offset:         112
        .size:           8
        .value_kind:     by_value
      - .offset:         120
        .size:           4
        .value_kind:     by_value
      - .offset:         128
        .size:           8
        .value_kind:     by_value
      - .offset:         136
        .size:           4
        .value_kind:     by_value
    .group_segment_fixed_size: 1024
    .kernarg_segment_align: 8
    .kernarg_segment_size: 140
    .language:       OpenCL C
    .language_version:
      - 2
      - 0
    .max_flat_workgroup_size: 256
    .name:           _ZL20rocblas_gemvt_kernelILb0ELi256E16rocblas_bfloat16PKffEviiT2_lPKT1_lilS6_lilS3_lPT3_lili
    .private_segment_fixed_size: 0
    .sgpr_count:     28
    .sgpr_spill_count: 0
    .symbol:         _ZL20rocblas_gemvt_kernelILb0ELi256E16rocblas_bfloat16PKffEviiT2_lPKT1_lilS6_lilS3_lPT3_lili.kd
    .uniform_work_group_size: 1
    .uses_dynamic_stack: false
    .vgpr_count:     11
    .vgpr_spill_count: 0
    .wavefront_size: 32
    .workgroup_processor_mode: 1
  - .args:
      - .offset:         0
        .size:           4
        .value_kind:     by_value
      - .offset:         4
        .size:           4
        .value_kind:     by_value
      - .offset:         8
        .size:           4
        .value_kind:     by_value
      - .offset:         16
        .size:           8
        .value_kind:     by_value
      - .address_space:  global
        .offset:         24
        .size:           8
        .value_kind:     global_buffer
      - .offset:         32
        .size:           8
        .value_kind:     by_value
      - .offset:         40
        .size:           4
        .value_kind:     by_value
      - .offset:         48
        .size:           8
        .value_kind:     by_value
      - .address_space:  global
        .offset:         56
        .size:           8
        .value_kind:     global_buffer
      - .offset:         64
        .size:           8
        .value_kind:     by_value
      - .offset:         72
        .size:           4
        .value_kind:     by_value
      - .offset:         80
        .size:           8
        .value_kind:     by_value
      - .offset:         88
        .size:           4
        .value_kind:     by_value
      - .offset:         96
        .size:           8
        .value_kind:     by_value
      - .address_space:  global
        .offset:         104
        .size:           8
        .value_kind:     global_buffer
      - .offset:         112
        .size:           8
        .value_kind:     by_value
      - .offset:         120
        .size:           4
        .value_kind:     by_value
      - .offset:         128
        .size:           8
        .value_kind:     by_value
      - .offset:         136
        .size:           4
        .value_kind:     by_value
    .group_segment_fixed_size: 1024
    .kernarg_segment_align: 8
    .kernarg_segment_size: 140
    .language:       OpenCL C
    .language_version:
      - 2
      - 0
    .max_flat_workgroup_size: 256
    .name:           _ZL20rocblas_gemvt_kernelILb0ELi256E16rocblas_bfloat16ffEviiT2_lPKT1_lilS4_lilS1_lPT3_lili
    .private_segment_fixed_size: 0
    .sgpr_count:     30
    .sgpr_spill_count: 0
    .symbol:         _ZL20rocblas_gemvt_kernelILb0ELi256E16rocblas_bfloat16ffEviiT2_lPKT1_lilS4_lilS1_lPT3_lili.kd
    .uniform_work_group_size: 1
    .uses_dynamic_stack: false
    .vgpr_count:     11
    .vgpr_spill_count: 0
    .wavefront_size: 32
    .workgroup_processor_mode: 1
  - .args:
      - .offset:         0
        .size:           4
        .value_kind:     by_value
      - .offset:         4
        .size:           4
        .value_kind:     by_value
      - .address_space:  global
        .offset:         8
        .size:           8
        .value_kind:     global_buffer
      - .offset:         16
        .size:           8
        .value_kind:     by_value
      - .address_space:  global
        .offset:         24
        .size:           8
        .value_kind:     global_buffer
      - .offset:         32
        .size:           8
        .value_kind:     by_value
      - .offset:         40
        .size:           4
        .value_kind:     by_value
      - .offset:         48
        .size:           8
        .value_kind:     by_value
      - .address_space:  global
        .offset:         56
        .size:           8
        .value_kind:     global_buffer
      - .offset:         64
        .size:           8
        .value_kind:     by_value
      - .offset:         72
        .size:           4
        .value_kind:     by_value
      - .offset:         80
        .size:           8
        .value_kind:     by_value
      - .address_space:  global
        .offset:         88
        .size:           8
        .value_kind:     global_buffer
      - .offset:         96
        .size:           8
        .value_kind:     by_value
      - .address_space:  global
        .offset:         104
        .size:           8
        .value_kind:     global_buffer
      - .offset:         112
        .size:           8
        .value_kind:     by_value
      - .offset:         120
        .size:           4
        .value_kind:     by_value
      - .offset:         128
        .size:           8
        .value_kind:     by_value
      - .offset:         136
        .size:           4
        .value_kind:     by_value
    .group_segment_fixed_size: 128
    .kernarg_segment_align: 8
    .kernarg_segment_size: 140
    .language:       OpenCL C
    .language_version:
      - 2
      - 0
    .max_flat_workgroup_size: 1024
    .name:           _ZL32rocblas_gemvt_warp_reduce_kernelILb0ELi1024Ei16rocblas_bfloat16PKffEviiT3_lPKT2_lT1_lS6_lS7_lS3_lPT4_lS7_li
    .private_segment_fixed_size: 0
    .sgpr_count:     28
    .sgpr_spill_count: 0
    .symbol:         _ZL32rocblas_gemvt_warp_reduce_kernelILb0ELi1024Ei16rocblas_bfloat16PKffEviiT3_lPKT2_lT1_lS6_lS7_lS3_lPT4_lS7_li.kd
    .uniform_work_group_size: 1
    .uses_dynamic_stack: false
    .vgpr_count:     12
    .vgpr_spill_count: 0
    .wavefront_size: 32
    .workgroup_processor_mode: 1
  - .args:
      - .offset:         0
        .size:           4
        .value_kind:     by_value
      - .offset:         4
        .size:           4
        .value_kind:     by_value
      - .address_space:  global
        .offset:         8
        .size:           8
        .value_kind:     global_buffer
      - .offset:         16
        .size:           8
        .value_kind:     by_value
      - .address_space:  global
        .offset:         24
        .size:           8
        .value_kind:     global_buffer
      - .offset:         32
        .size:           8
        .value_kind:     by_value
      - .offset:         40
        .size:           8
        .value_kind:     by_value
      - .offset:         48
        .size:           8
        .value_kind:     by_value
      - .address_space:  global
        .offset:         56
        .size:           8
        .value_kind:     global_buffer
      - .offset:         64
        .size:           8
        .value_kind:     by_value
      - .offset:         72
        .size:           8
        .value_kind:     by_value
      - .offset:         80
        .size:           8
        .value_kind:     by_value
      - .address_space:  global
        .offset:         88
        .size:           8
        .value_kind:     global_buffer
      - .offset:         96
        .size:           8
        .value_kind:     by_value
      - .address_space:  global
        .offset:         104
        .size:           8
        .value_kind:     global_buffer
      - .offset:         112
        .size:           8
        .value_kind:     by_value
      - .offset:         120
        .size:           8
        .value_kind:     by_value
      - .offset:         128
        .size:           8
        .value_kind:     by_value
      - .offset:         136
        .size:           4
        .value_kind:     by_value
    .group_segment_fixed_size: 128
    .kernarg_segment_align: 8
    .kernarg_segment_size: 140
    .language:       OpenCL C
    .language_version:
      - 2
      - 0
    .max_flat_workgroup_size: 1024
    .name:           _ZL32rocblas_gemvt_warp_reduce_kernelILb0ELi1024El16rocblas_bfloat16PKffEviiT3_lPKT2_lT1_lS6_lS7_lS3_lPT4_lS7_li
    .private_segment_fixed_size: 0
    .sgpr_count:     54
    .sgpr_spill_count: 0
    .symbol:         _ZL32rocblas_gemvt_warp_reduce_kernelILb0ELi1024El16rocblas_bfloat16PKffEviiT3_lPKT2_lT1_lS6_lS7_lS3_lPT4_lS7_li.kd
    .uniform_work_group_size: 1
    .uses_dynamic_stack: false
    .vgpr_count:     12
    .vgpr_spill_count: 0
    .wavefront_size: 32
    .workgroup_processor_mode: 1
  - .args:
      - .offset:         0
        .size:           4
        .value_kind:     by_value
      - .offset:         4
        .size:           4
        .value_kind:     by_value
      - .offset:         8
        .size:           4
        .value_kind:     by_value
      - .offset:         16
        .size:           8
        .value_kind:     by_value
      - .address_space:  global
        .offset:         24
        .size:           8
        .value_kind:     global_buffer
      - .offset:         32
        .size:           8
        .value_kind:     by_value
      - .offset:         40
        .size:           4
        .value_kind:     by_value
      - .offset:         48
        .size:           8
        .value_kind:     by_value
      - .address_space:  global
        .offset:         56
        .size:           8
        .value_kind:     global_buffer
      - .offset:         64
        .size:           8
        .value_kind:     by_value
      - .offset:         72
        .size:           4
        .value_kind:     by_value
      - .offset:         80
        .size:           8
        .value_kind:     by_value
      - .offset:         88
        .size:           4
        .value_kind:     by_value
      - .offset:         96
        .size:           8
        .value_kind:     by_value
      - .address_space:  global
        .offset:         104
        .size:           8
        .value_kind:     global_buffer
      - .offset:         112
        .size:           8
        .value_kind:     by_value
      - .offset:         120
        .size:           4
        .value_kind:     by_value
      - .offset:         128
        .size:           8
        .value_kind:     by_value
      - .offset:         136
        .size:           4
        .value_kind:     by_value
    .group_segment_fixed_size: 128
    .kernarg_segment_align: 8
    .kernarg_segment_size: 140
    .language:       OpenCL C
    .language_version:
      - 2
      - 0
    .max_flat_workgroup_size: 1024
    .name:           _ZL32rocblas_gemvt_warp_reduce_kernelILb0ELi1024Ei16rocblas_bfloat16ffEviiT3_lPKT2_lT1_lS4_lS5_lS1_lPT4_lS5_li
    .private_segment_fixed_size: 0
    .sgpr_count:     27
    .sgpr_spill_count: 0
    .symbol:         _ZL32rocblas_gemvt_warp_reduce_kernelILb0ELi1024Ei16rocblas_bfloat16ffEviiT3_lPKT2_lT1_lS4_lS5_lS1_lPT4_lS5_li.kd
    .uniform_work_group_size: 1
    .uses_dynamic_stack: false
    .vgpr_count:     12
    .vgpr_spill_count: 0
    .wavefront_size: 32
    .workgroup_processor_mode: 1
  - .args:
      - .offset:         0
        .size:           4
        .value_kind:     by_value
      - .offset:         4
        .size:           4
        .value_kind:     by_value
      - .offset:         8
        .size:           4
        .value_kind:     by_value
      - .offset:         16
        .size:           8
        .value_kind:     by_value
      - .address_space:  global
        .offset:         24
        .size:           8
        .value_kind:     global_buffer
      - .offset:         32
        .size:           8
        .value_kind:     by_value
      - .offset:         40
        .size:           8
        .value_kind:     by_value
      - .offset:         48
        .size:           8
        .value_kind:     by_value
      - .address_space:  global
        .offset:         56
        .size:           8
        .value_kind:     global_buffer
      - .offset:         64
        .size:           8
        .value_kind:     by_value
      - .offset:         72
        .size:           8
        .value_kind:     by_value
      - .offset:         80
        .size:           8
        .value_kind:     by_value
      - .offset:         88
        .size:           4
        .value_kind:     by_value
      - .offset:         96
        .size:           8
        .value_kind:     by_value
      - .address_space:  global
        .offset:         104
        .size:           8
        .value_kind:     global_buffer
      - .offset:         112
        .size:           8
        .value_kind:     by_value
      - .offset:         120
        .size:           8
        .value_kind:     by_value
      - .offset:         128
        .size:           8
        .value_kind:     by_value
      - .offset:         136
        .size:           4
        .value_kind:     by_value
    .group_segment_fixed_size: 128
    .kernarg_segment_align: 8
    .kernarg_segment_size: 140
    .language:       OpenCL C
    .language_version:
      - 2
      - 0
    .max_flat_workgroup_size: 1024
    .name:           _ZL32rocblas_gemvt_warp_reduce_kernelILb0ELi1024El16rocblas_bfloat16ffEviiT3_lPKT2_lT1_lS4_lS5_lS1_lPT4_lS5_li
    .private_segment_fixed_size: 0
    .sgpr_count:     38
    .sgpr_spill_count: 0
    .symbol:         _ZL32rocblas_gemvt_warp_reduce_kernelILb0ELi1024El16rocblas_bfloat16ffEviiT3_lPKT2_lT1_lS4_lS5_lS1_lPT4_lS5_li.kd
    .uniform_work_group_size: 1
    .uses_dynamic_stack: false
    .vgpr_count:     12
    .vgpr_spill_count: 0
    .wavefront_size: 32
    .workgroup_processor_mode: 1
  - .args:
      - .offset:         0
        .size:           4
        .value_kind:     by_value
      - .offset:         4
        .size:           4
        .value_kind:     by_value
      - .address_space:  global
        .offset:         8
        .size:           8
        .value_kind:     global_buffer
      - .offset:         16
        .size:           8
        .value_kind:     by_value
      - .address_space:  global
        .offset:         24
        .size:           8
        .value_kind:     global_buffer
      - .offset:         32
        .size:           8
        .value_kind:     by_value
      - .offset:         40
        .size:           4
        .value_kind:     by_value
      - .offset:         48
        .size:           8
        .value_kind:     by_value
      - .address_space:  global
        .offset:         56
        .size:           8
        .value_kind:     global_buffer
      - .offset:         64
        .size:           8
        .value_kind:     by_value
      - .offset:         72
        .size:           4
        .value_kind:     by_value
      - .offset:         80
        .size:           8
        .value_kind:     by_value
      - .address_space:  global
        .offset:         88
        .size:           8
        .value_kind:     global_buffer
      - .offset:         96
        .size:           8
        .value_kind:     by_value
      - .address_space:  global
        .offset:         104
        .size:           8
        .value_kind:     global_buffer
      - .offset:         112
        .size:           8
        .value_kind:     by_value
      - .offset:         120
        .size:           4
        .value_kind:     by_value
      - .offset:         128
        .size:           8
        .value_kind:     by_value
    .group_segment_fixed_size: 256
    .kernarg_segment_align: 8
    .kernarg_segment_size: 136
    .language:       OpenCL C
    .language_version:
      - 2
      - 0
    .max_flat_workgroup_size: 256
    .name:           _ZL22rocblas_gemvtsm_kernelILb1ELi256E16rocblas_bfloat16PKffEviiT2_lPKT1_lilS6_lilS3_lPT3_lil
    .private_segment_fixed_size: 0
    .sgpr_count:     31
    .sgpr_spill_count: 0
    .symbol:         _ZL22rocblas_gemvtsm_kernelILb1ELi256E16rocblas_bfloat16PKffEviiT2_lPKT1_lilS6_lilS3_lPT3_lil.kd
    .uniform_work_group_size: 1
    .uses_dynamic_stack: false
    .vgpr_count:     16
    .vgpr_spill_count: 0
    .wavefront_size: 32
    .workgroup_processor_mode: 1
  - .args:
      - .offset:         0
        .size:           4
        .value_kind:     by_value
      - .offset:         4
        .size:           4
        .value_kind:     by_value
      - .offset:         8
        .size:           4
        .value_kind:     by_value
      - .offset:         16
        .size:           8
        .value_kind:     by_value
      - .address_space:  global
        .offset:         24
        .size:           8
        .value_kind:     global_buffer
      - .offset:         32
        .size:           8
        .value_kind:     by_value
      - .offset:         40
        .size:           4
        .value_kind:     by_value
      - .offset:         48
        .size:           8
        .value_kind:     by_value
      - .address_space:  global
        .offset:         56
        .size:           8
        .value_kind:     global_buffer
      - .offset:         64
        .size:           8
        .value_kind:     by_value
      - .offset:         72
        .size:           4
        .value_kind:     by_value
      - .offset:         80
        .size:           8
        .value_kind:     by_value
      - .offset:         88
        .size:           4
        .value_kind:     by_value
      - .offset:         96
        .size:           8
        .value_kind:     by_value
      - .address_space:  global
        .offset:         104
        .size:           8
        .value_kind:     global_buffer
      - .offset:         112
        .size:           8
        .value_kind:     by_value
      - .offset:         120
        .size:           4
        .value_kind:     by_value
      - .offset:         128
        .size:           8
        .value_kind:     by_value
    .group_segment_fixed_size: 256
    .kernarg_segment_align: 8
    .kernarg_segment_size: 136
    .language:       OpenCL C
    .language_version:
      - 2
      - 0
    .max_flat_workgroup_size: 256
    .name:           _ZL22rocblas_gemvtsm_kernelILb1ELi256E16rocblas_bfloat16ffEviiT2_lPKT1_lilS4_lilS1_lPT3_lil
    .private_segment_fixed_size: 0
    .sgpr_count:     28
    .sgpr_spill_count: 0
    .symbol:         _ZL22rocblas_gemvtsm_kernelILb1ELi256E16rocblas_bfloat16ffEviiT2_lPKT1_lilS4_lilS1_lPT3_lil.kd
    .uniform_work_group_size: 1
    .uses_dynamic_stack: false
    .vgpr_count:     16
    .vgpr_spill_count: 0
    .wavefront_size: 32
    .workgroup_processor_mode: 1
  - .args:
      - .offset:         0
        .size:           4
        .value_kind:     by_value
      - .offset:         4
        .size:           4
        .value_kind:     by_value
      - .address_space:  global
        .offset:         8
        .size:           8
        .value_kind:     global_buffer
      - .offset:         16
        .size:           8
        .value_kind:     by_value
      - .address_space:  global
        .offset:         24
        .size:           8
        .value_kind:     global_buffer
      - .offset:         32
        .size:           8
        .value_kind:     by_value
      - .offset:         40
        .size:           4
        .value_kind:     by_value
      - .offset:         48
        .size:           8
        .value_kind:     by_value
      - .address_space:  global
        .offset:         56
        .size:           8
        .value_kind:     global_buffer
      - .offset:         64
        .size:           8
        .value_kind:     by_value
      - .offset:         72
        .size:           4
        .value_kind:     by_value
      - .offset:         80
        .size:           8
        .value_kind:     by_value
      - .address_space:  global
        .offset:         88
        .size:           8
        .value_kind:     global_buffer
      - .offset:         96
        .size:           8
        .value_kind:     by_value
      - .address_space:  global
        .offset:         104
        .size:           8
        .value_kind:     global_buffer
      - .offset:         112
        .size:           8
        .value_kind:     by_value
      - .offset:         120
        .size:           4
        .value_kind:     by_value
      - .offset:         128
        .size:           8
        .value_kind:     by_value
      - .offset:         136
        .size:           4
        .value_kind:     by_value
    .group_segment_fixed_size: 1024
    .kernarg_segment_align: 8
    .kernarg_segment_size: 140
    .language:       OpenCL C
    .language_version:
      - 2
      - 0
    .max_flat_workgroup_size: 256
    .name:           _ZL20rocblas_gemvt_kernelILb1ELi256E16rocblas_bfloat16PKffEviiT2_lPKT1_lilS6_lilS3_lPT3_lili
    .private_segment_fixed_size: 0
    .sgpr_count:     28
    .sgpr_spill_count: 0
    .symbol:         _ZL20rocblas_gemvt_kernelILb1ELi256E16rocblas_bfloat16PKffEviiT2_lPKT1_lilS6_lilS3_lPT3_lili.kd
    .uniform_work_group_size: 1
    .uses_dynamic_stack: false
    .vgpr_count:     11
    .vgpr_spill_count: 0
    .wavefront_size: 32
    .workgroup_processor_mode: 1
  - .args:
      - .offset:         0
        .size:           4
        .value_kind:     by_value
      - .offset:         4
        .size:           4
        .value_kind:     by_value
      - .offset:         8
        .size:           4
        .value_kind:     by_value
      - .offset:         16
        .size:           8
        .value_kind:     by_value
      - .address_space:  global
        .offset:         24
        .size:           8
        .value_kind:     global_buffer
      - .offset:         32
        .size:           8
        .value_kind:     by_value
      - .offset:         40
        .size:           4
        .value_kind:     by_value
      - .offset:         48
        .size:           8
        .value_kind:     by_value
      - .address_space:  global
        .offset:         56
        .size:           8
        .value_kind:     global_buffer
      - .offset:         64
        .size:           8
        .value_kind:     by_value
      - .offset:         72
        .size:           4
        .value_kind:     by_value
      - .offset:         80
        .size:           8
        .value_kind:     by_value
      - .offset:         88
        .size:           4
        .value_kind:     by_value
      - .offset:         96
        .size:           8
        .value_kind:     by_value
      - .address_space:  global
        .offset:         104
        .size:           8
        .value_kind:     global_buffer
      - .offset:         112
        .size:           8
        .value_kind:     by_value
      - .offset:         120
        .size:           4
        .value_kind:     by_value
      - .offset:         128
        .size:           8
        .value_kind:     by_value
      - .offset:         136
        .size:           4
        .value_kind:     by_value
    .group_segment_fixed_size: 1024
    .kernarg_segment_align: 8
    .kernarg_segment_size: 140
    .language:       OpenCL C
    .language_version:
      - 2
      - 0
    .max_flat_workgroup_size: 256
    .name:           _ZL20rocblas_gemvt_kernelILb1ELi256E16rocblas_bfloat16ffEviiT2_lPKT1_lilS4_lilS1_lPT3_lili
    .private_segment_fixed_size: 0
    .sgpr_count:     30
    .sgpr_spill_count: 0
    .symbol:         _ZL20rocblas_gemvt_kernelILb1ELi256E16rocblas_bfloat16ffEviiT2_lPKT1_lilS4_lilS1_lPT3_lili.kd
    .uniform_work_group_size: 1
    .uses_dynamic_stack: false
    .vgpr_count:     11
    .vgpr_spill_count: 0
    .wavefront_size: 32
    .workgroup_processor_mode: 1
  - .args:
      - .offset:         0
        .size:           4
        .value_kind:     by_value
      - .offset:         4
        .size:           4
        .value_kind:     by_value
      - .address_space:  global
        .offset:         8
        .size:           8
        .value_kind:     global_buffer
      - .offset:         16
        .size:           8
        .value_kind:     by_value
      - .address_space:  global
        .offset:         24
        .size:           8
        .value_kind:     global_buffer
      - .offset:         32
        .size:           8
        .value_kind:     by_value
      - .offset:         40
        .size:           4
        .value_kind:     by_value
      - .offset:         48
        .size:           8
        .value_kind:     by_value
      - .address_space:  global
        .offset:         56
        .size:           8
        .value_kind:     global_buffer
      - .offset:         64
        .size:           8
        .value_kind:     by_value
      - .offset:         72
        .size:           4
        .value_kind:     by_value
      - .offset:         80
        .size:           8
        .value_kind:     by_value
      - .address_space:  global
        .offset:         88
        .size:           8
        .value_kind:     global_buffer
      - .offset:         96
        .size:           8
        .value_kind:     by_value
      - .address_space:  global
        .offset:         104
        .size:           8
        .value_kind:     global_buffer
      - .offset:         112
        .size:           8
        .value_kind:     by_value
      - .offset:         120
        .size:           4
        .value_kind:     by_value
      - .offset:         128
        .size:           8
        .value_kind:     by_value
      - .offset:         136
        .size:           4
        .value_kind:     by_value
    .group_segment_fixed_size: 128
    .kernarg_segment_align: 8
    .kernarg_segment_size: 140
    .language:       OpenCL C
    .language_version:
      - 2
      - 0
    .max_flat_workgroup_size: 1024
    .name:           _ZL32rocblas_gemvt_warp_reduce_kernelILb1ELi1024Ei16rocblas_bfloat16PKffEviiT3_lPKT2_lT1_lS6_lS7_lS3_lPT4_lS7_li
    .private_segment_fixed_size: 0
    .sgpr_count:     28
    .sgpr_spill_count: 0
    .symbol:         _ZL32rocblas_gemvt_warp_reduce_kernelILb1ELi1024Ei16rocblas_bfloat16PKffEviiT3_lPKT2_lT1_lS6_lS7_lS3_lPT4_lS7_li.kd
    .uniform_work_group_size: 1
    .uses_dynamic_stack: false
    .vgpr_count:     12
    .vgpr_spill_count: 0
    .wavefront_size: 32
    .workgroup_processor_mode: 1
  - .args:
      - .offset:         0
        .size:           4
        .value_kind:     by_value
      - .offset:         4
        .size:           4
        .value_kind:     by_value
      - .address_space:  global
        .offset:         8
        .size:           8
        .value_kind:     global_buffer
      - .offset:         16
        .size:           8
        .value_kind:     by_value
      - .address_space:  global
        .offset:         24
        .size:           8
        .value_kind:     global_buffer
      - .offset:         32
        .size:           8
        .value_kind:     by_value
      - .offset:         40
        .size:           8
        .value_kind:     by_value
      - .offset:         48
        .size:           8
        .value_kind:     by_value
      - .address_space:  global
        .offset:         56
        .size:           8
        .value_kind:     global_buffer
      - .offset:         64
        .size:           8
        .value_kind:     by_value
      - .offset:         72
        .size:           8
        .value_kind:     by_value
      - .offset:         80
        .size:           8
        .value_kind:     by_value
      - .address_space:  global
        .offset:         88
        .size:           8
        .value_kind:     global_buffer
      - .offset:         96
        .size:           8
        .value_kind:     by_value
      - .address_space:  global
        .offset:         104
        .size:           8
        .value_kind:     global_buffer
      - .offset:         112
        .size:           8
        .value_kind:     by_value
      - .offset:         120
        .size:           8
        .value_kind:     by_value
      - .offset:         128
        .size:           8
        .value_kind:     by_value
      - .offset:         136
        .size:           4
        .value_kind:     by_value
    .group_segment_fixed_size: 128
    .kernarg_segment_align: 8
    .kernarg_segment_size: 140
    .language:       OpenCL C
    .language_version:
      - 2
      - 0
    .max_flat_workgroup_size: 1024
    .name:           _ZL32rocblas_gemvt_warp_reduce_kernelILb1ELi1024El16rocblas_bfloat16PKffEviiT3_lPKT2_lT1_lS6_lS7_lS3_lPT4_lS7_li
    .private_segment_fixed_size: 0
    .sgpr_count:     54
    .sgpr_spill_count: 0
    .symbol:         _ZL32rocblas_gemvt_warp_reduce_kernelILb1ELi1024El16rocblas_bfloat16PKffEviiT3_lPKT2_lT1_lS6_lS7_lS3_lPT4_lS7_li.kd
    .uniform_work_group_size: 1
    .uses_dynamic_stack: false
    .vgpr_count:     12
    .vgpr_spill_count: 0
    .wavefront_size: 32
    .workgroup_processor_mode: 1
  - .args:
      - .offset:         0
        .size:           4
        .value_kind:     by_value
      - .offset:         4
        .size:           4
        .value_kind:     by_value
      - .offset:         8
        .size:           4
        .value_kind:     by_value
      - .offset:         16
        .size:           8
        .value_kind:     by_value
      - .address_space:  global
        .offset:         24
        .size:           8
        .value_kind:     global_buffer
      - .offset:         32
        .size:           8
        .value_kind:     by_value
      - .offset:         40
        .size:           4
        .value_kind:     by_value
      - .offset:         48
        .size:           8
        .value_kind:     by_value
      - .address_space:  global
        .offset:         56
        .size:           8
        .value_kind:     global_buffer
      - .offset:         64
        .size:           8
        .value_kind:     by_value
      - .offset:         72
        .size:           4
        .value_kind:     by_value
      - .offset:         80
        .size:           8
        .value_kind:     by_value
      - .offset:         88
        .size:           4
        .value_kind:     by_value
      - .offset:         96
        .size:           8
        .value_kind:     by_value
      - .address_space:  global
        .offset:         104
        .size:           8
        .value_kind:     global_buffer
      - .offset:         112
        .size:           8
        .value_kind:     by_value
      - .offset:         120
        .size:           4
        .value_kind:     by_value
      - .offset:         128
        .size:           8
        .value_kind:     by_value
      - .offset:         136
        .size:           4
        .value_kind:     by_value
    .group_segment_fixed_size: 128
    .kernarg_segment_align: 8
    .kernarg_segment_size: 140
    .language:       OpenCL C
    .language_version:
      - 2
      - 0
    .max_flat_workgroup_size: 1024
    .name:           _ZL32rocblas_gemvt_warp_reduce_kernelILb1ELi1024Ei16rocblas_bfloat16ffEviiT3_lPKT2_lT1_lS4_lS5_lS1_lPT4_lS5_li
    .private_segment_fixed_size: 0
    .sgpr_count:     27
    .sgpr_spill_count: 0
    .symbol:         _ZL32rocblas_gemvt_warp_reduce_kernelILb1ELi1024Ei16rocblas_bfloat16ffEviiT3_lPKT2_lT1_lS4_lS5_lS1_lPT4_lS5_li.kd
    .uniform_work_group_size: 1
    .uses_dynamic_stack: false
    .vgpr_count:     12
    .vgpr_spill_count: 0
    .wavefront_size: 32
    .workgroup_processor_mode: 1
  - .args:
      - .offset:         0
        .size:           4
        .value_kind:     by_value
      - .offset:         4
        .size:           4
        .value_kind:     by_value
      - .offset:         8
        .size:           4
        .value_kind:     by_value
      - .offset:         16
        .size:           8
        .value_kind:     by_value
      - .address_space:  global
        .offset:         24
        .size:           8
        .value_kind:     global_buffer
      - .offset:         32
        .size:           8
        .value_kind:     by_value
      - .offset:         40
        .size:           8
        .value_kind:     by_value
      - .offset:         48
        .size:           8
        .value_kind:     by_value
      - .address_space:  global
        .offset:         56
        .size:           8
        .value_kind:     global_buffer
      - .offset:         64
        .size:           8
        .value_kind:     by_value
      - .offset:         72
        .size:           8
        .value_kind:     by_value
      - .offset:         80
        .size:           8
        .value_kind:     by_value
      - .offset:         88
        .size:           4
        .value_kind:     by_value
      - .offset:         96
        .size:           8
        .value_kind:     by_value
      - .address_space:  global
        .offset:         104
        .size:           8
        .value_kind:     global_buffer
      - .offset:         112
        .size:           8
        .value_kind:     by_value
      - .offset:         120
        .size:           8
        .value_kind:     by_value
      - .offset:         128
        .size:           8
        .value_kind:     by_value
      - .offset:         136
        .size:           4
        .value_kind:     by_value
    .group_segment_fixed_size: 128
    .kernarg_segment_align: 8
    .kernarg_segment_size: 140
    .language:       OpenCL C
    .language_version:
      - 2
      - 0
    .max_flat_workgroup_size: 1024
    .name:           _ZL32rocblas_gemvt_warp_reduce_kernelILb1ELi1024El16rocblas_bfloat16ffEviiT3_lPKT2_lT1_lS4_lS5_lS1_lPT4_lS5_li
    .private_segment_fixed_size: 0
    .sgpr_count:     38
    .sgpr_spill_count: 0
    .symbol:         _ZL32rocblas_gemvt_warp_reduce_kernelILb1ELi1024El16rocblas_bfloat16ffEviiT3_lPKT2_lT1_lS4_lS5_lS1_lPT4_lS5_li.kd
    .uniform_work_group_size: 1
    .uses_dynamic_stack: false
    .vgpr_count:     12
    .vgpr_spill_count: 0
    .wavefront_size: 32
    .workgroup_processor_mode: 1
  - .args:
      - .offset:         0
        .size:           4
        .value_kind:     by_value
      - .offset:         4
        .size:           4
        .value_kind:     by_value
      - .address_space:  global
        .offset:         8
        .size:           8
        .value_kind:     global_buffer
      - .offset:         16
        .size:           8
        .value_kind:     by_value
      - .address_space:  global
        .offset:         24
        .size:           8
        .value_kind:     global_buffer
      - .offset:         32
        .size:           8
        .value_kind:     by_value
      - .offset:         40
        .size:           4
        .value_kind:     by_value
      - .offset:         48
        .size:           8
        .value_kind:     by_value
      - .address_space:  global
        .offset:         56
        .size:           8
        .value_kind:     global_buffer
      - .offset:         64
        .size:           8
        .value_kind:     by_value
      - .offset:         72
        .size:           4
        .value_kind:     by_value
      - .offset:         80
        .size:           8
        .value_kind:     by_value
      - .address_space:  global
        .offset:         88
        .size:           8
        .value_kind:     global_buffer
      - .offset:         96
        .size:           8
        .value_kind:     by_value
      - .address_space:  global
        .offset:         104
        .size:           8
        .value_kind:     global_buffer
      - .offset:         112
        .size:           8
        .value_kind:     by_value
      - .offset:         120
        .size:           4
        .value_kind:     by_value
      - .offset:         128
        .size:           8
        .value_kind:     by_value
      - .offset:         136
        .size:           4
        .value_kind:     by_value
    .group_segment_fixed_size: 0
    .kernarg_segment_align: 8
    .kernarg_segment_size: 140
    .language:       OpenCL C
    .language_version:
      - 2
      - 0
    .max_flat_workgroup_size: 768
    .name:           _ZL34rocblas_gemvn_sm_mn_batched_kernelILi32ELi24EPK16rocblas_bfloat16PKfKPfEviiT2_lPKT1_lilSA_lilS7_lPT3_lili
    .private_segment_fixed_size: 0
    .sgpr_count:     0
    .sgpr_spill_count: 0
    .symbol:         _ZL34rocblas_gemvn_sm_mn_batched_kernelILi32ELi24EPK16rocblas_bfloat16PKfKPfEviiT2_lPKT1_lilSA_lilS7_lPT3_lili.kd
    .uniform_work_group_size: 1
    .uses_dynamic_stack: false
    .vgpr_count:     0
    .vgpr_spill_count: 0
    .wavefront_size: 32
    .workgroup_processor_mode: 1
  - .args:
      - .offset:         0
        .size:           4
        .value_kind:     by_value
      - .offset:         4
        .size:           4
        .value_kind:     by_value
      - .offset:         8
        .size:           4
        .value_kind:     by_value
      - .offset:         16
        .size:           8
        .value_kind:     by_value
      - .address_space:  global
        .offset:         24
        .size:           8
        .value_kind:     global_buffer
      - .offset:         32
        .size:           8
        .value_kind:     by_value
      - .offset:         40
        .size:           4
        .value_kind:     by_value
      - .offset:         48
        .size:           8
        .value_kind:     by_value
      - .address_space:  global
        .offset:         56
        .size:           8
        .value_kind:     global_buffer
      - .offset:         64
        .size:           8
        .value_kind:     by_value
      - .offset:         72
        .size:           4
        .value_kind:     by_value
      - .offset:         80
        .size:           8
        .value_kind:     by_value
      - .offset:         88
        .size:           4
        .value_kind:     by_value
      - .offset:         96
        .size:           8
        .value_kind:     by_value
      - .address_space:  global
        .offset:         104
        .size:           8
        .value_kind:     global_buffer
      - .offset:         112
        .size:           8
        .value_kind:     by_value
      - .offset:         120
        .size:           4
        .value_kind:     by_value
      - .offset:         128
        .size:           8
        .value_kind:     by_value
      - .offset:         136
        .size:           4
        .value_kind:     by_value
    .group_segment_fixed_size: 0
    .kernarg_segment_align: 8
    .kernarg_segment_size: 140
    .language:       OpenCL C
    .language_version:
      - 2
      - 0
    .max_flat_workgroup_size: 768
    .name:           _ZL34rocblas_gemvn_sm_mn_batched_kernelILi32ELi24EPK16rocblas_bfloat16fKPfEviiT2_lPKT1_lilS8_lilS5_lPT3_lili
    .private_segment_fixed_size: 0
    .sgpr_count:     0
    .sgpr_spill_count: 0
    .symbol:         _ZL34rocblas_gemvn_sm_mn_batched_kernelILi32ELi24EPK16rocblas_bfloat16fKPfEviiT2_lPKT1_lilS8_lilS5_lPT3_lili.kd
    .uniform_work_group_size: 1
    .uses_dynamic_stack: false
    .vgpr_count:     0
    .vgpr_spill_count: 0
    .wavefront_size: 32
    .workgroup_processor_mode: 1
  - .args:
      - .offset:         0
        .size:           4
        .value_kind:     by_value
      - .offset:         4
        .size:           4
        .value_kind:     by_value
      - .address_space:  global
        .offset:         8
        .size:           8
        .value_kind:     global_buffer
      - .offset:         16
        .size:           8
        .value_kind:     by_value
      - .address_space:  global
        .offset:         24
        .size:           8
        .value_kind:     global_buffer
      - .offset:         32
        .size:           8
        .value_kind:     by_value
      - .offset:         40
        .size:           4
        .value_kind:     by_value
      - .offset:         48
        .size:           8
        .value_kind:     by_value
      - .address_space:  global
        .offset:         56
        .size:           8
        .value_kind:     global_buffer
      - .offset:         64
        .size:           8
        .value_kind:     by_value
      - .offset:         72
        .size:           4
        .value_kind:     by_value
      - .offset:         80
        .size:           8
        .value_kind:     by_value
      - .address_space:  global
        .offset:         88
        .size:           8
        .value_kind:     global_buffer
      - .offset:         96
        .size:           8
        .value_kind:     by_value
      - .address_space:  global
        .offset:         104
        .size:           8
        .value_kind:     global_buffer
      - .offset:         112
        .size:           8
        .value_kind:     by_value
      - .offset:         120
        .size:           4
        .value_kind:     by_value
      - .offset:         128
        .size:           8
        .value_kind:     by_value
      - .offset:         136
        .size:           4
        .value_kind:     by_value
      - .offset:         144
        .size:           4
        .value_kind:     hidden_block_count_x
      - .offset:         148
        .size:           4
        .value_kind:     hidden_block_count_y
      - .offset:         152
        .size:           4
        .value_kind:     hidden_block_count_z
      - .offset:         156
        .size:           2
        .value_kind:     hidden_group_size_x
      - .offset:         158
        .size:           2
        .value_kind:     hidden_group_size_y
      - .offset:         160
        .size:           2
        .value_kind:     hidden_group_size_z
      - .offset:         162
        .size:           2
        .value_kind:     hidden_remainder_x
      - .offset:         164
        .size:           2
        .value_kind:     hidden_remainder_y
      - .offset:         166
        .size:           2
        .value_kind:     hidden_remainder_z
      - .offset:         184
        .size:           8
        .value_kind:     hidden_global_offset_x
      - .offset:         192
        .size:           8
        .value_kind:     hidden_global_offset_y
      - .offset:         200
        .size:           8
        .value_kind:     hidden_global_offset_z
      - .offset:         208
        .size:           2
        .value_kind:     hidden_grid_dims
    .group_segment_fixed_size: 4096
    .kernarg_segment_align: 8
    .kernarg_segment_size: 400
    .language:       OpenCL C
    .language_version:
      - 2
      - 0
    .max_flat_workgroup_size: 256
    .name:           _ZL20rocblas_gemvn_kernelILi64ELi4EiPK16rocblas_bfloat16PKfKPfEviiT3_lPKT2_lT1_lSA_lSB_lS7_lPT4_lSB_li
    .private_segment_fixed_size: 0
    .sgpr_count:     30
    .sgpr_spill_count: 0
    .symbol:         _ZL20rocblas_gemvn_kernelILi64ELi4EiPK16rocblas_bfloat16PKfKPfEviiT3_lPKT2_lT1_lSA_lSB_lS7_lPT4_lSB_li.kd
    .uniform_work_group_size: 1
    .uses_dynamic_stack: false
    .vgpr_count:     42
    .vgpr_spill_count: 0
    .wavefront_size: 32
    .workgroup_processor_mode: 1
  - .args:
      - .offset:         0
        .size:           4
        .value_kind:     by_value
      - .offset:         4
        .size:           4
        .value_kind:     by_value
      - .address_space:  global
        .offset:         8
        .size:           8
        .value_kind:     global_buffer
      - .offset:         16
        .size:           8
        .value_kind:     by_value
      - .address_space:  global
        .offset:         24
        .size:           8
        .value_kind:     global_buffer
      - .offset:         32
        .size:           8
        .value_kind:     by_value
      - .offset:         40
        .size:           8
        .value_kind:     by_value
      - .offset:         48
        .size:           8
        .value_kind:     by_value
      - .address_space:  global
        .offset:         56
        .size:           8
        .value_kind:     global_buffer
      - .offset:         64
        .size:           8
        .value_kind:     by_value
      - .offset:         72
        .size:           8
        .value_kind:     by_value
      - .offset:         80
        .size:           8
        .value_kind:     by_value
      - .address_space:  global
        .offset:         88
        .size:           8
        .value_kind:     global_buffer
      - .offset:         96
        .size:           8
        .value_kind:     by_value
      - .address_space:  global
        .offset:         104
        .size:           8
        .value_kind:     global_buffer
      - .offset:         112
        .size:           8
        .value_kind:     by_value
      - .offset:         120
        .size:           8
        .value_kind:     by_value
      - .offset:         128
        .size:           8
        .value_kind:     by_value
      - .offset:         136
        .size:           4
        .value_kind:     by_value
      - .offset:         144
        .size:           4
        .value_kind:     hidden_block_count_x
      - .offset:         148
        .size:           4
        .value_kind:     hidden_block_count_y
      - .offset:         152
        .size:           4
        .value_kind:     hidden_block_count_z
      - .offset:         156
        .size:           2
        .value_kind:     hidden_group_size_x
      - .offset:         158
        .size:           2
        .value_kind:     hidden_group_size_y
      - .offset:         160
        .size:           2
        .value_kind:     hidden_group_size_z
      - .offset:         162
        .size:           2
        .value_kind:     hidden_remainder_x
      - .offset:         164
        .size:           2
        .value_kind:     hidden_remainder_y
      - .offset:         166
        .size:           2
        .value_kind:     hidden_remainder_z
      - .offset:         184
        .size:           8
        .value_kind:     hidden_global_offset_x
      - .offset:         192
        .size:           8
        .value_kind:     hidden_global_offset_y
      - .offset:         200
        .size:           8
        .value_kind:     hidden_global_offset_z
      - .offset:         208
        .size:           2
        .value_kind:     hidden_grid_dims
    .group_segment_fixed_size: 4096
    .kernarg_segment_align: 8
    .kernarg_segment_size: 400
    .language:       OpenCL C
    .language_version:
      - 2
      - 0
    .max_flat_workgroup_size: 256
    .name:           _ZL20rocblas_gemvn_kernelILi64ELi4ElPK16rocblas_bfloat16PKfKPfEviiT3_lPKT2_lT1_lSA_lSB_lS7_lPT4_lSB_li
    .private_segment_fixed_size: 0
    .sgpr_count:     37
    .sgpr_spill_count: 0
    .symbol:         _ZL20rocblas_gemvn_kernelILi64ELi4ElPK16rocblas_bfloat16PKfKPfEviiT3_lPKT2_lT1_lSA_lSB_lS7_lPT4_lSB_li.kd
    .uniform_work_group_size: 1
    .uses_dynamic_stack: false
    .vgpr_count:     52
    .vgpr_spill_count: 0
    .wavefront_size: 32
    .workgroup_processor_mode: 1
  - .args:
      - .offset:         0
        .size:           4
        .value_kind:     by_value
      - .offset:         4
        .size:           4
        .value_kind:     by_value
      - .offset:         8
        .size:           4
        .value_kind:     by_value
      - .offset:         16
        .size:           8
        .value_kind:     by_value
      - .address_space:  global
        .offset:         24
        .size:           8
        .value_kind:     global_buffer
      - .offset:         32
        .size:           8
        .value_kind:     by_value
      - .offset:         40
        .size:           4
        .value_kind:     by_value
      - .offset:         48
        .size:           8
        .value_kind:     by_value
      - .address_space:  global
        .offset:         56
        .size:           8
        .value_kind:     global_buffer
      - .offset:         64
        .size:           8
        .value_kind:     by_value
      - .offset:         72
        .size:           4
        .value_kind:     by_value
      - .offset:         80
        .size:           8
        .value_kind:     by_value
      - .offset:         88
        .size:           4
        .value_kind:     by_value
      - .offset:         96
        .size:           8
        .value_kind:     by_value
      - .address_space:  global
        .offset:         104
        .size:           8
        .value_kind:     global_buffer
      - .offset:         112
        .size:           8
        .value_kind:     by_value
      - .offset:         120
        .size:           4
        .value_kind:     by_value
      - .offset:         128
        .size:           8
        .value_kind:     by_value
      - .offset:         136
        .size:           4
        .value_kind:     by_value
      - .offset:         144
        .size:           4
        .value_kind:     hidden_block_count_x
      - .offset:         148
        .size:           4
        .value_kind:     hidden_block_count_y
      - .offset:         152
        .size:           4
        .value_kind:     hidden_block_count_z
      - .offset:         156
        .size:           2
        .value_kind:     hidden_group_size_x
      - .offset:         158
        .size:           2
        .value_kind:     hidden_group_size_y
      - .offset:         160
        .size:           2
        .value_kind:     hidden_group_size_z
      - .offset:         162
        .size:           2
        .value_kind:     hidden_remainder_x
      - .offset:         164
        .size:           2
        .value_kind:     hidden_remainder_y
      - .offset:         166
        .size:           2
        .value_kind:     hidden_remainder_z
      - .offset:         184
        .size:           8
        .value_kind:     hidden_global_offset_x
      - .offset:         192
        .size:           8
        .value_kind:     hidden_global_offset_y
      - .offset:         200
        .size:           8
        .value_kind:     hidden_global_offset_z
      - .offset:         208
        .size:           2
        .value_kind:     hidden_grid_dims
    .group_segment_fixed_size: 4096
    .kernarg_segment_align: 8
    .kernarg_segment_size: 400
    .language:       OpenCL C
    .language_version:
      - 2
      - 0
    .max_flat_workgroup_size: 256
    .name:           _ZL20rocblas_gemvn_kernelILi64ELi4EiPK16rocblas_bfloat16fKPfEviiT3_lPKT2_lT1_lS8_lS9_lS5_lPT4_lS9_li
    .private_segment_fixed_size: 0
    .sgpr_count:     30
    .sgpr_spill_count: 0
    .symbol:         _ZL20rocblas_gemvn_kernelILi64ELi4EiPK16rocblas_bfloat16fKPfEviiT3_lPKT2_lT1_lS8_lS9_lS5_lPT4_lS9_li.kd
    .uniform_work_group_size: 1
    .uses_dynamic_stack: false
    .vgpr_count:     42
    .vgpr_spill_count: 0
    .wavefront_size: 32
    .workgroup_processor_mode: 1
  - .args:
      - .offset:         0
        .size:           4
        .value_kind:     by_value
      - .offset:         4
        .size:           4
        .value_kind:     by_value
      - .offset:         8
        .size:           4
        .value_kind:     by_value
      - .offset:         16
        .size:           8
        .value_kind:     by_value
      - .address_space:  global
        .offset:         24
        .size:           8
        .value_kind:     global_buffer
      - .offset:         32
        .size:           8
        .value_kind:     by_value
      - .offset:         40
        .size:           8
        .value_kind:     by_value
      - .offset:         48
        .size:           8
        .value_kind:     by_value
      - .address_space:  global
        .offset:         56
        .size:           8
        .value_kind:     global_buffer
      - .offset:         64
        .size:           8
        .value_kind:     by_value
      - .offset:         72
        .size:           8
        .value_kind:     by_value
      - .offset:         80
        .size:           8
        .value_kind:     by_value
      - .offset:         88
        .size:           4
        .value_kind:     by_value
      - .offset:         96
        .size:           8
        .value_kind:     by_value
      - .address_space:  global
        .offset:         104
        .size:           8
        .value_kind:     global_buffer
      - .offset:         112
        .size:           8
        .value_kind:     by_value
      - .offset:         120
        .size:           8
        .value_kind:     by_value
      - .offset:         128
        .size:           8
        .value_kind:     by_value
      - .offset:         136
        .size:           4
        .value_kind:     by_value
      - .offset:         144
        .size:           4
        .value_kind:     hidden_block_count_x
      - .offset:         148
        .size:           4
        .value_kind:     hidden_block_count_y
      - .offset:         152
        .size:           4
        .value_kind:     hidden_block_count_z
      - .offset:         156
        .size:           2
        .value_kind:     hidden_group_size_x
      - .offset:         158
        .size:           2
        .value_kind:     hidden_group_size_y
      - .offset:         160
        .size:           2
        .value_kind:     hidden_group_size_z
      - .offset:         162
        .size:           2
        .value_kind:     hidden_remainder_x
      - .offset:         164
        .size:           2
        .value_kind:     hidden_remainder_y
      - .offset:         166
        .size:           2
        .value_kind:     hidden_remainder_z
      - .offset:         184
        .size:           8
        .value_kind:     hidden_global_offset_x
      - .offset:         192
        .size:           8
        .value_kind:     hidden_global_offset_y
      - .offset:         200
        .size:           8
        .value_kind:     hidden_global_offset_z
      - .offset:         208
        .size:           2
        .value_kind:     hidden_grid_dims
    .group_segment_fixed_size: 4096
    .kernarg_segment_align: 8
    .kernarg_segment_size: 400
    .language:       OpenCL C
    .language_version:
      - 2
      - 0
    .max_flat_workgroup_size: 256
    .name:           _ZL20rocblas_gemvn_kernelILi64ELi4ElPK16rocblas_bfloat16fKPfEviiT3_lPKT2_lT1_lS8_lS9_lS5_lPT4_lS9_li
    .private_segment_fixed_size: 0
    .sgpr_count:     37
    .sgpr_spill_count: 0
    .symbol:         _ZL20rocblas_gemvn_kernelILi64ELi4ElPK16rocblas_bfloat16fKPfEviiT3_lPKT2_lT1_lS8_lS9_lS5_lPT4_lS9_li.kd
    .uniform_work_group_size: 1
    .uses_dynamic_stack: false
    .vgpr_count:     52
    .vgpr_spill_count: 0
    .wavefront_size: 32
    .workgroup_processor_mode: 1
  - .args:
      - .offset:         0
        .size:           4
        .value_kind:     by_value
      - .offset:         4
        .size:           4
        .value_kind:     by_value
      - .address_space:  global
        .offset:         8
        .size:           8
        .value_kind:     global_buffer
      - .offset:         16
        .size:           8
        .value_kind:     by_value
      - .address_space:  global
        .offset:         24
        .size:           8
        .value_kind:     global_buffer
      - .offset:         32
        .size:           8
        .value_kind:     by_value
      - .offset:         40
        .size:           4
        .value_kind:     by_value
      - .offset:         48
        .size:           8
        .value_kind:     by_value
      - .address_space:  global
        .offset:         56
        .size:           8
        .value_kind:     global_buffer
      - .offset:         64
        .size:           8
        .value_kind:     by_value
      - .offset:         72
        .size:           4
        .value_kind:     by_value
      - .offset:         80
        .size:           8
        .value_kind:     by_value
      - .address_space:  global
        .offset:         88
        .size:           8
        .value_kind:     global_buffer
      - .offset:         96
        .size:           8
        .value_kind:     by_value
      - .address_space:  global
        .offset:         104
        .size:           8
        .value_kind:     global_buffer
      - .offset:         112
        .size:           8
        .value_kind:     by_value
      - .offset:         120
        .size:           4
        .value_kind:     by_value
      - .offset:         128
        .size:           8
        .value_kind:     by_value
      - .offset:         136
        .size:           4
        .value_kind:     by_value
      - .offset:         144
        .size:           4
        .value_kind:     hidden_block_count_x
      - .offset:         148
        .size:           4
        .value_kind:     hidden_block_count_y
      - .offset:         152
        .size:           4
        .value_kind:     hidden_block_count_z
      - .offset:         156
        .size:           2
        .value_kind:     hidden_group_size_x
      - .offset:         158
        .size:           2
        .value_kind:     hidden_group_size_y
      - .offset:         160
        .size:           2
        .value_kind:     hidden_group_size_z
      - .offset:         162
        .size:           2
        .value_kind:     hidden_remainder_x
      - .offset:         164
        .size:           2
        .value_kind:     hidden_remainder_y
      - .offset:         166
        .size:           2
        .value_kind:     hidden_remainder_z
      - .offset:         184
        .size:           8
        .value_kind:     hidden_global_offset_x
      - .offset:         192
        .size:           8
        .value_kind:     hidden_global_offset_y
      - .offset:         200
        .size:           8
        .value_kind:     hidden_global_offset_z
      - .offset:         208
        .size:           2
        .value_kind:     hidden_grid_dims
    .group_segment_fixed_size: 8192
    .kernarg_segment_align: 8
    .kernarg_segment_size: 400
    .language:       OpenCL C
    .language_version:
      - 2
      - 0
    .max_flat_workgroup_size: 512
    .name:           _ZL20rocblas_gemvn_kernelILi32ELi16EiPK16rocblas_bfloat16PKfKPfEviiT3_lPKT2_lT1_lSA_lSB_lS7_lPT4_lSB_li
    .private_segment_fixed_size: 0
    .sgpr_count:     30
    .sgpr_spill_count: 0
    .symbol:         _ZL20rocblas_gemvn_kernelILi32ELi16EiPK16rocblas_bfloat16PKfKPfEviiT3_lPKT2_lT1_lSA_lSB_lS7_lPT4_lSB_li.kd
    .uniform_work_group_size: 1
    .uses_dynamic_stack: false
    .vgpr_count:     42
    .vgpr_spill_count: 0
    .wavefront_size: 32
    .workgroup_processor_mode: 1
  - .args:
      - .offset:         0
        .size:           4
        .value_kind:     by_value
      - .offset:         4
        .size:           4
        .value_kind:     by_value
      - .address_space:  global
        .offset:         8
        .size:           8
        .value_kind:     global_buffer
      - .offset:         16
        .size:           8
        .value_kind:     by_value
      - .address_space:  global
        .offset:         24
        .size:           8
        .value_kind:     global_buffer
      - .offset:         32
        .size:           8
        .value_kind:     by_value
      - .offset:         40
        .size:           8
        .value_kind:     by_value
      - .offset:         48
        .size:           8
        .value_kind:     by_value
      - .address_space:  global
        .offset:         56
        .size:           8
        .value_kind:     global_buffer
      - .offset:         64
        .size:           8
        .value_kind:     by_value
      - .offset:         72
        .size:           8
        .value_kind:     by_value
      - .offset:         80
        .size:           8
        .value_kind:     by_value
      - .address_space:  global
        .offset:         88
        .size:           8
        .value_kind:     global_buffer
      - .offset:         96
        .size:           8
        .value_kind:     by_value
      - .address_space:  global
        .offset:         104
        .size:           8
        .value_kind:     global_buffer
      - .offset:         112
        .size:           8
        .value_kind:     by_value
      - .offset:         120
        .size:           8
        .value_kind:     by_value
      - .offset:         128
        .size:           8
        .value_kind:     by_value
      - .offset:         136
        .size:           4
        .value_kind:     by_value
      - .offset:         144
        .size:           4
        .value_kind:     hidden_block_count_x
      - .offset:         148
        .size:           4
        .value_kind:     hidden_block_count_y
      - .offset:         152
        .size:           4
        .value_kind:     hidden_block_count_z
      - .offset:         156
        .size:           2
        .value_kind:     hidden_group_size_x
      - .offset:         158
        .size:           2
        .value_kind:     hidden_group_size_y
      - .offset:         160
        .size:           2
        .value_kind:     hidden_group_size_z
      - .offset:         162
        .size:           2
        .value_kind:     hidden_remainder_x
      - .offset:         164
        .size:           2
        .value_kind:     hidden_remainder_y
      - .offset:         166
        .size:           2
        .value_kind:     hidden_remainder_z
      - .offset:         184
        .size:           8
        .value_kind:     hidden_global_offset_x
      - .offset:         192
        .size:           8
        .value_kind:     hidden_global_offset_y
      - .offset:         200
        .size:           8
        .value_kind:     hidden_global_offset_z
      - .offset:         208
        .size:           2
        .value_kind:     hidden_grid_dims
    .group_segment_fixed_size: 8192
    .kernarg_segment_align: 8
    .kernarg_segment_size: 400
    .language:       OpenCL C
    .language_version:
      - 2
      - 0
    .max_flat_workgroup_size: 512
    .name:           _ZL20rocblas_gemvn_kernelILi32ELi16ElPK16rocblas_bfloat16PKfKPfEviiT3_lPKT2_lT1_lSA_lSB_lS7_lPT4_lSB_li
    .private_segment_fixed_size: 0
    .sgpr_count:     37
    .sgpr_spill_count: 0
    .symbol:         _ZL20rocblas_gemvn_kernelILi32ELi16ElPK16rocblas_bfloat16PKfKPfEviiT3_lPKT2_lT1_lSA_lSB_lS7_lPT4_lSB_li.kd
    .uniform_work_group_size: 1
    .uses_dynamic_stack: false
    .vgpr_count:     52
    .vgpr_spill_count: 0
    .wavefront_size: 32
    .workgroup_processor_mode: 1
  - .args:
      - .offset:         0
        .size:           4
        .value_kind:     by_value
      - .offset:         4
        .size:           4
        .value_kind:     by_value
      - .offset:         8
        .size:           4
        .value_kind:     by_value
      - .offset:         16
        .size:           8
        .value_kind:     by_value
      - .address_space:  global
        .offset:         24
        .size:           8
        .value_kind:     global_buffer
      - .offset:         32
        .size:           8
        .value_kind:     by_value
      - .offset:         40
        .size:           4
        .value_kind:     by_value
      - .offset:         48
        .size:           8
        .value_kind:     by_value
      - .address_space:  global
        .offset:         56
        .size:           8
        .value_kind:     global_buffer
      - .offset:         64
        .size:           8
        .value_kind:     by_value
      - .offset:         72
        .size:           4
        .value_kind:     by_value
      - .offset:         80
        .size:           8
        .value_kind:     by_value
      - .offset:         88
        .size:           4
        .value_kind:     by_value
      - .offset:         96
        .size:           8
        .value_kind:     by_value
      - .address_space:  global
        .offset:         104
        .size:           8
        .value_kind:     global_buffer
      - .offset:         112
        .size:           8
        .value_kind:     by_value
      - .offset:         120
        .size:           4
        .value_kind:     by_value
      - .offset:         128
        .size:           8
        .value_kind:     by_value
      - .offset:         136
        .size:           4
        .value_kind:     by_value
      - .offset:         144
        .size:           4
        .value_kind:     hidden_block_count_x
      - .offset:         148
        .size:           4
        .value_kind:     hidden_block_count_y
      - .offset:         152
        .size:           4
        .value_kind:     hidden_block_count_z
      - .offset:         156
        .size:           2
        .value_kind:     hidden_group_size_x
      - .offset:         158
        .size:           2
        .value_kind:     hidden_group_size_y
      - .offset:         160
        .size:           2
        .value_kind:     hidden_group_size_z
      - .offset:         162
        .size:           2
        .value_kind:     hidden_remainder_x
      - .offset:         164
        .size:           2
        .value_kind:     hidden_remainder_y
      - .offset:         166
        .size:           2
        .value_kind:     hidden_remainder_z
      - .offset:         184
        .size:           8
        .value_kind:     hidden_global_offset_x
      - .offset:         192
        .size:           8
        .value_kind:     hidden_global_offset_y
      - .offset:         200
        .size:           8
        .value_kind:     hidden_global_offset_z
      - .offset:         208
        .size:           2
        .value_kind:     hidden_grid_dims
    .group_segment_fixed_size: 8192
    .kernarg_segment_align: 8
    .kernarg_segment_size: 400
    .language:       OpenCL C
    .language_version:
      - 2
      - 0
    .max_flat_workgroup_size: 512
    .name:           _ZL20rocblas_gemvn_kernelILi32ELi16EiPK16rocblas_bfloat16fKPfEviiT3_lPKT2_lT1_lS8_lS9_lS5_lPT4_lS9_li
    .private_segment_fixed_size: 0
    .sgpr_count:     30
    .sgpr_spill_count: 0
    .symbol:         _ZL20rocblas_gemvn_kernelILi32ELi16EiPK16rocblas_bfloat16fKPfEviiT3_lPKT2_lT1_lS8_lS9_lS5_lPT4_lS9_li.kd
    .uniform_work_group_size: 1
    .uses_dynamic_stack: false
    .vgpr_count:     42
    .vgpr_spill_count: 0
    .wavefront_size: 32
    .workgroup_processor_mode: 1
  - .args:
      - .offset:         0
        .size:           4
        .value_kind:     by_value
      - .offset:         4
        .size:           4
        .value_kind:     by_value
      - .offset:         8
        .size:           4
        .value_kind:     by_value
      - .offset:         16
        .size:           8
        .value_kind:     by_value
      - .address_space:  global
        .offset:         24
        .size:           8
        .value_kind:     global_buffer
      - .offset:         32
        .size:           8
        .value_kind:     by_value
      - .offset:         40
        .size:           8
        .value_kind:     by_value
      - .offset:         48
        .size:           8
        .value_kind:     by_value
      - .address_space:  global
        .offset:         56
        .size:           8
        .value_kind:     global_buffer
      - .offset:         64
        .size:           8
        .value_kind:     by_value
      - .offset:         72
        .size:           8
        .value_kind:     by_value
      - .offset:         80
        .size:           8
        .value_kind:     by_value
      - .offset:         88
        .size:           4
        .value_kind:     by_value
      - .offset:         96
        .size:           8
        .value_kind:     by_value
      - .address_space:  global
        .offset:         104
        .size:           8
        .value_kind:     global_buffer
      - .offset:         112
        .size:           8
        .value_kind:     by_value
      - .offset:         120
        .size:           8
        .value_kind:     by_value
      - .offset:         128
        .size:           8
        .value_kind:     by_value
      - .offset:         136
        .size:           4
        .value_kind:     by_value
      - .offset:         144
        .size:           4
        .value_kind:     hidden_block_count_x
      - .offset:         148
        .size:           4
        .value_kind:     hidden_block_count_y
      - .offset:         152
        .size:           4
        .value_kind:     hidden_block_count_z
      - .offset:         156
        .size:           2
        .value_kind:     hidden_group_size_x
      - .offset:         158
        .size:           2
        .value_kind:     hidden_group_size_y
      - .offset:         160
        .size:           2
        .value_kind:     hidden_group_size_z
      - .offset:         162
        .size:           2
        .value_kind:     hidden_remainder_x
      - .offset:         164
        .size:           2
        .value_kind:     hidden_remainder_y
      - .offset:         166
        .size:           2
        .value_kind:     hidden_remainder_z
      - .offset:         184
        .size:           8
        .value_kind:     hidden_global_offset_x
      - .offset:         192
        .size:           8
        .value_kind:     hidden_global_offset_y
      - .offset:         200
        .size:           8
        .value_kind:     hidden_global_offset_z
      - .offset:         208
        .size:           2
        .value_kind:     hidden_grid_dims
    .group_segment_fixed_size: 8192
    .kernarg_segment_align: 8
    .kernarg_segment_size: 400
    .language:       OpenCL C
    .language_version:
      - 2
      - 0
    .max_flat_workgroup_size: 512
    .name:           _ZL20rocblas_gemvn_kernelILi32ELi16ElPK16rocblas_bfloat16fKPfEviiT3_lPKT2_lT1_lS8_lS9_lS5_lPT4_lS9_li
    .private_segment_fixed_size: 0
    .sgpr_count:     37
    .sgpr_spill_count: 0
    .symbol:         _ZL20rocblas_gemvn_kernelILi32ELi16ElPK16rocblas_bfloat16fKPfEviiT3_lPKT2_lT1_lS8_lS9_lS5_lPT4_lS9_li.kd
    .uniform_work_group_size: 1
    .uses_dynamic_stack: false
    .vgpr_count:     52
    .vgpr_spill_count: 0
    .wavefront_size: 32
    .workgroup_processor_mode: 1
  - .args:
      - .offset:         0
        .size:           4
        .value_kind:     by_value
      - .offset:         4
        .size:           4
        .value_kind:     by_value
      - .address_space:  global
        .offset:         8
        .size:           8
        .value_kind:     global_buffer
      - .offset:         16
        .size:           8
        .value_kind:     by_value
      - .address_space:  global
        .offset:         24
        .size:           8
        .value_kind:     global_buffer
      - .offset:         32
        .size:           8
        .value_kind:     by_value
      - .offset:         40
        .size:           4
        .value_kind:     by_value
      - .offset:         48
        .size:           8
        .value_kind:     by_value
      - .address_space:  global
        .offset:         56
        .size:           8
        .value_kind:     global_buffer
      - .offset:         64
        .size:           8
        .value_kind:     by_value
      - .offset:         72
        .size:           4
        .value_kind:     by_value
      - .offset:         80
        .size:           8
        .value_kind:     by_value
      - .address_space:  global
        .offset:         88
        .size:           8
        .value_kind:     global_buffer
      - .offset:         96
        .size:           8
        .value_kind:     by_value
      - .address_space:  global
        .offset:         104
        .size:           8
        .value_kind:     global_buffer
      - .offset:         112
        .size:           8
        .value_kind:     by_value
      - .offset:         120
        .size:           4
        .value_kind:     by_value
      - .offset:         128
        .size:           8
        .value_kind:     by_value
      - .offset:         136
        .size:           4
        .value_kind:     by_value
      - .offset:         144
        .size:           4
        .value_kind:     hidden_block_count_x
      - .offset:         148
        .size:           4
        .value_kind:     hidden_block_count_y
      - .offset:         152
        .size:           4
        .value_kind:     hidden_block_count_z
      - .offset:         156
        .size:           2
        .value_kind:     hidden_group_size_x
      - .offset:         158
        .size:           2
        .value_kind:     hidden_group_size_y
      - .offset:         160
        .size:           2
        .value_kind:     hidden_group_size_z
      - .offset:         162
        .size:           2
        .value_kind:     hidden_remainder_x
      - .offset:         164
        .size:           2
        .value_kind:     hidden_remainder_y
      - .offset:         166
        .size:           2
        .value_kind:     hidden_remainder_z
      - .offset:         184
        .size:           8
        .value_kind:     hidden_global_offset_x
      - .offset:         192
        .size:           8
        .value_kind:     hidden_global_offset_y
      - .offset:         200
        .size:           8
        .value_kind:     hidden_global_offset_z
      - .offset:         208
        .size:           2
        .value_kind:     hidden_grid_dims
    .group_segment_fixed_size: 16384
    .kernarg_segment_align: 8
    .kernarg_segment_size: 400
    .language:       OpenCL C
    .language_version:
      - 2
      - 0
    .max_flat_workgroup_size: 1024
    .name:           _ZL20rocblas_gemvn_kernelILi64ELi16EiPK16rocblas_bfloat16PKfKPfEviiT3_lPKT2_lT1_lSA_lSB_lS7_lPT4_lSB_li
    .private_segment_fixed_size: 0
    .sgpr_count:     30
    .sgpr_spill_count: 0
    .symbol:         _ZL20rocblas_gemvn_kernelILi64ELi16EiPK16rocblas_bfloat16PKfKPfEviiT3_lPKT2_lT1_lSA_lSB_lS7_lPT4_lSB_li.kd
    .uniform_work_group_size: 1
    .uses_dynamic_stack: false
    .vgpr_count:     42
    .vgpr_spill_count: 0
    .wavefront_size: 32
    .workgroup_processor_mode: 1
  - .args:
      - .offset:         0
        .size:           4
        .value_kind:     by_value
      - .offset:         4
        .size:           4
        .value_kind:     by_value
      - .address_space:  global
        .offset:         8
        .size:           8
        .value_kind:     global_buffer
      - .offset:         16
        .size:           8
        .value_kind:     by_value
      - .address_space:  global
        .offset:         24
        .size:           8
        .value_kind:     global_buffer
      - .offset:         32
        .size:           8
        .value_kind:     by_value
      - .offset:         40
        .size:           8
        .value_kind:     by_value
      - .offset:         48
        .size:           8
        .value_kind:     by_value
      - .address_space:  global
        .offset:         56
        .size:           8
        .value_kind:     global_buffer
      - .offset:         64
        .size:           8
        .value_kind:     by_value
      - .offset:         72
        .size:           8
        .value_kind:     by_value
      - .offset:         80
        .size:           8
        .value_kind:     by_value
      - .address_space:  global
        .offset:         88
        .size:           8
        .value_kind:     global_buffer
      - .offset:         96
        .size:           8
        .value_kind:     by_value
      - .address_space:  global
        .offset:         104
        .size:           8
        .value_kind:     global_buffer
      - .offset:         112
        .size:           8
        .value_kind:     by_value
      - .offset:         120
        .size:           8
        .value_kind:     by_value
      - .offset:         128
        .size:           8
        .value_kind:     by_value
      - .offset:         136
        .size:           4
        .value_kind:     by_value
      - .offset:         144
        .size:           4
        .value_kind:     hidden_block_count_x
      - .offset:         148
        .size:           4
        .value_kind:     hidden_block_count_y
      - .offset:         152
        .size:           4
        .value_kind:     hidden_block_count_z
      - .offset:         156
        .size:           2
        .value_kind:     hidden_group_size_x
      - .offset:         158
        .size:           2
        .value_kind:     hidden_group_size_y
      - .offset:         160
        .size:           2
        .value_kind:     hidden_group_size_z
      - .offset:         162
        .size:           2
        .value_kind:     hidden_remainder_x
      - .offset:         164
        .size:           2
        .value_kind:     hidden_remainder_y
      - .offset:         166
        .size:           2
        .value_kind:     hidden_remainder_z
      - .offset:         184
        .size:           8
        .value_kind:     hidden_global_offset_x
      - .offset:         192
        .size:           8
        .value_kind:     hidden_global_offset_y
      - .offset:         200
        .size:           8
        .value_kind:     hidden_global_offset_z
      - .offset:         208
        .size:           2
        .value_kind:     hidden_grid_dims
    .group_segment_fixed_size: 16384
    .kernarg_segment_align: 8
    .kernarg_segment_size: 400
    .language:       OpenCL C
    .language_version:
      - 2
      - 0
    .max_flat_workgroup_size: 1024
    .name:           _ZL20rocblas_gemvn_kernelILi64ELi16ElPK16rocblas_bfloat16PKfKPfEviiT3_lPKT2_lT1_lSA_lSB_lS7_lPT4_lSB_li
    .private_segment_fixed_size: 0
    .sgpr_count:     37
    .sgpr_spill_count: 0
    .symbol:         _ZL20rocblas_gemvn_kernelILi64ELi16ElPK16rocblas_bfloat16PKfKPfEviiT3_lPKT2_lT1_lSA_lSB_lS7_lPT4_lSB_li.kd
    .uniform_work_group_size: 1
    .uses_dynamic_stack: false
    .vgpr_count:     52
    .vgpr_spill_count: 0
    .wavefront_size: 32
    .workgroup_processor_mode: 1
  - .args:
      - .offset:         0
        .size:           4
        .value_kind:     by_value
      - .offset:         4
        .size:           4
        .value_kind:     by_value
      - .offset:         8
        .size:           4
        .value_kind:     by_value
      - .offset:         16
        .size:           8
        .value_kind:     by_value
      - .address_space:  global
        .offset:         24
        .size:           8
        .value_kind:     global_buffer
      - .offset:         32
        .size:           8
        .value_kind:     by_value
      - .offset:         40
        .size:           4
        .value_kind:     by_value
      - .offset:         48
        .size:           8
        .value_kind:     by_value
      - .address_space:  global
        .offset:         56
        .size:           8
        .value_kind:     global_buffer
      - .offset:         64
        .size:           8
        .value_kind:     by_value
      - .offset:         72
        .size:           4
        .value_kind:     by_value
      - .offset:         80
        .size:           8
        .value_kind:     by_value
      - .offset:         88
        .size:           4
        .value_kind:     by_value
      - .offset:         96
        .size:           8
        .value_kind:     by_value
      - .address_space:  global
        .offset:         104
        .size:           8
        .value_kind:     global_buffer
      - .offset:         112
        .size:           8
        .value_kind:     by_value
      - .offset:         120
        .size:           4
        .value_kind:     by_value
      - .offset:         128
        .size:           8
        .value_kind:     by_value
      - .offset:         136
        .size:           4
        .value_kind:     by_value
      - .offset:         144
        .size:           4
        .value_kind:     hidden_block_count_x
      - .offset:         148
        .size:           4
        .value_kind:     hidden_block_count_y
      - .offset:         152
        .size:           4
        .value_kind:     hidden_block_count_z
      - .offset:         156
        .size:           2
        .value_kind:     hidden_group_size_x
      - .offset:         158
        .size:           2
        .value_kind:     hidden_group_size_y
      - .offset:         160
        .size:           2
        .value_kind:     hidden_group_size_z
      - .offset:         162
        .size:           2
        .value_kind:     hidden_remainder_x
      - .offset:         164
        .size:           2
        .value_kind:     hidden_remainder_y
      - .offset:         166
        .size:           2
        .value_kind:     hidden_remainder_z
      - .offset:         184
        .size:           8
        .value_kind:     hidden_global_offset_x
      - .offset:         192
        .size:           8
        .value_kind:     hidden_global_offset_y
      - .offset:         200
        .size:           8
        .value_kind:     hidden_global_offset_z
      - .offset:         208
        .size:           2
        .value_kind:     hidden_grid_dims
    .group_segment_fixed_size: 16384
    .kernarg_segment_align: 8
    .kernarg_segment_size: 400
    .language:       OpenCL C
    .language_version:
      - 2
      - 0
    .max_flat_workgroup_size: 1024
    .name:           _ZL20rocblas_gemvn_kernelILi64ELi16EiPK16rocblas_bfloat16fKPfEviiT3_lPKT2_lT1_lS8_lS9_lS5_lPT4_lS9_li
    .private_segment_fixed_size: 0
    .sgpr_count:     30
    .sgpr_spill_count: 0
    .symbol:         _ZL20rocblas_gemvn_kernelILi64ELi16EiPK16rocblas_bfloat16fKPfEviiT3_lPKT2_lT1_lS8_lS9_lS5_lPT4_lS9_li.kd
    .uniform_work_group_size: 1
    .uses_dynamic_stack: false
    .vgpr_count:     42
    .vgpr_spill_count: 0
    .wavefront_size: 32
    .workgroup_processor_mode: 1
  - .args:
      - .offset:         0
        .size:           4
        .value_kind:     by_value
      - .offset:         4
        .size:           4
        .value_kind:     by_value
      - .offset:         8
        .size:           4
        .value_kind:     by_value
      - .offset:         16
        .size:           8
        .value_kind:     by_value
      - .address_space:  global
        .offset:         24
        .size:           8
        .value_kind:     global_buffer
      - .offset:         32
        .size:           8
        .value_kind:     by_value
      - .offset:         40
        .size:           8
        .value_kind:     by_value
      - .offset:         48
        .size:           8
        .value_kind:     by_value
      - .address_space:  global
        .offset:         56
        .size:           8
        .value_kind:     global_buffer
      - .offset:         64
        .size:           8
        .value_kind:     by_value
      - .offset:         72
        .size:           8
        .value_kind:     by_value
      - .offset:         80
        .size:           8
        .value_kind:     by_value
      - .offset:         88
        .size:           4
        .value_kind:     by_value
      - .offset:         96
        .size:           8
        .value_kind:     by_value
      - .address_space:  global
        .offset:         104
        .size:           8
        .value_kind:     global_buffer
      - .offset:         112
        .size:           8
        .value_kind:     by_value
      - .offset:         120
        .size:           8
        .value_kind:     by_value
      - .offset:         128
        .size:           8
        .value_kind:     by_value
      - .offset:         136
        .size:           4
        .value_kind:     by_value
      - .offset:         144
        .size:           4
        .value_kind:     hidden_block_count_x
      - .offset:         148
        .size:           4
        .value_kind:     hidden_block_count_y
      - .offset:         152
        .size:           4
        .value_kind:     hidden_block_count_z
      - .offset:         156
        .size:           2
        .value_kind:     hidden_group_size_x
      - .offset:         158
        .size:           2
        .value_kind:     hidden_group_size_y
      - .offset:         160
        .size:           2
        .value_kind:     hidden_group_size_z
      - .offset:         162
        .size:           2
        .value_kind:     hidden_remainder_x
      - .offset:         164
        .size:           2
        .value_kind:     hidden_remainder_y
      - .offset:         166
        .size:           2
        .value_kind:     hidden_remainder_z
      - .offset:         184
        .size:           8
        .value_kind:     hidden_global_offset_x
      - .offset:         192
        .size:           8
        .value_kind:     hidden_global_offset_y
      - .offset:         200
        .size:           8
        .value_kind:     hidden_global_offset_z
      - .offset:         208
        .size:           2
        .value_kind:     hidden_grid_dims
    .group_segment_fixed_size: 16384
    .kernarg_segment_align: 8
    .kernarg_segment_size: 400
    .language:       OpenCL C
    .language_version:
      - 2
      - 0
    .max_flat_workgroup_size: 1024
    .name:           _ZL20rocblas_gemvn_kernelILi64ELi16ElPK16rocblas_bfloat16fKPfEviiT3_lPKT2_lT1_lS8_lS9_lS5_lPT4_lS9_li
    .private_segment_fixed_size: 0
    .sgpr_count:     37
    .sgpr_spill_count: 0
    .symbol:         _ZL20rocblas_gemvn_kernelILi64ELi16ElPK16rocblas_bfloat16fKPfEviiT3_lPKT2_lT1_lS8_lS9_lS5_lPT4_lS9_li.kd
    .uniform_work_group_size: 1
    .uses_dynamic_stack: false
    .vgpr_count:     52
    .vgpr_spill_count: 0
    .wavefront_size: 32
    .workgroup_processor_mode: 1
  - .args:
      - .offset:         0
        .size:           4
        .value_kind:     by_value
      - .offset:         4
        .size:           4
        .value_kind:     by_value
      - .address_space:  global
        .offset:         8
        .size:           8
        .value_kind:     global_buffer
      - .offset:         16
        .size:           8
        .value_kind:     by_value
      - .address_space:  global
        .offset:         24
        .size:           8
        .value_kind:     global_buffer
      - .offset:         32
        .size:           8
        .value_kind:     by_value
      - .offset:         40
        .size:           4
        .value_kind:     by_value
      - .offset:         48
        .size:           8
        .value_kind:     by_value
      - .address_space:  global
        .offset:         56
        .size:           8
        .value_kind:     global_buffer
      - .offset:         64
        .size:           8
        .value_kind:     by_value
      - .offset:         72
        .size:           4
        .value_kind:     by_value
      - .offset:         80
        .size:           8
        .value_kind:     by_value
      - .address_space:  global
        .offset:         88
        .size:           8
        .value_kind:     global_buffer
      - .offset:         96
        .size:           8
        .value_kind:     by_value
      - .address_space:  global
        .offset:         104
        .size:           8
        .value_kind:     global_buffer
      - .offset:         112
        .size:           8
        .value_kind:     by_value
      - .offset:         120
        .size:           4
        .value_kind:     by_value
      - .offset:         128
        .size:           8
        .value_kind:     by_value
    .group_segment_fixed_size: 256
    .kernarg_segment_align: 8
    .kernarg_segment_size: 136
    .language:       OpenCL C
    .language_version:
      - 2
      - 0
    .max_flat_workgroup_size: 256
    .name:           _ZL22rocblas_gemvtsm_kernelILb0ELi256EPK16rocblas_bfloat16PKfKPfEviiT2_lPKT1_lilSA_lilS7_lPT3_lil
    .private_segment_fixed_size: 0
    .sgpr_count:     26
    .sgpr_spill_count: 0
    .symbol:         _ZL22rocblas_gemvtsm_kernelILb0ELi256EPK16rocblas_bfloat16PKfKPfEviiT2_lPKT1_lilSA_lilS7_lPT3_lil.kd
    .uniform_work_group_size: 1
    .uses_dynamic_stack: false
    .vgpr_count:     14
    .vgpr_spill_count: 0
    .wavefront_size: 32
    .workgroup_processor_mode: 1
  - .args:
      - .offset:         0
        .size:           4
        .value_kind:     by_value
      - .offset:         4
        .size:           4
        .value_kind:     by_value
      - .offset:         8
        .size:           4
        .value_kind:     by_value
      - .offset:         16
        .size:           8
        .value_kind:     by_value
      - .address_space:  global
        .offset:         24
        .size:           8
        .value_kind:     global_buffer
      - .offset:         32
        .size:           8
        .value_kind:     by_value
      - .offset:         40
        .size:           4
        .value_kind:     by_value
      - .offset:         48
        .size:           8
        .value_kind:     by_value
      - .address_space:  global
        .offset:         56
        .size:           8
        .value_kind:     global_buffer
      - .offset:         64
        .size:           8
        .value_kind:     by_value
      - .offset:         72
        .size:           4
        .value_kind:     by_value
      - .offset:         80
        .size:           8
        .value_kind:     by_value
      - .offset:         88
        .size:           4
        .value_kind:     by_value
      - .offset:         96
        .size:           8
        .value_kind:     by_value
      - .address_space:  global
        .offset:         104
        .size:           8
        .value_kind:     global_buffer
      - .offset:         112
        .size:           8
        .value_kind:     by_value
      - .offset:         120
        .size:           4
        .value_kind:     by_value
      - .offset:         128
        .size:           8
        .value_kind:     by_value
    .group_segment_fixed_size: 256
    .kernarg_segment_align: 8
    .kernarg_segment_size: 136
    .language:       OpenCL C
    .language_version:
      - 2
      - 0
    .max_flat_workgroup_size: 256
    .name:           _ZL22rocblas_gemvtsm_kernelILb0ELi256EPK16rocblas_bfloat16fKPfEviiT2_lPKT1_lilS8_lilS5_lPT3_lil
    .private_segment_fixed_size: 0
    .sgpr_count:     26
    .sgpr_spill_count: 0
    .symbol:         _ZL22rocblas_gemvtsm_kernelILb0ELi256EPK16rocblas_bfloat16fKPfEviiT2_lPKT1_lilS8_lilS5_lPT3_lil.kd
    .uniform_work_group_size: 1
    .uses_dynamic_stack: false
    .vgpr_count:     14
    .vgpr_spill_count: 0
    .wavefront_size: 32
    .workgroup_processor_mode: 1
  - .args:
      - .offset:         0
        .size:           4
        .value_kind:     by_value
      - .offset:         4
        .size:           4
        .value_kind:     by_value
      - .address_space:  global
        .offset:         8
        .size:           8
        .value_kind:     global_buffer
      - .offset:         16
        .size:           8
        .value_kind:     by_value
      - .address_space:  global
        .offset:         24
        .size:           8
        .value_kind:     global_buffer
      - .offset:         32
        .size:           8
        .value_kind:     by_value
      - .offset:         40
        .size:           4
        .value_kind:     by_value
      - .offset:         48
        .size:           8
        .value_kind:     by_value
      - .address_space:  global
        .offset:         56
        .size:           8
        .value_kind:     global_buffer
      - .offset:         64
        .size:           8
        .value_kind:     by_value
      - .offset:         72
        .size:           4
        .value_kind:     by_value
      - .offset:         80
        .size:           8
        .value_kind:     by_value
      - .address_space:  global
        .offset:         88
        .size:           8
        .value_kind:     global_buffer
      - .offset:         96
        .size:           8
        .value_kind:     by_value
      - .address_space:  global
        .offset:         104
        .size:           8
        .value_kind:     global_buffer
      - .offset:         112
        .size:           8
        .value_kind:     by_value
      - .offset:         120
        .size:           4
        .value_kind:     by_value
      - .offset:         128
        .size:           8
        .value_kind:     by_value
      - .offset:         136
        .size:           4
        .value_kind:     by_value
    .group_segment_fixed_size: 128
    .kernarg_segment_align: 8
    .kernarg_segment_size: 140
    .language:       OpenCL C
    .language_version:
      - 2
      - 0
    .max_flat_workgroup_size: 256
    .name:           _ZL32rocblas_gemvt_warp_reduce_kernelILb0ELi256EiPK16rocblas_bfloat16PKfKPfEviiT3_lPKT2_lT1_lSA_lSB_lS7_lPT4_lSB_li
    .private_segment_fixed_size: 0
    .sgpr_count:     26
    .sgpr_spill_count: 0
    .symbol:         _ZL32rocblas_gemvt_warp_reduce_kernelILb0ELi256EiPK16rocblas_bfloat16PKfKPfEviiT3_lPKT2_lT1_lSA_lSB_lS7_lPT4_lSB_li.kd
    .uniform_work_group_size: 1
    .uses_dynamic_stack: false
    .vgpr_count:     12
    .vgpr_spill_count: 0
    .wavefront_size: 32
    .workgroup_processor_mode: 1
  - .args:
      - .offset:         0
        .size:           4
        .value_kind:     by_value
      - .offset:         4
        .size:           4
        .value_kind:     by_value
      - .address_space:  global
        .offset:         8
        .size:           8
        .value_kind:     global_buffer
      - .offset:         16
        .size:           8
        .value_kind:     by_value
      - .address_space:  global
        .offset:         24
        .size:           8
        .value_kind:     global_buffer
      - .offset:         32
        .size:           8
        .value_kind:     by_value
      - .offset:         40
        .size:           8
        .value_kind:     by_value
      - .offset:         48
        .size:           8
        .value_kind:     by_value
      - .address_space:  global
        .offset:         56
        .size:           8
        .value_kind:     global_buffer
      - .offset:         64
        .size:           8
        .value_kind:     by_value
      - .offset:         72
        .size:           8
        .value_kind:     by_value
      - .offset:         80
        .size:           8
        .value_kind:     by_value
      - .address_space:  global
        .offset:         88
        .size:           8
        .value_kind:     global_buffer
      - .offset:         96
        .size:           8
        .value_kind:     by_value
      - .address_space:  global
        .offset:         104
        .size:           8
        .value_kind:     global_buffer
      - .offset:         112
        .size:           8
        .value_kind:     by_value
      - .offset:         120
        .size:           8
        .value_kind:     by_value
      - .offset:         128
        .size:           8
        .value_kind:     by_value
      - .offset:         136
        .size:           4
        .value_kind:     by_value
    .group_segment_fixed_size: 128
    .kernarg_segment_align: 8
    .kernarg_segment_size: 140
    .language:       OpenCL C
    .language_version:
      - 2
      - 0
    .max_flat_workgroup_size: 256
    .name:           _ZL32rocblas_gemvt_warp_reduce_kernelILb0ELi256ElPK16rocblas_bfloat16PKfKPfEviiT3_lPKT2_lT1_lSA_lSB_lS7_lPT4_lSB_li
    .private_segment_fixed_size: 0
    .sgpr_count:     33
    .sgpr_spill_count: 0
    .symbol:         _ZL32rocblas_gemvt_warp_reduce_kernelILb0ELi256ElPK16rocblas_bfloat16PKfKPfEviiT3_lPKT2_lT1_lSA_lSB_lS7_lPT4_lSB_li.kd
    .uniform_work_group_size: 1
    .uses_dynamic_stack: false
    .vgpr_count:     12
    .vgpr_spill_count: 0
    .wavefront_size: 32
    .workgroup_processor_mode: 1
  - .args:
      - .offset:         0
        .size:           4
        .value_kind:     by_value
      - .offset:         4
        .size:           4
        .value_kind:     by_value
      - .offset:         8
        .size:           4
        .value_kind:     by_value
      - .offset:         16
        .size:           8
        .value_kind:     by_value
      - .address_space:  global
        .offset:         24
        .size:           8
        .value_kind:     global_buffer
      - .offset:         32
        .size:           8
        .value_kind:     by_value
      - .offset:         40
        .size:           4
        .value_kind:     by_value
      - .offset:         48
        .size:           8
        .value_kind:     by_value
      - .address_space:  global
        .offset:         56
        .size:           8
        .value_kind:     global_buffer
      - .offset:         64
        .size:           8
        .value_kind:     by_value
      - .offset:         72
        .size:           4
        .value_kind:     by_value
      - .offset:         80
        .size:           8
        .value_kind:     by_value
      - .offset:         88
        .size:           4
        .value_kind:     by_value
      - .offset:         96
        .size:           8
        .value_kind:     by_value
      - .address_space:  global
        .offset:         104
        .size:           8
        .value_kind:     global_buffer
      - .offset:         112
        .size:           8
        .value_kind:     by_value
      - .offset:         120
        .size:           4
        .value_kind:     by_value
      - .offset:         128
        .size:           8
        .value_kind:     by_value
      - .offset:         136
        .size:           4
        .value_kind:     by_value
    .group_segment_fixed_size: 128
    .kernarg_segment_align: 8
    .kernarg_segment_size: 140
    .language:       OpenCL C
    .language_version:
      - 2
      - 0
    .max_flat_workgroup_size: 256
    .name:           _ZL32rocblas_gemvt_warp_reduce_kernelILb0ELi256EiPK16rocblas_bfloat16fKPfEviiT3_lPKT2_lT1_lS8_lS9_lS5_lPT4_lS9_li
    .private_segment_fixed_size: 0
    .sgpr_count:     22
    .sgpr_spill_count: 0
    .symbol:         _ZL32rocblas_gemvt_warp_reduce_kernelILb0ELi256EiPK16rocblas_bfloat16fKPfEviiT3_lPKT2_lT1_lS8_lS9_lS5_lPT4_lS9_li.kd
    .uniform_work_group_size: 1
    .uses_dynamic_stack: false
    .vgpr_count:     12
    .vgpr_spill_count: 0
    .wavefront_size: 32
    .workgroup_processor_mode: 1
  - .args:
      - .offset:         0
        .size:           4
        .value_kind:     by_value
      - .offset:         4
        .size:           4
        .value_kind:     by_value
      - .offset:         8
        .size:           4
        .value_kind:     by_value
      - .offset:         16
        .size:           8
        .value_kind:     by_value
      - .address_space:  global
        .offset:         24
        .size:           8
        .value_kind:     global_buffer
      - .offset:         32
        .size:           8
        .value_kind:     by_value
      - .offset:         40
        .size:           8
        .value_kind:     by_value
      - .offset:         48
        .size:           8
        .value_kind:     by_value
      - .address_space:  global
        .offset:         56
        .size:           8
        .value_kind:     global_buffer
      - .offset:         64
        .size:           8
        .value_kind:     by_value
      - .offset:         72
        .size:           8
        .value_kind:     by_value
      - .offset:         80
        .size:           8
        .value_kind:     by_value
      - .offset:         88
        .size:           4
        .value_kind:     by_value
      - .offset:         96
        .size:           8
        .value_kind:     by_value
      - .address_space:  global
        .offset:         104
        .size:           8
        .value_kind:     global_buffer
      - .offset:         112
        .size:           8
        .value_kind:     by_value
      - .offset:         120
        .size:           8
        .value_kind:     by_value
      - .offset:         128
        .size:           8
        .value_kind:     by_value
      - .offset:         136
        .size:           4
        .value_kind:     by_value
    .group_segment_fixed_size: 128
    .kernarg_segment_align: 8
    .kernarg_segment_size: 140
    .language:       OpenCL C
    .language_version:
      - 2
      - 0
    .max_flat_workgroup_size: 256
    .name:           _ZL32rocblas_gemvt_warp_reduce_kernelILb0ELi256ElPK16rocblas_bfloat16fKPfEviiT3_lPKT2_lT1_lS8_lS9_lS5_lPT4_lS9_li
    .private_segment_fixed_size: 0
    .sgpr_count:     30
    .sgpr_spill_count: 0
    .symbol:         _ZL32rocblas_gemvt_warp_reduce_kernelILb0ELi256ElPK16rocblas_bfloat16fKPfEviiT3_lPKT2_lT1_lS8_lS9_lS5_lPT4_lS9_li.kd
    .uniform_work_group_size: 1
    .uses_dynamic_stack: false
    .vgpr_count:     12
    .vgpr_spill_count: 0
    .wavefront_size: 32
    .workgroup_processor_mode: 1
  - .args:
      - .offset:         0
        .size:           4
        .value_kind:     by_value
      - .offset:         4
        .size:           4
        .value_kind:     by_value
      - .address_space:  global
        .offset:         8
        .size:           8
        .value_kind:     global_buffer
      - .offset:         16
        .size:           8
        .value_kind:     by_value
      - .address_space:  global
        .offset:         24
        .size:           8
        .value_kind:     global_buffer
      - .offset:         32
        .size:           8
        .value_kind:     by_value
      - .offset:         40
        .size:           4
        .value_kind:     by_value
      - .offset:         48
        .size:           8
        .value_kind:     by_value
      - .address_space:  global
        .offset:         56
        .size:           8
        .value_kind:     global_buffer
      - .offset:         64
        .size:           8
        .value_kind:     by_value
      - .offset:         72
        .size:           4
        .value_kind:     by_value
      - .offset:         80
        .size:           8
        .value_kind:     by_value
      - .address_space:  global
        .offset:         88
        .size:           8
        .value_kind:     global_buffer
      - .offset:         96
        .size:           8
        .value_kind:     by_value
      - .address_space:  global
        .offset:         104
        .size:           8
        .value_kind:     global_buffer
      - .offset:         112
        .size:           8
        .value_kind:     by_value
      - .offset:         120
        .size:           4
        .value_kind:     by_value
      - .offset:         128
        .size:           8
        .value_kind:     by_value
      - .offset:         136
        .size:           4
        .value_kind:     by_value
    .group_segment_fixed_size: 1024
    .kernarg_segment_align: 8
    .kernarg_segment_size: 140
    .language:       OpenCL C
    .language_version:
      - 2
      - 0
    .max_flat_workgroup_size: 256
    .name:           _ZL20rocblas_gemvt_kernelILb0ELi256EPK16rocblas_bfloat16PKfKPfEviiT2_lPKT1_lilSA_lilS7_lPT3_lili
    .private_segment_fixed_size: 0
    .sgpr_count:     26
    .sgpr_spill_count: 0
    .symbol:         _ZL20rocblas_gemvt_kernelILb0ELi256EPK16rocblas_bfloat16PKfKPfEviiT2_lPKT1_lilSA_lilS7_lPT3_lili.kd
    .uniform_work_group_size: 1
    .uses_dynamic_stack: false
    .vgpr_count:     11
    .vgpr_spill_count: 0
    .wavefront_size: 32
    .workgroup_processor_mode: 1
  - .args:
      - .offset:         0
        .size:           4
        .value_kind:     by_value
      - .offset:         4
        .size:           4
        .value_kind:     by_value
      - .offset:         8
        .size:           4
        .value_kind:     by_value
      - .offset:         16
        .size:           8
        .value_kind:     by_value
      - .address_space:  global
        .offset:         24
        .size:           8
        .value_kind:     global_buffer
      - .offset:         32
        .size:           8
        .value_kind:     by_value
      - .offset:         40
        .size:           4
        .value_kind:     by_value
      - .offset:         48
        .size:           8
        .value_kind:     by_value
      - .address_space:  global
        .offset:         56
        .size:           8
        .value_kind:     global_buffer
      - .offset:         64
        .size:           8
        .value_kind:     by_value
      - .offset:         72
        .size:           4
        .value_kind:     by_value
      - .offset:         80
        .size:           8
        .value_kind:     by_value
      - .offset:         88
        .size:           4
        .value_kind:     by_value
      - .offset:         96
        .size:           8
        .value_kind:     by_value
      - .address_space:  global
        .offset:         104
        .size:           8
        .value_kind:     global_buffer
      - .offset:         112
        .size:           8
        .value_kind:     by_value
      - .offset:         120
        .size:           4
        .value_kind:     by_value
      - .offset:         128
        .size:           8
        .value_kind:     by_value
      - .offset:         136
        .size:           4
        .value_kind:     by_value
    .group_segment_fixed_size: 1024
    .kernarg_segment_align: 8
    .kernarg_segment_size: 140
    .language:       OpenCL C
    .language_version:
      - 2
      - 0
    .max_flat_workgroup_size: 256
    .name:           _ZL20rocblas_gemvt_kernelILb0ELi256EPK16rocblas_bfloat16fKPfEviiT2_lPKT1_lilS8_lilS5_lPT3_lili
    .private_segment_fixed_size: 0
    .sgpr_count:     26
    .sgpr_spill_count: 0
    .symbol:         _ZL20rocblas_gemvt_kernelILb0ELi256EPK16rocblas_bfloat16fKPfEviiT2_lPKT1_lilS8_lilS5_lPT3_lili.kd
    .uniform_work_group_size: 1
    .uses_dynamic_stack: false
    .vgpr_count:     11
    .vgpr_spill_count: 0
    .wavefront_size: 32
    .workgroup_processor_mode: 1
  - .args:
      - .offset:         0
        .size:           4
        .value_kind:     by_value
      - .offset:         4
        .size:           4
        .value_kind:     by_value
      - .address_space:  global
        .offset:         8
        .size:           8
        .value_kind:     global_buffer
      - .offset:         16
        .size:           8
        .value_kind:     by_value
      - .address_space:  global
        .offset:         24
        .size:           8
        .value_kind:     global_buffer
      - .offset:         32
        .size:           8
        .value_kind:     by_value
      - .offset:         40
        .size:           4
        .value_kind:     by_value
      - .offset:         48
        .size:           8
        .value_kind:     by_value
      - .address_space:  global
        .offset:         56
        .size:           8
        .value_kind:     global_buffer
      - .offset:         64
        .size:           8
        .value_kind:     by_value
      - .offset:         72
        .size:           4
        .value_kind:     by_value
      - .offset:         80
        .size:           8
        .value_kind:     by_value
      - .address_space:  global
        .offset:         88
        .size:           8
        .value_kind:     global_buffer
      - .offset:         96
        .size:           8
        .value_kind:     by_value
      - .address_space:  global
        .offset:         104
        .size:           8
        .value_kind:     global_buffer
      - .offset:         112
        .size:           8
        .value_kind:     by_value
      - .offset:         120
        .size:           4
        .value_kind:     by_value
      - .offset:         128
        .size:           8
        .value_kind:     by_value
      - .offset:         136
        .size:           4
        .value_kind:     by_value
    .group_segment_fixed_size: 128
    .kernarg_segment_align: 8
    .kernarg_segment_size: 140
    .language:       OpenCL C
    .language_version:
      - 2
      - 0
    .max_flat_workgroup_size: 1024
    .name:           _ZL32rocblas_gemvt_warp_reduce_kernelILb0ELi1024EiPK16rocblas_bfloat16PKfKPfEviiT3_lPKT2_lT1_lSA_lSB_lS7_lPT4_lSB_li
    .private_segment_fixed_size: 0
    .sgpr_count:     26
    .sgpr_spill_count: 0
    .symbol:         _ZL32rocblas_gemvt_warp_reduce_kernelILb0ELi1024EiPK16rocblas_bfloat16PKfKPfEviiT3_lPKT2_lT1_lSA_lSB_lS7_lPT4_lSB_li.kd
    .uniform_work_group_size: 1
    .uses_dynamic_stack: false
    .vgpr_count:     12
    .vgpr_spill_count: 0
    .wavefront_size: 32
    .workgroup_processor_mode: 1
  - .args:
      - .offset:         0
        .size:           4
        .value_kind:     by_value
      - .offset:         4
        .size:           4
        .value_kind:     by_value
      - .address_space:  global
        .offset:         8
        .size:           8
        .value_kind:     global_buffer
      - .offset:         16
        .size:           8
        .value_kind:     by_value
      - .address_space:  global
        .offset:         24
        .size:           8
        .value_kind:     global_buffer
      - .offset:         32
        .size:           8
        .value_kind:     by_value
      - .offset:         40
        .size:           8
        .value_kind:     by_value
      - .offset:         48
        .size:           8
        .value_kind:     by_value
      - .address_space:  global
        .offset:         56
        .size:           8
        .value_kind:     global_buffer
      - .offset:         64
        .size:           8
        .value_kind:     by_value
      - .offset:         72
        .size:           8
        .value_kind:     by_value
      - .offset:         80
        .size:           8
        .value_kind:     by_value
      - .address_space:  global
        .offset:         88
        .size:           8
        .value_kind:     global_buffer
      - .offset:         96
        .size:           8
        .value_kind:     by_value
      - .address_space:  global
        .offset:         104
        .size:           8
        .value_kind:     global_buffer
      - .offset:         112
        .size:           8
        .value_kind:     by_value
      - .offset:         120
        .size:           8
        .value_kind:     by_value
      - .offset:         128
        .size:           8
        .value_kind:     by_value
      - .offset:         136
        .size:           4
        .value_kind:     by_value
    .group_segment_fixed_size: 128
    .kernarg_segment_align: 8
    .kernarg_segment_size: 140
    .language:       OpenCL C
    .language_version:
      - 2
      - 0
    .max_flat_workgroup_size: 1024
    .name:           _ZL32rocblas_gemvt_warp_reduce_kernelILb0ELi1024ElPK16rocblas_bfloat16PKfKPfEviiT3_lPKT2_lT1_lSA_lSB_lS7_lPT4_lSB_li
    .private_segment_fixed_size: 0
    .sgpr_count:     33
    .sgpr_spill_count: 0
    .symbol:         _ZL32rocblas_gemvt_warp_reduce_kernelILb0ELi1024ElPK16rocblas_bfloat16PKfKPfEviiT3_lPKT2_lT1_lSA_lSB_lS7_lPT4_lSB_li.kd
    .uniform_work_group_size: 1
    .uses_dynamic_stack: false
    .vgpr_count:     12
    .vgpr_spill_count: 0
    .wavefront_size: 32
    .workgroup_processor_mode: 1
  - .args:
      - .offset:         0
        .size:           4
        .value_kind:     by_value
      - .offset:         4
        .size:           4
        .value_kind:     by_value
      - .offset:         8
        .size:           4
        .value_kind:     by_value
      - .offset:         16
        .size:           8
        .value_kind:     by_value
      - .address_space:  global
        .offset:         24
        .size:           8
        .value_kind:     global_buffer
      - .offset:         32
        .size:           8
        .value_kind:     by_value
      - .offset:         40
        .size:           4
        .value_kind:     by_value
      - .offset:         48
        .size:           8
        .value_kind:     by_value
      - .address_space:  global
        .offset:         56
        .size:           8
        .value_kind:     global_buffer
      - .offset:         64
        .size:           8
        .value_kind:     by_value
      - .offset:         72
        .size:           4
        .value_kind:     by_value
      - .offset:         80
        .size:           8
        .value_kind:     by_value
      - .offset:         88
        .size:           4
        .value_kind:     by_value
      - .offset:         96
        .size:           8
        .value_kind:     by_value
      - .address_space:  global
        .offset:         104
        .size:           8
        .value_kind:     global_buffer
      - .offset:         112
        .size:           8
        .value_kind:     by_value
      - .offset:         120
        .size:           4
        .value_kind:     by_value
      - .offset:         128
        .size:           8
        .value_kind:     by_value
      - .offset:         136
        .size:           4
        .value_kind:     by_value
    .group_segment_fixed_size: 128
    .kernarg_segment_align: 8
    .kernarg_segment_size: 140
    .language:       OpenCL C
    .language_version:
      - 2
      - 0
    .max_flat_workgroup_size: 1024
    .name:           _ZL32rocblas_gemvt_warp_reduce_kernelILb0ELi1024EiPK16rocblas_bfloat16fKPfEviiT3_lPKT2_lT1_lS8_lS9_lS5_lPT4_lS9_li
    .private_segment_fixed_size: 0
    .sgpr_count:     22
    .sgpr_spill_count: 0
    .symbol:         _ZL32rocblas_gemvt_warp_reduce_kernelILb0ELi1024EiPK16rocblas_bfloat16fKPfEviiT3_lPKT2_lT1_lS8_lS9_lS5_lPT4_lS9_li.kd
    .uniform_work_group_size: 1
    .uses_dynamic_stack: false
    .vgpr_count:     12
    .vgpr_spill_count: 0
    .wavefront_size: 32
    .workgroup_processor_mode: 1
  - .args:
      - .offset:         0
        .size:           4
        .value_kind:     by_value
      - .offset:         4
        .size:           4
        .value_kind:     by_value
      - .offset:         8
        .size:           4
        .value_kind:     by_value
      - .offset:         16
        .size:           8
        .value_kind:     by_value
      - .address_space:  global
        .offset:         24
        .size:           8
        .value_kind:     global_buffer
      - .offset:         32
        .size:           8
        .value_kind:     by_value
      - .offset:         40
        .size:           8
        .value_kind:     by_value
      - .offset:         48
        .size:           8
        .value_kind:     by_value
      - .address_space:  global
        .offset:         56
        .size:           8
        .value_kind:     global_buffer
      - .offset:         64
        .size:           8
        .value_kind:     by_value
      - .offset:         72
        .size:           8
        .value_kind:     by_value
      - .offset:         80
        .size:           8
        .value_kind:     by_value
      - .offset:         88
        .size:           4
        .value_kind:     by_value
      - .offset:         96
        .size:           8
        .value_kind:     by_value
      - .address_space:  global
        .offset:         104
        .size:           8
        .value_kind:     global_buffer
      - .offset:         112
        .size:           8
        .value_kind:     by_value
      - .offset:         120
        .size:           8
        .value_kind:     by_value
      - .offset:         128
        .size:           8
        .value_kind:     by_value
      - .offset:         136
        .size:           4
        .value_kind:     by_value
    .group_segment_fixed_size: 128
    .kernarg_segment_align: 8
    .kernarg_segment_size: 140
    .language:       OpenCL C
    .language_version:
      - 2
      - 0
    .max_flat_workgroup_size: 1024
    .name:           _ZL32rocblas_gemvt_warp_reduce_kernelILb0ELi1024ElPK16rocblas_bfloat16fKPfEviiT3_lPKT2_lT1_lS8_lS9_lS5_lPT4_lS9_li
    .private_segment_fixed_size: 0
    .sgpr_count:     30
    .sgpr_spill_count: 0
    .symbol:         _ZL32rocblas_gemvt_warp_reduce_kernelILb0ELi1024ElPK16rocblas_bfloat16fKPfEviiT3_lPKT2_lT1_lS8_lS9_lS5_lPT4_lS9_li.kd
    .uniform_work_group_size: 1
    .uses_dynamic_stack: false
    .vgpr_count:     12
    .vgpr_spill_count: 0
    .wavefront_size: 32
    .workgroup_processor_mode: 1
  - .args:
      - .offset:         0
        .size:           4
        .value_kind:     by_value
      - .offset:         4
        .size:           4
        .value_kind:     by_value
      - .address_space:  global
        .offset:         8
        .size:           8
        .value_kind:     global_buffer
      - .offset:         16
        .size:           8
        .value_kind:     by_value
      - .address_space:  global
        .offset:         24
        .size:           8
        .value_kind:     global_buffer
      - .offset:         32
        .size:           8
        .value_kind:     by_value
      - .offset:         40
        .size:           4
        .value_kind:     by_value
      - .offset:         48
        .size:           8
        .value_kind:     by_value
      - .address_space:  global
        .offset:         56
        .size:           8
        .value_kind:     global_buffer
      - .offset:         64
        .size:           8
        .value_kind:     by_value
      - .offset:         72
        .size:           4
        .value_kind:     by_value
      - .offset:         80
        .size:           8
        .value_kind:     by_value
      - .address_space:  global
        .offset:         88
        .size:           8
        .value_kind:     global_buffer
      - .offset:         96
        .size:           8
        .value_kind:     by_value
      - .address_space:  global
        .offset:         104
        .size:           8
        .value_kind:     global_buffer
      - .offset:         112
        .size:           8
        .value_kind:     by_value
      - .offset:         120
        .size:           4
        .value_kind:     by_value
      - .offset:         128
        .size:           8
        .value_kind:     by_value
    .group_segment_fixed_size: 256
    .kernarg_segment_align: 8
    .kernarg_segment_size: 136
    .language:       OpenCL C
    .language_version:
      - 2
      - 0
    .max_flat_workgroup_size: 256
    .name:           _ZL22rocblas_gemvtsm_kernelILb1ELi256EPK16rocblas_bfloat16PKfKPfEviiT2_lPKT1_lilSA_lilS7_lPT3_lil
    .private_segment_fixed_size: 0
    .sgpr_count:     26
    .sgpr_spill_count: 0
    .symbol:         _ZL22rocblas_gemvtsm_kernelILb1ELi256EPK16rocblas_bfloat16PKfKPfEviiT2_lPKT1_lilSA_lilS7_lPT3_lil.kd
    .uniform_work_group_size: 1
    .uses_dynamic_stack: false
    .vgpr_count:     14
    .vgpr_spill_count: 0
    .wavefront_size: 32
    .workgroup_processor_mode: 1
  - .args:
      - .offset:         0
        .size:           4
        .value_kind:     by_value
      - .offset:         4
        .size:           4
        .value_kind:     by_value
      - .offset:         8
        .size:           4
        .value_kind:     by_value
      - .offset:         16
        .size:           8
        .value_kind:     by_value
      - .address_space:  global
        .offset:         24
        .size:           8
        .value_kind:     global_buffer
      - .offset:         32
        .size:           8
        .value_kind:     by_value
      - .offset:         40
        .size:           4
        .value_kind:     by_value
      - .offset:         48
        .size:           8
        .value_kind:     by_value
      - .address_space:  global
        .offset:         56
        .size:           8
        .value_kind:     global_buffer
      - .offset:         64
        .size:           8
        .value_kind:     by_value
      - .offset:         72
        .size:           4
        .value_kind:     by_value
      - .offset:         80
        .size:           8
        .value_kind:     by_value
      - .offset:         88
        .size:           4
        .value_kind:     by_value
      - .offset:         96
        .size:           8
        .value_kind:     by_value
      - .address_space:  global
        .offset:         104
        .size:           8
        .value_kind:     global_buffer
      - .offset:         112
        .size:           8
        .value_kind:     by_value
      - .offset:         120
        .size:           4
        .value_kind:     by_value
      - .offset:         128
        .size:           8
        .value_kind:     by_value
    .group_segment_fixed_size: 256
    .kernarg_segment_align: 8
    .kernarg_segment_size: 136
    .language:       OpenCL C
    .language_version:
      - 2
      - 0
    .max_flat_workgroup_size: 256
    .name:           _ZL22rocblas_gemvtsm_kernelILb1ELi256EPK16rocblas_bfloat16fKPfEviiT2_lPKT1_lilS8_lilS5_lPT3_lil
    .private_segment_fixed_size: 0
    .sgpr_count:     26
    .sgpr_spill_count: 0
    .symbol:         _ZL22rocblas_gemvtsm_kernelILb1ELi256EPK16rocblas_bfloat16fKPfEviiT2_lPKT1_lilS8_lilS5_lPT3_lil.kd
    .uniform_work_group_size: 1
    .uses_dynamic_stack: false
    .vgpr_count:     14
    .vgpr_spill_count: 0
    .wavefront_size: 32
    .workgroup_processor_mode: 1
  - .args:
      - .offset:         0
        .size:           4
        .value_kind:     by_value
      - .offset:         4
        .size:           4
        .value_kind:     by_value
      - .address_space:  global
        .offset:         8
        .size:           8
        .value_kind:     global_buffer
      - .offset:         16
        .size:           8
        .value_kind:     by_value
      - .address_space:  global
        .offset:         24
        .size:           8
        .value_kind:     global_buffer
      - .offset:         32
        .size:           8
        .value_kind:     by_value
      - .offset:         40
        .size:           4
        .value_kind:     by_value
      - .offset:         48
        .size:           8
        .value_kind:     by_value
      - .address_space:  global
        .offset:         56
        .size:           8
        .value_kind:     global_buffer
      - .offset:         64
        .size:           8
        .value_kind:     by_value
      - .offset:         72
        .size:           4
        .value_kind:     by_value
      - .offset:         80
        .size:           8
        .value_kind:     by_value
      - .address_space:  global
        .offset:         88
        .size:           8
        .value_kind:     global_buffer
      - .offset:         96
        .size:           8
        .value_kind:     by_value
      - .address_space:  global
        .offset:         104
        .size:           8
        .value_kind:     global_buffer
      - .offset:         112
        .size:           8
        .value_kind:     by_value
      - .offset:         120
        .size:           4
        .value_kind:     by_value
      - .offset:         128
        .size:           8
        .value_kind:     by_value
      - .offset:         136
        .size:           4
        .value_kind:     by_value
    .group_segment_fixed_size: 1024
    .kernarg_segment_align: 8
    .kernarg_segment_size: 140
    .language:       OpenCL C
    .language_version:
      - 2
      - 0
    .max_flat_workgroup_size: 256
    .name:           _ZL20rocblas_gemvt_kernelILb1ELi256EPK16rocblas_bfloat16PKfKPfEviiT2_lPKT1_lilSA_lilS7_lPT3_lili
    .private_segment_fixed_size: 0
    .sgpr_count:     26
    .sgpr_spill_count: 0
    .symbol:         _ZL20rocblas_gemvt_kernelILb1ELi256EPK16rocblas_bfloat16PKfKPfEviiT2_lPKT1_lilSA_lilS7_lPT3_lili.kd
    .uniform_work_group_size: 1
    .uses_dynamic_stack: false
    .vgpr_count:     11
    .vgpr_spill_count: 0
    .wavefront_size: 32
    .workgroup_processor_mode: 1
  - .args:
      - .offset:         0
        .size:           4
        .value_kind:     by_value
      - .offset:         4
        .size:           4
        .value_kind:     by_value
      - .offset:         8
        .size:           4
        .value_kind:     by_value
      - .offset:         16
        .size:           8
        .value_kind:     by_value
      - .address_space:  global
        .offset:         24
        .size:           8
        .value_kind:     global_buffer
      - .offset:         32
        .size:           8
        .value_kind:     by_value
      - .offset:         40
        .size:           4
        .value_kind:     by_value
      - .offset:         48
        .size:           8
        .value_kind:     by_value
      - .address_space:  global
        .offset:         56
        .size:           8
        .value_kind:     global_buffer
      - .offset:         64
        .size:           8
        .value_kind:     by_value
      - .offset:         72
        .size:           4
        .value_kind:     by_value
      - .offset:         80
        .size:           8
        .value_kind:     by_value
      - .offset:         88
        .size:           4
        .value_kind:     by_value
      - .offset:         96
        .size:           8
        .value_kind:     by_value
      - .address_space:  global
        .offset:         104
        .size:           8
        .value_kind:     global_buffer
      - .offset:         112
        .size:           8
        .value_kind:     by_value
      - .offset:         120
        .size:           4
        .value_kind:     by_value
      - .offset:         128
        .size:           8
        .value_kind:     by_value
      - .offset:         136
        .size:           4
        .value_kind:     by_value
    .group_segment_fixed_size: 1024
    .kernarg_segment_align: 8
    .kernarg_segment_size: 140
    .language:       OpenCL C
    .language_version:
      - 2
      - 0
    .max_flat_workgroup_size: 256
    .name:           _ZL20rocblas_gemvt_kernelILb1ELi256EPK16rocblas_bfloat16fKPfEviiT2_lPKT1_lilS8_lilS5_lPT3_lili
    .private_segment_fixed_size: 0
    .sgpr_count:     26
    .sgpr_spill_count: 0
    .symbol:         _ZL20rocblas_gemvt_kernelILb1ELi256EPK16rocblas_bfloat16fKPfEviiT2_lPKT1_lilS8_lilS5_lPT3_lili.kd
    .uniform_work_group_size: 1
    .uses_dynamic_stack: false
    .vgpr_count:     11
    .vgpr_spill_count: 0
    .wavefront_size: 32
    .workgroup_processor_mode: 1
  - .args:
      - .offset:         0
        .size:           4
        .value_kind:     by_value
      - .offset:         4
        .size:           4
        .value_kind:     by_value
      - .address_space:  global
        .offset:         8
        .size:           8
        .value_kind:     global_buffer
      - .offset:         16
        .size:           8
        .value_kind:     by_value
      - .address_space:  global
        .offset:         24
        .size:           8
        .value_kind:     global_buffer
      - .offset:         32
        .size:           8
        .value_kind:     by_value
      - .offset:         40
        .size:           4
        .value_kind:     by_value
      - .offset:         48
        .size:           8
        .value_kind:     by_value
      - .address_space:  global
        .offset:         56
        .size:           8
        .value_kind:     global_buffer
      - .offset:         64
        .size:           8
        .value_kind:     by_value
      - .offset:         72
        .size:           4
        .value_kind:     by_value
      - .offset:         80
        .size:           8
        .value_kind:     by_value
      - .address_space:  global
        .offset:         88
        .size:           8
        .value_kind:     global_buffer
      - .offset:         96
        .size:           8
        .value_kind:     by_value
      - .address_space:  global
        .offset:         104
        .size:           8
        .value_kind:     global_buffer
      - .offset:         112
        .size:           8
        .value_kind:     by_value
      - .offset:         120
        .size:           4
        .value_kind:     by_value
      - .offset:         128
        .size:           8
        .value_kind:     by_value
      - .offset:         136
        .size:           4
        .value_kind:     by_value
    .group_segment_fixed_size: 128
    .kernarg_segment_align: 8
    .kernarg_segment_size: 140
    .language:       OpenCL C
    .language_version:
      - 2
      - 0
    .max_flat_workgroup_size: 1024
    .name:           _ZL32rocblas_gemvt_warp_reduce_kernelILb1ELi1024EiPK16rocblas_bfloat16PKfKPfEviiT3_lPKT2_lT1_lSA_lSB_lS7_lPT4_lSB_li
    .private_segment_fixed_size: 0
    .sgpr_count:     26
    .sgpr_spill_count: 0
    .symbol:         _ZL32rocblas_gemvt_warp_reduce_kernelILb1ELi1024EiPK16rocblas_bfloat16PKfKPfEviiT3_lPKT2_lT1_lSA_lSB_lS7_lPT4_lSB_li.kd
    .uniform_work_group_size: 1
    .uses_dynamic_stack: false
    .vgpr_count:     12
    .vgpr_spill_count: 0
    .wavefront_size: 32
    .workgroup_processor_mode: 1
  - .args:
      - .offset:         0
        .size:           4
        .value_kind:     by_value
      - .offset:         4
        .size:           4
        .value_kind:     by_value
      - .address_space:  global
        .offset:         8
        .size:           8
        .value_kind:     global_buffer
      - .offset:         16
        .size:           8
        .value_kind:     by_value
      - .address_space:  global
        .offset:         24
        .size:           8
        .value_kind:     global_buffer
      - .offset:         32
        .size:           8
        .value_kind:     by_value
      - .offset:         40
        .size:           8
        .value_kind:     by_value
      - .offset:         48
        .size:           8
        .value_kind:     by_value
      - .address_space:  global
        .offset:         56
        .size:           8
        .value_kind:     global_buffer
      - .offset:         64
        .size:           8
        .value_kind:     by_value
      - .offset:         72
        .size:           8
        .value_kind:     by_value
      - .offset:         80
        .size:           8
        .value_kind:     by_value
      - .address_space:  global
        .offset:         88
        .size:           8
        .value_kind:     global_buffer
      - .offset:         96
        .size:           8
        .value_kind:     by_value
      - .address_space:  global
        .offset:         104
        .size:           8
        .value_kind:     global_buffer
      - .offset:         112
        .size:           8
        .value_kind:     by_value
      - .offset:         120
        .size:           8
        .value_kind:     by_value
      - .offset:         128
        .size:           8
        .value_kind:     by_value
      - .offset:         136
        .size:           4
        .value_kind:     by_value
    .group_segment_fixed_size: 128
    .kernarg_segment_align: 8
    .kernarg_segment_size: 140
    .language:       OpenCL C
    .language_version:
      - 2
      - 0
    .max_flat_workgroup_size: 1024
    .name:           _ZL32rocblas_gemvt_warp_reduce_kernelILb1ELi1024ElPK16rocblas_bfloat16PKfKPfEviiT3_lPKT2_lT1_lSA_lSB_lS7_lPT4_lSB_li
    .private_segment_fixed_size: 0
    .sgpr_count:     33
    .sgpr_spill_count: 0
    .symbol:         _ZL32rocblas_gemvt_warp_reduce_kernelILb1ELi1024ElPK16rocblas_bfloat16PKfKPfEviiT3_lPKT2_lT1_lSA_lSB_lS7_lPT4_lSB_li.kd
    .uniform_work_group_size: 1
    .uses_dynamic_stack: false
    .vgpr_count:     12
    .vgpr_spill_count: 0
    .wavefront_size: 32
    .workgroup_processor_mode: 1
  - .args:
      - .offset:         0
        .size:           4
        .value_kind:     by_value
      - .offset:         4
        .size:           4
        .value_kind:     by_value
      - .offset:         8
        .size:           4
        .value_kind:     by_value
      - .offset:         16
        .size:           8
        .value_kind:     by_value
      - .address_space:  global
        .offset:         24
        .size:           8
        .value_kind:     global_buffer
      - .offset:         32
        .size:           8
        .value_kind:     by_value
      - .offset:         40
        .size:           4
        .value_kind:     by_value
      - .offset:         48
        .size:           8
        .value_kind:     by_value
      - .address_space:  global
        .offset:         56
        .size:           8
        .value_kind:     global_buffer
      - .offset:         64
        .size:           8
        .value_kind:     by_value
      - .offset:         72
        .size:           4
        .value_kind:     by_value
      - .offset:         80
        .size:           8
        .value_kind:     by_value
      - .offset:         88
        .size:           4
        .value_kind:     by_value
      - .offset:         96
        .size:           8
        .value_kind:     by_value
      - .address_space:  global
        .offset:         104
        .size:           8
        .value_kind:     global_buffer
      - .offset:         112
        .size:           8
        .value_kind:     by_value
      - .offset:         120
        .size:           4
        .value_kind:     by_value
      - .offset:         128
        .size:           8
        .value_kind:     by_value
      - .offset:         136
        .size:           4
        .value_kind:     by_value
    .group_segment_fixed_size: 128
    .kernarg_segment_align: 8
    .kernarg_segment_size: 140
    .language:       OpenCL C
    .language_version:
      - 2
      - 0
    .max_flat_workgroup_size: 1024
    .name:           _ZL32rocblas_gemvt_warp_reduce_kernelILb1ELi1024EiPK16rocblas_bfloat16fKPfEviiT3_lPKT2_lT1_lS8_lS9_lS5_lPT4_lS9_li
    .private_segment_fixed_size: 0
    .sgpr_count:     22
    .sgpr_spill_count: 0
    .symbol:         _ZL32rocblas_gemvt_warp_reduce_kernelILb1ELi1024EiPK16rocblas_bfloat16fKPfEviiT3_lPKT2_lT1_lS8_lS9_lS5_lPT4_lS9_li.kd
    .uniform_work_group_size: 1
    .uses_dynamic_stack: false
    .vgpr_count:     12
    .vgpr_spill_count: 0
    .wavefront_size: 32
    .workgroup_processor_mode: 1
  - .args:
      - .offset:         0
        .size:           4
        .value_kind:     by_value
      - .offset:         4
        .size:           4
        .value_kind:     by_value
      - .offset:         8
        .size:           4
        .value_kind:     by_value
      - .offset:         16
        .size:           8
        .value_kind:     by_value
      - .address_space:  global
        .offset:         24
        .size:           8
        .value_kind:     global_buffer
      - .offset:         32
        .size:           8
        .value_kind:     by_value
      - .offset:         40
        .size:           8
        .value_kind:     by_value
      - .offset:         48
        .size:           8
        .value_kind:     by_value
      - .address_space:  global
        .offset:         56
        .size:           8
        .value_kind:     global_buffer
      - .offset:         64
        .size:           8
        .value_kind:     by_value
      - .offset:         72
        .size:           8
        .value_kind:     by_value
      - .offset:         80
        .size:           8
        .value_kind:     by_value
      - .offset:         88
        .size:           4
        .value_kind:     by_value
      - .offset:         96
        .size:           8
        .value_kind:     by_value
      - .address_space:  global
        .offset:         104
        .size:           8
        .value_kind:     global_buffer
      - .offset:         112
        .size:           8
        .value_kind:     by_value
      - .offset:         120
        .size:           8
        .value_kind:     by_value
      - .offset:         128
        .size:           8
        .value_kind:     by_value
      - .offset:         136
        .size:           4
        .value_kind:     by_value
    .group_segment_fixed_size: 128
    .kernarg_segment_align: 8
    .kernarg_segment_size: 140
    .language:       OpenCL C
    .language_version:
      - 2
      - 0
    .max_flat_workgroup_size: 1024
    .name:           _ZL32rocblas_gemvt_warp_reduce_kernelILb1ELi1024ElPK16rocblas_bfloat16fKPfEviiT3_lPKT2_lT1_lS8_lS9_lS5_lPT4_lS9_li
    .private_segment_fixed_size: 0
    .sgpr_count:     30
    .sgpr_spill_count: 0
    .symbol:         _ZL32rocblas_gemvt_warp_reduce_kernelILb1ELi1024ElPK16rocblas_bfloat16fKPfEviiT3_lPKT2_lT1_lS8_lS9_lS5_lPT4_lS9_li.kd
    .uniform_work_group_size: 1
    .uses_dynamic_stack: false
    .vgpr_count:     12
    .vgpr_spill_count: 0
    .wavefront_size: 32
    .workgroup_processor_mode: 1
amdhsa.target:   amdgcn-amd-amdhsa--gfx1030
amdhsa.version:
  - 1
  - 2
...

	.end_amdgpu_metadata
